;; amdgpu-corpus repo=pytorch/pytorch kind=compiled arch=gfx906 opt=O3
	.amdgcn_target "amdgcn-amd-amdhsa--gfx906"
	.amdhsa_code_object_version 6
	.section	.text._ZN7rocprim17ROCPRIM_400000_NS6detail31init_lookback_scan_state_kernelINS1_19lookback_scan_stateIdLb0ELb1EEENS1_16block_id_wrapperIjLb0EEEEEvT_jT0_jPNS7_10value_typeE,"axG",@progbits,_ZN7rocprim17ROCPRIM_400000_NS6detail31init_lookback_scan_state_kernelINS1_19lookback_scan_stateIdLb0ELb1EEENS1_16block_id_wrapperIjLb0EEEEEvT_jT0_jPNS7_10value_typeE,comdat
	.protected	_ZN7rocprim17ROCPRIM_400000_NS6detail31init_lookback_scan_state_kernelINS1_19lookback_scan_stateIdLb0ELb1EEENS1_16block_id_wrapperIjLb0EEEEEvT_jT0_jPNS7_10value_typeE ; -- Begin function _ZN7rocprim17ROCPRIM_400000_NS6detail31init_lookback_scan_state_kernelINS1_19lookback_scan_stateIdLb0ELb1EEENS1_16block_id_wrapperIjLb0EEEEEvT_jT0_jPNS7_10value_typeE
	.globl	_ZN7rocprim17ROCPRIM_400000_NS6detail31init_lookback_scan_state_kernelINS1_19lookback_scan_stateIdLb0ELb1EEENS1_16block_id_wrapperIjLb0EEEEEvT_jT0_jPNS7_10value_typeE
	.p2align	8
	.type	_ZN7rocprim17ROCPRIM_400000_NS6detail31init_lookback_scan_state_kernelINS1_19lookback_scan_stateIdLb0ELb1EEENS1_16block_id_wrapperIjLb0EEEEEvT_jT0_jPNS7_10value_typeE,@function
_ZN7rocprim17ROCPRIM_400000_NS6detail31init_lookback_scan_state_kernelINS1_19lookback_scan_stateIdLb0ELb1EEENS1_16block_id_wrapperIjLb0EEEEEvT_jT0_jPNS7_10value_typeE: ; @_ZN7rocprim17ROCPRIM_400000_NS6detail31init_lookback_scan_state_kernelINS1_19lookback_scan_stateIdLb0ELb1EEENS1_16block_id_wrapperIjLb0EEEEEvT_jT0_jPNS7_10value_typeE
; %bb.0:
	s_load_dword s7, s[4:5], 0x2c
	s_load_dwordx2 s[2:3], s[4:5], 0x18
	s_load_dwordx2 s[0:1], s[4:5], 0x0
	s_load_dword s12, s[4:5], 0x8
	s_waitcnt lgkmcnt(0)
	s_and_b32 s7, s7, 0xffff
	s_mul_i32 s6, s6, s7
	s_cmp_eq_u64 s[2:3], 0
	v_add_u32_e32 v0, s6, v0
	s_cbranch_scc1 .LBB0_8
; %bb.1:
	s_load_dword s6, s[4:5], 0x10
	s_mov_b32 s7, 0
	s_waitcnt lgkmcnt(0)
	s_cmp_lt_u32 s6, s12
	s_cselect_b32 s4, s6, 0
	v_cmp_eq_u32_e32 vcc, s4, v0
	s_and_saveexec_b64 s[4:5], vcc
	s_cbranch_execz .LBB0_7
; %bb.2:
	s_add_i32 s6, s6, 64
	s_lshl_b64 s[6:7], s[6:7], 4
	s_add_u32 s10, s0, s6
	s_addc_u32 s11, s1, s7
	v_mov_b32_e32 v1, s10
	v_mov_b32_e32 v2, s11
	;;#ASMSTART
	global_load_dwordx4 v[1:4], v[1:2] off glc	
s_waitcnt vmcnt(0)
	;;#ASMEND
	v_and_b32_e32 v4, 0xff, v3
	v_mov_b32_e32 v5, 0
	v_cmp_eq_u64_e32 vcc, 0, v[4:5]
	s_mov_b64 s[8:9], 0
	s_and_saveexec_b64 s[6:7], vcc
	s_cbranch_execz .LBB0_6
; %bb.3:
	v_mov_b32_e32 v6, s10
	v_mov_b32_e32 v7, s11
.LBB0_4:                                ; =>This Inner Loop Header: Depth=1
	;;#ASMSTART
	global_load_dwordx4 v[1:4], v[6:7] off glc	
s_waitcnt vmcnt(0)
	;;#ASMEND
	v_and_b32_e32 v4, 0xff, v3
	v_cmp_ne_u64_e32 vcc, 0, v[4:5]
	s_or_b64 s[8:9], vcc, s[8:9]
	s_andn2_b64 exec, exec, s[8:9]
	s_cbranch_execnz .LBB0_4
; %bb.5:
	s_or_b64 exec, exec, s[8:9]
.LBB0_6:
	s_or_b64 exec, exec, s[6:7]
	v_mov_b32_e32 v3, 0
	global_store_dwordx2 v3, v[1:2], s[2:3]
.LBB0_7:
	s_or_b64 exec, exec, s[4:5]
.LBB0_8:
	v_cmp_gt_u32_e32 vcc, s12, v0
	s_and_saveexec_b64 s[2:3], vcc
	s_cbranch_execnz .LBB0_11
; %bb.9:
	s_or_b64 exec, exec, s[2:3]
	v_cmp_gt_u32_e32 vcc, 64, v0
	s_and_saveexec_b64 s[2:3], vcc
	s_cbranch_execnz .LBB0_12
.LBB0_10:
	s_endpgm
.LBB0_11:
	v_add_u32_e32 v1, 64, v0
	v_mov_b32_e32 v2, 0
	v_lshlrev_b64 v[3:4], 4, v[1:2]
	v_mov_b32_e32 v1, s1
	v_add_co_u32_e32 v5, vcc, s0, v3
	v_addc_co_u32_e32 v6, vcc, v1, v4, vcc
	v_mov_b32_e32 v1, v2
	v_mov_b32_e32 v3, v2
	;; [unrolled: 1-line block ×3, first 2 shown]
	global_store_dwordx4 v[5:6], v[1:4], off
	s_or_b64 exec, exec, s[2:3]
	v_cmp_gt_u32_e32 vcc, 64, v0
	s_and_saveexec_b64 s[2:3], vcc
	s_cbranch_execz .LBB0_10
.LBB0_12:
	v_mov_b32_e32 v1, 0
	v_lshlrev_b64 v[2:3], 4, v[0:1]
	v_mov_b32_e32 v0, s1
	v_add_co_u32_e32 v4, vcc, s0, v2
	v_addc_co_u32_e32 v5, vcc, v0, v3, vcc
	v_mov_b32_e32 v2, 0xff
	v_mov_b32_e32 v0, v1
	v_mov_b32_e32 v3, v1
	global_store_dwordx4 v[4:5], v[0:3], off
	s_endpgm
	.section	.rodata,"a",@progbits
	.p2align	6, 0x0
	.amdhsa_kernel _ZN7rocprim17ROCPRIM_400000_NS6detail31init_lookback_scan_state_kernelINS1_19lookback_scan_stateIdLb0ELb1EEENS1_16block_id_wrapperIjLb0EEEEEvT_jT0_jPNS7_10value_typeE
		.amdhsa_group_segment_fixed_size 0
		.amdhsa_private_segment_fixed_size 0
		.amdhsa_kernarg_size 288
		.amdhsa_user_sgpr_count 6
		.amdhsa_user_sgpr_private_segment_buffer 1
		.amdhsa_user_sgpr_dispatch_ptr 0
		.amdhsa_user_sgpr_queue_ptr 0
		.amdhsa_user_sgpr_kernarg_segment_ptr 1
		.amdhsa_user_sgpr_dispatch_id 0
		.amdhsa_user_sgpr_flat_scratch_init 0
		.amdhsa_user_sgpr_private_segment_size 0
		.amdhsa_uses_dynamic_stack 0
		.amdhsa_system_sgpr_private_segment_wavefront_offset 0
		.amdhsa_system_sgpr_workgroup_id_x 1
		.amdhsa_system_sgpr_workgroup_id_y 0
		.amdhsa_system_sgpr_workgroup_id_z 0
		.amdhsa_system_sgpr_workgroup_info 0
		.amdhsa_system_vgpr_workitem_id 0
		.amdhsa_next_free_vgpr 8
		.amdhsa_next_free_sgpr 13
		.amdhsa_reserve_vcc 1
		.amdhsa_reserve_flat_scratch 0
		.amdhsa_float_round_mode_32 0
		.amdhsa_float_round_mode_16_64 0
		.amdhsa_float_denorm_mode_32 3
		.amdhsa_float_denorm_mode_16_64 3
		.amdhsa_dx10_clamp 1
		.amdhsa_ieee_mode 1
		.amdhsa_fp16_overflow 0
		.amdhsa_exception_fp_ieee_invalid_op 0
		.amdhsa_exception_fp_denorm_src 0
		.amdhsa_exception_fp_ieee_div_zero 0
		.amdhsa_exception_fp_ieee_overflow 0
		.amdhsa_exception_fp_ieee_underflow 0
		.amdhsa_exception_fp_ieee_inexact 0
		.amdhsa_exception_int_div_zero 0
	.end_amdhsa_kernel
	.section	.text._ZN7rocprim17ROCPRIM_400000_NS6detail31init_lookback_scan_state_kernelINS1_19lookback_scan_stateIdLb0ELb1EEENS1_16block_id_wrapperIjLb0EEEEEvT_jT0_jPNS7_10value_typeE,"axG",@progbits,_ZN7rocprim17ROCPRIM_400000_NS6detail31init_lookback_scan_state_kernelINS1_19lookback_scan_stateIdLb0ELb1EEENS1_16block_id_wrapperIjLb0EEEEEvT_jT0_jPNS7_10value_typeE,comdat
.Lfunc_end0:
	.size	_ZN7rocprim17ROCPRIM_400000_NS6detail31init_lookback_scan_state_kernelINS1_19lookback_scan_stateIdLb0ELb1EEENS1_16block_id_wrapperIjLb0EEEEEvT_jT0_jPNS7_10value_typeE, .Lfunc_end0-_ZN7rocprim17ROCPRIM_400000_NS6detail31init_lookback_scan_state_kernelINS1_19lookback_scan_stateIdLb0ELb1EEENS1_16block_id_wrapperIjLb0EEEEEvT_jT0_jPNS7_10value_typeE
                                        ; -- End function
	.set _ZN7rocprim17ROCPRIM_400000_NS6detail31init_lookback_scan_state_kernelINS1_19lookback_scan_stateIdLb0ELb1EEENS1_16block_id_wrapperIjLb0EEEEEvT_jT0_jPNS7_10value_typeE.num_vgpr, 8
	.set _ZN7rocprim17ROCPRIM_400000_NS6detail31init_lookback_scan_state_kernelINS1_19lookback_scan_stateIdLb0ELb1EEENS1_16block_id_wrapperIjLb0EEEEEvT_jT0_jPNS7_10value_typeE.num_agpr, 0
	.set _ZN7rocprim17ROCPRIM_400000_NS6detail31init_lookback_scan_state_kernelINS1_19lookback_scan_stateIdLb0ELb1EEENS1_16block_id_wrapperIjLb0EEEEEvT_jT0_jPNS7_10value_typeE.numbered_sgpr, 13
	.set _ZN7rocprim17ROCPRIM_400000_NS6detail31init_lookback_scan_state_kernelINS1_19lookback_scan_stateIdLb0ELb1EEENS1_16block_id_wrapperIjLb0EEEEEvT_jT0_jPNS7_10value_typeE.num_named_barrier, 0
	.set _ZN7rocprim17ROCPRIM_400000_NS6detail31init_lookback_scan_state_kernelINS1_19lookback_scan_stateIdLb0ELb1EEENS1_16block_id_wrapperIjLb0EEEEEvT_jT0_jPNS7_10value_typeE.private_seg_size, 0
	.set _ZN7rocprim17ROCPRIM_400000_NS6detail31init_lookback_scan_state_kernelINS1_19lookback_scan_stateIdLb0ELb1EEENS1_16block_id_wrapperIjLb0EEEEEvT_jT0_jPNS7_10value_typeE.uses_vcc, 1
	.set _ZN7rocprim17ROCPRIM_400000_NS6detail31init_lookback_scan_state_kernelINS1_19lookback_scan_stateIdLb0ELb1EEENS1_16block_id_wrapperIjLb0EEEEEvT_jT0_jPNS7_10value_typeE.uses_flat_scratch, 0
	.set _ZN7rocprim17ROCPRIM_400000_NS6detail31init_lookback_scan_state_kernelINS1_19lookback_scan_stateIdLb0ELb1EEENS1_16block_id_wrapperIjLb0EEEEEvT_jT0_jPNS7_10value_typeE.has_dyn_sized_stack, 0
	.set _ZN7rocprim17ROCPRIM_400000_NS6detail31init_lookback_scan_state_kernelINS1_19lookback_scan_stateIdLb0ELb1EEENS1_16block_id_wrapperIjLb0EEEEEvT_jT0_jPNS7_10value_typeE.has_recursion, 0
	.set _ZN7rocprim17ROCPRIM_400000_NS6detail31init_lookback_scan_state_kernelINS1_19lookback_scan_stateIdLb0ELb1EEENS1_16block_id_wrapperIjLb0EEEEEvT_jT0_jPNS7_10value_typeE.has_indirect_call, 0
	.section	.AMDGPU.csdata,"",@progbits
; Kernel info:
; codeLenInByte = 384
; TotalNumSgprs: 17
; NumVgprs: 8
; ScratchSize: 0
; MemoryBound: 0
; FloatMode: 240
; IeeeMode: 1
; LDSByteSize: 0 bytes/workgroup (compile time only)
; SGPRBlocks: 2
; VGPRBlocks: 1
; NumSGPRsForWavesPerEU: 17
; NumVGPRsForWavesPerEU: 8
; Occupancy: 10
; WaveLimiterHint : 0
; COMPUTE_PGM_RSRC2:SCRATCH_EN: 0
; COMPUTE_PGM_RSRC2:USER_SGPR: 6
; COMPUTE_PGM_RSRC2:TRAP_HANDLER: 0
; COMPUTE_PGM_RSRC2:TGID_X_EN: 1
; COMPUTE_PGM_RSRC2:TGID_Y_EN: 0
; COMPUTE_PGM_RSRC2:TGID_Z_EN: 0
; COMPUTE_PGM_RSRC2:TIDIG_COMP_CNT: 0
	.section	.text._ZN7rocprim17ROCPRIM_400000_NS6detail17trampoline_kernelINS0_14default_configENS1_20scan_config_selectorIdEEZZNS1_9scan_implILNS1_25lookback_scan_determinismE0ELb0ELb0ES3_PKdPddZZZN2at6native31launch_logcumsumexp_cuda_kernelERKNSB_10TensorBaseESF_lENKUlvE_clEvENKUlvE_clEvEUlddE_dEEDaPvRmT3_T4_T5_mT6_P12ihipStream_tbENKUlT_T0_E_clISt17integral_constantIbLb0EESW_EEDaSR_SS_EUlSR_E_NS1_11comp_targetILNS1_3genE0ELNS1_11target_archE4294967295ELNS1_3gpuE0ELNS1_3repE0EEENS1_30default_config_static_selectorELNS0_4arch9wavefront6targetE1EEEvT1_,"axG",@progbits,_ZN7rocprim17ROCPRIM_400000_NS6detail17trampoline_kernelINS0_14default_configENS1_20scan_config_selectorIdEEZZNS1_9scan_implILNS1_25lookback_scan_determinismE0ELb0ELb0ES3_PKdPddZZZN2at6native31launch_logcumsumexp_cuda_kernelERKNSB_10TensorBaseESF_lENKUlvE_clEvENKUlvE_clEvEUlddE_dEEDaPvRmT3_T4_T5_mT6_P12ihipStream_tbENKUlT_T0_E_clISt17integral_constantIbLb0EESW_EEDaSR_SS_EUlSR_E_NS1_11comp_targetILNS1_3genE0ELNS1_11target_archE4294967295ELNS1_3gpuE0ELNS1_3repE0EEENS1_30default_config_static_selectorELNS0_4arch9wavefront6targetE1EEEvT1_,comdat
	.globl	_ZN7rocprim17ROCPRIM_400000_NS6detail17trampoline_kernelINS0_14default_configENS1_20scan_config_selectorIdEEZZNS1_9scan_implILNS1_25lookback_scan_determinismE0ELb0ELb0ES3_PKdPddZZZN2at6native31launch_logcumsumexp_cuda_kernelERKNSB_10TensorBaseESF_lENKUlvE_clEvENKUlvE_clEvEUlddE_dEEDaPvRmT3_T4_T5_mT6_P12ihipStream_tbENKUlT_T0_E_clISt17integral_constantIbLb0EESW_EEDaSR_SS_EUlSR_E_NS1_11comp_targetILNS1_3genE0ELNS1_11target_archE4294967295ELNS1_3gpuE0ELNS1_3repE0EEENS1_30default_config_static_selectorELNS0_4arch9wavefront6targetE1EEEvT1_ ; -- Begin function _ZN7rocprim17ROCPRIM_400000_NS6detail17trampoline_kernelINS0_14default_configENS1_20scan_config_selectorIdEEZZNS1_9scan_implILNS1_25lookback_scan_determinismE0ELb0ELb0ES3_PKdPddZZZN2at6native31launch_logcumsumexp_cuda_kernelERKNSB_10TensorBaseESF_lENKUlvE_clEvENKUlvE_clEvEUlddE_dEEDaPvRmT3_T4_T5_mT6_P12ihipStream_tbENKUlT_T0_E_clISt17integral_constantIbLb0EESW_EEDaSR_SS_EUlSR_E_NS1_11comp_targetILNS1_3genE0ELNS1_11target_archE4294967295ELNS1_3gpuE0ELNS1_3repE0EEENS1_30default_config_static_selectorELNS0_4arch9wavefront6targetE1EEEvT1_
	.p2align	8
	.type	_ZN7rocprim17ROCPRIM_400000_NS6detail17trampoline_kernelINS0_14default_configENS1_20scan_config_selectorIdEEZZNS1_9scan_implILNS1_25lookback_scan_determinismE0ELb0ELb0ES3_PKdPddZZZN2at6native31launch_logcumsumexp_cuda_kernelERKNSB_10TensorBaseESF_lENKUlvE_clEvENKUlvE_clEvEUlddE_dEEDaPvRmT3_T4_T5_mT6_P12ihipStream_tbENKUlT_T0_E_clISt17integral_constantIbLb0EESW_EEDaSR_SS_EUlSR_E_NS1_11comp_targetILNS1_3genE0ELNS1_11target_archE4294967295ELNS1_3gpuE0ELNS1_3repE0EEENS1_30default_config_static_selectorELNS0_4arch9wavefront6targetE1EEEvT1_,@function
_ZN7rocprim17ROCPRIM_400000_NS6detail17trampoline_kernelINS0_14default_configENS1_20scan_config_selectorIdEEZZNS1_9scan_implILNS1_25lookback_scan_determinismE0ELb0ELb0ES3_PKdPddZZZN2at6native31launch_logcumsumexp_cuda_kernelERKNSB_10TensorBaseESF_lENKUlvE_clEvENKUlvE_clEvEUlddE_dEEDaPvRmT3_T4_T5_mT6_P12ihipStream_tbENKUlT_T0_E_clISt17integral_constantIbLb0EESW_EEDaSR_SS_EUlSR_E_NS1_11comp_targetILNS1_3genE0ELNS1_11target_archE4294967295ELNS1_3gpuE0ELNS1_3repE0EEENS1_30default_config_static_selectorELNS0_4arch9wavefront6targetE1EEEvT1_: ; @_ZN7rocprim17ROCPRIM_400000_NS6detail17trampoline_kernelINS0_14default_configENS1_20scan_config_selectorIdEEZZNS1_9scan_implILNS1_25lookback_scan_determinismE0ELb0ELb0ES3_PKdPddZZZN2at6native31launch_logcumsumexp_cuda_kernelERKNSB_10TensorBaseESF_lENKUlvE_clEvENKUlvE_clEvEUlddE_dEEDaPvRmT3_T4_T5_mT6_P12ihipStream_tbENKUlT_T0_E_clISt17integral_constantIbLb0EESW_EEDaSR_SS_EUlSR_E_NS1_11comp_targetILNS1_3genE0ELNS1_11target_archE4294967295ELNS1_3gpuE0ELNS1_3repE0EEENS1_30default_config_static_selectorELNS0_4arch9wavefront6targetE1EEEvT1_
; %bb.0:
	.section	.rodata,"a",@progbits
	.p2align	6, 0x0
	.amdhsa_kernel _ZN7rocprim17ROCPRIM_400000_NS6detail17trampoline_kernelINS0_14default_configENS1_20scan_config_selectorIdEEZZNS1_9scan_implILNS1_25lookback_scan_determinismE0ELb0ELb0ES3_PKdPddZZZN2at6native31launch_logcumsumexp_cuda_kernelERKNSB_10TensorBaseESF_lENKUlvE_clEvENKUlvE_clEvEUlddE_dEEDaPvRmT3_T4_T5_mT6_P12ihipStream_tbENKUlT_T0_E_clISt17integral_constantIbLb0EESW_EEDaSR_SS_EUlSR_E_NS1_11comp_targetILNS1_3genE0ELNS1_11target_archE4294967295ELNS1_3gpuE0ELNS1_3repE0EEENS1_30default_config_static_selectorELNS0_4arch9wavefront6targetE1EEEvT1_
		.amdhsa_group_segment_fixed_size 0
		.amdhsa_private_segment_fixed_size 0
		.amdhsa_kernarg_size 104
		.amdhsa_user_sgpr_count 6
		.amdhsa_user_sgpr_private_segment_buffer 1
		.amdhsa_user_sgpr_dispatch_ptr 0
		.amdhsa_user_sgpr_queue_ptr 0
		.amdhsa_user_sgpr_kernarg_segment_ptr 1
		.amdhsa_user_sgpr_dispatch_id 0
		.amdhsa_user_sgpr_flat_scratch_init 0
		.amdhsa_user_sgpr_private_segment_size 0
		.amdhsa_uses_dynamic_stack 0
		.amdhsa_system_sgpr_private_segment_wavefront_offset 0
		.amdhsa_system_sgpr_workgroup_id_x 1
		.amdhsa_system_sgpr_workgroup_id_y 0
		.amdhsa_system_sgpr_workgroup_id_z 0
		.amdhsa_system_sgpr_workgroup_info 0
		.amdhsa_system_vgpr_workitem_id 0
		.amdhsa_next_free_vgpr 1
		.amdhsa_next_free_sgpr 0
		.amdhsa_reserve_vcc 0
		.amdhsa_reserve_flat_scratch 0
		.amdhsa_float_round_mode_32 0
		.amdhsa_float_round_mode_16_64 0
		.amdhsa_float_denorm_mode_32 3
		.amdhsa_float_denorm_mode_16_64 3
		.amdhsa_dx10_clamp 1
		.amdhsa_ieee_mode 1
		.amdhsa_fp16_overflow 0
		.amdhsa_exception_fp_ieee_invalid_op 0
		.amdhsa_exception_fp_denorm_src 0
		.amdhsa_exception_fp_ieee_div_zero 0
		.amdhsa_exception_fp_ieee_overflow 0
		.amdhsa_exception_fp_ieee_underflow 0
		.amdhsa_exception_fp_ieee_inexact 0
		.amdhsa_exception_int_div_zero 0
	.end_amdhsa_kernel
	.section	.text._ZN7rocprim17ROCPRIM_400000_NS6detail17trampoline_kernelINS0_14default_configENS1_20scan_config_selectorIdEEZZNS1_9scan_implILNS1_25lookback_scan_determinismE0ELb0ELb0ES3_PKdPddZZZN2at6native31launch_logcumsumexp_cuda_kernelERKNSB_10TensorBaseESF_lENKUlvE_clEvENKUlvE_clEvEUlddE_dEEDaPvRmT3_T4_T5_mT6_P12ihipStream_tbENKUlT_T0_E_clISt17integral_constantIbLb0EESW_EEDaSR_SS_EUlSR_E_NS1_11comp_targetILNS1_3genE0ELNS1_11target_archE4294967295ELNS1_3gpuE0ELNS1_3repE0EEENS1_30default_config_static_selectorELNS0_4arch9wavefront6targetE1EEEvT1_,"axG",@progbits,_ZN7rocprim17ROCPRIM_400000_NS6detail17trampoline_kernelINS0_14default_configENS1_20scan_config_selectorIdEEZZNS1_9scan_implILNS1_25lookback_scan_determinismE0ELb0ELb0ES3_PKdPddZZZN2at6native31launch_logcumsumexp_cuda_kernelERKNSB_10TensorBaseESF_lENKUlvE_clEvENKUlvE_clEvEUlddE_dEEDaPvRmT3_T4_T5_mT6_P12ihipStream_tbENKUlT_T0_E_clISt17integral_constantIbLb0EESW_EEDaSR_SS_EUlSR_E_NS1_11comp_targetILNS1_3genE0ELNS1_11target_archE4294967295ELNS1_3gpuE0ELNS1_3repE0EEENS1_30default_config_static_selectorELNS0_4arch9wavefront6targetE1EEEvT1_,comdat
.Lfunc_end1:
	.size	_ZN7rocprim17ROCPRIM_400000_NS6detail17trampoline_kernelINS0_14default_configENS1_20scan_config_selectorIdEEZZNS1_9scan_implILNS1_25lookback_scan_determinismE0ELb0ELb0ES3_PKdPddZZZN2at6native31launch_logcumsumexp_cuda_kernelERKNSB_10TensorBaseESF_lENKUlvE_clEvENKUlvE_clEvEUlddE_dEEDaPvRmT3_T4_T5_mT6_P12ihipStream_tbENKUlT_T0_E_clISt17integral_constantIbLb0EESW_EEDaSR_SS_EUlSR_E_NS1_11comp_targetILNS1_3genE0ELNS1_11target_archE4294967295ELNS1_3gpuE0ELNS1_3repE0EEENS1_30default_config_static_selectorELNS0_4arch9wavefront6targetE1EEEvT1_, .Lfunc_end1-_ZN7rocprim17ROCPRIM_400000_NS6detail17trampoline_kernelINS0_14default_configENS1_20scan_config_selectorIdEEZZNS1_9scan_implILNS1_25lookback_scan_determinismE0ELb0ELb0ES3_PKdPddZZZN2at6native31launch_logcumsumexp_cuda_kernelERKNSB_10TensorBaseESF_lENKUlvE_clEvENKUlvE_clEvEUlddE_dEEDaPvRmT3_T4_T5_mT6_P12ihipStream_tbENKUlT_T0_E_clISt17integral_constantIbLb0EESW_EEDaSR_SS_EUlSR_E_NS1_11comp_targetILNS1_3genE0ELNS1_11target_archE4294967295ELNS1_3gpuE0ELNS1_3repE0EEENS1_30default_config_static_selectorELNS0_4arch9wavefront6targetE1EEEvT1_
                                        ; -- End function
	.set _ZN7rocprim17ROCPRIM_400000_NS6detail17trampoline_kernelINS0_14default_configENS1_20scan_config_selectorIdEEZZNS1_9scan_implILNS1_25lookback_scan_determinismE0ELb0ELb0ES3_PKdPddZZZN2at6native31launch_logcumsumexp_cuda_kernelERKNSB_10TensorBaseESF_lENKUlvE_clEvENKUlvE_clEvEUlddE_dEEDaPvRmT3_T4_T5_mT6_P12ihipStream_tbENKUlT_T0_E_clISt17integral_constantIbLb0EESW_EEDaSR_SS_EUlSR_E_NS1_11comp_targetILNS1_3genE0ELNS1_11target_archE4294967295ELNS1_3gpuE0ELNS1_3repE0EEENS1_30default_config_static_selectorELNS0_4arch9wavefront6targetE1EEEvT1_.num_vgpr, 0
	.set _ZN7rocprim17ROCPRIM_400000_NS6detail17trampoline_kernelINS0_14default_configENS1_20scan_config_selectorIdEEZZNS1_9scan_implILNS1_25lookback_scan_determinismE0ELb0ELb0ES3_PKdPddZZZN2at6native31launch_logcumsumexp_cuda_kernelERKNSB_10TensorBaseESF_lENKUlvE_clEvENKUlvE_clEvEUlddE_dEEDaPvRmT3_T4_T5_mT6_P12ihipStream_tbENKUlT_T0_E_clISt17integral_constantIbLb0EESW_EEDaSR_SS_EUlSR_E_NS1_11comp_targetILNS1_3genE0ELNS1_11target_archE4294967295ELNS1_3gpuE0ELNS1_3repE0EEENS1_30default_config_static_selectorELNS0_4arch9wavefront6targetE1EEEvT1_.num_agpr, 0
	.set _ZN7rocprim17ROCPRIM_400000_NS6detail17trampoline_kernelINS0_14default_configENS1_20scan_config_selectorIdEEZZNS1_9scan_implILNS1_25lookback_scan_determinismE0ELb0ELb0ES3_PKdPddZZZN2at6native31launch_logcumsumexp_cuda_kernelERKNSB_10TensorBaseESF_lENKUlvE_clEvENKUlvE_clEvEUlddE_dEEDaPvRmT3_T4_T5_mT6_P12ihipStream_tbENKUlT_T0_E_clISt17integral_constantIbLb0EESW_EEDaSR_SS_EUlSR_E_NS1_11comp_targetILNS1_3genE0ELNS1_11target_archE4294967295ELNS1_3gpuE0ELNS1_3repE0EEENS1_30default_config_static_selectorELNS0_4arch9wavefront6targetE1EEEvT1_.numbered_sgpr, 0
	.set _ZN7rocprim17ROCPRIM_400000_NS6detail17trampoline_kernelINS0_14default_configENS1_20scan_config_selectorIdEEZZNS1_9scan_implILNS1_25lookback_scan_determinismE0ELb0ELb0ES3_PKdPddZZZN2at6native31launch_logcumsumexp_cuda_kernelERKNSB_10TensorBaseESF_lENKUlvE_clEvENKUlvE_clEvEUlddE_dEEDaPvRmT3_T4_T5_mT6_P12ihipStream_tbENKUlT_T0_E_clISt17integral_constantIbLb0EESW_EEDaSR_SS_EUlSR_E_NS1_11comp_targetILNS1_3genE0ELNS1_11target_archE4294967295ELNS1_3gpuE0ELNS1_3repE0EEENS1_30default_config_static_selectorELNS0_4arch9wavefront6targetE1EEEvT1_.num_named_barrier, 0
	.set _ZN7rocprim17ROCPRIM_400000_NS6detail17trampoline_kernelINS0_14default_configENS1_20scan_config_selectorIdEEZZNS1_9scan_implILNS1_25lookback_scan_determinismE0ELb0ELb0ES3_PKdPddZZZN2at6native31launch_logcumsumexp_cuda_kernelERKNSB_10TensorBaseESF_lENKUlvE_clEvENKUlvE_clEvEUlddE_dEEDaPvRmT3_T4_T5_mT6_P12ihipStream_tbENKUlT_T0_E_clISt17integral_constantIbLb0EESW_EEDaSR_SS_EUlSR_E_NS1_11comp_targetILNS1_3genE0ELNS1_11target_archE4294967295ELNS1_3gpuE0ELNS1_3repE0EEENS1_30default_config_static_selectorELNS0_4arch9wavefront6targetE1EEEvT1_.private_seg_size, 0
	.set _ZN7rocprim17ROCPRIM_400000_NS6detail17trampoline_kernelINS0_14default_configENS1_20scan_config_selectorIdEEZZNS1_9scan_implILNS1_25lookback_scan_determinismE0ELb0ELb0ES3_PKdPddZZZN2at6native31launch_logcumsumexp_cuda_kernelERKNSB_10TensorBaseESF_lENKUlvE_clEvENKUlvE_clEvEUlddE_dEEDaPvRmT3_T4_T5_mT6_P12ihipStream_tbENKUlT_T0_E_clISt17integral_constantIbLb0EESW_EEDaSR_SS_EUlSR_E_NS1_11comp_targetILNS1_3genE0ELNS1_11target_archE4294967295ELNS1_3gpuE0ELNS1_3repE0EEENS1_30default_config_static_selectorELNS0_4arch9wavefront6targetE1EEEvT1_.uses_vcc, 0
	.set _ZN7rocprim17ROCPRIM_400000_NS6detail17trampoline_kernelINS0_14default_configENS1_20scan_config_selectorIdEEZZNS1_9scan_implILNS1_25lookback_scan_determinismE0ELb0ELb0ES3_PKdPddZZZN2at6native31launch_logcumsumexp_cuda_kernelERKNSB_10TensorBaseESF_lENKUlvE_clEvENKUlvE_clEvEUlddE_dEEDaPvRmT3_T4_T5_mT6_P12ihipStream_tbENKUlT_T0_E_clISt17integral_constantIbLb0EESW_EEDaSR_SS_EUlSR_E_NS1_11comp_targetILNS1_3genE0ELNS1_11target_archE4294967295ELNS1_3gpuE0ELNS1_3repE0EEENS1_30default_config_static_selectorELNS0_4arch9wavefront6targetE1EEEvT1_.uses_flat_scratch, 0
	.set _ZN7rocprim17ROCPRIM_400000_NS6detail17trampoline_kernelINS0_14default_configENS1_20scan_config_selectorIdEEZZNS1_9scan_implILNS1_25lookback_scan_determinismE0ELb0ELb0ES3_PKdPddZZZN2at6native31launch_logcumsumexp_cuda_kernelERKNSB_10TensorBaseESF_lENKUlvE_clEvENKUlvE_clEvEUlddE_dEEDaPvRmT3_T4_T5_mT6_P12ihipStream_tbENKUlT_T0_E_clISt17integral_constantIbLb0EESW_EEDaSR_SS_EUlSR_E_NS1_11comp_targetILNS1_3genE0ELNS1_11target_archE4294967295ELNS1_3gpuE0ELNS1_3repE0EEENS1_30default_config_static_selectorELNS0_4arch9wavefront6targetE1EEEvT1_.has_dyn_sized_stack, 0
	.set _ZN7rocprim17ROCPRIM_400000_NS6detail17trampoline_kernelINS0_14default_configENS1_20scan_config_selectorIdEEZZNS1_9scan_implILNS1_25lookback_scan_determinismE0ELb0ELb0ES3_PKdPddZZZN2at6native31launch_logcumsumexp_cuda_kernelERKNSB_10TensorBaseESF_lENKUlvE_clEvENKUlvE_clEvEUlddE_dEEDaPvRmT3_T4_T5_mT6_P12ihipStream_tbENKUlT_T0_E_clISt17integral_constantIbLb0EESW_EEDaSR_SS_EUlSR_E_NS1_11comp_targetILNS1_3genE0ELNS1_11target_archE4294967295ELNS1_3gpuE0ELNS1_3repE0EEENS1_30default_config_static_selectorELNS0_4arch9wavefront6targetE1EEEvT1_.has_recursion, 0
	.set _ZN7rocprim17ROCPRIM_400000_NS6detail17trampoline_kernelINS0_14default_configENS1_20scan_config_selectorIdEEZZNS1_9scan_implILNS1_25lookback_scan_determinismE0ELb0ELb0ES3_PKdPddZZZN2at6native31launch_logcumsumexp_cuda_kernelERKNSB_10TensorBaseESF_lENKUlvE_clEvENKUlvE_clEvEUlddE_dEEDaPvRmT3_T4_T5_mT6_P12ihipStream_tbENKUlT_T0_E_clISt17integral_constantIbLb0EESW_EEDaSR_SS_EUlSR_E_NS1_11comp_targetILNS1_3genE0ELNS1_11target_archE4294967295ELNS1_3gpuE0ELNS1_3repE0EEENS1_30default_config_static_selectorELNS0_4arch9wavefront6targetE1EEEvT1_.has_indirect_call, 0
	.section	.AMDGPU.csdata,"",@progbits
; Kernel info:
; codeLenInByte = 0
; TotalNumSgprs: 4
; NumVgprs: 0
; ScratchSize: 0
; MemoryBound: 0
; FloatMode: 240
; IeeeMode: 1
; LDSByteSize: 0 bytes/workgroup (compile time only)
; SGPRBlocks: 0
; VGPRBlocks: 0
; NumSGPRsForWavesPerEU: 4
; NumVGPRsForWavesPerEU: 1
; Occupancy: 10
; WaveLimiterHint : 0
; COMPUTE_PGM_RSRC2:SCRATCH_EN: 0
; COMPUTE_PGM_RSRC2:USER_SGPR: 6
; COMPUTE_PGM_RSRC2:TRAP_HANDLER: 0
; COMPUTE_PGM_RSRC2:TGID_X_EN: 1
; COMPUTE_PGM_RSRC2:TGID_Y_EN: 0
; COMPUTE_PGM_RSRC2:TGID_Z_EN: 0
; COMPUTE_PGM_RSRC2:TIDIG_COMP_CNT: 0
	.section	.text._ZN7rocprim17ROCPRIM_400000_NS6detail17trampoline_kernelINS0_14default_configENS1_20scan_config_selectorIdEEZZNS1_9scan_implILNS1_25lookback_scan_determinismE0ELb0ELb0ES3_PKdPddZZZN2at6native31launch_logcumsumexp_cuda_kernelERKNSB_10TensorBaseESF_lENKUlvE_clEvENKUlvE_clEvEUlddE_dEEDaPvRmT3_T4_T5_mT6_P12ihipStream_tbENKUlT_T0_E_clISt17integral_constantIbLb0EESW_EEDaSR_SS_EUlSR_E_NS1_11comp_targetILNS1_3genE5ELNS1_11target_archE942ELNS1_3gpuE9ELNS1_3repE0EEENS1_30default_config_static_selectorELNS0_4arch9wavefront6targetE1EEEvT1_,"axG",@progbits,_ZN7rocprim17ROCPRIM_400000_NS6detail17trampoline_kernelINS0_14default_configENS1_20scan_config_selectorIdEEZZNS1_9scan_implILNS1_25lookback_scan_determinismE0ELb0ELb0ES3_PKdPddZZZN2at6native31launch_logcumsumexp_cuda_kernelERKNSB_10TensorBaseESF_lENKUlvE_clEvENKUlvE_clEvEUlddE_dEEDaPvRmT3_T4_T5_mT6_P12ihipStream_tbENKUlT_T0_E_clISt17integral_constantIbLb0EESW_EEDaSR_SS_EUlSR_E_NS1_11comp_targetILNS1_3genE5ELNS1_11target_archE942ELNS1_3gpuE9ELNS1_3repE0EEENS1_30default_config_static_selectorELNS0_4arch9wavefront6targetE1EEEvT1_,comdat
	.globl	_ZN7rocprim17ROCPRIM_400000_NS6detail17trampoline_kernelINS0_14default_configENS1_20scan_config_selectorIdEEZZNS1_9scan_implILNS1_25lookback_scan_determinismE0ELb0ELb0ES3_PKdPddZZZN2at6native31launch_logcumsumexp_cuda_kernelERKNSB_10TensorBaseESF_lENKUlvE_clEvENKUlvE_clEvEUlddE_dEEDaPvRmT3_T4_T5_mT6_P12ihipStream_tbENKUlT_T0_E_clISt17integral_constantIbLb0EESW_EEDaSR_SS_EUlSR_E_NS1_11comp_targetILNS1_3genE5ELNS1_11target_archE942ELNS1_3gpuE9ELNS1_3repE0EEENS1_30default_config_static_selectorELNS0_4arch9wavefront6targetE1EEEvT1_ ; -- Begin function _ZN7rocprim17ROCPRIM_400000_NS6detail17trampoline_kernelINS0_14default_configENS1_20scan_config_selectorIdEEZZNS1_9scan_implILNS1_25lookback_scan_determinismE0ELb0ELb0ES3_PKdPddZZZN2at6native31launch_logcumsumexp_cuda_kernelERKNSB_10TensorBaseESF_lENKUlvE_clEvENKUlvE_clEvEUlddE_dEEDaPvRmT3_T4_T5_mT6_P12ihipStream_tbENKUlT_T0_E_clISt17integral_constantIbLb0EESW_EEDaSR_SS_EUlSR_E_NS1_11comp_targetILNS1_3genE5ELNS1_11target_archE942ELNS1_3gpuE9ELNS1_3repE0EEENS1_30default_config_static_selectorELNS0_4arch9wavefront6targetE1EEEvT1_
	.p2align	8
	.type	_ZN7rocprim17ROCPRIM_400000_NS6detail17trampoline_kernelINS0_14default_configENS1_20scan_config_selectorIdEEZZNS1_9scan_implILNS1_25lookback_scan_determinismE0ELb0ELb0ES3_PKdPddZZZN2at6native31launch_logcumsumexp_cuda_kernelERKNSB_10TensorBaseESF_lENKUlvE_clEvENKUlvE_clEvEUlddE_dEEDaPvRmT3_T4_T5_mT6_P12ihipStream_tbENKUlT_T0_E_clISt17integral_constantIbLb0EESW_EEDaSR_SS_EUlSR_E_NS1_11comp_targetILNS1_3genE5ELNS1_11target_archE942ELNS1_3gpuE9ELNS1_3repE0EEENS1_30default_config_static_selectorELNS0_4arch9wavefront6targetE1EEEvT1_,@function
_ZN7rocprim17ROCPRIM_400000_NS6detail17trampoline_kernelINS0_14default_configENS1_20scan_config_selectorIdEEZZNS1_9scan_implILNS1_25lookback_scan_determinismE0ELb0ELb0ES3_PKdPddZZZN2at6native31launch_logcumsumexp_cuda_kernelERKNSB_10TensorBaseESF_lENKUlvE_clEvENKUlvE_clEvEUlddE_dEEDaPvRmT3_T4_T5_mT6_P12ihipStream_tbENKUlT_T0_E_clISt17integral_constantIbLb0EESW_EEDaSR_SS_EUlSR_E_NS1_11comp_targetILNS1_3genE5ELNS1_11target_archE942ELNS1_3gpuE9ELNS1_3repE0EEENS1_30default_config_static_selectorELNS0_4arch9wavefront6targetE1EEEvT1_: ; @_ZN7rocprim17ROCPRIM_400000_NS6detail17trampoline_kernelINS0_14default_configENS1_20scan_config_selectorIdEEZZNS1_9scan_implILNS1_25lookback_scan_determinismE0ELb0ELb0ES3_PKdPddZZZN2at6native31launch_logcumsumexp_cuda_kernelERKNSB_10TensorBaseESF_lENKUlvE_clEvENKUlvE_clEvEUlddE_dEEDaPvRmT3_T4_T5_mT6_P12ihipStream_tbENKUlT_T0_E_clISt17integral_constantIbLb0EESW_EEDaSR_SS_EUlSR_E_NS1_11comp_targetILNS1_3genE5ELNS1_11target_archE942ELNS1_3gpuE9ELNS1_3repE0EEENS1_30default_config_static_selectorELNS0_4arch9wavefront6targetE1EEEvT1_
; %bb.0:
	.section	.rodata,"a",@progbits
	.p2align	6, 0x0
	.amdhsa_kernel _ZN7rocprim17ROCPRIM_400000_NS6detail17trampoline_kernelINS0_14default_configENS1_20scan_config_selectorIdEEZZNS1_9scan_implILNS1_25lookback_scan_determinismE0ELb0ELb0ES3_PKdPddZZZN2at6native31launch_logcumsumexp_cuda_kernelERKNSB_10TensorBaseESF_lENKUlvE_clEvENKUlvE_clEvEUlddE_dEEDaPvRmT3_T4_T5_mT6_P12ihipStream_tbENKUlT_T0_E_clISt17integral_constantIbLb0EESW_EEDaSR_SS_EUlSR_E_NS1_11comp_targetILNS1_3genE5ELNS1_11target_archE942ELNS1_3gpuE9ELNS1_3repE0EEENS1_30default_config_static_selectorELNS0_4arch9wavefront6targetE1EEEvT1_
		.amdhsa_group_segment_fixed_size 0
		.amdhsa_private_segment_fixed_size 0
		.amdhsa_kernarg_size 104
		.amdhsa_user_sgpr_count 6
		.amdhsa_user_sgpr_private_segment_buffer 1
		.amdhsa_user_sgpr_dispatch_ptr 0
		.amdhsa_user_sgpr_queue_ptr 0
		.amdhsa_user_sgpr_kernarg_segment_ptr 1
		.amdhsa_user_sgpr_dispatch_id 0
		.amdhsa_user_sgpr_flat_scratch_init 0
		.amdhsa_user_sgpr_private_segment_size 0
		.amdhsa_uses_dynamic_stack 0
		.amdhsa_system_sgpr_private_segment_wavefront_offset 0
		.amdhsa_system_sgpr_workgroup_id_x 1
		.amdhsa_system_sgpr_workgroup_id_y 0
		.amdhsa_system_sgpr_workgroup_id_z 0
		.amdhsa_system_sgpr_workgroup_info 0
		.amdhsa_system_vgpr_workitem_id 0
		.amdhsa_next_free_vgpr 1
		.amdhsa_next_free_sgpr 0
		.amdhsa_reserve_vcc 0
		.amdhsa_reserve_flat_scratch 0
		.amdhsa_float_round_mode_32 0
		.amdhsa_float_round_mode_16_64 0
		.amdhsa_float_denorm_mode_32 3
		.amdhsa_float_denorm_mode_16_64 3
		.amdhsa_dx10_clamp 1
		.amdhsa_ieee_mode 1
		.amdhsa_fp16_overflow 0
		.amdhsa_exception_fp_ieee_invalid_op 0
		.amdhsa_exception_fp_denorm_src 0
		.amdhsa_exception_fp_ieee_div_zero 0
		.amdhsa_exception_fp_ieee_overflow 0
		.amdhsa_exception_fp_ieee_underflow 0
		.amdhsa_exception_fp_ieee_inexact 0
		.amdhsa_exception_int_div_zero 0
	.end_amdhsa_kernel
	.section	.text._ZN7rocprim17ROCPRIM_400000_NS6detail17trampoline_kernelINS0_14default_configENS1_20scan_config_selectorIdEEZZNS1_9scan_implILNS1_25lookback_scan_determinismE0ELb0ELb0ES3_PKdPddZZZN2at6native31launch_logcumsumexp_cuda_kernelERKNSB_10TensorBaseESF_lENKUlvE_clEvENKUlvE_clEvEUlddE_dEEDaPvRmT3_T4_T5_mT6_P12ihipStream_tbENKUlT_T0_E_clISt17integral_constantIbLb0EESW_EEDaSR_SS_EUlSR_E_NS1_11comp_targetILNS1_3genE5ELNS1_11target_archE942ELNS1_3gpuE9ELNS1_3repE0EEENS1_30default_config_static_selectorELNS0_4arch9wavefront6targetE1EEEvT1_,"axG",@progbits,_ZN7rocprim17ROCPRIM_400000_NS6detail17trampoline_kernelINS0_14default_configENS1_20scan_config_selectorIdEEZZNS1_9scan_implILNS1_25lookback_scan_determinismE0ELb0ELb0ES3_PKdPddZZZN2at6native31launch_logcumsumexp_cuda_kernelERKNSB_10TensorBaseESF_lENKUlvE_clEvENKUlvE_clEvEUlddE_dEEDaPvRmT3_T4_T5_mT6_P12ihipStream_tbENKUlT_T0_E_clISt17integral_constantIbLb0EESW_EEDaSR_SS_EUlSR_E_NS1_11comp_targetILNS1_3genE5ELNS1_11target_archE942ELNS1_3gpuE9ELNS1_3repE0EEENS1_30default_config_static_selectorELNS0_4arch9wavefront6targetE1EEEvT1_,comdat
.Lfunc_end2:
	.size	_ZN7rocprim17ROCPRIM_400000_NS6detail17trampoline_kernelINS0_14default_configENS1_20scan_config_selectorIdEEZZNS1_9scan_implILNS1_25lookback_scan_determinismE0ELb0ELb0ES3_PKdPddZZZN2at6native31launch_logcumsumexp_cuda_kernelERKNSB_10TensorBaseESF_lENKUlvE_clEvENKUlvE_clEvEUlddE_dEEDaPvRmT3_T4_T5_mT6_P12ihipStream_tbENKUlT_T0_E_clISt17integral_constantIbLb0EESW_EEDaSR_SS_EUlSR_E_NS1_11comp_targetILNS1_3genE5ELNS1_11target_archE942ELNS1_3gpuE9ELNS1_3repE0EEENS1_30default_config_static_selectorELNS0_4arch9wavefront6targetE1EEEvT1_, .Lfunc_end2-_ZN7rocprim17ROCPRIM_400000_NS6detail17trampoline_kernelINS0_14default_configENS1_20scan_config_selectorIdEEZZNS1_9scan_implILNS1_25lookback_scan_determinismE0ELb0ELb0ES3_PKdPddZZZN2at6native31launch_logcumsumexp_cuda_kernelERKNSB_10TensorBaseESF_lENKUlvE_clEvENKUlvE_clEvEUlddE_dEEDaPvRmT3_T4_T5_mT6_P12ihipStream_tbENKUlT_T0_E_clISt17integral_constantIbLb0EESW_EEDaSR_SS_EUlSR_E_NS1_11comp_targetILNS1_3genE5ELNS1_11target_archE942ELNS1_3gpuE9ELNS1_3repE0EEENS1_30default_config_static_selectorELNS0_4arch9wavefront6targetE1EEEvT1_
                                        ; -- End function
	.set _ZN7rocprim17ROCPRIM_400000_NS6detail17trampoline_kernelINS0_14default_configENS1_20scan_config_selectorIdEEZZNS1_9scan_implILNS1_25lookback_scan_determinismE0ELb0ELb0ES3_PKdPddZZZN2at6native31launch_logcumsumexp_cuda_kernelERKNSB_10TensorBaseESF_lENKUlvE_clEvENKUlvE_clEvEUlddE_dEEDaPvRmT3_T4_T5_mT6_P12ihipStream_tbENKUlT_T0_E_clISt17integral_constantIbLb0EESW_EEDaSR_SS_EUlSR_E_NS1_11comp_targetILNS1_3genE5ELNS1_11target_archE942ELNS1_3gpuE9ELNS1_3repE0EEENS1_30default_config_static_selectorELNS0_4arch9wavefront6targetE1EEEvT1_.num_vgpr, 0
	.set _ZN7rocprim17ROCPRIM_400000_NS6detail17trampoline_kernelINS0_14default_configENS1_20scan_config_selectorIdEEZZNS1_9scan_implILNS1_25lookback_scan_determinismE0ELb0ELb0ES3_PKdPddZZZN2at6native31launch_logcumsumexp_cuda_kernelERKNSB_10TensorBaseESF_lENKUlvE_clEvENKUlvE_clEvEUlddE_dEEDaPvRmT3_T4_T5_mT6_P12ihipStream_tbENKUlT_T0_E_clISt17integral_constantIbLb0EESW_EEDaSR_SS_EUlSR_E_NS1_11comp_targetILNS1_3genE5ELNS1_11target_archE942ELNS1_3gpuE9ELNS1_3repE0EEENS1_30default_config_static_selectorELNS0_4arch9wavefront6targetE1EEEvT1_.num_agpr, 0
	.set _ZN7rocprim17ROCPRIM_400000_NS6detail17trampoline_kernelINS0_14default_configENS1_20scan_config_selectorIdEEZZNS1_9scan_implILNS1_25lookback_scan_determinismE0ELb0ELb0ES3_PKdPddZZZN2at6native31launch_logcumsumexp_cuda_kernelERKNSB_10TensorBaseESF_lENKUlvE_clEvENKUlvE_clEvEUlddE_dEEDaPvRmT3_T4_T5_mT6_P12ihipStream_tbENKUlT_T0_E_clISt17integral_constantIbLb0EESW_EEDaSR_SS_EUlSR_E_NS1_11comp_targetILNS1_3genE5ELNS1_11target_archE942ELNS1_3gpuE9ELNS1_3repE0EEENS1_30default_config_static_selectorELNS0_4arch9wavefront6targetE1EEEvT1_.numbered_sgpr, 0
	.set _ZN7rocprim17ROCPRIM_400000_NS6detail17trampoline_kernelINS0_14default_configENS1_20scan_config_selectorIdEEZZNS1_9scan_implILNS1_25lookback_scan_determinismE0ELb0ELb0ES3_PKdPddZZZN2at6native31launch_logcumsumexp_cuda_kernelERKNSB_10TensorBaseESF_lENKUlvE_clEvENKUlvE_clEvEUlddE_dEEDaPvRmT3_T4_T5_mT6_P12ihipStream_tbENKUlT_T0_E_clISt17integral_constantIbLb0EESW_EEDaSR_SS_EUlSR_E_NS1_11comp_targetILNS1_3genE5ELNS1_11target_archE942ELNS1_3gpuE9ELNS1_3repE0EEENS1_30default_config_static_selectorELNS0_4arch9wavefront6targetE1EEEvT1_.num_named_barrier, 0
	.set _ZN7rocprim17ROCPRIM_400000_NS6detail17trampoline_kernelINS0_14default_configENS1_20scan_config_selectorIdEEZZNS1_9scan_implILNS1_25lookback_scan_determinismE0ELb0ELb0ES3_PKdPddZZZN2at6native31launch_logcumsumexp_cuda_kernelERKNSB_10TensorBaseESF_lENKUlvE_clEvENKUlvE_clEvEUlddE_dEEDaPvRmT3_T4_T5_mT6_P12ihipStream_tbENKUlT_T0_E_clISt17integral_constantIbLb0EESW_EEDaSR_SS_EUlSR_E_NS1_11comp_targetILNS1_3genE5ELNS1_11target_archE942ELNS1_3gpuE9ELNS1_3repE0EEENS1_30default_config_static_selectorELNS0_4arch9wavefront6targetE1EEEvT1_.private_seg_size, 0
	.set _ZN7rocprim17ROCPRIM_400000_NS6detail17trampoline_kernelINS0_14default_configENS1_20scan_config_selectorIdEEZZNS1_9scan_implILNS1_25lookback_scan_determinismE0ELb0ELb0ES3_PKdPddZZZN2at6native31launch_logcumsumexp_cuda_kernelERKNSB_10TensorBaseESF_lENKUlvE_clEvENKUlvE_clEvEUlddE_dEEDaPvRmT3_T4_T5_mT6_P12ihipStream_tbENKUlT_T0_E_clISt17integral_constantIbLb0EESW_EEDaSR_SS_EUlSR_E_NS1_11comp_targetILNS1_3genE5ELNS1_11target_archE942ELNS1_3gpuE9ELNS1_3repE0EEENS1_30default_config_static_selectorELNS0_4arch9wavefront6targetE1EEEvT1_.uses_vcc, 0
	.set _ZN7rocprim17ROCPRIM_400000_NS6detail17trampoline_kernelINS0_14default_configENS1_20scan_config_selectorIdEEZZNS1_9scan_implILNS1_25lookback_scan_determinismE0ELb0ELb0ES3_PKdPddZZZN2at6native31launch_logcumsumexp_cuda_kernelERKNSB_10TensorBaseESF_lENKUlvE_clEvENKUlvE_clEvEUlddE_dEEDaPvRmT3_T4_T5_mT6_P12ihipStream_tbENKUlT_T0_E_clISt17integral_constantIbLb0EESW_EEDaSR_SS_EUlSR_E_NS1_11comp_targetILNS1_3genE5ELNS1_11target_archE942ELNS1_3gpuE9ELNS1_3repE0EEENS1_30default_config_static_selectorELNS0_4arch9wavefront6targetE1EEEvT1_.uses_flat_scratch, 0
	.set _ZN7rocprim17ROCPRIM_400000_NS6detail17trampoline_kernelINS0_14default_configENS1_20scan_config_selectorIdEEZZNS1_9scan_implILNS1_25lookback_scan_determinismE0ELb0ELb0ES3_PKdPddZZZN2at6native31launch_logcumsumexp_cuda_kernelERKNSB_10TensorBaseESF_lENKUlvE_clEvENKUlvE_clEvEUlddE_dEEDaPvRmT3_T4_T5_mT6_P12ihipStream_tbENKUlT_T0_E_clISt17integral_constantIbLb0EESW_EEDaSR_SS_EUlSR_E_NS1_11comp_targetILNS1_3genE5ELNS1_11target_archE942ELNS1_3gpuE9ELNS1_3repE0EEENS1_30default_config_static_selectorELNS0_4arch9wavefront6targetE1EEEvT1_.has_dyn_sized_stack, 0
	.set _ZN7rocprim17ROCPRIM_400000_NS6detail17trampoline_kernelINS0_14default_configENS1_20scan_config_selectorIdEEZZNS1_9scan_implILNS1_25lookback_scan_determinismE0ELb0ELb0ES3_PKdPddZZZN2at6native31launch_logcumsumexp_cuda_kernelERKNSB_10TensorBaseESF_lENKUlvE_clEvENKUlvE_clEvEUlddE_dEEDaPvRmT3_T4_T5_mT6_P12ihipStream_tbENKUlT_T0_E_clISt17integral_constantIbLb0EESW_EEDaSR_SS_EUlSR_E_NS1_11comp_targetILNS1_3genE5ELNS1_11target_archE942ELNS1_3gpuE9ELNS1_3repE0EEENS1_30default_config_static_selectorELNS0_4arch9wavefront6targetE1EEEvT1_.has_recursion, 0
	.set _ZN7rocprim17ROCPRIM_400000_NS6detail17trampoline_kernelINS0_14default_configENS1_20scan_config_selectorIdEEZZNS1_9scan_implILNS1_25lookback_scan_determinismE0ELb0ELb0ES3_PKdPddZZZN2at6native31launch_logcumsumexp_cuda_kernelERKNSB_10TensorBaseESF_lENKUlvE_clEvENKUlvE_clEvEUlddE_dEEDaPvRmT3_T4_T5_mT6_P12ihipStream_tbENKUlT_T0_E_clISt17integral_constantIbLb0EESW_EEDaSR_SS_EUlSR_E_NS1_11comp_targetILNS1_3genE5ELNS1_11target_archE942ELNS1_3gpuE9ELNS1_3repE0EEENS1_30default_config_static_selectorELNS0_4arch9wavefront6targetE1EEEvT1_.has_indirect_call, 0
	.section	.AMDGPU.csdata,"",@progbits
; Kernel info:
; codeLenInByte = 0
; TotalNumSgprs: 4
; NumVgprs: 0
; ScratchSize: 0
; MemoryBound: 0
; FloatMode: 240
; IeeeMode: 1
; LDSByteSize: 0 bytes/workgroup (compile time only)
; SGPRBlocks: 0
; VGPRBlocks: 0
; NumSGPRsForWavesPerEU: 4
; NumVGPRsForWavesPerEU: 1
; Occupancy: 10
; WaveLimiterHint : 0
; COMPUTE_PGM_RSRC2:SCRATCH_EN: 0
; COMPUTE_PGM_RSRC2:USER_SGPR: 6
; COMPUTE_PGM_RSRC2:TRAP_HANDLER: 0
; COMPUTE_PGM_RSRC2:TGID_X_EN: 1
; COMPUTE_PGM_RSRC2:TGID_Y_EN: 0
; COMPUTE_PGM_RSRC2:TGID_Z_EN: 0
; COMPUTE_PGM_RSRC2:TIDIG_COMP_CNT: 0
	.section	.text._ZN7rocprim17ROCPRIM_400000_NS6detail17trampoline_kernelINS0_14default_configENS1_20scan_config_selectorIdEEZZNS1_9scan_implILNS1_25lookback_scan_determinismE0ELb0ELb0ES3_PKdPddZZZN2at6native31launch_logcumsumexp_cuda_kernelERKNSB_10TensorBaseESF_lENKUlvE_clEvENKUlvE_clEvEUlddE_dEEDaPvRmT3_T4_T5_mT6_P12ihipStream_tbENKUlT_T0_E_clISt17integral_constantIbLb0EESW_EEDaSR_SS_EUlSR_E_NS1_11comp_targetILNS1_3genE4ELNS1_11target_archE910ELNS1_3gpuE8ELNS1_3repE0EEENS1_30default_config_static_selectorELNS0_4arch9wavefront6targetE1EEEvT1_,"axG",@progbits,_ZN7rocprim17ROCPRIM_400000_NS6detail17trampoline_kernelINS0_14default_configENS1_20scan_config_selectorIdEEZZNS1_9scan_implILNS1_25lookback_scan_determinismE0ELb0ELb0ES3_PKdPddZZZN2at6native31launch_logcumsumexp_cuda_kernelERKNSB_10TensorBaseESF_lENKUlvE_clEvENKUlvE_clEvEUlddE_dEEDaPvRmT3_T4_T5_mT6_P12ihipStream_tbENKUlT_T0_E_clISt17integral_constantIbLb0EESW_EEDaSR_SS_EUlSR_E_NS1_11comp_targetILNS1_3genE4ELNS1_11target_archE910ELNS1_3gpuE8ELNS1_3repE0EEENS1_30default_config_static_selectorELNS0_4arch9wavefront6targetE1EEEvT1_,comdat
	.globl	_ZN7rocprim17ROCPRIM_400000_NS6detail17trampoline_kernelINS0_14default_configENS1_20scan_config_selectorIdEEZZNS1_9scan_implILNS1_25lookback_scan_determinismE0ELb0ELb0ES3_PKdPddZZZN2at6native31launch_logcumsumexp_cuda_kernelERKNSB_10TensorBaseESF_lENKUlvE_clEvENKUlvE_clEvEUlddE_dEEDaPvRmT3_T4_T5_mT6_P12ihipStream_tbENKUlT_T0_E_clISt17integral_constantIbLb0EESW_EEDaSR_SS_EUlSR_E_NS1_11comp_targetILNS1_3genE4ELNS1_11target_archE910ELNS1_3gpuE8ELNS1_3repE0EEENS1_30default_config_static_selectorELNS0_4arch9wavefront6targetE1EEEvT1_ ; -- Begin function _ZN7rocprim17ROCPRIM_400000_NS6detail17trampoline_kernelINS0_14default_configENS1_20scan_config_selectorIdEEZZNS1_9scan_implILNS1_25lookback_scan_determinismE0ELb0ELb0ES3_PKdPddZZZN2at6native31launch_logcumsumexp_cuda_kernelERKNSB_10TensorBaseESF_lENKUlvE_clEvENKUlvE_clEvEUlddE_dEEDaPvRmT3_T4_T5_mT6_P12ihipStream_tbENKUlT_T0_E_clISt17integral_constantIbLb0EESW_EEDaSR_SS_EUlSR_E_NS1_11comp_targetILNS1_3genE4ELNS1_11target_archE910ELNS1_3gpuE8ELNS1_3repE0EEENS1_30default_config_static_selectorELNS0_4arch9wavefront6targetE1EEEvT1_
	.p2align	8
	.type	_ZN7rocprim17ROCPRIM_400000_NS6detail17trampoline_kernelINS0_14default_configENS1_20scan_config_selectorIdEEZZNS1_9scan_implILNS1_25lookback_scan_determinismE0ELb0ELb0ES3_PKdPddZZZN2at6native31launch_logcumsumexp_cuda_kernelERKNSB_10TensorBaseESF_lENKUlvE_clEvENKUlvE_clEvEUlddE_dEEDaPvRmT3_T4_T5_mT6_P12ihipStream_tbENKUlT_T0_E_clISt17integral_constantIbLb0EESW_EEDaSR_SS_EUlSR_E_NS1_11comp_targetILNS1_3genE4ELNS1_11target_archE910ELNS1_3gpuE8ELNS1_3repE0EEENS1_30default_config_static_selectorELNS0_4arch9wavefront6targetE1EEEvT1_,@function
_ZN7rocprim17ROCPRIM_400000_NS6detail17trampoline_kernelINS0_14default_configENS1_20scan_config_selectorIdEEZZNS1_9scan_implILNS1_25lookback_scan_determinismE0ELb0ELb0ES3_PKdPddZZZN2at6native31launch_logcumsumexp_cuda_kernelERKNSB_10TensorBaseESF_lENKUlvE_clEvENKUlvE_clEvEUlddE_dEEDaPvRmT3_T4_T5_mT6_P12ihipStream_tbENKUlT_T0_E_clISt17integral_constantIbLb0EESW_EEDaSR_SS_EUlSR_E_NS1_11comp_targetILNS1_3genE4ELNS1_11target_archE910ELNS1_3gpuE8ELNS1_3repE0EEENS1_30default_config_static_selectorELNS0_4arch9wavefront6targetE1EEEvT1_: ; @_ZN7rocprim17ROCPRIM_400000_NS6detail17trampoline_kernelINS0_14default_configENS1_20scan_config_selectorIdEEZZNS1_9scan_implILNS1_25lookback_scan_determinismE0ELb0ELb0ES3_PKdPddZZZN2at6native31launch_logcumsumexp_cuda_kernelERKNSB_10TensorBaseESF_lENKUlvE_clEvENKUlvE_clEvEUlddE_dEEDaPvRmT3_T4_T5_mT6_P12ihipStream_tbENKUlT_T0_E_clISt17integral_constantIbLb0EESW_EEDaSR_SS_EUlSR_E_NS1_11comp_targetILNS1_3genE4ELNS1_11target_archE910ELNS1_3gpuE8ELNS1_3repE0EEENS1_30default_config_static_selectorELNS0_4arch9wavefront6targetE1EEEvT1_
; %bb.0:
	.section	.rodata,"a",@progbits
	.p2align	6, 0x0
	.amdhsa_kernel _ZN7rocprim17ROCPRIM_400000_NS6detail17trampoline_kernelINS0_14default_configENS1_20scan_config_selectorIdEEZZNS1_9scan_implILNS1_25lookback_scan_determinismE0ELb0ELb0ES3_PKdPddZZZN2at6native31launch_logcumsumexp_cuda_kernelERKNSB_10TensorBaseESF_lENKUlvE_clEvENKUlvE_clEvEUlddE_dEEDaPvRmT3_T4_T5_mT6_P12ihipStream_tbENKUlT_T0_E_clISt17integral_constantIbLb0EESW_EEDaSR_SS_EUlSR_E_NS1_11comp_targetILNS1_3genE4ELNS1_11target_archE910ELNS1_3gpuE8ELNS1_3repE0EEENS1_30default_config_static_selectorELNS0_4arch9wavefront6targetE1EEEvT1_
		.amdhsa_group_segment_fixed_size 0
		.amdhsa_private_segment_fixed_size 0
		.amdhsa_kernarg_size 104
		.amdhsa_user_sgpr_count 6
		.amdhsa_user_sgpr_private_segment_buffer 1
		.amdhsa_user_sgpr_dispatch_ptr 0
		.amdhsa_user_sgpr_queue_ptr 0
		.amdhsa_user_sgpr_kernarg_segment_ptr 1
		.amdhsa_user_sgpr_dispatch_id 0
		.amdhsa_user_sgpr_flat_scratch_init 0
		.amdhsa_user_sgpr_private_segment_size 0
		.amdhsa_uses_dynamic_stack 0
		.amdhsa_system_sgpr_private_segment_wavefront_offset 0
		.amdhsa_system_sgpr_workgroup_id_x 1
		.amdhsa_system_sgpr_workgroup_id_y 0
		.amdhsa_system_sgpr_workgroup_id_z 0
		.amdhsa_system_sgpr_workgroup_info 0
		.amdhsa_system_vgpr_workitem_id 0
		.amdhsa_next_free_vgpr 1
		.amdhsa_next_free_sgpr 0
		.amdhsa_reserve_vcc 0
		.amdhsa_reserve_flat_scratch 0
		.amdhsa_float_round_mode_32 0
		.amdhsa_float_round_mode_16_64 0
		.amdhsa_float_denorm_mode_32 3
		.amdhsa_float_denorm_mode_16_64 3
		.amdhsa_dx10_clamp 1
		.amdhsa_ieee_mode 1
		.amdhsa_fp16_overflow 0
		.amdhsa_exception_fp_ieee_invalid_op 0
		.amdhsa_exception_fp_denorm_src 0
		.amdhsa_exception_fp_ieee_div_zero 0
		.amdhsa_exception_fp_ieee_overflow 0
		.amdhsa_exception_fp_ieee_underflow 0
		.amdhsa_exception_fp_ieee_inexact 0
		.amdhsa_exception_int_div_zero 0
	.end_amdhsa_kernel
	.section	.text._ZN7rocprim17ROCPRIM_400000_NS6detail17trampoline_kernelINS0_14default_configENS1_20scan_config_selectorIdEEZZNS1_9scan_implILNS1_25lookback_scan_determinismE0ELb0ELb0ES3_PKdPddZZZN2at6native31launch_logcumsumexp_cuda_kernelERKNSB_10TensorBaseESF_lENKUlvE_clEvENKUlvE_clEvEUlddE_dEEDaPvRmT3_T4_T5_mT6_P12ihipStream_tbENKUlT_T0_E_clISt17integral_constantIbLb0EESW_EEDaSR_SS_EUlSR_E_NS1_11comp_targetILNS1_3genE4ELNS1_11target_archE910ELNS1_3gpuE8ELNS1_3repE0EEENS1_30default_config_static_selectorELNS0_4arch9wavefront6targetE1EEEvT1_,"axG",@progbits,_ZN7rocprim17ROCPRIM_400000_NS6detail17trampoline_kernelINS0_14default_configENS1_20scan_config_selectorIdEEZZNS1_9scan_implILNS1_25lookback_scan_determinismE0ELb0ELb0ES3_PKdPddZZZN2at6native31launch_logcumsumexp_cuda_kernelERKNSB_10TensorBaseESF_lENKUlvE_clEvENKUlvE_clEvEUlddE_dEEDaPvRmT3_T4_T5_mT6_P12ihipStream_tbENKUlT_T0_E_clISt17integral_constantIbLb0EESW_EEDaSR_SS_EUlSR_E_NS1_11comp_targetILNS1_3genE4ELNS1_11target_archE910ELNS1_3gpuE8ELNS1_3repE0EEENS1_30default_config_static_selectorELNS0_4arch9wavefront6targetE1EEEvT1_,comdat
.Lfunc_end3:
	.size	_ZN7rocprim17ROCPRIM_400000_NS6detail17trampoline_kernelINS0_14default_configENS1_20scan_config_selectorIdEEZZNS1_9scan_implILNS1_25lookback_scan_determinismE0ELb0ELb0ES3_PKdPddZZZN2at6native31launch_logcumsumexp_cuda_kernelERKNSB_10TensorBaseESF_lENKUlvE_clEvENKUlvE_clEvEUlddE_dEEDaPvRmT3_T4_T5_mT6_P12ihipStream_tbENKUlT_T0_E_clISt17integral_constantIbLb0EESW_EEDaSR_SS_EUlSR_E_NS1_11comp_targetILNS1_3genE4ELNS1_11target_archE910ELNS1_3gpuE8ELNS1_3repE0EEENS1_30default_config_static_selectorELNS0_4arch9wavefront6targetE1EEEvT1_, .Lfunc_end3-_ZN7rocprim17ROCPRIM_400000_NS6detail17trampoline_kernelINS0_14default_configENS1_20scan_config_selectorIdEEZZNS1_9scan_implILNS1_25lookback_scan_determinismE0ELb0ELb0ES3_PKdPddZZZN2at6native31launch_logcumsumexp_cuda_kernelERKNSB_10TensorBaseESF_lENKUlvE_clEvENKUlvE_clEvEUlddE_dEEDaPvRmT3_T4_T5_mT6_P12ihipStream_tbENKUlT_T0_E_clISt17integral_constantIbLb0EESW_EEDaSR_SS_EUlSR_E_NS1_11comp_targetILNS1_3genE4ELNS1_11target_archE910ELNS1_3gpuE8ELNS1_3repE0EEENS1_30default_config_static_selectorELNS0_4arch9wavefront6targetE1EEEvT1_
                                        ; -- End function
	.set _ZN7rocprim17ROCPRIM_400000_NS6detail17trampoline_kernelINS0_14default_configENS1_20scan_config_selectorIdEEZZNS1_9scan_implILNS1_25lookback_scan_determinismE0ELb0ELb0ES3_PKdPddZZZN2at6native31launch_logcumsumexp_cuda_kernelERKNSB_10TensorBaseESF_lENKUlvE_clEvENKUlvE_clEvEUlddE_dEEDaPvRmT3_T4_T5_mT6_P12ihipStream_tbENKUlT_T0_E_clISt17integral_constantIbLb0EESW_EEDaSR_SS_EUlSR_E_NS1_11comp_targetILNS1_3genE4ELNS1_11target_archE910ELNS1_3gpuE8ELNS1_3repE0EEENS1_30default_config_static_selectorELNS0_4arch9wavefront6targetE1EEEvT1_.num_vgpr, 0
	.set _ZN7rocprim17ROCPRIM_400000_NS6detail17trampoline_kernelINS0_14default_configENS1_20scan_config_selectorIdEEZZNS1_9scan_implILNS1_25lookback_scan_determinismE0ELb0ELb0ES3_PKdPddZZZN2at6native31launch_logcumsumexp_cuda_kernelERKNSB_10TensorBaseESF_lENKUlvE_clEvENKUlvE_clEvEUlddE_dEEDaPvRmT3_T4_T5_mT6_P12ihipStream_tbENKUlT_T0_E_clISt17integral_constantIbLb0EESW_EEDaSR_SS_EUlSR_E_NS1_11comp_targetILNS1_3genE4ELNS1_11target_archE910ELNS1_3gpuE8ELNS1_3repE0EEENS1_30default_config_static_selectorELNS0_4arch9wavefront6targetE1EEEvT1_.num_agpr, 0
	.set _ZN7rocprim17ROCPRIM_400000_NS6detail17trampoline_kernelINS0_14default_configENS1_20scan_config_selectorIdEEZZNS1_9scan_implILNS1_25lookback_scan_determinismE0ELb0ELb0ES3_PKdPddZZZN2at6native31launch_logcumsumexp_cuda_kernelERKNSB_10TensorBaseESF_lENKUlvE_clEvENKUlvE_clEvEUlddE_dEEDaPvRmT3_T4_T5_mT6_P12ihipStream_tbENKUlT_T0_E_clISt17integral_constantIbLb0EESW_EEDaSR_SS_EUlSR_E_NS1_11comp_targetILNS1_3genE4ELNS1_11target_archE910ELNS1_3gpuE8ELNS1_3repE0EEENS1_30default_config_static_selectorELNS0_4arch9wavefront6targetE1EEEvT1_.numbered_sgpr, 0
	.set _ZN7rocprim17ROCPRIM_400000_NS6detail17trampoline_kernelINS0_14default_configENS1_20scan_config_selectorIdEEZZNS1_9scan_implILNS1_25lookback_scan_determinismE0ELb0ELb0ES3_PKdPddZZZN2at6native31launch_logcumsumexp_cuda_kernelERKNSB_10TensorBaseESF_lENKUlvE_clEvENKUlvE_clEvEUlddE_dEEDaPvRmT3_T4_T5_mT6_P12ihipStream_tbENKUlT_T0_E_clISt17integral_constantIbLb0EESW_EEDaSR_SS_EUlSR_E_NS1_11comp_targetILNS1_3genE4ELNS1_11target_archE910ELNS1_3gpuE8ELNS1_3repE0EEENS1_30default_config_static_selectorELNS0_4arch9wavefront6targetE1EEEvT1_.num_named_barrier, 0
	.set _ZN7rocprim17ROCPRIM_400000_NS6detail17trampoline_kernelINS0_14default_configENS1_20scan_config_selectorIdEEZZNS1_9scan_implILNS1_25lookback_scan_determinismE0ELb0ELb0ES3_PKdPddZZZN2at6native31launch_logcumsumexp_cuda_kernelERKNSB_10TensorBaseESF_lENKUlvE_clEvENKUlvE_clEvEUlddE_dEEDaPvRmT3_T4_T5_mT6_P12ihipStream_tbENKUlT_T0_E_clISt17integral_constantIbLb0EESW_EEDaSR_SS_EUlSR_E_NS1_11comp_targetILNS1_3genE4ELNS1_11target_archE910ELNS1_3gpuE8ELNS1_3repE0EEENS1_30default_config_static_selectorELNS0_4arch9wavefront6targetE1EEEvT1_.private_seg_size, 0
	.set _ZN7rocprim17ROCPRIM_400000_NS6detail17trampoline_kernelINS0_14default_configENS1_20scan_config_selectorIdEEZZNS1_9scan_implILNS1_25lookback_scan_determinismE0ELb0ELb0ES3_PKdPddZZZN2at6native31launch_logcumsumexp_cuda_kernelERKNSB_10TensorBaseESF_lENKUlvE_clEvENKUlvE_clEvEUlddE_dEEDaPvRmT3_T4_T5_mT6_P12ihipStream_tbENKUlT_T0_E_clISt17integral_constantIbLb0EESW_EEDaSR_SS_EUlSR_E_NS1_11comp_targetILNS1_3genE4ELNS1_11target_archE910ELNS1_3gpuE8ELNS1_3repE0EEENS1_30default_config_static_selectorELNS0_4arch9wavefront6targetE1EEEvT1_.uses_vcc, 0
	.set _ZN7rocprim17ROCPRIM_400000_NS6detail17trampoline_kernelINS0_14default_configENS1_20scan_config_selectorIdEEZZNS1_9scan_implILNS1_25lookback_scan_determinismE0ELb0ELb0ES3_PKdPddZZZN2at6native31launch_logcumsumexp_cuda_kernelERKNSB_10TensorBaseESF_lENKUlvE_clEvENKUlvE_clEvEUlddE_dEEDaPvRmT3_T4_T5_mT6_P12ihipStream_tbENKUlT_T0_E_clISt17integral_constantIbLb0EESW_EEDaSR_SS_EUlSR_E_NS1_11comp_targetILNS1_3genE4ELNS1_11target_archE910ELNS1_3gpuE8ELNS1_3repE0EEENS1_30default_config_static_selectorELNS0_4arch9wavefront6targetE1EEEvT1_.uses_flat_scratch, 0
	.set _ZN7rocprim17ROCPRIM_400000_NS6detail17trampoline_kernelINS0_14default_configENS1_20scan_config_selectorIdEEZZNS1_9scan_implILNS1_25lookback_scan_determinismE0ELb0ELb0ES3_PKdPddZZZN2at6native31launch_logcumsumexp_cuda_kernelERKNSB_10TensorBaseESF_lENKUlvE_clEvENKUlvE_clEvEUlddE_dEEDaPvRmT3_T4_T5_mT6_P12ihipStream_tbENKUlT_T0_E_clISt17integral_constantIbLb0EESW_EEDaSR_SS_EUlSR_E_NS1_11comp_targetILNS1_3genE4ELNS1_11target_archE910ELNS1_3gpuE8ELNS1_3repE0EEENS1_30default_config_static_selectorELNS0_4arch9wavefront6targetE1EEEvT1_.has_dyn_sized_stack, 0
	.set _ZN7rocprim17ROCPRIM_400000_NS6detail17trampoline_kernelINS0_14default_configENS1_20scan_config_selectorIdEEZZNS1_9scan_implILNS1_25lookback_scan_determinismE0ELb0ELb0ES3_PKdPddZZZN2at6native31launch_logcumsumexp_cuda_kernelERKNSB_10TensorBaseESF_lENKUlvE_clEvENKUlvE_clEvEUlddE_dEEDaPvRmT3_T4_T5_mT6_P12ihipStream_tbENKUlT_T0_E_clISt17integral_constantIbLb0EESW_EEDaSR_SS_EUlSR_E_NS1_11comp_targetILNS1_3genE4ELNS1_11target_archE910ELNS1_3gpuE8ELNS1_3repE0EEENS1_30default_config_static_selectorELNS0_4arch9wavefront6targetE1EEEvT1_.has_recursion, 0
	.set _ZN7rocprim17ROCPRIM_400000_NS6detail17trampoline_kernelINS0_14default_configENS1_20scan_config_selectorIdEEZZNS1_9scan_implILNS1_25lookback_scan_determinismE0ELb0ELb0ES3_PKdPddZZZN2at6native31launch_logcumsumexp_cuda_kernelERKNSB_10TensorBaseESF_lENKUlvE_clEvENKUlvE_clEvEUlddE_dEEDaPvRmT3_T4_T5_mT6_P12ihipStream_tbENKUlT_T0_E_clISt17integral_constantIbLb0EESW_EEDaSR_SS_EUlSR_E_NS1_11comp_targetILNS1_3genE4ELNS1_11target_archE910ELNS1_3gpuE8ELNS1_3repE0EEENS1_30default_config_static_selectorELNS0_4arch9wavefront6targetE1EEEvT1_.has_indirect_call, 0
	.section	.AMDGPU.csdata,"",@progbits
; Kernel info:
; codeLenInByte = 0
; TotalNumSgprs: 4
; NumVgprs: 0
; ScratchSize: 0
; MemoryBound: 0
; FloatMode: 240
; IeeeMode: 1
; LDSByteSize: 0 bytes/workgroup (compile time only)
; SGPRBlocks: 0
; VGPRBlocks: 0
; NumSGPRsForWavesPerEU: 4
; NumVGPRsForWavesPerEU: 1
; Occupancy: 10
; WaveLimiterHint : 0
; COMPUTE_PGM_RSRC2:SCRATCH_EN: 0
; COMPUTE_PGM_RSRC2:USER_SGPR: 6
; COMPUTE_PGM_RSRC2:TRAP_HANDLER: 0
; COMPUTE_PGM_RSRC2:TGID_X_EN: 1
; COMPUTE_PGM_RSRC2:TGID_Y_EN: 0
; COMPUTE_PGM_RSRC2:TGID_Z_EN: 0
; COMPUTE_PGM_RSRC2:TIDIG_COMP_CNT: 0
	.section	.text._ZN7rocprim17ROCPRIM_400000_NS6detail17trampoline_kernelINS0_14default_configENS1_20scan_config_selectorIdEEZZNS1_9scan_implILNS1_25lookback_scan_determinismE0ELb0ELb0ES3_PKdPddZZZN2at6native31launch_logcumsumexp_cuda_kernelERKNSB_10TensorBaseESF_lENKUlvE_clEvENKUlvE_clEvEUlddE_dEEDaPvRmT3_T4_T5_mT6_P12ihipStream_tbENKUlT_T0_E_clISt17integral_constantIbLb0EESW_EEDaSR_SS_EUlSR_E_NS1_11comp_targetILNS1_3genE3ELNS1_11target_archE908ELNS1_3gpuE7ELNS1_3repE0EEENS1_30default_config_static_selectorELNS0_4arch9wavefront6targetE1EEEvT1_,"axG",@progbits,_ZN7rocprim17ROCPRIM_400000_NS6detail17trampoline_kernelINS0_14default_configENS1_20scan_config_selectorIdEEZZNS1_9scan_implILNS1_25lookback_scan_determinismE0ELb0ELb0ES3_PKdPddZZZN2at6native31launch_logcumsumexp_cuda_kernelERKNSB_10TensorBaseESF_lENKUlvE_clEvENKUlvE_clEvEUlddE_dEEDaPvRmT3_T4_T5_mT6_P12ihipStream_tbENKUlT_T0_E_clISt17integral_constantIbLb0EESW_EEDaSR_SS_EUlSR_E_NS1_11comp_targetILNS1_3genE3ELNS1_11target_archE908ELNS1_3gpuE7ELNS1_3repE0EEENS1_30default_config_static_selectorELNS0_4arch9wavefront6targetE1EEEvT1_,comdat
	.globl	_ZN7rocprim17ROCPRIM_400000_NS6detail17trampoline_kernelINS0_14default_configENS1_20scan_config_selectorIdEEZZNS1_9scan_implILNS1_25lookback_scan_determinismE0ELb0ELb0ES3_PKdPddZZZN2at6native31launch_logcumsumexp_cuda_kernelERKNSB_10TensorBaseESF_lENKUlvE_clEvENKUlvE_clEvEUlddE_dEEDaPvRmT3_T4_T5_mT6_P12ihipStream_tbENKUlT_T0_E_clISt17integral_constantIbLb0EESW_EEDaSR_SS_EUlSR_E_NS1_11comp_targetILNS1_3genE3ELNS1_11target_archE908ELNS1_3gpuE7ELNS1_3repE0EEENS1_30default_config_static_selectorELNS0_4arch9wavefront6targetE1EEEvT1_ ; -- Begin function _ZN7rocprim17ROCPRIM_400000_NS6detail17trampoline_kernelINS0_14default_configENS1_20scan_config_selectorIdEEZZNS1_9scan_implILNS1_25lookback_scan_determinismE0ELb0ELb0ES3_PKdPddZZZN2at6native31launch_logcumsumexp_cuda_kernelERKNSB_10TensorBaseESF_lENKUlvE_clEvENKUlvE_clEvEUlddE_dEEDaPvRmT3_T4_T5_mT6_P12ihipStream_tbENKUlT_T0_E_clISt17integral_constantIbLb0EESW_EEDaSR_SS_EUlSR_E_NS1_11comp_targetILNS1_3genE3ELNS1_11target_archE908ELNS1_3gpuE7ELNS1_3repE0EEENS1_30default_config_static_selectorELNS0_4arch9wavefront6targetE1EEEvT1_
	.p2align	8
	.type	_ZN7rocprim17ROCPRIM_400000_NS6detail17trampoline_kernelINS0_14default_configENS1_20scan_config_selectorIdEEZZNS1_9scan_implILNS1_25lookback_scan_determinismE0ELb0ELb0ES3_PKdPddZZZN2at6native31launch_logcumsumexp_cuda_kernelERKNSB_10TensorBaseESF_lENKUlvE_clEvENKUlvE_clEvEUlddE_dEEDaPvRmT3_T4_T5_mT6_P12ihipStream_tbENKUlT_T0_E_clISt17integral_constantIbLb0EESW_EEDaSR_SS_EUlSR_E_NS1_11comp_targetILNS1_3genE3ELNS1_11target_archE908ELNS1_3gpuE7ELNS1_3repE0EEENS1_30default_config_static_selectorELNS0_4arch9wavefront6targetE1EEEvT1_,@function
_ZN7rocprim17ROCPRIM_400000_NS6detail17trampoline_kernelINS0_14default_configENS1_20scan_config_selectorIdEEZZNS1_9scan_implILNS1_25lookback_scan_determinismE0ELb0ELb0ES3_PKdPddZZZN2at6native31launch_logcumsumexp_cuda_kernelERKNSB_10TensorBaseESF_lENKUlvE_clEvENKUlvE_clEvEUlddE_dEEDaPvRmT3_T4_T5_mT6_P12ihipStream_tbENKUlT_T0_E_clISt17integral_constantIbLb0EESW_EEDaSR_SS_EUlSR_E_NS1_11comp_targetILNS1_3genE3ELNS1_11target_archE908ELNS1_3gpuE7ELNS1_3repE0EEENS1_30default_config_static_selectorELNS0_4arch9wavefront6targetE1EEEvT1_: ; @_ZN7rocprim17ROCPRIM_400000_NS6detail17trampoline_kernelINS0_14default_configENS1_20scan_config_selectorIdEEZZNS1_9scan_implILNS1_25lookback_scan_determinismE0ELb0ELb0ES3_PKdPddZZZN2at6native31launch_logcumsumexp_cuda_kernelERKNSB_10TensorBaseESF_lENKUlvE_clEvENKUlvE_clEvEUlddE_dEEDaPvRmT3_T4_T5_mT6_P12ihipStream_tbENKUlT_T0_E_clISt17integral_constantIbLb0EESW_EEDaSR_SS_EUlSR_E_NS1_11comp_targetILNS1_3genE3ELNS1_11target_archE908ELNS1_3gpuE7ELNS1_3repE0EEENS1_30default_config_static_selectorELNS0_4arch9wavefront6targetE1EEEvT1_
; %bb.0:
	.section	.rodata,"a",@progbits
	.p2align	6, 0x0
	.amdhsa_kernel _ZN7rocprim17ROCPRIM_400000_NS6detail17trampoline_kernelINS0_14default_configENS1_20scan_config_selectorIdEEZZNS1_9scan_implILNS1_25lookback_scan_determinismE0ELb0ELb0ES3_PKdPddZZZN2at6native31launch_logcumsumexp_cuda_kernelERKNSB_10TensorBaseESF_lENKUlvE_clEvENKUlvE_clEvEUlddE_dEEDaPvRmT3_T4_T5_mT6_P12ihipStream_tbENKUlT_T0_E_clISt17integral_constantIbLb0EESW_EEDaSR_SS_EUlSR_E_NS1_11comp_targetILNS1_3genE3ELNS1_11target_archE908ELNS1_3gpuE7ELNS1_3repE0EEENS1_30default_config_static_selectorELNS0_4arch9wavefront6targetE1EEEvT1_
		.amdhsa_group_segment_fixed_size 0
		.amdhsa_private_segment_fixed_size 0
		.amdhsa_kernarg_size 104
		.amdhsa_user_sgpr_count 6
		.amdhsa_user_sgpr_private_segment_buffer 1
		.amdhsa_user_sgpr_dispatch_ptr 0
		.amdhsa_user_sgpr_queue_ptr 0
		.amdhsa_user_sgpr_kernarg_segment_ptr 1
		.amdhsa_user_sgpr_dispatch_id 0
		.amdhsa_user_sgpr_flat_scratch_init 0
		.amdhsa_user_sgpr_private_segment_size 0
		.amdhsa_uses_dynamic_stack 0
		.amdhsa_system_sgpr_private_segment_wavefront_offset 0
		.amdhsa_system_sgpr_workgroup_id_x 1
		.amdhsa_system_sgpr_workgroup_id_y 0
		.amdhsa_system_sgpr_workgroup_id_z 0
		.amdhsa_system_sgpr_workgroup_info 0
		.amdhsa_system_vgpr_workitem_id 0
		.amdhsa_next_free_vgpr 1
		.amdhsa_next_free_sgpr 0
		.amdhsa_reserve_vcc 0
		.amdhsa_reserve_flat_scratch 0
		.amdhsa_float_round_mode_32 0
		.amdhsa_float_round_mode_16_64 0
		.amdhsa_float_denorm_mode_32 3
		.amdhsa_float_denorm_mode_16_64 3
		.amdhsa_dx10_clamp 1
		.amdhsa_ieee_mode 1
		.amdhsa_fp16_overflow 0
		.amdhsa_exception_fp_ieee_invalid_op 0
		.amdhsa_exception_fp_denorm_src 0
		.amdhsa_exception_fp_ieee_div_zero 0
		.amdhsa_exception_fp_ieee_overflow 0
		.amdhsa_exception_fp_ieee_underflow 0
		.amdhsa_exception_fp_ieee_inexact 0
		.amdhsa_exception_int_div_zero 0
	.end_amdhsa_kernel
	.section	.text._ZN7rocprim17ROCPRIM_400000_NS6detail17trampoline_kernelINS0_14default_configENS1_20scan_config_selectorIdEEZZNS1_9scan_implILNS1_25lookback_scan_determinismE0ELb0ELb0ES3_PKdPddZZZN2at6native31launch_logcumsumexp_cuda_kernelERKNSB_10TensorBaseESF_lENKUlvE_clEvENKUlvE_clEvEUlddE_dEEDaPvRmT3_T4_T5_mT6_P12ihipStream_tbENKUlT_T0_E_clISt17integral_constantIbLb0EESW_EEDaSR_SS_EUlSR_E_NS1_11comp_targetILNS1_3genE3ELNS1_11target_archE908ELNS1_3gpuE7ELNS1_3repE0EEENS1_30default_config_static_selectorELNS0_4arch9wavefront6targetE1EEEvT1_,"axG",@progbits,_ZN7rocprim17ROCPRIM_400000_NS6detail17trampoline_kernelINS0_14default_configENS1_20scan_config_selectorIdEEZZNS1_9scan_implILNS1_25lookback_scan_determinismE0ELb0ELb0ES3_PKdPddZZZN2at6native31launch_logcumsumexp_cuda_kernelERKNSB_10TensorBaseESF_lENKUlvE_clEvENKUlvE_clEvEUlddE_dEEDaPvRmT3_T4_T5_mT6_P12ihipStream_tbENKUlT_T0_E_clISt17integral_constantIbLb0EESW_EEDaSR_SS_EUlSR_E_NS1_11comp_targetILNS1_3genE3ELNS1_11target_archE908ELNS1_3gpuE7ELNS1_3repE0EEENS1_30default_config_static_selectorELNS0_4arch9wavefront6targetE1EEEvT1_,comdat
.Lfunc_end4:
	.size	_ZN7rocprim17ROCPRIM_400000_NS6detail17trampoline_kernelINS0_14default_configENS1_20scan_config_selectorIdEEZZNS1_9scan_implILNS1_25lookback_scan_determinismE0ELb0ELb0ES3_PKdPddZZZN2at6native31launch_logcumsumexp_cuda_kernelERKNSB_10TensorBaseESF_lENKUlvE_clEvENKUlvE_clEvEUlddE_dEEDaPvRmT3_T4_T5_mT6_P12ihipStream_tbENKUlT_T0_E_clISt17integral_constantIbLb0EESW_EEDaSR_SS_EUlSR_E_NS1_11comp_targetILNS1_3genE3ELNS1_11target_archE908ELNS1_3gpuE7ELNS1_3repE0EEENS1_30default_config_static_selectorELNS0_4arch9wavefront6targetE1EEEvT1_, .Lfunc_end4-_ZN7rocprim17ROCPRIM_400000_NS6detail17trampoline_kernelINS0_14default_configENS1_20scan_config_selectorIdEEZZNS1_9scan_implILNS1_25lookback_scan_determinismE0ELb0ELb0ES3_PKdPddZZZN2at6native31launch_logcumsumexp_cuda_kernelERKNSB_10TensorBaseESF_lENKUlvE_clEvENKUlvE_clEvEUlddE_dEEDaPvRmT3_T4_T5_mT6_P12ihipStream_tbENKUlT_T0_E_clISt17integral_constantIbLb0EESW_EEDaSR_SS_EUlSR_E_NS1_11comp_targetILNS1_3genE3ELNS1_11target_archE908ELNS1_3gpuE7ELNS1_3repE0EEENS1_30default_config_static_selectorELNS0_4arch9wavefront6targetE1EEEvT1_
                                        ; -- End function
	.set _ZN7rocprim17ROCPRIM_400000_NS6detail17trampoline_kernelINS0_14default_configENS1_20scan_config_selectorIdEEZZNS1_9scan_implILNS1_25lookback_scan_determinismE0ELb0ELb0ES3_PKdPddZZZN2at6native31launch_logcumsumexp_cuda_kernelERKNSB_10TensorBaseESF_lENKUlvE_clEvENKUlvE_clEvEUlddE_dEEDaPvRmT3_T4_T5_mT6_P12ihipStream_tbENKUlT_T0_E_clISt17integral_constantIbLb0EESW_EEDaSR_SS_EUlSR_E_NS1_11comp_targetILNS1_3genE3ELNS1_11target_archE908ELNS1_3gpuE7ELNS1_3repE0EEENS1_30default_config_static_selectorELNS0_4arch9wavefront6targetE1EEEvT1_.num_vgpr, 0
	.set _ZN7rocprim17ROCPRIM_400000_NS6detail17trampoline_kernelINS0_14default_configENS1_20scan_config_selectorIdEEZZNS1_9scan_implILNS1_25lookback_scan_determinismE0ELb0ELb0ES3_PKdPddZZZN2at6native31launch_logcumsumexp_cuda_kernelERKNSB_10TensorBaseESF_lENKUlvE_clEvENKUlvE_clEvEUlddE_dEEDaPvRmT3_T4_T5_mT6_P12ihipStream_tbENKUlT_T0_E_clISt17integral_constantIbLb0EESW_EEDaSR_SS_EUlSR_E_NS1_11comp_targetILNS1_3genE3ELNS1_11target_archE908ELNS1_3gpuE7ELNS1_3repE0EEENS1_30default_config_static_selectorELNS0_4arch9wavefront6targetE1EEEvT1_.num_agpr, 0
	.set _ZN7rocprim17ROCPRIM_400000_NS6detail17trampoline_kernelINS0_14default_configENS1_20scan_config_selectorIdEEZZNS1_9scan_implILNS1_25lookback_scan_determinismE0ELb0ELb0ES3_PKdPddZZZN2at6native31launch_logcumsumexp_cuda_kernelERKNSB_10TensorBaseESF_lENKUlvE_clEvENKUlvE_clEvEUlddE_dEEDaPvRmT3_T4_T5_mT6_P12ihipStream_tbENKUlT_T0_E_clISt17integral_constantIbLb0EESW_EEDaSR_SS_EUlSR_E_NS1_11comp_targetILNS1_3genE3ELNS1_11target_archE908ELNS1_3gpuE7ELNS1_3repE0EEENS1_30default_config_static_selectorELNS0_4arch9wavefront6targetE1EEEvT1_.numbered_sgpr, 0
	.set _ZN7rocprim17ROCPRIM_400000_NS6detail17trampoline_kernelINS0_14default_configENS1_20scan_config_selectorIdEEZZNS1_9scan_implILNS1_25lookback_scan_determinismE0ELb0ELb0ES3_PKdPddZZZN2at6native31launch_logcumsumexp_cuda_kernelERKNSB_10TensorBaseESF_lENKUlvE_clEvENKUlvE_clEvEUlddE_dEEDaPvRmT3_T4_T5_mT6_P12ihipStream_tbENKUlT_T0_E_clISt17integral_constantIbLb0EESW_EEDaSR_SS_EUlSR_E_NS1_11comp_targetILNS1_3genE3ELNS1_11target_archE908ELNS1_3gpuE7ELNS1_3repE0EEENS1_30default_config_static_selectorELNS0_4arch9wavefront6targetE1EEEvT1_.num_named_barrier, 0
	.set _ZN7rocprim17ROCPRIM_400000_NS6detail17trampoline_kernelINS0_14default_configENS1_20scan_config_selectorIdEEZZNS1_9scan_implILNS1_25lookback_scan_determinismE0ELb0ELb0ES3_PKdPddZZZN2at6native31launch_logcumsumexp_cuda_kernelERKNSB_10TensorBaseESF_lENKUlvE_clEvENKUlvE_clEvEUlddE_dEEDaPvRmT3_T4_T5_mT6_P12ihipStream_tbENKUlT_T0_E_clISt17integral_constantIbLb0EESW_EEDaSR_SS_EUlSR_E_NS1_11comp_targetILNS1_3genE3ELNS1_11target_archE908ELNS1_3gpuE7ELNS1_3repE0EEENS1_30default_config_static_selectorELNS0_4arch9wavefront6targetE1EEEvT1_.private_seg_size, 0
	.set _ZN7rocprim17ROCPRIM_400000_NS6detail17trampoline_kernelINS0_14default_configENS1_20scan_config_selectorIdEEZZNS1_9scan_implILNS1_25lookback_scan_determinismE0ELb0ELb0ES3_PKdPddZZZN2at6native31launch_logcumsumexp_cuda_kernelERKNSB_10TensorBaseESF_lENKUlvE_clEvENKUlvE_clEvEUlddE_dEEDaPvRmT3_T4_T5_mT6_P12ihipStream_tbENKUlT_T0_E_clISt17integral_constantIbLb0EESW_EEDaSR_SS_EUlSR_E_NS1_11comp_targetILNS1_3genE3ELNS1_11target_archE908ELNS1_3gpuE7ELNS1_3repE0EEENS1_30default_config_static_selectorELNS0_4arch9wavefront6targetE1EEEvT1_.uses_vcc, 0
	.set _ZN7rocprim17ROCPRIM_400000_NS6detail17trampoline_kernelINS0_14default_configENS1_20scan_config_selectorIdEEZZNS1_9scan_implILNS1_25lookback_scan_determinismE0ELb0ELb0ES3_PKdPddZZZN2at6native31launch_logcumsumexp_cuda_kernelERKNSB_10TensorBaseESF_lENKUlvE_clEvENKUlvE_clEvEUlddE_dEEDaPvRmT3_T4_T5_mT6_P12ihipStream_tbENKUlT_T0_E_clISt17integral_constantIbLb0EESW_EEDaSR_SS_EUlSR_E_NS1_11comp_targetILNS1_3genE3ELNS1_11target_archE908ELNS1_3gpuE7ELNS1_3repE0EEENS1_30default_config_static_selectorELNS0_4arch9wavefront6targetE1EEEvT1_.uses_flat_scratch, 0
	.set _ZN7rocprim17ROCPRIM_400000_NS6detail17trampoline_kernelINS0_14default_configENS1_20scan_config_selectorIdEEZZNS1_9scan_implILNS1_25lookback_scan_determinismE0ELb0ELb0ES3_PKdPddZZZN2at6native31launch_logcumsumexp_cuda_kernelERKNSB_10TensorBaseESF_lENKUlvE_clEvENKUlvE_clEvEUlddE_dEEDaPvRmT3_T4_T5_mT6_P12ihipStream_tbENKUlT_T0_E_clISt17integral_constantIbLb0EESW_EEDaSR_SS_EUlSR_E_NS1_11comp_targetILNS1_3genE3ELNS1_11target_archE908ELNS1_3gpuE7ELNS1_3repE0EEENS1_30default_config_static_selectorELNS0_4arch9wavefront6targetE1EEEvT1_.has_dyn_sized_stack, 0
	.set _ZN7rocprim17ROCPRIM_400000_NS6detail17trampoline_kernelINS0_14default_configENS1_20scan_config_selectorIdEEZZNS1_9scan_implILNS1_25lookback_scan_determinismE0ELb0ELb0ES3_PKdPddZZZN2at6native31launch_logcumsumexp_cuda_kernelERKNSB_10TensorBaseESF_lENKUlvE_clEvENKUlvE_clEvEUlddE_dEEDaPvRmT3_T4_T5_mT6_P12ihipStream_tbENKUlT_T0_E_clISt17integral_constantIbLb0EESW_EEDaSR_SS_EUlSR_E_NS1_11comp_targetILNS1_3genE3ELNS1_11target_archE908ELNS1_3gpuE7ELNS1_3repE0EEENS1_30default_config_static_selectorELNS0_4arch9wavefront6targetE1EEEvT1_.has_recursion, 0
	.set _ZN7rocprim17ROCPRIM_400000_NS6detail17trampoline_kernelINS0_14default_configENS1_20scan_config_selectorIdEEZZNS1_9scan_implILNS1_25lookback_scan_determinismE0ELb0ELb0ES3_PKdPddZZZN2at6native31launch_logcumsumexp_cuda_kernelERKNSB_10TensorBaseESF_lENKUlvE_clEvENKUlvE_clEvEUlddE_dEEDaPvRmT3_T4_T5_mT6_P12ihipStream_tbENKUlT_T0_E_clISt17integral_constantIbLb0EESW_EEDaSR_SS_EUlSR_E_NS1_11comp_targetILNS1_3genE3ELNS1_11target_archE908ELNS1_3gpuE7ELNS1_3repE0EEENS1_30default_config_static_selectorELNS0_4arch9wavefront6targetE1EEEvT1_.has_indirect_call, 0
	.section	.AMDGPU.csdata,"",@progbits
; Kernel info:
; codeLenInByte = 0
; TotalNumSgprs: 4
; NumVgprs: 0
; ScratchSize: 0
; MemoryBound: 0
; FloatMode: 240
; IeeeMode: 1
; LDSByteSize: 0 bytes/workgroup (compile time only)
; SGPRBlocks: 0
; VGPRBlocks: 0
; NumSGPRsForWavesPerEU: 4
; NumVGPRsForWavesPerEU: 1
; Occupancy: 10
; WaveLimiterHint : 0
; COMPUTE_PGM_RSRC2:SCRATCH_EN: 0
; COMPUTE_PGM_RSRC2:USER_SGPR: 6
; COMPUTE_PGM_RSRC2:TRAP_HANDLER: 0
; COMPUTE_PGM_RSRC2:TGID_X_EN: 1
; COMPUTE_PGM_RSRC2:TGID_Y_EN: 0
; COMPUTE_PGM_RSRC2:TGID_Z_EN: 0
; COMPUTE_PGM_RSRC2:TIDIG_COMP_CNT: 0
	.section	.text._ZN7rocprim17ROCPRIM_400000_NS6detail17trampoline_kernelINS0_14default_configENS1_20scan_config_selectorIdEEZZNS1_9scan_implILNS1_25lookback_scan_determinismE0ELb0ELb0ES3_PKdPddZZZN2at6native31launch_logcumsumexp_cuda_kernelERKNSB_10TensorBaseESF_lENKUlvE_clEvENKUlvE_clEvEUlddE_dEEDaPvRmT3_T4_T5_mT6_P12ihipStream_tbENKUlT_T0_E_clISt17integral_constantIbLb0EESW_EEDaSR_SS_EUlSR_E_NS1_11comp_targetILNS1_3genE2ELNS1_11target_archE906ELNS1_3gpuE6ELNS1_3repE0EEENS1_30default_config_static_selectorELNS0_4arch9wavefront6targetE1EEEvT1_,"axG",@progbits,_ZN7rocprim17ROCPRIM_400000_NS6detail17trampoline_kernelINS0_14default_configENS1_20scan_config_selectorIdEEZZNS1_9scan_implILNS1_25lookback_scan_determinismE0ELb0ELb0ES3_PKdPddZZZN2at6native31launch_logcumsumexp_cuda_kernelERKNSB_10TensorBaseESF_lENKUlvE_clEvENKUlvE_clEvEUlddE_dEEDaPvRmT3_T4_T5_mT6_P12ihipStream_tbENKUlT_T0_E_clISt17integral_constantIbLb0EESW_EEDaSR_SS_EUlSR_E_NS1_11comp_targetILNS1_3genE2ELNS1_11target_archE906ELNS1_3gpuE6ELNS1_3repE0EEENS1_30default_config_static_selectorELNS0_4arch9wavefront6targetE1EEEvT1_,comdat
	.globl	_ZN7rocprim17ROCPRIM_400000_NS6detail17trampoline_kernelINS0_14default_configENS1_20scan_config_selectorIdEEZZNS1_9scan_implILNS1_25lookback_scan_determinismE0ELb0ELb0ES3_PKdPddZZZN2at6native31launch_logcumsumexp_cuda_kernelERKNSB_10TensorBaseESF_lENKUlvE_clEvENKUlvE_clEvEUlddE_dEEDaPvRmT3_T4_T5_mT6_P12ihipStream_tbENKUlT_T0_E_clISt17integral_constantIbLb0EESW_EEDaSR_SS_EUlSR_E_NS1_11comp_targetILNS1_3genE2ELNS1_11target_archE906ELNS1_3gpuE6ELNS1_3repE0EEENS1_30default_config_static_selectorELNS0_4arch9wavefront6targetE1EEEvT1_ ; -- Begin function _ZN7rocprim17ROCPRIM_400000_NS6detail17trampoline_kernelINS0_14default_configENS1_20scan_config_selectorIdEEZZNS1_9scan_implILNS1_25lookback_scan_determinismE0ELb0ELb0ES3_PKdPddZZZN2at6native31launch_logcumsumexp_cuda_kernelERKNSB_10TensorBaseESF_lENKUlvE_clEvENKUlvE_clEvEUlddE_dEEDaPvRmT3_T4_T5_mT6_P12ihipStream_tbENKUlT_T0_E_clISt17integral_constantIbLb0EESW_EEDaSR_SS_EUlSR_E_NS1_11comp_targetILNS1_3genE2ELNS1_11target_archE906ELNS1_3gpuE6ELNS1_3repE0EEENS1_30default_config_static_selectorELNS0_4arch9wavefront6targetE1EEEvT1_
	.p2align	8
	.type	_ZN7rocprim17ROCPRIM_400000_NS6detail17trampoline_kernelINS0_14default_configENS1_20scan_config_selectorIdEEZZNS1_9scan_implILNS1_25lookback_scan_determinismE0ELb0ELb0ES3_PKdPddZZZN2at6native31launch_logcumsumexp_cuda_kernelERKNSB_10TensorBaseESF_lENKUlvE_clEvENKUlvE_clEvEUlddE_dEEDaPvRmT3_T4_T5_mT6_P12ihipStream_tbENKUlT_T0_E_clISt17integral_constantIbLb0EESW_EEDaSR_SS_EUlSR_E_NS1_11comp_targetILNS1_3genE2ELNS1_11target_archE906ELNS1_3gpuE6ELNS1_3repE0EEENS1_30default_config_static_selectorELNS0_4arch9wavefront6targetE1EEEvT1_,@function
_ZN7rocprim17ROCPRIM_400000_NS6detail17trampoline_kernelINS0_14default_configENS1_20scan_config_selectorIdEEZZNS1_9scan_implILNS1_25lookback_scan_determinismE0ELb0ELb0ES3_PKdPddZZZN2at6native31launch_logcumsumexp_cuda_kernelERKNSB_10TensorBaseESF_lENKUlvE_clEvENKUlvE_clEvEUlddE_dEEDaPvRmT3_T4_T5_mT6_P12ihipStream_tbENKUlT_T0_E_clISt17integral_constantIbLb0EESW_EEDaSR_SS_EUlSR_E_NS1_11comp_targetILNS1_3genE2ELNS1_11target_archE906ELNS1_3gpuE6ELNS1_3repE0EEENS1_30default_config_static_selectorELNS0_4arch9wavefront6targetE1EEEvT1_: ; @_ZN7rocprim17ROCPRIM_400000_NS6detail17trampoline_kernelINS0_14default_configENS1_20scan_config_selectorIdEEZZNS1_9scan_implILNS1_25lookback_scan_determinismE0ELb0ELb0ES3_PKdPddZZZN2at6native31launch_logcumsumexp_cuda_kernelERKNSB_10TensorBaseESF_lENKUlvE_clEvENKUlvE_clEvEUlddE_dEEDaPvRmT3_T4_T5_mT6_P12ihipStream_tbENKUlT_T0_E_clISt17integral_constantIbLb0EESW_EEDaSR_SS_EUlSR_E_NS1_11comp_targetILNS1_3genE2ELNS1_11target_archE906ELNS1_3gpuE6ELNS1_3repE0EEENS1_30default_config_static_selectorELNS0_4arch9wavefront6targetE1EEEvT1_
; %bb.0:
	s_load_dwordx8 s[36:43], s[4:5], 0x0
	s_load_dword s1, s[4:5], 0x38
	s_mul_i32 s0, s6, 0x500
                                        ; implicit-def: $vgpr102 : SGPR spill to VGPR lane
	v_lshlrev_b32_e32 v65, 3, v0
	s_waitcnt lgkmcnt(0)
	s_lshl_b64 s[34:35], s[38:39], 3
	s_add_u32 s2, s36, s34
	s_addc_u32 s3, s37, s35
	s_add_i32 s7, s1, -1
	s_mul_i32 s8, s7, 0x500
	s_sub_u32 s33, s42, s8
	s_subb_u32 s8, s43, 0
	s_mov_b32 s1, 0
	s_cmp_lg_u32 s6, s7
	v_writelane_b32 v102, s8, 0
	s_cselect_b64 s[8:9], -1, 0
	s_lshl_b64 s[38:39], s[0:1], 3
	s_add_u32 s2, s2, s38
	s_addc_u32 s3, s3, s39
	s_mov_b64 s[0:1], -1
	v_writelane_b32 v102, s8, 1
	s_and_b64 vcc, exec, s[8:9]
	v_writelane_b32 v102, s9, 2
	s_cbranch_vccz .LBB5_2
; %bb.1:
	v_mov_b32_e32 v1, s3
	v_add_co_u32_e32 v19, vcc, s2, v65
	v_addc_co_u32_e32 v20, vcc, 0, v1, vcc
	v_add_co_u32_e32 v9, vcc, 0x1000, v19
	v_addc_co_u32_e32 v10, vcc, 0, v20, vcc
	global_load_dwordx2 v[1:2], v65, s[2:3]
	global_load_dwordx2 v[3:4], v65, s[2:3] offset:1024
	global_load_dwordx2 v[5:6], v65, s[2:3] offset:2048
	;; [unrolled: 1-line block ×3, first 2 shown]
	global_load_dwordx2 v[11:12], v[9:10], off
	global_load_dwordx2 v[13:14], v[9:10], off offset:1024
	global_load_dwordx2 v[15:16], v[9:10], off offset:2048
	;; [unrolled: 1-line block ×3, first 2 shown]
	v_add_co_u32_e32 v9, vcc, 0x2000, v19
	v_addc_co_u32_e32 v10, vcc, 0, v20, vcc
	global_load_dwordx2 v[19:20], v[9:10], off
	global_load_dwordx2 v[21:22], v[9:10], off offset:1024
	s_mov_b64 s[0:1], 0
	s_waitcnt vmcnt(8)
	ds_write2st64_b64 v65, v[1:2], v[3:4] offset1:2
	s_waitcnt vmcnt(6)
	ds_write2st64_b64 v65, v[5:6], v[7:8] offset0:4 offset1:6
	s_waitcnt vmcnt(4)
	ds_write2st64_b64 v65, v[11:12], v[13:14] offset0:8 offset1:10
	;; [unrolled: 2-line block ×4, first 2 shown]
	s_waitcnt lgkmcnt(0)
	s_barrier
.LBB5_2:
	s_load_dwordx2 s[42:43], s[4:5], 0x30
	s_andn2_b64 vcc, exec, s[0:1]
	v_cmp_gt_u32_e64 s[0:1], s33, v0
	s_cbranch_vccnz .LBB5_24
; %bb.3:
	s_load_dwordx2 s[8:9], s[2:3], 0x0
	s_waitcnt lgkmcnt(0)
	v_mov_b32_e32 v1, s8
	v_mov_b32_e32 v2, s9
	s_and_saveexec_b64 s[10:11], s[0:1]
	s_cbranch_execz .LBB5_5
; %bb.4:
	global_load_dwordx2 v[1:2], v65, s[2:3]
.LBB5_5:
	s_or_b64 exec, exec, s[10:11]
	v_or_b32_e32 v3, 0x80, v0
	v_cmp_gt_u32_e32 vcc, s33, v3
	v_mov_b32_e32 v3, s8
	v_mov_b32_e32 v4, s9
	s_and_saveexec_b64 s[0:1], vcc
	s_cbranch_execz .LBB5_7
; %bb.6:
	global_load_dwordx2 v[3:4], v65, s[2:3] offset:1024
.LBB5_7:
	s_or_b64 exec, exec, s[0:1]
	v_or_b32_e32 v5, 0x100, v0
	v_cmp_gt_u32_e32 vcc, s33, v5
	v_mov_b32_e32 v5, s8
	v_mov_b32_e32 v6, s9
	s_and_saveexec_b64 s[0:1], vcc
	s_cbranch_execz .LBB5_9
; %bb.8:
	global_load_dwordx2 v[5:6], v65, s[2:3] offset:2048
.LBB5_9:
	;; [unrolled: 10-line block ×3, first 2 shown]
	s_or_b64 exec, exec, s[0:1]
	v_or_b32_e32 v11, 0x200, v0
	v_mov_b32_e32 v10, s9
	v_cmp_gt_u32_e32 vcc, s33, v11
	v_mov_b32_e32 v9, s8
	s_and_saveexec_b64 s[0:1], vcc
	s_cbranch_execz .LBB5_13
; %bb.12:
	v_lshlrev_b32_e32 v9, 3, v11
	global_load_dwordx2 v[9:10], v9, s[2:3]
.LBB5_13:
	s_or_b64 exec, exec, s[0:1]
	v_or_b32_e32 v13, 0x280, v0
	v_mov_b32_e32 v12, s9
	v_cmp_gt_u32_e32 vcc, s33, v13
	v_mov_b32_e32 v11, s8
	s_and_saveexec_b64 s[0:1], vcc
	s_cbranch_execz .LBB5_15
; %bb.14:
	v_lshlrev_b32_e32 v11, 3, v13
	global_load_dwordx2 v[11:12], v11, s[2:3]
.LBB5_15:
	;; [unrolled: 11-line block ×6, first 2 shown]
	s_or_b64 exec, exec, s[0:1]
	s_waitcnt vmcnt(0)
	ds_write2st64_b64 v65, v[1:2], v[3:4] offset1:2
	ds_write2st64_b64 v65, v[5:6], v[7:8] offset0:4 offset1:6
	ds_write2st64_b64 v65, v[9:10], v[11:12] offset0:8 offset1:10
	;; [unrolled: 1-line block ×4, first 2 shown]
	s_waitcnt lgkmcnt(0)
	s_barrier
.LBB5_24:
	v_mul_u32_u24_e32 v66, 0x50, v0
	s_waitcnt lgkmcnt(0)
	ds_read_b128 v[1:4], v66
	ds_read_b128 v[17:20], v66 offset:16
	ds_read_b128 v[13:16], v66 offset:32
	;; [unrolled: 1-line block ×4, first 2 shown]
	s_cmp_lg_u32 s6, 0
	s_waitcnt lgkmcnt(0)
	v_cmp_u_f64_e64 s[0:1], v[3:4], v[3:4]
	v_max_f64 v[41:42], v[3:4], v[3:4]
	s_barrier
	s_cbranch_scc0 .LBB5_142
; %bb.25:
	v_max_f64 v[47:48], v[1:2], v[1:2]
	v_cmp_u_f64_e64 s[20:21], v[1:2], v[1:2]
	s_movk_i32 s7, 0x1f8
	v_mov_b32_e32 v50, v2
	v_mov_b32_e32 v49, v1
	v_min_f64 v[21:22], v[47:48], v[41:42]
	v_max_f64 v[23:24], v[47:48], v[41:42]
	v_cndmask_b32_e64 v21, v21, v1, s[20:21]
	v_cndmask_b32_e64 v22, v22, v2, s[20:21]
	;; [unrolled: 1-line block ×8, first 2 shown]
	v_cmp_neq_f64_e32 vcc, v[23:24], v[21:22]
	v_cmp_class_f64_e64 s[2:3], v[23:24], s7
	s_or_b64 s[2:3], vcc, s[2:3]
	s_and_saveexec_b64 s[8:9], s[2:3]
	s_cbranch_execz .LBB5_27
; %bb.26:
	v_add_f64 v[23:24], v[23:24], -v[21:22]
	s_mov_b32 s2, 0x652b82fe
	s_mov_b32 s3, 0x3ff71547
	s_mov_b32 s11, 0xbfe62e42
	s_mov_b32 s10, 0xfefa39ef
	s_mov_b32 s13, 0xbc7abc9e
	s_mov_b32 s12, 0x3b39803f
	v_mov_b32_e32 v29, 0xfca7ab0c
	v_mul_f64 v[25:26], v[23:24], s[2:3]
	s_mov_b32 s2, 0x6a5dcb37
	v_mov_b32_e32 v30, 0x3e928af3
	s_mov_b32 s3, 0x3e5ade15
	s_mov_b32 s14, 0
	;; [unrolled: 1-line block ×3, first 2 shown]
	v_mov_b32_e32 v51, 0x7ff00000
	v_rndne_f64_e32 v[25:26], v[25:26]
	v_fma_f64 v[27:28], v[25:26], s[10:11], v[23:24]
	s_mov_b32 s11, 0x3fe62e42
	v_fma_f64 v[27:28], v[25:26], s[12:13], v[27:28]
	v_cvt_i32_f64_e32 v25, v[25:26]
	s_mov_b32 s13, 0x3c7abc9e
	v_fma_f64 v[29:30], v[27:28], s[2:3], v[29:30]
	s_mov_b32 s2, 0x623fde64
	s_mov_b32 s3, 0x3ec71dee
	v_fma_f64 v[29:30], v[27:28], v[29:30], s[2:3]
	s_mov_b32 s2, 0x7c89e6b0
	;; [unrolled: 3-line block ×9, first 2 shown]
	s_mov_b32 s3, 0x40900000
	v_cmp_nlt_f64_e32 vcc, s[2:3], v[23:24]
	v_cmp_ngt_f64_e64 s[2:3], s[14:15], v[23:24]
	s_mov_b32 s14, 0xbf559e2b
	s_mov_b32 s15, 0x3fc3ab76
	v_fma_f64 v[29:30], v[27:28], v[29:30], 1.0
	v_fma_f64 v[27:28], v[27:28], v[29:30], 1.0
	v_ldexp_f64 v[25:26], v[27:28], v25
	v_cndmask_b32_e32 v26, v51, v26, vcc
	s_and_b64 vcc, s[2:3], vcc
	v_cndmask_b32_e64 v24, 0, v26, s[2:3]
	v_cndmask_b32_e32 v23, 0, v25, vcc
	v_add_f64 v[25:26], v[23:24], 1.0
	s_mov_b32 s3, 0x3fe55555
	s_mov_b32 s2, 0x55555555
	v_frexp_mant_f64_e32 v[29:30], v[25:26]
	v_frexp_exp_i32_f64_e32 v33, v[25:26]
	v_add_f64 v[27:28], v[25:26], -1.0
	v_cmp_gt_f64_e32 vcc, s[2:3], v[29:30]
	s_mov_b32 s2, 0x55555780
	v_add_f64 v[31:32], v[27:28], -v[25:26]
	v_add_f64 v[27:28], v[23:24], -v[27:28]
	v_subbrev_co_u32_e32 v52, vcc, 0, v33, vcc
	v_sub_u32_e32 v33, 0, v52
	v_ldexp_f64 v[25:26], v[25:26], v33
	v_add_f64 v[29:30], v[31:32], 1.0
	v_cmp_nge_f64_e32 vcc, -1.0, v[23:24]
	v_add_f64 v[31:32], v[25:26], 1.0
	v_add_f64 v[27:28], v[27:28], v[29:30]
	v_add_f64 v[37:38], v[25:26], -1.0
	v_add_f64 v[29:30], v[31:32], -1.0
	v_ldexp_f64 v[27:28], v[27:28], v33
	v_add_f64 v[39:40], v[37:38], 1.0
	v_add_f64 v[29:30], v[25:26], -v[29:30]
	v_add_f64 v[25:26], v[25:26], -v[39:40]
	v_add_f64 v[29:30], v[27:28], v[29:30]
	v_add_f64 v[25:26], v[27:28], v[25:26]
	;; [unrolled: 1-line block ×4, first 2 shown]
	v_rcp_f64_e32 v[35:36], v[33:34]
	v_add_f64 v[31:32], v[33:34], -v[31:32]
	v_add_f64 v[37:38], v[39:40], -v[37:38]
	;; [unrolled: 1-line block ×4, first 2 shown]
	v_fma_f64 v[43:44], -v[33:34], v[35:36], 1.0
	v_fma_f64 v[35:36], v[43:44], v[35:36], v[35:36]
	v_fma_f64 v[27:28], -v[33:34], v[35:36], 1.0
	v_fma_f64 v[27:28], v[27:28], v[35:36], v[35:36]
	v_mul_f64 v[35:36], v[39:40], v[27:28]
	v_mul_f64 v[43:44], v[33:34], v[35:36]
	v_fma_f64 v[31:32], v[35:36], v[33:34], -v[43:44]
	v_fma_f64 v[31:32], v[35:36], v[29:30], v[31:32]
	v_add_f64 v[45:46], v[43:44], v[31:32]
	v_add_f64 v[49:50], v[39:40], -v[45:46]
	v_add_f64 v[37:38], v[45:46], -v[43:44]
	;; [unrolled: 1-line block ×5, first 2 shown]
	v_add_f64 v[25:26], v[25:26], v[39:40]
	v_add_f64 v[25:26], v[31:32], v[25:26]
	;; [unrolled: 1-line block ×3, first 2 shown]
	v_mul_f64 v[37:38], v[27:28], v[31:32]
	v_add_f64 v[45:46], v[49:50], -v[31:32]
	v_mul_f64 v[39:40], v[33:34], v[37:38]
	v_add_f64 v[25:26], v[25:26], v[45:46]
	v_fma_f64 v[33:34], v[37:38], v[33:34], -v[39:40]
	v_fma_f64 v[29:30], v[37:38], v[29:30], v[33:34]
	v_add_f64 v[33:34], v[39:40], v[29:30]
	v_add_f64 v[43:44], v[31:32], -v[33:34]
	v_add_f64 v[39:40], v[33:34], -v[39:40]
	;; [unrolled: 1-line block ×5, first 2 shown]
	v_mov_b32_e32 v33, 0x6b47b09a
	v_mov_b32_e32 v34, 0x3fc38538
	v_add_f64 v[25:26], v[25:26], v[31:32]
	v_add_f64 v[31:32], v[35:36], v[37:38]
	;; [unrolled: 1-line block ×3, first 2 shown]
	v_add_f64 v[29:30], v[31:32], -v[35:36]
	v_add_f64 v[25:26], v[43:44], v[25:26]
	v_add_f64 v[29:30], v[37:38], -v[29:30]
	v_mul_f64 v[25:26], v[27:28], v[25:26]
	v_add_f64 v[25:26], v[29:30], v[25:26]
	v_add_f64 v[27:28], v[31:32], v[25:26]
	v_mul_f64 v[29:30], v[27:28], v[27:28]
	v_fma_f64 v[33:34], v[29:30], s[14:15], v[33:34]
	s_mov_b32 s14, 0xd7f4df2e
	s_mov_b32 s15, 0x3fc7474d
	v_mul_f64 v[35:36], v[27:28], v[29:30]
	v_fma_f64 v[33:34], v[29:30], v[33:34], s[14:15]
	s_mov_b32 s14, 0x16291751
	s_mov_b32 s15, 0x3fcc71c0
	v_fma_f64 v[33:34], v[29:30], v[33:34], s[14:15]
	s_mov_b32 s14, 0x9b27acf1
	s_mov_b32 s15, 0x3fd24924
	v_fma_f64 v[33:34], v[29:30], v[33:34], s[14:15]
	s_mov_b32 s14, 0x998ef7b6
	s_mov_b32 s15, 0x3fd99999
	v_fma_f64 v[33:34], v[29:30], v[33:34], s[14:15]
	v_fma_f64 v[29:30], v[29:30], v[33:34], s[2:3]
	v_ldexp_f64 v[33:34], v[27:28], 1
	v_add_f64 v[27:28], v[27:28], -v[31:32]
	s_mov_b32 s2, 0
	s_mov_b32 s3, 0x7ff00000
	v_cmp_neq_f64_e64 s[2:3], s[2:3], v[23:24]
	v_mul_f64 v[29:30], v[35:36], v[29:30]
	v_cvt_f64_i32_e32 v[35:36], v52
	v_add_f64 v[25:26], v[25:26], -v[27:28]
	v_mul_f64 v[37:38], v[35:36], s[10:11]
	s_and_b64 vcc, vcc, s[2:3]
	v_add_f64 v[31:32], v[33:34], v[29:30]
	v_ldexp_f64 v[25:26], v[25:26], 1
	v_add_f64 v[27:28], v[31:32], -v[33:34]
	v_fma_f64 v[33:34], v[35:36], s[10:11], -v[37:38]
	v_add_f64 v[27:28], v[29:30], -v[27:28]
	v_fma_f64 v[29:30], v[35:36], s[12:13], v[33:34]
	v_add_f64 v[25:26], v[25:26], v[27:28]
	v_add_f64 v[27:28], v[37:38], v[29:30]
	;; [unrolled: 1-line block ×3, first 2 shown]
	v_add_f64 v[37:38], v[27:28], -v[37:38]
	v_add_f64 v[35:36], v[27:28], v[33:34]
	v_add_f64 v[31:32], v[33:34], -v[31:32]
	v_add_f64 v[29:30], v[29:30], -v[37:38]
	;; [unrolled: 1-line block ×6, first 2 shown]
	v_add_f64 v[33:34], v[29:30], v[25:26]
	v_add_f64 v[27:28], v[27:28], -v[43:44]
	v_add_f64 v[27:28], v[31:32], v[27:28]
	v_add_f64 v[31:32], v[33:34], -v[29:30]
	;; [unrolled: 2-line block ×3, first 2 shown]
	v_add_f64 v[25:26], v[25:26], -v[31:32]
	v_add_f64 v[37:38], v[35:36], v[27:28]
	v_add_f64 v[29:30], v[29:30], -v[33:34]
	v_add_f64 v[31:32], v[37:38], -v[35:36]
	v_add_f64 v[25:26], v[25:26], v[29:30]
	v_add_f64 v[27:28], v[27:28], -v[31:32]
	v_add_f64 v[25:26], v[25:26], v[27:28]
	v_mov_b32_e32 v27, 0x7ff80000
	v_mov_b32_e32 v28, 0xfff00000
	v_add_f64 v[25:26], v[37:38], v[25:26]
	v_cndmask_b32_e32 v25, 0, v25, vcc
	v_cmp_ngt_f64_e32 vcc, -1.0, v[23:24]
	v_cndmask_b32_e64 v26, v51, v26, s[2:3]
	v_cndmask_b32_e32 v26, v27, v26, vcc
	v_cmp_neq_f64_e32 vcc, -1.0, v[23:24]
	v_cndmask_b32_e32 v26, v28, v26, vcc
	v_add_f64 v[49:50], v[21:22], v[25:26]
.LBB5_27:
	s_or_b64 exec, exec, s[8:9]
	v_max_f64 v[31:32], v[17:18], v[17:18]
	v_max_f64 v[21:22], v[49:50], v[49:50]
	v_cmp_u_f64_e32 vcc, v[49:50], v[49:50]
	v_cmp_u_f64_e64 s[2:3], v[17:18], v[17:18]
	v_min_f64 v[23:24], v[21:22], v[31:32]
	v_max_f64 v[21:22], v[21:22], v[31:32]
	v_cndmask_b32_e32 v23, v23, v49, vcc
	v_cndmask_b32_e32 v24, v24, v50, vcc
	;; [unrolled: 1-line block ×4, first 2 shown]
	v_cndmask_b32_e64 v24, v24, v18, s[2:3]
	v_cndmask_b32_e64 v23, v23, v17, s[2:3]
	;; [unrolled: 1-line block ×4, first 2 shown]
	v_cmp_neq_f64_e32 vcc, v[23:24], v[21:22]
	v_cmp_class_f64_e64 s[8:9], v[23:24], s7
	s_or_b64 s[8:9], vcc, s[8:9]
	s_and_saveexec_b64 s[10:11], s[8:9]
	s_cbranch_execz .LBB5_29
; %bb.28:
	v_add_f64 v[23:24], v[23:24], -v[21:22]
	s_mov_b32 s8, 0x652b82fe
	s_mov_b32 s9, 0x3ff71547
	;; [unrolled: 1-line block ×6, first 2 shown]
	v_mov_b32_e32 v29, 0xfca7ab0c
	v_mul_f64 v[25:26], v[23:24], s[8:9]
	s_mov_b32 s8, 0x6a5dcb37
	v_mov_b32_e32 v30, 0x3e928af3
	s_mov_b32 s9, 0x3e5ade15
	s_mov_b32 s16, 0
	s_mov_b32 s17, 0xc090cc00
	v_mov_b32_e32 v53, 0x7ff00000
	v_rndne_f64_e32 v[25:26], v[25:26]
	v_fma_f64 v[27:28], v[25:26], s[12:13], v[23:24]
	s_mov_b32 s13, 0x3fe62e42
	v_fma_f64 v[27:28], v[25:26], s[14:15], v[27:28]
	v_cvt_i32_f64_e32 v25, v[25:26]
	s_mov_b32 s15, 0x3c7abc9e
	v_fma_f64 v[29:30], v[27:28], s[8:9], v[29:30]
	s_mov_b32 s8, 0x623fde64
	s_mov_b32 s9, 0x3ec71dee
	v_fma_f64 v[29:30], v[27:28], v[29:30], s[8:9]
	s_mov_b32 s8, 0x7c89e6b0
	;; [unrolled: 3-line block ×9, first 2 shown]
	s_mov_b32 s9, 0x40900000
	v_cmp_nlt_f64_e32 vcc, s[8:9], v[23:24]
	v_cmp_ngt_f64_e64 s[8:9], s[16:17], v[23:24]
	s_mov_b32 s16, 0xbf559e2b
	s_mov_b32 s17, 0x3fc3ab76
	v_fma_f64 v[29:30], v[27:28], v[29:30], 1.0
	v_fma_f64 v[27:28], v[27:28], v[29:30], 1.0
	v_ldexp_f64 v[25:26], v[27:28], v25
	v_cndmask_b32_e32 v26, v53, v26, vcc
	s_and_b64 vcc, s[8:9], vcc
	v_cndmask_b32_e64 v24, 0, v26, s[8:9]
	v_cndmask_b32_e32 v23, 0, v25, vcc
	v_add_f64 v[25:26], v[23:24], 1.0
	s_mov_b32 s9, 0x3fe55555
	s_mov_b32 s8, 0x55555555
	v_frexp_mant_f64_e32 v[29:30], v[25:26]
	v_frexp_exp_i32_f64_e32 v35, v[25:26]
	v_add_f64 v[27:28], v[25:26], -1.0
	v_cmp_gt_f64_e32 vcc, s[8:9], v[29:30]
	s_mov_b32 s8, 0x55555780
	v_add_f64 v[33:34], v[27:28], -v[25:26]
	v_add_f64 v[27:28], v[23:24], -v[27:28]
	v_subbrev_co_u32_e32 v54, vcc, 0, v35, vcc
	v_sub_u32_e32 v35, 0, v54
	v_ldexp_f64 v[25:26], v[25:26], v35
	v_add_f64 v[29:30], v[33:34], 1.0
	v_cmp_nge_f64_e32 vcc, -1.0, v[23:24]
	v_add_f64 v[33:34], v[25:26], 1.0
	v_add_f64 v[27:28], v[27:28], v[29:30]
	v_add_f64 v[39:40], v[25:26], -1.0
	v_add_f64 v[29:30], v[33:34], -1.0
	v_ldexp_f64 v[27:28], v[27:28], v35
	v_add_f64 v[43:44], v[39:40], 1.0
	v_add_f64 v[29:30], v[25:26], -v[29:30]
	v_add_f64 v[25:26], v[25:26], -v[43:44]
	v_add_f64 v[29:30], v[27:28], v[29:30]
	v_add_f64 v[25:26], v[27:28], v[25:26]
	;; [unrolled: 1-line block ×4, first 2 shown]
	v_rcp_f64_e32 v[37:38], v[35:36]
	v_add_f64 v[33:34], v[35:36], -v[33:34]
	v_add_f64 v[39:40], v[43:44], -v[39:40]
	;; [unrolled: 1-line block ×4, first 2 shown]
	v_fma_f64 v[45:46], -v[35:36], v[37:38], 1.0
	v_fma_f64 v[37:38], v[45:46], v[37:38], v[37:38]
	v_fma_f64 v[27:28], -v[35:36], v[37:38], 1.0
	v_fma_f64 v[27:28], v[27:28], v[37:38], v[37:38]
	v_mul_f64 v[37:38], v[43:44], v[27:28]
	v_mul_f64 v[45:46], v[35:36], v[37:38]
	v_fma_f64 v[33:34], v[37:38], v[35:36], -v[45:46]
	v_fma_f64 v[33:34], v[37:38], v[29:30], v[33:34]
	v_add_f64 v[49:50], v[45:46], v[33:34]
	v_add_f64 v[51:52], v[43:44], -v[49:50]
	v_add_f64 v[39:40], v[49:50], -v[45:46]
	;; [unrolled: 1-line block ×5, first 2 shown]
	v_add_f64 v[25:26], v[25:26], v[43:44]
	v_add_f64 v[25:26], v[33:34], v[25:26]
	;; [unrolled: 1-line block ×3, first 2 shown]
	v_mul_f64 v[39:40], v[27:28], v[33:34]
	v_add_f64 v[49:50], v[51:52], -v[33:34]
	v_mul_f64 v[43:44], v[35:36], v[39:40]
	v_add_f64 v[25:26], v[25:26], v[49:50]
	v_fma_f64 v[35:36], v[39:40], v[35:36], -v[43:44]
	v_fma_f64 v[29:30], v[39:40], v[29:30], v[35:36]
	v_add_f64 v[35:36], v[43:44], v[29:30]
	v_add_f64 v[45:46], v[33:34], -v[35:36]
	v_add_f64 v[43:44], v[35:36], -v[43:44]
	v_add_f64 v[33:34], v[33:34], -v[45:46]
	v_add_f64 v[29:30], v[43:44], -v[29:30]
	v_add_f64 v[33:34], v[33:34], -v[35:36]
	v_mov_b32_e32 v35, 0x6b47b09a
	v_mov_b32_e32 v36, 0x3fc38538
	v_add_f64 v[25:26], v[25:26], v[33:34]
	v_add_f64 v[33:34], v[37:38], v[39:40]
	;; [unrolled: 1-line block ×3, first 2 shown]
	v_add_f64 v[29:30], v[33:34], -v[37:38]
	v_add_f64 v[25:26], v[45:46], v[25:26]
	v_add_f64 v[29:30], v[39:40], -v[29:30]
	v_mul_f64 v[25:26], v[27:28], v[25:26]
	v_add_f64 v[25:26], v[29:30], v[25:26]
	v_add_f64 v[27:28], v[33:34], v[25:26]
	v_mul_f64 v[29:30], v[27:28], v[27:28]
	v_fma_f64 v[35:36], v[29:30], s[16:17], v[35:36]
	s_mov_b32 s16, 0xd7f4df2e
	s_mov_b32 s17, 0x3fc7474d
	v_mul_f64 v[37:38], v[27:28], v[29:30]
	v_fma_f64 v[35:36], v[29:30], v[35:36], s[16:17]
	s_mov_b32 s16, 0x16291751
	s_mov_b32 s17, 0x3fcc71c0
	v_fma_f64 v[35:36], v[29:30], v[35:36], s[16:17]
	s_mov_b32 s16, 0x9b27acf1
	s_mov_b32 s17, 0x3fd24924
	;; [unrolled: 3-line block ×3, first 2 shown]
	v_fma_f64 v[35:36], v[29:30], v[35:36], s[16:17]
	v_fma_f64 v[29:30], v[29:30], v[35:36], s[8:9]
	v_ldexp_f64 v[35:36], v[27:28], 1
	v_add_f64 v[27:28], v[27:28], -v[33:34]
	s_mov_b32 s8, 0
	s_mov_b32 s9, 0x7ff00000
	v_cmp_neq_f64_e64 s[8:9], s[8:9], v[23:24]
	v_mul_f64 v[29:30], v[37:38], v[29:30]
	v_cvt_f64_i32_e32 v[37:38], v54
	v_add_f64 v[25:26], v[25:26], -v[27:28]
	v_mul_f64 v[39:40], v[37:38], s[12:13]
	s_and_b64 vcc, vcc, s[8:9]
	v_add_f64 v[33:34], v[35:36], v[29:30]
	v_ldexp_f64 v[25:26], v[25:26], 1
	v_add_f64 v[27:28], v[33:34], -v[35:36]
	v_fma_f64 v[35:36], v[37:38], s[12:13], -v[39:40]
	v_add_f64 v[27:28], v[29:30], -v[27:28]
	v_fma_f64 v[29:30], v[37:38], s[14:15], v[35:36]
	v_add_f64 v[25:26], v[25:26], v[27:28]
	v_add_f64 v[27:28], v[39:40], v[29:30]
	;; [unrolled: 1-line block ×3, first 2 shown]
	v_add_f64 v[39:40], v[27:28], -v[39:40]
	v_add_f64 v[37:38], v[27:28], v[35:36]
	v_add_f64 v[33:34], v[35:36], -v[33:34]
	v_add_f64 v[29:30], v[29:30], -v[39:40]
	;; [unrolled: 1-line block ×6, first 2 shown]
	v_add_f64 v[35:36], v[29:30], v[25:26]
	v_add_f64 v[27:28], v[27:28], -v[45:46]
	v_add_f64 v[27:28], v[33:34], v[27:28]
	v_add_f64 v[33:34], v[35:36], -v[29:30]
	;; [unrolled: 2-line block ×3, first 2 shown]
	v_add_f64 v[25:26], v[25:26], -v[33:34]
	v_add_f64 v[39:40], v[37:38], v[27:28]
	v_add_f64 v[29:30], v[29:30], -v[35:36]
	v_add_f64 v[33:34], v[39:40], -v[37:38]
	v_add_f64 v[25:26], v[25:26], v[29:30]
	v_add_f64 v[27:28], v[27:28], -v[33:34]
	v_add_f64 v[25:26], v[25:26], v[27:28]
	v_mov_b32_e32 v27, 0x7ff80000
	v_mov_b32_e32 v28, 0xfff00000
	v_add_f64 v[25:26], v[39:40], v[25:26]
	v_cndmask_b32_e32 v25, 0, v25, vcc
	v_cmp_ngt_f64_e32 vcc, -1.0, v[23:24]
	v_cndmask_b32_e64 v26, v53, v26, s[8:9]
	v_cndmask_b32_e32 v26, v27, v26, vcc
	v_cmp_neq_f64_e32 vcc, -1.0, v[23:24]
	v_cndmask_b32_e32 v26, v28, v26, vcc
	v_add_f64 v[49:50], v[21:22], v[25:26]
.LBB5_29:
	s_or_b64 exec, exec, s[10:11]
	v_max_f64 v[29:30], v[19:20], v[19:20]
	v_max_f64 v[21:22], v[49:50], v[49:50]
	v_cmp_u_f64_e32 vcc, v[49:50], v[49:50]
	v_cmp_u_f64_e64 s[28:29], v[19:20], v[19:20]
	v_min_f64 v[23:24], v[21:22], v[29:30]
	v_max_f64 v[21:22], v[21:22], v[29:30]
	v_cndmask_b32_e32 v23, v23, v49, vcc
	v_cndmask_b32_e32 v24, v24, v50, vcc
	;; [unrolled: 1-line block ×4, first 2 shown]
	v_cndmask_b32_e64 v24, v24, v20, s[28:29]
	v_cndmask_b32_e64 v23, v23, v19, s[28:29]
	;; [unrolled: 1-line block ×4, first 2 shown]
	v_cmp_neq_f64_e32 vcc, v[23:24], v[21:22]
	v_cmp_class_f64_e64 s[8:9], v[23:24], s7
	s_or_b64 s[8:9], vcc, s[8:9]
	s_and_saveexec_b64 s[10:11], s[8:9]
	s_cbranch_execz .LBB5_31
; %bb.30:
	v_add_f64 v[23:24], v[23:24], -v[21:22]
	s_mov_b32 s8, 0x652b82fe
	s_mov_b32 s9, 0x3ff71547
	s_mov_b32 s13, 0xbfe62e42
	s_mov_b32 s12, 0xfefa39ef
	s_mov_b32 s15, 0xbc7abc9e
	s_mov_b32 s14, 0x3b39803f
	v_mov_b32_e32 v33, 0xfca7ab0c
	v_mul_f64 v[25:26], v[23:24], s[8:9]
	s_mov_b32 s8, 0x6a5dcb37
	v_mov_b32_e32 v34, 0x3e928af3
	s_mov_b32 s9, 0x3e5ade15
	s_mov_b32 s16, 0
	;; [unrolled: 1-line block ×3, first 2 shown]
	v_mov_b32_e32 v55, 0x7ff00000
	v_rndne_f64_e32 v[25:26], v[25:26]
	v_fma_f64 v[27:28], v[25:26], s[12:13], v[23:24]
	s_mov_b32 s13, 0x3fe62e42
	v_fma_f64 v[27:28], v[25:26], s[14:15], v[27:28]
	v_cvt_i32_f64_e32 v25, v[25:26]
	s_mov_b32 s15, 0x3c7abc9e
	v_fma_f64 v[33:34], v[27:28], s[8:9], v[33:34]
	s_mov_b32 s8, 0x623fde64
	s_mov_b32 s9, 0x3ec71dee
	v_fma_f64 v[33:34], v[27:28], v[33:34], s[8:9]
	s_mov_b32 s8, 0x7c89e6b0
	;; [unrolled: 3-line block ×9, first 2 shown]
	s_mov_b32 s9, 0x40900000
	v_cmp_nlt_f64_e32 vcc, s[8:9], v[23:24]
	v_cmp_ngt_f64_e64 s[8:9], s[16:17], v[23:24]
	s_mov_b32 s16, 0xbf559e2b
	s_mov_b32 s17, 0x3fc3ab76
	v_fma_f64 v[33:34], v[27:28], v[33:34], 1.0
	v_fma_f64 v[27:28], v[27:28], v[33:34], 1.0
	v_ldexp_f64 v[25:26], v[27:28], v25
	v_cndmask_b32_e32 v26, v55, v26, vcc
	s_and_b64 vcc, s[8:9], vcc
	v_cndmask_b32_e64 v24, 0, v26, s[8:9]
	v_cndmask_b32_e32 v23, 0, v25, vcc
	v_add_f64 v[25:26], v[23:24], 1.0
	s_mov_b32 s9, 0x3fe55555
	s_mov_b32 s8, 0x55555555
	v_frexp_mant_f64_e32 v[33:34], v[25:26]
	v_frexp_exp_i32_f64_e32 v37, v[25:26]
	v_add_f64 v[27:28], v[25:26], -1.0
	v_cmp_gt_f64_e32 vcc, s[8:9], v[33:34]
	s_mov_b32 s8, 0x55555780
	v_add_f64 v[35:36], v[27:28], -v[25:26]
	v_add_f64 v[27:28], v[23:24], -v[27:28]
	v_subbrev_co_u32_e32 v56, vcc, 0, v37, vcc
	v_sub_u32_e32 v37, 0, v56
	v_ldexp_f64 v[25:26], v[25:26], v37
	v_add_f64 v[33:34], v[35:36], 1.0
	v_cmp_nge_f64_e32 vcc, -1.0, v[23:24]
	v_add_f64 v[35:36], v[25:26], 1.0
	v_add_f64 v[27:28], v[27:28], v[33:34]
	v_add_f64 v[43:44], v[25:26], -1.0
	v_add_f64 v[33:34], v[35:36], -1.0
	v_ldexp_f64 v[27:28], v[27:28], v37
	v_add_f64 v[45:46], v[43:44], 1.0
	v_add_f64 v[33:34], v[25:26], -v[33:34]
	v_add_f64 v[25:26], v[25:26], -v[45:46]
	v_add_f64 v[33:34], v[27:28], v[33:34]
	v_add_f64 v[25:26], v[27:28], v[25:26]
	;; [unrolled: 1-line block ×4, first 2 shown]
	v_rcp_f64_e32 v[39:40], v[37:38]
	v_add_f64 v[35:36], v[37:38], -v[35:36]
	v_add_f64 v[43:44], v[45:46], -v[43:44]
	;; [unrolled: 1-line block ×4, first 2 shown]
	v_fma_f64 v[49:50], -v[37:38], v[39:40], 1.0
	v_fma_f64 v[39:40], v[49:50], v[39:40], v[39:40]
	v_fma_f64 v[27:28], -v[37:38], v[39:40], 1.0
	v_fma_f64 v[27:28], v[27:28], v[39:40], v[39:40]
	v_mul_f64 v[39:40], v[45:46], v[27:28]
	v_mul_f64 v[49:50], v[37:38], v[39:40]
	v_fma_f64 v[35:36], v[39:40], v[37:38], -v[49:50]
	v_fma_f64 v[35:36], v[39:40], v[33:34], v[35:36]
	v_add_f64 v[51:52], v[49:50], v[35:36]
	v_add_f64 v[53:54], v[45:46], -v[51:52]
	v_add_f64 v[43:44], v[51:52], -v[49:50]
	;; [unrolled: 1-line block ×5, first 2 shown]
	v_add_f64 v[25:26], v[25:26], v[45:46]
	v_add_f64 v[25:26], v[35:36], v[25:26]
	v_add_f64 v[35:36], v[53:54], v[25:26]
	v_mul_f64 v[43:44], v[27:28], v[35:36]
	v_add_f64 v[51:52], v[53:54], -v[35:36]
	v_mul_f64 v[45:46], v[37:38], v[43:44]
	v_add_f64 v[25:26], v[25:26], v[51:52]
	v_fma_f64 v[37:38], v[43:44], v[37:38], -v[45:46]
	v_fma_f64 v[33:34], v[43:44], v[33:34], v[37:38]
	v_add_f64 v[37:38], v[45:46], v[33:34]
	v_add_f64 v[49:50], v[35:36], -v[37:38]
	v_add_f64 v[45:46], v[37:38], -v[45:46]
	;; [unrolled: 1-line block ×5, first 2 shown]
	v_mov_b32_e32 v37, 0x6b47b09a
	v_mov_b32_e32 v38, 0x3fc38538
	v_add_f64 v[25:26], v[25:26], v[35:36]
	v_add_f64 v[35:36], v[39:40], v[43:44]
	;; [unrolled: 1-line block ×3, first 2 shown]
	v_add_f64 v[33:34], v[35:36], -v[39:40]
	v_add_f64 v[25:26], v[49:50], v[25:26]
	v_add_f64 v[33:34], v[43:44], -v[33:34]
	v_mul_f64 v[25:26], v[27:28], v[25:26]
	v_add_f64 v[25:26], v[33:34], v[25:26]
	v_add_f64 v[27:28], v[35:36], v[25:26]
	v_mul_f64 v[33:34], v[27:28], v[27:28]
	v_fma_f64 v[37:38], v[33:34], s[16:17], v[37:38]
	s_mov_b32 s16, 0xd7f4df2e
	s_mov_b32 s17, 0x3fc7474d
	v_mul_f64 v[39:40], v[27:28], v[33:34]
	v_fma_f64 v[37:38], v[33:34], v[37:38], s[16:17]
	s_mov_b32 s16, 0x16291751
	s_mov_b32 s17, 0x3fcc71c0
	v_fma_f64 v[37:38], v[33:34], v[37:38], s[16:17]
	s_mov_b32 s16, 0x9b27acf1
	s_mov_b32 s17, 0x3fd24924
	;; [unrolled: 3-line block ×3, first 2 shown]
	v_fma_f64 v[37:38], v[33:34], v[37:38], s[16:17]
	v_fma_f64 v[33:34], v[33:34], v[37:38], s[8:9]
	v_ldexp_f64 v[37:38], v[27:28], 1
	v_add_f64 v[27:28], v[27:28], -v[35:36]
	s_mov_b32 s8, 0
	s_mov_b32 s9, 0x7ff00000
	v_cmp_neq_f64_e64 s[8:9], s[8:9], v[23:24]
	v_mul_f64 v[33:34], v[39:40], v[33:34]
	v_cvt_f64_i32_e32 v[39:40], v56
	v_add_f64 v[25:26], v[25:26], -v[27:28]
	v_mul_f64 v[43:44], v[39:40], s[12:13]
	s_and_b64 vcc, vcc, s[8:9]
	v_add_f64 v[35:36], v[37:38], v[33:34]
	v_ldexp_f64 v[25:26], v[25:26], 1
	v_add_f64 v[27:28], v[35:36], -v[37:38]
	v_fma_f64 v[37:38], v[39:40], s[12:13], -v[43:44]
	v_add_f64 v[27:28], v[33:34], -v[27:28]
	v_fma_f64 v[33:34], v[39:40], s[14:15], v[37:38]
	v_add_f64 v[25:26], v[25:26], v[27:28]
	v_add_f64 v[27:28], v[43:44], v[33:34]
	;; [unrolled: 1-line block ×3, first 2 shown]
	v_add_f64 v[43:44], v[27:28], -v[43:44]
	v_add_f64 v[39:40], v[27:28], v[37:38]
	v_add_f64 v[35:36], v[37:38], -v[35:36]
	v_add_f64 v[33:34], v[33:34], -v[43:44]
	v_add_f64 v[45:46], v[39:40], -v[27:28]
	v_add_f64 v[25:26], v[25:26], -v[35:36]
	v_add_f64 v[49:50], v[39:40], -v[45:46]
	v_add_f64 v[35:36], v[37:38], -v[45:46]
	v_add_f64 v[37:38], v[33:34], v[25:26]
	v_add_f64 v[27:28], v[27:28], -v[49:50]
	v_add_f64 v[27:28], v[35:36], v[27:28]
	v_add_f64 v[35:36], v[37:38], -v[33:34]
	;; [unrolled: 2-line block ×3, first 2 shown]
	v_add_f64 v[25:26], v[25:26], -v[35:36]
	v_add_f64 v[43:44], v[39:40], v[27:28]
	v_add_f64 v[33:34], v[33:34], -v[37:38]
	v_add_f64 v[35:36], v[43:44], -v[39:40]
	v_add_f64 v[25:26], v[25:26], v[33:34]
	v_add_f64 v[27:28], v[27:28], -v[35:36]
	v_add_f64 v[25:26], v[25:26], v[27:28]
	v_mov_b32_e32 v27, 0x7ff80000
	v_mov_b32_e32 v28, 0xfff00000
	v_add_f64 v[25:26], v[43:44], v[25:26]
	v_cndmask_b32_e32 v25, 0, v25, vcc
	v_cmp_ngt_f64_e32 vcc, -1.0, v[23:24]
	v_cndmask_b32_e64 v26, v55, v26, s[8:9]
	v_cndmask_b32_e32 v26, v27, v26, vcc
	v_cmp_neq_f64_e32 vcc, -1.0, v[23:24]
	v_cndmask_b32_e32 v26, v28, v26, vcc
	v_add_f64 v[49:50], v[21:22], v[25:26]
.LBB5_31:
	s_or_b64 exec, exec, s[10:11]
	v_max_f64 v[35:36], v[13:14], v[13:14]
	v_max_f64 v[21:22], v[49:50], v[49:50]
	v_cmp_u_f64_e32 vcc, v[49:50], v[49:50]
	v_cmp_u_f64_e64 s[8:9], v[13:14], v[13:14]
	v_min_f64 v[23:24], v[21:22], v[35:36]
	v_max_f64 v[21:22], v[21:22], v[35:36]
	v_cndmask_b32_e32 v23, v23, v49, vcc
	v_cndmask_b32_e32 v24, v24, v50, vcc
	;; [unrolled: 1-line block ×4, first 2 shown]
	v_cndmask_b32_e64 v24, v24, v14, s[8:9]
	v_cndmask_b32_e64 v23, v23, v13, s[8:9]
	;; [unrolled: 1-line block ×4, first 2 shown]
	v_cmp_neq_f64_e32 vcc, v[23:24], v[21:22]
	v_cmp_class_f64_e64 s[10:11], v[23:24], s7
	s_or_b64 s[10:11], vcc, s[10:11]
	s_and_saveexec_b64 s[12:13], s[10:11]
	s_cbranch_execz .LBB5_33
; %bb.32:
	v_add_f64 v[23:24], v[23:24], -v[21:22]
	s_mov_b32 s10, 0x652b82fe
	s_mov_b32 s11, 0x3ff71547
	s_mov_b32 s15, 0xbfe62e42
	s_mov_b32 s14, 0xfefa39ef
	s_mov_b32 s17, 0xbc7abc9e
	s_mov_b32 s16, 0x3b39803f
	v_mov_b32_e32 v33, 0xfca7ab0c
	v_mul_f64 v[25:26], v[23:24], s[10:11]
	s_mov_b32 s10, 0x6a5dcb37
	v_mov_b32_e32 v34, 0x3e928af3
	s_mov_b32 s11, 0x3e5ade15
	s_mov_b32 s18, 0
	s_mov_b32 s19, 0xc090cc00
	v_mov_b32_e32 v57, 0x7ff00000
	v_rndne_f64_e32 v[25:26], v[25:26]
	v_fma_f64 v[27:28], v[25:26], s[14:15], v[23:24]
	s_mov_b32 s15, 0x3fe62e42
	v_fma_f64 v[27:28], v[25:26], s[16:17], v[27:28]
	v_cvt_i32_f64_e32 v25, v[25:26]
	s_mov_b32 s17, 0x3c7abc9e
	v_fma_f64 v[33:34], v[27:28], s[10:11], v[33:34]
	s_mov_b32 s10, 0x623fde64
	s_mov_b32 s11, 0x3ec71dee
	v_fma_f64 v[33:34], v[27:28], v[33:34], s[10:11]
	s_mov_b32 s10, 0x7c89e6b0
	;; [unrolled: 3-line block ×9, first 2 shown]
	s_mov_b32 s11, 0x40900000
	v_cmp_nlt_f64_e32 vcc, s[10:11], v[23:24]
	v_cmp_ngt_f64_e64 s[10:11], s[18:19], v[23:24]
	s_mov_b32 s18, 0xbf559e2b
	s_mov_b32 s19, 0x3fc3ab76
	v_fma_f64 v[33:34], v[27:28], v[33:34], 1.0
	v_fma_f64 v[27:28], v[27:28], v[33:34], 1.0
	v_ldexp_f64 v[25:26], v[27:28], v25
	v_cndmask_b32_e32 v26, v57, v26, vcc
	s_and_b64 vcc, s[10:11], vcc
	v_cndmask_b32_e64 v24, 0, v26, s[10:11]
	v_cndmask_b32_e32 v23, 0, v25, vcc
	v_add_f64 v[25:26], v[23:24], 1.0
	s_mov_b32 s11, 0x3fe55555
	s_mov_b32 s10, 0x55555555
	v_frexp_mant_f64_e32 v[33:34], v[25:26]
	v_frexp_exp_i32_f64_e32 v39, v[25:26]
	v_add_f64 v[27:28], v[25:26], -1.0
	v_cmp_gt_f64_e32 vcc, s[10:11], v[33:34]
	s_mov_b32 s10, 0x55555780
	v_add_f64 v[37:38], v[27:28], -v[25:26]
	v_add_f64 v[27:28], v[23:24], -v[27:28]
	v_subbrev_co_u32_e32 v58, vcc, 0, v39, vcc
	v_sub_u32_e32 v39, 0, v58
	v_ldexp_f64 v[25:26], v[25:26], v39
	v_add_f64 v[33:34], v[37:38], 1.0
	v_cmp_nge_f64_e32 vcc, -1.0, v[23:24]
	v_add_f64 v[37:38], v[25:26], 1.0
	v_add_f64 v[27:28], v[27:28], v[33:34]
	v_add_f64 v[45:46], v[25:26], -1.0
	v_add_f64 v[33:34], v[37:38], -1.0
	v_ldexp_f64 v[27:28], v[27:28], v39
	v_add_f64 v[49:50], v[45:46], 1.0
	v_add_f64 v[33:34], v[25:26], -v[33:34]
	v_add_f64 v[25:26], v[25:26], -v[49:50]
	v_add_f64 v[33:34], v[27:28], v[33:34]
	v_add_f64 v[25:26], v[27:28], v[25:26]
	;; [unrolled: 1-line block ×4, first 2 shown]
	v_rcp_f64_e32 v[43:44], v[39:40]
	v_add_f64 v[37:38], v[39:40], -v[37:38]
	v_add_f64 v[45:46], v[49:50], -v[45:46]
	;; [unrolled: 1-line block ×4, first 2 shown]
	v_fma_f64 v[51:52], -v[39:40], v[43:44], 1.0
	v_fma_f64 v[43:44], v[51:52], v[43:44], v[43:44]
	v_fma_f64 v[27:28], -v[39:40], v[43:44], 1.0
	v_fma_f64 v[27:28], v[27:28], v[43:44], v[43:44]
	v_mul_f64 v[43:44], v[49:50], v[27:28]
	v_mul_f64 v[51:52], v[39:40], v[43:44]
	v_fma_f64 v[37:38], v[43:44], v[39:40], -v[51:52]
	v_fma_f64 v[37:38], v[43:44], v[33:34], v[37:38]
	v_add_f64 v[53:54], v[51:52], v[37:38]
	v_add_f64 v[55:56], v[49:50], -v[53:54]
	v_add_f64 v[45:46], v[53:54], -v[51:52]
	;; [unrolled: 1-line block ×5, first 2 shown]
	v_add_f64 v[25:26], v[25:26], v[49:50]
	v_add_f64 v[25:26], v[37:38], v[25:26]
	;; [unrolled: 1-line block ×3, first 2 shown]
	v_mul_f64 v[45:46], v[27:28], v[37:38]
	v_add_f64 v[53:54], v[55:56], -v[37:38]
	v_mul_f64 v[49:50], v[39:40], v[45:46]
	v_add_f64 v[25:26], v[25:26], v[53:54]
	v_fma_f64 v[39:40], v[45:46], v[39:40], -v[49:50]
	v_fma_f64 v[33:34], v[45:46], v[33:34], v[39:40]
	v_add_f64 v[39:40], v[49:50], v[33:34]
	v_add_f64 v[51:52], v[37:38], -v[39:40]
	v_add_f64 v[49:50], v[39:40], -v[49:50]
	;; [unrolled: 1-line block ×5, first 2 shown]
	v_mov_b32_e32 v39, 0x6b47b09a
	v_mov_b32_e32 v40, 0x3fc38538
	v_add_f64 v[25:26], v[25:26], v[37:38]
	v_add_f64 v[37:38], v[43:44], v[45:46]
	v_add_f64 v[25:26], v[33:34], v[25:26]
	v_add_f64 v[33:34], v[37:38], -v[43:44]
	v_add_f64 v[25:26], v[51:52], v[25:26]
	v_add_f64 v[33:34], v[45:46], -v[33:34]
	v_mul_f64 v[25:26], v[27:28], v[25:26]
	v_add_f64 v[25:26], v[33:34], v[25:26]
	v_add_f64 v[27:28], v[37:38], v[25:26]
	v_mul_f64 v[33:34], v[27:28], v[27:28]
	v_fma_f64 v[39:40], v[33:34], s[18:19], v[39:40]
	s_mov_b32 s18, 0xd7f4df2e
	s_mov_b32 s19, 0x3fc7474d
	v_mul_f64 v[43:44], v[27:28], v[33:34]
	v_fma_f64 v[39:40], v[33:34], v[39:40], s[18:19]
	s_mov_b32 s18, 0x16291751
	s_mov_b32 s19, 0x3fcc71c0
	v_fma_f64 v[39:40], v[33:34], v[39:40], s[18:19]
	s_mov_b32 s18, 0x9b27acf1
	s_mov_b32 s19, 0x3fd24924
	;; [unrolled: 3-line block ×3, first 2 shown]
	v_fma_f64 v[39:40], v[33:34], v[39:40], s[18:19]
	v_fma_f64 v[33:34], v[33:34], v[39:40], s[10:11]
	v_ldexp_f64 v[39:40], v[27:28], 1
	v_add_f64 v[27:28], v[27:28], -v[37:38]
	s_mov_b32 s10, 0
	s_mov_b32 s11, 0x7ff00000
	v_cmp_neq_f64_e64 s[10:11], s[10:11], v[23:24]
	v_mul_f64 v[33:34], v[43:44], v[33:34]
	v_cvt_f64_i32_e32 v[43:44], v58
	v_add_f64 v[25:26], v[25:26], -v[27:28]
	v_mul_f64 v[45:46], v[43:44], s[14:15]
	s_and_b64 vcc, vcc, s[10:11]
	v_add_f64 v[37:38], v[39:40], v[33:34]
	v_ldexp_f64 v[25:26], v[25:26], 1
	v_add_f64 v[27:28], v[37:38], -v[39:40]
	v_fma_f64 v[39:40], v[43:44], s[14:15], -v[45:46]
	v_add_f64 v[27:28], v[33:34], -v[27:28]
	v_fma_f64 v[33:34], v[43:44], s[16:17], v[39:40]
	v_add_f64 v[25:26], v[25:26], v[27:28]
	v_add_f64 v[27:28], v[45:46], v[33:34]
	;; [unrolled: 1-line block ×3, first 2 shown]
	v_add_f64 v[45:46], v[27:28], -v[45:46]
	v_add_f64 v[43:44], v[27:28], v[39:40]
	v_add_f64 v[37:38], v[39:40], -v[37:38]
	v_add_f64 v[33:34], v[33:34], -v[45:46]
	v_add_f64 v[49:50], v[43:44], -v[27:28]
	v_add_f64 v[25:26], v[25:26], -v[37:38]
	v_add_f64 v[51:52], v[43:44], -v[49:50]
	v_add_f64 v[37:38], v[39:40], -v[49:50]
	v_add_f64 v[39:40], v[33:34], v[25:26]
	v_add_f64 v[27:28], v[27:28], -v[51:52]
	v_add_f64 v[27:28], v[37:38], v[27:28]
	v_add_f64 v[37:38], v[39:40], -v[33:34]
	;; [unrolled: 2-line block ×3, first 2 shown]
	v_add_f64 v[25:26], v[25:26], -v[37:38]
	v_add_f64 v[45:46], v[43:44], v[27:28]
	v_add_f64 v[33:34], v[33:34], -v[39:40]
	v_add_f64 v[37:38], v[45:46], -v[43:44]
	v_add_f64 v[25:26], v[25:26], v[33:34]
	v_add_f64 v[27:28], v[27:28], -v[37:38]
	v_add_f64 v[25:26], v[25:26], v[27:28]
	v_mov_b32_e32 v27, 0x7ff80000
	v_mov_b32_e32 v28, 0xfff00000
	v_add_f64 v[25:26], v[45:46], v[25:26]
	v_cndmask_b32_e32 v25, 0, v25, vcc
	v_cmp_ngt_f64_e32 vcc, -1.0, v[23:24]
	v_cndmask_b32_e64 v26, v57, v26, s[10:11]
	v_cndmask_b32_e32 v26, v27, v26, vcc
	v_cmp_neq_f64_e32 vcc, -1.0, v[23:24]
	v_cndmask_b32_e32 v26, v28, v26, vcc
	v_add_f64 v[49:50], v[21:22], v[25:26]
.LBB5_33:
	s_or_b64 exec, exec, s[12:13]
	v_max_f64 v[33:34], v[15:16], v[15:16]
	v_max_f64 v[21:22], v[49:50], v[49:50]
	v_cmp_u_f64_e32 vcc, v[49:50], v[49:50]
	v_cmp_u_f64_e64 s[10:11], v[15:16], v[15:16]
	v_min_f64 v[23:24], v[21:22], v[33:34]
	v_max_f64 v[21:22], v[21:22], v[33:34]
	v_cndmask_b32_e32 v23, v23, v49, vcc
	v_cndmask_b32_e32 v24, v24, v50, vcc
	;; [unrolled: 1-line block ×4, first 2 shown]
	v_cndmask_b32_e64 v24, v24, v16, s[10:11]
	v_cndmask_b32_e64 v23, v23, v15, s[10:11]
	;; [unrolled: 1-line block ×4, first 2 shown]
	v_cmp_neq_f64_e32 vcc, v[23:24], v[21:22]
	v_cmp_class_f64_e64 s[12:13], v[23:24], s7
	s_or_b64 s[12:13], vcc, s[12:13]
	s_and_saveexec_b64 s[14:15], s[12:13]
	s_cbranch_execz .LBB5_35
; %bb.34:
	v_add_f64 v[23:24], v[23:24], -v[21:22]
	s_mov_b32 s12, 0x652b82fe
	s_mov_b32 s13, 0x3ff71547
	;; [unrolled: 1-line block ×6, first 2 shown]
	v_mov_b32_e32 v37, 0xfca7ab0c
	v_mul_f64 v[25:26], v[23:24], s[12:13]
	s_mov_b32 s12, 0x6a5dcb37
	v_mov_b32_e32 v38, 0x3e928af3
	s_mov_b32 s13, 0x3e5ade15
	s_mov_b32 s22, 0
	;; [unrolled: 1-line block ×3, first 2 shown]
	v_mov_b32_e32 v59, 0x7ff00000
	v_rndne_f64_e32 v[25:26], v[25:26]
	v_fma_f64 v[27:28], v[25:26], s[16:17], v[23:24]
	s_mov_b32 s17, 0x3fe62e42
	v_fma_f64 v[27:28], v[25:26], s[18:19], v[27:28]
	v_cvt_i32_f64_e32 v25, v[25:26]
	s_mov_b32 s19, 0x3c7abc9e
	v_fma_f64 v[37:38], v[27:28], s[12:13], v[37:38]
	s_mov_b32 s12, 0x623fde64
	s_mov_b32 s13, 0x3ec71dee
	v_fma_f64 v[37:38], v[27:28], v[37:38], s[12:13]
	s_mov_b32 s12, 0x7c89e6b0
	;; [unrolled: 3-line block ×9, first 2 shown]
	s_mov_b32 s13, 0x40900000
	v_cmp_nlt_f64_e32 vcc, s[12:13], v[23:24]
	v_cmp_ngt_f64_e64 s[12:13], s[22:23], v[23:24]
	s_mov_b32 s22, 0xbf559e2b
	s_mov_b32 s23, 0x3fc3ab76
	v_fma_f64 v[37:38], v[27:28], v[37:38], 1.0
	v_fma_f64 v[27:28], v[27:28], v[37:38], 1.0
	v_ldexp_f64 v[25:26], v[27:28], v25
	v_cndmask_b32_e32 v26, v59, v26, vcc
	s_and_b64 vcc, s[12:13], vcc
	v_cndmask_b32_e64 v24, 0, v26, s[12:13]
	v_cndmask_b32_e32 v23, 0, v25, vcc
	v_add_f64 v[25:26], v[23:24], 1.0
	s_mov_b32 s13, 0x3fe55555
	s_mov_b32 s12, 0x55555555
	v_frexp_mant_f64_e32 v[37:38], v[25:26]
	v_frexp_exp_i32_f64_e32 v43, v[25:26]
	v_add_f64 v[27:28], v[25:26], -1.0
	v_cmp_gt_f64_e32 vcc, s[12:13], v[37:38]
	s_mov_b32 s12, 0x55555780
	v_add_f64 v[39:40], v[27:28], -v[25:26]
	v_add_f64 v[27:28], v[23:24], -v[27:28]
	v_subbrev_co_u32_e32 v60, vcc, 0, v43, vcc
	v_sub_u32_e32 v43, 0, v60
	v_ldexp_f64 v[25:26], v[25:26], v43
	v_add_f64 v[37:38], v[39:40], 1.0
	v_cmp_nge_f64_e32 vcc, -1.0, v[23:24]
	v_add_f64 v[39:40], v[25:26], 1.0
	v_add_f64 v[27:28], v[27:28], v[37:38]
	v_add_f64 v[49:50], v[25:26], -1.0
	v_add_f64 v[37:38], v[39:40], -1.0
	v_ldexp_f64 v[27:28], v[27:28], v43
	v_add_f64 v[51:52], v[49:50], 1.0
	v_add_f64 v[37:38], v[25:26], -v[37:38]
	v_add_f64 v[25:26], v[25:26], -v[51:52]
	v_add_f64 v[37:38], v[27:28], v[37:38]
	v_add_f64 v[25:26], v[27:28], v[25:26]
	;; [unrolled: 1-line block ×4, first 2 shown]
	v_rcp_f64_e32 v[45:46], v[43:44]
	v_add_f64 v[39:40], v[43:44], -v[39:40]
	v_add_f64 v[49:50], v[51:52], -v[49:50]
	;; [unrolled: 1-line block ×4, first 2 shown]
	v_fma_f64 v[53:54], -v[43:44], v[45:46], 1.0
	v_fma_f64 v[45:46], v[53:54], v[45:46], v[45:46]
	v_fma_f64 v[27:28], -v[43:44], v[45:46], 1.0
	v_fma_f64 v[27:28], v[27:28], v[45:46], v[45:46]
	v_mul_f64 v[45:46], v[51:52], v[27:28]
	v_mul_f64 v[53:54], v[43:44], v[45:46]
	v_fma_f64 v[39:40], v[45:46], v[43:44], -v[53:54]
	v_fma_f64 v[39:40], v[45:46], v[37:38], v[39:40]
	v_add_f64 v[55:56], v[53:54], v[39:40]
	v_add_f64 v[57:58], v[51:52], -v[55:56]
	v_add_f64 v[49:50], v[55:56], -v[53:54]
	;; [unrolled: 1-line block ×5, first 2 shown]
	v_add_f64 v[25:26], v[25:26], v[51:52]
	v_add_f64 v[25:26], v[39:40], v[25:26]
	;; [unrolled: 1-line block ×3, first 2 shown]
	v_mul_f64 v[49:50], v[27:28], v[39:40]
	v_add_f64 v[55:56], v[57:58], -v[39:40]
	v_mul_f64 v[51:52], v[43:44], v[49:50]
	v_add_f64 v[25:26], v[25:26], v[55:56]
	v_fma_f64 v[43:44], v[49:50], v[43:44], -v[51:52]
	v_fma_f64 v[37:38], v[49:50], v[37:38], v[43:44]
	v_add_f64 v[43:44], v[51:52], v[37:38]
	v_add_f64 v[53:54], v[39:40], -v[43:44]
	v_add_f64 v[51:52], v[43:44], -v[51:52]
	;; [unrolled: 1-line block ×5, first 2 shown]
	v_mov_b32_e32 v43, 0x6b47b09a
	v_mov_b32_e32 v44, 0x3fc38538
	v_add_f64 v[25:26], v[25:26], v[39:40]
	v_add_f64 v[39:40], v[45:46], v[49:50]
	;; [unrolled: 1-line block ×3, first 2 shown]
	v_add_f64 v[37:38], v[39:40], -v[45:46]
	v_add_f64 v[25:26], v[53:54], v[25:26]
	v_add_f64 v[37:38], v[49:50], -v[37:38]
	v_mul_f64 v[25:26], v[27:28], v[25:26]
	v_add_f64 v[25:26], v[37:38], v[25:26]
	v_add_f64 v[27:28], v[39:40], v[25:26]
	v_mul_f64 v[37:38], v[27:28], v[27:28]
	v_fma_f64 v[43:44], v[37:38], s[22:23], v[43:44]
	s_mov_b32 s22, 0xd7f4df2e
	s_mov_b32 s23, 0x3fc7474d
	v_mul_f64 v[45:46], v[27:28], v[37:38]
	v_fma_f64 v[43:44], v[37:38], v[43:44], s[22:23]
	s_mov_b32 s22, 0x16291751
	s_mov_b32 s23, 0x3fcc71c0
	v_fma_f64 v[43:44], v[37:38], v[43:44], s[22:23]
	s_mov_b32 s22, 0x9b27acf1
	s_mov_b32 s23, 0x3fd24924
	;; [unrolled: 3-line block ×3, first 2 shown]
	v_fma_f64 v[43:44], v[37:38], v[43:44], s[22:23]
	v_fma_f64 v[37:38], v[37:38], v[43:44], s[12:13]
	v_ldexp_f64 v[43:44], v[27:28], 1
	v_add_f64 v[27:28], v[27:28], -v[39:40]
	s_mov_b32 s12, 0
	s_mov_b32 s13, 0x7ff00000
	v_cmp_neq_f64_e64 s[12:13], s[12:13], v[23:24]
	v_mul_f64 v[37:38], v[45:46], v[37:38]
	v_cvt_f64_i32_e32 v[45:46], v60
	v_add_f64 v[25:26], v[25:26], -v[27:28]
	v_mul_f64 v[49:50], v[45:46], s[16:17]
	s_and_b64 vcc, vcc, s[12:13]
	v_add_f64 v[39:40], v[43:44], v[37:38]
	v_ldexp_f64 v[25:26], v[25:26], 1
	v_add_f64 v[27:28], v[39:40], -v[43:44]
	v_fma_f64 v[43:44], v[45:46], s[16:17], -v[49:50]
	v_add_f64 v[27:28], v[37:38], -v[27:28]
	v_fma_f64 v[37:38], v[45:46], s[18:19], v[43:44]
	v_add_f64 v[25:26], v[25:26], v[27:28]
	v_add_f64 v[27:28], v[49:50], v[37:38]
	;; [unrolled: 1-line block ×3, first 2 shown]
	v_add_f64 v[49:50], v[27:28], -v[49:50]
	v_add_f64 v[45:46], v[27:28], v[43:44]
	v_add_f64 v[39:40], v[43:44], -v[39:40]
	v_add_f64 v[37:38], v[37:38], -v[49:50]
	;; [unrolled: 1-line block ×6, first 2 shown]
	v_add_f64 v[43:44], v[37:38], v[25:26]
	v_add_f64 v[27:28], v[27:28], -v[53:54]
	v_add_f64 v[27:28], v[39:40], v[27:28]
	v_add_f64 v[39:40], v[43:44], -v[37:38]
	v_add_f64 v[27:28], v[43:44], v[27:28]
	v_add_f64 v[43:44], v[43:44], -v[39:40]
	v_add_f64 v[25:26], v[25:26], -v[39:40]
	v_add_f64 v[49:50], v[45:46], v[27:28]
	v_add_f64 v[37:38], v[37:38], -v[43:44]
	v_add_f64 v[39:40], v[49:50], -v[45:46]
	v_add_f64 v[25:26], v[25:26], v[37:38]
	v_add_f64 v[27:28], v[27:28], -v[39:40]
	v_add_f64 v[25:26], v[25:26], v[27:28]
	v_mov_b32_e32 v27, 0x7ff80000
	v_mov_b32_e32 v28, 0xfff00000
	v_add_f64 v[25:26], v[49:50], v[25:26]
	v_cndmask_b32_e32 v25, 0, v25, vcc
	v_cmp_ngt_f64_e32 vcc, -1.0, v[23:24]
	v_cndmask_b32_e64 v26, v59, v26, s[12:13]
	v_cndmask_b32_e32 v26, v27, v26, vcc
	v_cmp_neq_f64_e32 vcc, -1.0, v[23:24]
	v_cndmask_b32_e32 v26, v28, v26, vcc
	v_add_f64 v[49:50], v[21:22], v[25:26]
.LBB5_35:
	s_or_b64 exec, exec, s[14:15]
	v_max_f64 v[39:40], v[9:10], v[9:10]
	v_max_f64 v[21:22], v[49:50], v[49:50]
	v_cmp_u_f64_e32 vcc, v[49:50], v[49:50]
	v_cmp_u_f64_e64 s[12:13], v[9:10], v[9:10]
	v_min_f64 v[23:24], v[21:22], v[39:40]
	v_max_f64 v[21:22], v[21:22], v[39:40]
	v_cndmask_b32_e32 v23, v23, v49, vcc
	v_cndmask_b32_e32 v24, v24, v50, vcc
	;; [unrolled: 1-line block ×4, first 2 shown]
	v_cndmask_b32_e64 v24, v24, v10, s[12:13]
	v_cndmask_b32_e64 v23, v23, v9, s[12:13]
	;; [unrolled: 1-line block ×4, first 2 shown]
	v_cmp_neq_f64_e32 vcc, v[23:24], v[21:22]
	v_cmp_class_f64_e64 s[14:15], v[23:24], s7
	s_or_b64 s[14:15], vcc, s[14:15]
	s_and_saveexec_b64 s[16:17], s[14:15]
	s_cbranch_execz .LBB5_37
; %bb.36:
	v_add_f64 v[23:24], v[23:24], -v[21:22]
	s_mov_b32 s14, 0x652b82fe
	s_mov_b32 s15, 0x3ff71547
	s_mov_b32 s19, 0xbfe62e42
	s_mov_b32 s18, 0xfefa39ef
	s_mov_b32 s23, 0xbc7abc9e
	s_mov_b32 s22, 0x3b39803f
	v_mov_b32_e32 v37, 0xfca7ab0c
	v_mul_f64 v[25:26], v[23:24], s[14:15]
	s_mov_b32 s14, 0x6a5dcb37
	v_mov_b32_e32 v38, 0x3e928af3
	s_mov_b32 s15, 0x3e5ade15
	s_mov_b32 s24, 0
	;; [unrolled: 1-line block ×3, first 2 shown]
	v_mov_b32_e32 v61, 0x7ff00000
	v_rndne_f64_e32 v[25:26], v[25:26]
	v_fma_f64 v[27:28], v[25:26], s[18:19], v[23:24]
	s_mov_b32 s19, 0x3fe62e42
	v_fma_f64 v[27:28], v[25:26], s[22:23], v[27:28]
	v_cvt_i32_f64_e32 v25, v[25:26]
	s_mov_b32 s23, 0x3c7abc9e
	v_fma_f64 v[37:38], v[27:28], s[14:15], v[37:38]
	s_mov_b32 s14, 0x623fde64
	s_mov_b32 s15, 0x3ec71dee
	v_fma_f64 v[37:38], v[27:28], v[37:38], s[14:15]
	s_mov_b32 s14, 0x7c89e6b0
	;; [unrolled: 3-line block ×9, first 2 shown]
	s_mov_b32 s15, 0x40900000
	v_cmp_nlt_f64_e32 vcc, s[14:15], v[23:24]
	v_cmp_ngt_f64_e64 s[14:15], s[24:25], v[23:24]
	s_mov_b32 s24, 0xbf559e2b
	s_mov_b32 s25, 0x3fc3ab76
	v_fma_f64 v[37:38], v[27:28], v[37:38], 1.0
	v_fma_f64 v[27:28], v[27:28], v[37:38], 1.0
	v_ldexp_f64 v[25:26], v[27:28], v25
	v_cndmask_b32_e32 v26, v61, v26, vcc
	s_and_b64 vcc, s[14:15], vcc
	v_cndmask_b32_e64 v24, 0, v26, s[14:15]
	v_cndmask_b32_e32 v23, 0, v25, vcc
	v_add_f64 v[25:26], v[23:24], 1.0
	s_mov_b32 s15, 0x3fe55555
	s_mov_b32 s14, 0x55555555
	v_frexp_mant_f64_e32 v[37:38], v[25:26]
	v_frexp_exp_i32_f64_e32 v45, v[25:26]
	v_add_f64 v[27:28], v[25:26], -1.0
	v_cmp_gt_f64_e32 vcc, s[14:15], v[37:38]
	s_mov_b32 s14, 0x55555780
	v_add_f64 v[43:44], v[27:28], -v[25:26]
	v_add_f64 v[27:28], v[23:24], -v[27:28]
	v_subbrev_co_u32_e32 v62, vcc, 0, v45, vcc
	v_sub_u32_e32 v45, 0, v62
	v_ldexp_f64 v[25:26], v[25:26], v45
	v_add_f64 v[37:38], v[43:44], 1.0
	v_cmp_nge_f64_e32 vcc, -1.0, v[23:24]
	v_add_f64 v[43:44], v[25:26], 1.0
	v_add_f64 v[27:28], v[27:28], v[37:38]
	v_add_f64 v[51:52], v[25:26], -1.0
	v_add_f64 v[37:38], v[43:44], -1.0
	v_ldexp_f64 v[27:28], v[27:28], v45
	v_add_f64 v[53:54], v[51:52], 1.0
	v_add_f64 v[37:38], v[25:26], -v[37:38]
	v_add_f64 v[25:26], v[25:26], -v[53:54]
	v_add_f64 v[37:38], v[27:28], v[37:38]
	v_add_f64 v[25:26], v[27:28], v[25:26]
	;; [unrolled: 1-line block ×4, first 2 shown]
	v_rcp_f64_e32 v[49:50], v[45:46]
	v_add_f64 v[43:44], v[45:46], -v[43:44]
	v_add_f64 v[51:52], v[53:54], -v[51:52]
	;; [unrolled: 1-line block ×4, first 2 shown]
	v_fma_f64 v[55:56], -v[45:46], v[49:50], 1.0
	v_fma_f64 v[49:50], v[55:56], v[49:50], v[49:50]
	v_fma_f64 v[27:28], -v[45:46], v[49:50], 1.0
	v_fma_f64 v[27:28], v[27:28], v[49:50], v[49:50]
	v_mul_f64 v[49:50], v[53:54], v[27:28]
	v_mul_f64 v[55:56], v[45:46], v[49:50]
	v_fma_f64 v[43:44], v[49:50], v[45:46], -v[55:56]
	v_fma_f64 v[43:44], v[49:50], v[37:38], v[43:44]
	v_add_f64 v[57:58], v[55:56], v[43:44]
	v_add_f64 v[59:60], v[53:54], -v[57:58]
	v_add_f64 v[51:52], v[57:58], -v[55:56]
	;; [unrolled: 1-line block ×5, first 2 shown]
	v_add_f64 v[25:26], v[25:26], v[53:54]
	v_add_f64 v[25:26], v[43:44], v[25:26]
	;; [unrolled: 1-line block ×3, first 2 shown]
	v_mul_f64 v[51:52], v[27:28], v[43:44]
	v_add_f64 v[57:58], v[59:60], -v[43:44]
	v_mul_f64 v[53:54], v[45:46], v[51:52]
	v_add_f64 v[25:26], v[25:26], v[57:58]
	v_fma_f64 v[45:46], v[51:52], v[45:46], -v[53:54]
	v_fma_f64 v[37:38], v[51:52], v[37:38], v[45:46]
	v_add_f64 v[45:46], v[53:54], v[37:38]
	v_add_f64 v[55:56], v[43:44], -v[45:46]
	v_add_f64 v[53:54], v[45:46], -v[53:54]
	;; [unrolled: 1-line block ×5, first 2 shown]
	v_mov_b32_e32 v45, 0x6b47b09a
	v_mov_b32_e32 v46, 0x3fc38538
	v_add_f64 v[25:26], v[25:26], v[43:44]
	v_add_f64 v[43:44], v[49:50], v[51:52]
	;; [unrolled: 1-line block ×3, first 2 shown]
	v_add_f64 v[37:38], v[43:44], -v[49:50]
	v_add_f64 v[25:26], v[55:56], v[25:26]
	v_add_f64 v[37:38], v[51:52], -v[37:38]
	v_mul_f64 v[25:26], v[27:28], v[25:26]
	v_add_f64 v[25:26], v[37:38], v[25:26]
	v_add_f64 v[27:28], v[43:44], v[25:26]
	v_mul_f64 v[37:38], v[27:28], v[27:28]
	v_fma_f64 v[45:46], v[37:38], s[24:25], v[45:46]
	s_mov_b32 s24, 0xd7f4df2e
	s_mov_b32 s25, 0x3fc7474d
	v_mul_f64 v[49:50], v[27:28], v[37:38]
	v_fma_f64 v[45:46], v[37:38], v[45:46], s[24:25]
	s_mov_b32 s24, 0x16291751
	s_mov_b32 s25, 0x3fcc71c0
	v_fma_f64 v[45:46], v[37:38], v[45:46], s[24:25]
	s_mov_b32 s24, 0x9b27acf1
	s_mov_b32 s25, 0x3fd24924
	;; [unrolled: 3-line block ×3, first 2 shown]
	v_fma_f64 v[45:46], v[37:38], v[45:46], s[24:25]
	v_fma_f64 v[37:38], v[37:38], v[45:46], s[14:15]
	v_ldexp_f64 v[45:46], v[27:28], 1
	v_add_f64 v[27:28], v[27:28], -v[43:44]
	s_mov_b32 s14, 0
	s_mov_b32 s15, 0x7ff00000
	v_cmp_neq_f64_e64 s[14:15], s[14:15], v[23:24]
	v_mul_f64 v[37:38], v[49:50], v[37:38]
	v_cvt_f64_i32_e32 v[49:50], v62
	v_add_f64 v[25:26], v[25:26], -v[27:28]
	v_mul_f64 v[51:52], v[49:50], s[18:19]
	s_and_b64 vcc, vcc, s[14:15]
	v_add_f64 v[43:44], v[45:46], v[37:38]
	v_ldexp_f64 v[25:26], v[25:26], 1
	v_add_f64 v[27:28], v[43:44], -v[45:46]
	v_fma_f64 v[45:46], v[49:50], s[18:19], -v[51:52]
	v_add_f64 v[27:28], v[37:38], -v[27:28]
	v_fma_f64 v[37:38], v[49:50], s[22:23], v[45:46]
	v_add_f64 v[25:26], v[25:26], v[27:28]
	v_add_f64 v[27:28], v[51:52], v[37:38]
	;; [unrolled: 1-line block ×3, first 2 shown]
	v_add_f64 v[51:52], v[27:28], -v[51:52]
	v_add_f64 v[49:50], v[27:28], v[45:46]
	v_add_f64 v[43:44], v[45:46], -v[43:44]
	v_add_f64 v[37:38], v[37:38], -v[51:52]
	;; [unrolled: 1-line block ×6, first 2 shown]
	v_add_f64 v[45:46], v[37:38], v[25:26]
	v_add_f64 v[27:28], v[27:28], -v[55:56]
	v_add_f64 v[27:28], v[43:44], v[27:28]
	v_add_f64 v[43:44], v[45:46], -v[37:38]
	v_add_f64 v[27:28], v[45:46], v[27:28]
	v_add_f64 v[45:46], v[45:46], -v[43:44]
	v_add_f64 v[25:26], v[25:26], -v[43:44]
	v_add_f64 v[51:52], v[49:50], v[27:28]
	v_add_f64 v[37:38], v[37:38], -v[45:46]
	v_add_f64 v[43:44], v[51:52], -v[49:50]
	v_add_f64 v[25:26], v[25:26], v[37:38]
	v_add_f64 v[27:28], v[27:28], -v[43:44]
	v_add_f64 v[25:26], v[25:26], v[27:28]
	v_mov_b32_e32 v27, 0x7ff80000
	v_mov_b32_e32 v28, 0xfff00000
	v_add_f64 v[25:26], v[51:52], v[25:26]
	v_cndmask_b32_e32 v25, 0, v25, vcc
	v_cmp_ngt_f64_e32 vcc, -1.0, v[23:24]
	v_cndmask_b32_e64 v26, v61, v26, s[14:15]
	v_cndmask_b32_e32 v26, v27, v26, vcc
	v_cmp_neq_f64_e32 vcc, -1.0, v[23:24]
	v_cndmask_b32_e32 v26, v28, v26, vcc
	v_add_f64 v[49:50], v[21:22], v[25:26]
.LBB5_37:
	s_or_b64 exec, exec, s[16:17]
	v_max_f64 v[37:38], v[11:12], v[11:12]
	v_max_f64 v[21:22], v[49:50], v[49:50]
	v_cmp_u_f64_e32 vcc, v[49:50], v[49:50]
	v_cmp_u_f64_e64 s[14:15], v[11:12], v[11:12]
	v_min_f64 v[23:24], v[21:22], v[37:38]
	v_max_f64 v[21:22], v[21:22], v[37:38]
	v_cndmask_b32_e32 v23, v23, v49, vcc
	v_cndmask_b32_e32 v24, v24, v50, vcc
	;; [unrolled: 1-line block ×4, first 2 shown]
	v_cndmask_b32_e64 v24, v24, v12, s[14:15]
	v_cndmask_b32_e64 v23, v23, v11, s[14:15]
	;; [unrolled: 1-line block ×4, first 2 shown]
	v_cmp_neq_f64_e32 vcc, v[23:24], v[21:22]
	v_cmp_class_f64_e64 s[16:17], v[23:24], s7
	s_or_b64 s[16:17], vcc, s[16:17]
	s_and_saveexec_b64 s[18:19], s[16:17]
	s_cbranch_execz .LBB5_39
; %bb.38:
	v_add_f64 v[23:24], v[23:24], -v[21:22]
	s_mov_b32 s16, 0x652b82fe
	s_mov_b32 s17, 0x3ff71547
	;; [unrolled: 1-line block ×6, first 2 shown]
	v_mov_b32_e32 v43, 0xfca7ab0c
	v_mul_f64 v[25:26], v[23:24], s[16:17]
	s_mov_b32 s16, 0x6a5dcb37
	v_mov_b32_e32 v44, 0x3e928af3
	s_mov_b32 s17, 0x3e5ade15
	s_mov_b32 s26, 0
	;; [unrolled: 1-line block ×3, first 2 shown]
	v_mov_b32_e32 v63, 0x7ff00000
	v_rndne_f64_e32 v[25:26], v[25:26]
	v_fma_f64 v[27:28], v[25:26], s[22:23], v[23:24]
	s_mov_b32 s23, 0x3fe62e42
	v_fma_f64 v[27:28], v[25:26], s[24:25], v[27:28]
	v_cvt_i32_f64_e32 v25, v[25:26]
	s_mov_b32 s25, 0x3c7abc9e
	v_fma_f64 v[43:44], v[27:28], s[16:17], v[43:44]
	s_mov_b32 s16, 0x623fde64
	s_mov_b32 s17, 0x3ec71dee
	v_fma_f64 v[43:44], v[27:28], v[43:44], s[16:17]
	s_mov_b32 s16, 0x7c89e6b0
	;; [unrolled: 3-line block ×9, first 2 shown]
	s_mov_b32 s17, 0x40900000
	v_cmp_nlt_f64_e32 vcc, s[16:17], v[23:24]
	v_cmp_ngt_f64_e64 s[16:17], s[26:27], v[23:24]
	s_mov_b32 s26, 0xbf559e2b
	s_mov_b32 s27, 0x3fc3ab76
	v_fma_f64 v[43:44], v[27:28], v[43:44], 1.0
	v_fma_f64 v[27:28], v[27:28], v[43:44], 1.0
	v_ldexp_f64 v[25:26], v[27:28], v25
	v_cndmask_b32_e32 v26, v63, v26, vcc
	s_and_b64 vcc, s[16:17], vcc
	v_cndmask_b32_e64 v24, 0, v26, s[16:17]
	v_cndmask_b32_e32 v23, 0, v25, vcc
	v_add_f64 v[25:26], v[23:24], 1.0
	s_mov_b32 s17, 0x3fe55555
	s_mov_b32 s16, 0x55555555
	v_frexp_mant_f64_e32 v[43:44], v[25:26]
	v_frexp_exp_i32_f64_e32 v49, v[25:26]
	v_add_f64 v[27:28], v[25:26], -1.0
	v_cmp_gt_f64_e32 vcc, s[16:17], v[43:44]
	s_mov_b32 s16, 0x55555780
	v_add_f64 v[45:46], v[27:28], -v[25:26]
	v_add_f64 v[27:28], v[23:24], -v[27:28]
	v_subbrev_co_u32_e32 v64, vcc, 0, v49, vcc
	v_sub_u32_e32 v49, 0, v64
	v_ldexp_f64 v[25:26], v[25:26], v49
	v_add_f64 v[43:44], v[45:46], 1.0
	v_cmp_nge_f64_e32 vcc, -1.0, v[23:24]
	v_add_f64 v[45:46], v[25:26], 1.0
	v_add_f64 v[27:28], v[27:28], v[43:44]
	v_add_f64 v[53:54], v[25:26], -1.0
	v_add_f64 v[43:44], v[45:46], -1.0
	v_ldexp_f64 v[27:28], v[27:28], v49
	v_add_f64 v[55:56], v[53:54], 1.0
	v_add_f64 v[43:44], v[25:26], -v[43:44]
	v_add_f64 v[25:26], v[25:26], -v[55:56]
	v_add_f64 v[43:44], v[27:28], v[43:44]
	v_add_f64 v[25:26], v[27:28], v[25:26]
	;; [unrolled: 1-line block ×4, first 2 shown]
	v_rcp_f64_e32 v[51:52], v[49:50]
	v_add_f64 v[45:46], v[49:50], -v[45:46]
	v_add_f64 v[53:54], v[55:56], -v[53:54]
	;; [unrolled: 1-line block ×4, first 2 shown]
	v_fma_f64 v[57:58], -v[49:50], v[51:52], 1.0
	v_fma_f64 v[51:52], v[57:58], v[51:52], v[51:52]
	v_fma_f64 v[27:28], -v[49:50], v[51:52], 1.0
	v_fma_f64 v[27:28], v[27:28], v[51:52], v[51:52]
	v_mul_f64 v[51:52], v[55:56], v[27:28]
	v_mul_f64 v[57:58], v[49:50], v[51:52]
	v_fma_f64 v[45:46], v[51:52], v[49:50], -v[57:58]
	v_fma_f64 v[45:46], v[51:52], v[43:44], v[45:46]
	v_add_f64 v[59:60], v[57:58], v[45:46]
	v_add_f64 v[61:62], v[55:56], -v[59:60]
	v_add_f64 v[53:54], v[59:60], -v[57:58]
	;; [unrolled: 1-line block ×5, first 2 shown]
	v_add_f64 v[25:26], v[25:26], v[55:56]
	v_add_f64 v[25:26], v[45:46], v[25:26]
	;; [unrolled: 1-line block ×3, first 2 shown]
	v_mul_f64 v[53:54], v[27:28], v[45:46]
	v_add_f64 v[59:60], v[61:62], -v[45:46]
	v_mul_f64 v[55:56], v[49:50], v[53:54]
	v_add_f64 v[25:26], v[25:26], v[59:60]
	v_fma_f64 v[49:50], v[53:54], v[49:50], -v[55:56]
	v_fma_f64 v[43:44], v[53:54], v[43:44], v[49:50]
	v_add_f64 v[49:50], v[55:56], v[43:44]
	v_add_f64 v[57:58], v[45:46], -v[49:50]
	v_add_f64 v[55:56], v[49:50], -v[55:56]
	v_add_f64 v[45:46], v[45:46], -v[57:58]
	v_add_f64 v[43:44], v[55:56], -v[43:44]
	v_add_f64 v[45:46], v[45:46], -v[49:50]
	v_mov_b32_e32 v49, 0x6b47b09a
	v_mov_b32_e32 v50, 0x3fc38538
	v_add_f64 v[25:26], v[25:26], v[45:46]
	v_add_f64 v[45:46], v[51:52], v[53:54]
	;; [unrolled: 1-line block ×3, first 2 shown]
	v_add_f64 v[43:44], v[45:46], -v[51:52]
	v_add_f64 v[25:26], v[57:58], v[25:26]
	v_add_f64 v[43:44], v[53:54], -v[43:44]
	v_mul_f64 v[25:26], v[27:28], v[25:26]
	v_add_f64 v[25:26], v[43:44], v[25:26]
	v_add_f64 v[27:28], v[45:46], v[25:26]
	v_mul_f64 v[43:44], v[27:28], v[27:28]
	v_fma_f64 v[49:50], v[43:44], s[26:27], v[49:50]
	s_mov_b32 s26, 0xd7f4df2e
	s_mov_b32 s27, 0x3fc7474d
	v_mul_f64 v[51:52], v[27:28], v[43:44]
	v_fma_f64 v[49:50], v[43:44], v[49:50], s[26:27]
	s_mov_b32 s26, 0x16291751
	s_mov_b32 s27, 0x3fcc71c0
	v_fma_f64 v[49:50], v[43:44], v[49:50], s[26:27]
	s_mov_b32 s26, 0x9b27acf1
	s_mov_b32 s27, 0x3fd24924
	;; [unrolled: 3-line block ×3, first 2 shown]
	v_fma_f64 v[49:50], v[43:44], v[49:50], s[26:27]
	v_fma_f64 v[43:44], v[43:44], v[49:50], s[16:17]
	v_ldexp_f64 v[49:50], v[27:28], 1
	v_add_f64 v[27:28], v[27:28], -v[45:46]
	s_mov_b32 s16, 0
	s_mov_b32 s17, 0x7ff00000
	v_cmp_neq_f64_e64 s[16:17], s[16:17], v[23:24]
	v_mul_f64 v[43:44], v[51:52], v[43:44]
	v_cvt_f64_i32_e32 v[51:52], v64
	v_add_f64 v[25:26], v[25:26], -v[27:28]
	v_mul_f64 v[53:54], v[51:52], s[22:23]
	s_and_b64 vcc, vcc, s[16:17]
	v_add_f64 v[45:46], v[49:50], v[43:44]
	v_ldexp_f64 v[25:26], v[25:26], 1
	v_add_f64 v[27:28], v[45:46], -v[49:50]
	v_fma_f64 v[49:50], v[51:52], s[22:23], -v[53:54]
	v_add_f64 v[27:28], v[43:44], -v[27:28]
	v_fma_f64 v[43:44], v[51:52], s[24:25], v[49:50]
	v_add_f64 v[25:26], v[25:26], v[27:28]
	v_add_f64 v[27:28], v[53:54], v[43:44]
	;; [unrolled: 1-line block ×3, first 2 shown]
	v_add_f64 v[53:54], v[27:28], -v[53:54]
	v_add_f64 v[51:52], v[27:28], v[49:50]
	v_add_f64 v[45:46], v[49:50], -v[45:46]
	v_add_f64 v[43:44], v[43:44], -v[53:54]
	;; [unrolled: 1-line block ×6, first 2 shown]
	v_add_f64 v[49:50], v[43:44], v[25:26]
	v_add_f64 v[27:28], v[27:28], -v[57:58]
	v_add_f64 v[27:28], v[45:46], v[27:28]
	v_add_f64 v[45:46], v[49:50], -v[43:44]
	;; [unrolled: 2-line block ×3, first 2 shown]
	v_add_f64 v[25:26], v[25:26], -v[45:46]
	v_add_f64 v[53:54], v[51:52], v[27:28]
	v_add_f64 v[43:44], v[43:44], -v[49:50]
	v_add_f64 v[45:46], v[53:54], -v[51:52]
	v_add_f64 v[25:26], v[25:26], v[43:44]
	v_add_f64 v[27:28], v[27:28], -v[45:46]
	v_add_f64 v[25:26], v[25:26], v[27:28]
	v_mov_b32_e32 v27, 0x7ff80000
	v_mov_b32_e32 v28, 0xfff00000
	v_add_f64 v[25:26], v[53:54], v[25:26]
	v_cndmask_b32_e32 v25, 0, v25, vcc
	v_cmp_ngt_f64_e32 vcc, -1.0, v[23:24]
	v_cndmask_b32_e64 v26, v63, v26, s[16:17]
	v_cndmask_b32_e32 v26, v27, v26, vcc
	v_cmp_neq_f64_e32 vcc, -1.0, v[23:24]
	v_cndmask_b32_e32 v26, v28, v26, vcc
	v_add_f64 v[49:50], v[21:22], v[25:26]
.LBB5_39:
	s_or_b64 exec, exec, s[18:19]
	v_max_f64 v[45:46], v[5:6], v[5:6]
	v_max_f64 v[21:22], v[49:50], v[49:50]
	v_cmp_u_f64_e32 vcc, v[49:50], v[49:50]
	v_cmp_u_f64_e64 s[16:17], v[5:6], v[5:6]
	v_min_f64 v[23:24], v[21:22], v[45:46]
	v_max_f64 v[21:22], v[21:22], v[45:46]
	v_cndmask_b32_e32 v23, v23, v49, vcc
	v_cndmask_b32_e32 v24, v24, v50, vcc
	;; [unrolled: 1-line block ×4, first 2 shown]
	v_cndmask_b32_e64 v24, v24, v6, s[16:17]
	v_cndmask_b32_e64 v23, v23, v5, s[16:17]
	;; [unrolled: 1-line block ×4, first 2 shown]
	v_cmp_neq_f64_e32 vcc, v[23:24], v[21:22]
	v_cmp_class_f64_e64 s[18:19], v[23:24], s7
	s_or_b64 s[18:19], vcc, s[18:19]
	s_and_saveexec_b64 s[22:23], s[18:19]
	s_cbranch_execz .LBB5_41
; %bb.40:
	v_add_f64 v[23:24], v[23:24], -v[21:22]
	s_mov_b32 s18, 0x652b82fe
	s_mov_b32 s19, 0x3ff71547
	;; [unrolled: 1-line block ×6, first 2 shown]
	v_mov_b32_e32 v43, 0xfca7ab0c
	v_mul_f64 v[25:26], v[23:24], s[18:19]
	s_mov_b32 s18, 0x6a5dcb37
	v_mov_b32_e32 v44, 0x3e928af3
	s_mov_b32 s19, 0x3e5ade15
	s_mov_b32 s30, 0
	;; [unrolled: 1-line block ×3, first 2 shown]
	v_mov_b32_e32 v67, 0x7ff00000
	v_rndne_f64_e32 v[25:26], v[25:26]
	v_fma_f64 v[27:28], v[25:26], s[24:25], v[23:24]
	s_mov_b32 s25, 0x3fe62e42
	v_fma_f64 v[27:28], v[25:26], s[26:27], v[27:28]
	v_cvt_i32_f64_e32 v25, v[25:26]
	s_mov_b32 s27, 0x3c7abc9e
	v_fma_f64 v[43:44], v[27:28], s[18:19], v[43:44]
	s_mov_b32 s18, 0x623fde64
	s_mov_b32 s19, 0x3ec71dee
	v_fma_f64 v[43:44], v[27:28], v[43:44], s[18:19]
	s_mov_b32 s18, 0x7c89e6b0
	;; [unrolled: 3-line block ×9, first 2 shown]
	s_mov_b32 s19, 0x40900000
	v_cmp_nlt_f64_e32 vcc, s[18:19], v[23:24]
	v_cmp_ngt_f64_e64 s[18:19], s[30:31], v[23:24]
	s_mov_b32 s30, 0xbf559e2b
	s_mov_b32 s31, 0x3fc3ab76
	v_fma_f64 v[43:44], v[27:28], v[43:44], 1.0
	v_fma_f64 v[27:28], v[27:28], v[43:44], 1.0
	v_ldexp_f64 v[25:26], v[27:28], v25
	v_cndmask_b32_e32 v26, v67, v26, vcc
	s_and_b64 vcc, s[18:19], vcc
	v_cndmask_b32_e64 v24, 0, v26, s[18:19]
	v_cndmask_b32_e32 v23, 0, v25, vcc
	v_add_f64 v[25:26], v[23:24], 1.0
	s_mov_b32 s19, 0x3fe55555
	s_mov_b32 s18, 0x55555555
	v_frexp_mant_f64_e32 v[43:44], v[25:26]
	v_frexp_exp_i32_f64_e32 v51, v[25:26]
	v_add_f64 v[27:28], v[25:26], -1.0
	v_cmp_gt_f64_e32 vcc, s[18:19], v[43:44]
	s_mov_b32 s18, 0x55555780
	v_add_f64 v[49:50], v[27:28], -v[25:26]
	v_add_f64 v[27:28], v[23:24], -v[27:28]
	v_subbrev_co_u32_e32 v68, vcc, 0, v51, vcc
	v_sub_u32_e32 v51, 0, v68
	v_ldexp_f64 v[25:26], v[25:26], v51
	v_add_f64 v[43:44], v[49:50], 1.0
	v_cmp_nge_f64_e32 vcc, -1.0, v[23:24]
	v_add_f64 v[49:50], v[25:26], 1.0
	v_add_f64 v[27:28], v[27:28], v[43:44]
	v_add_f64 v[55:56], v[25:26], -1.0
	v_add_f64 v[43:44], v[49:50], -1.0
	v_ldexp_f64 v[27:28], v[27:28], v51
	v_add_f64 v[57:58], v[55:56], 1.0
	v_add_f64 v[43:44], v[25:26], -v[43:44]
	v_add_f64 v[25:26], v[25:26], -v[57:58]
	v_add_f64 v[43:44], v[27:28], v[43:44]
	v_add_f64 v[25:26], v[27:28], v[25:26]
	;; [unrolled: 1-line block ×4, first 2 shown]
	v_rcp_f64_e32 v[53:54], v[51:52]
	v_add_f64 v[49:50], v[51:52], -v[49:50]
	v_add_f64 v[55:56], v[57:58], -v[55:56]
	;; [unrolled: 1-line block ×4, first 2 shown]
	v_fma_f64 v[59:60], -v[51:52], v[53:54], 1.0
	v_fma_f64 v[53:54], v[59:60], v[53:54], v[53:54]
	v_fma_f64 v[27:28], -v[51:52], v[53:54], 1.0
	v_fma_f64 v[27:28], v[27:28], v[53:54], v[53:54]
	v_mul_f64 v[53:54], v[57:58], v[27:28]
	v_mul_f64 v[59:60], v[51:52], v[53:54]
	v_fma_f64 v[49:50], v[53:54], v[51:52], -v[59:60]
	v_fma_f64 v[49:50], v[53:54], v[43:44], v[49:50]
	v_add_f64 v[61:62], v[59:60], v[49:50]
	v_add_f64 v[63:64], v[57:58], -v[61:62]
	v_add_f64 v[55:56], v[61:62], -v[59:60]
	;; [unrolled: 1-line block ×5, first 2 shown]
	v_add_f64 v[25:26], v[25:26], v[57:58]
	v_add_f64 v[25:26], v[49:50], v[25:26]
	;; [unrolled: 1-line block ×3, first 2 shown]
	v_mul_f64 v[55:56], v[27:28], v[49:50]
	v_add_f64 v[61:62], v[63:64], -v[49:50]
	v_mul_f64 v[57:58], v[51:52], v[55:56]
	v_add_f64 v[25:26], v[25:26], v[61:62]
	v_fma_f64 v[51:52], v[55:56], v[51:52], -v[57:58]
	v_fma_f64 v[43:44], v[55:56], v[43:44], v[51:52]
	v_add_f64 v[51:52], v[57:58], v[43:44]
	v_add_f64 v[59:60], v[49:50], -v[51:52]
	v_add_f64 v[57:58], v[51:52], -v[57:58]
	;; [unrolled: 1-line block ×5, first 2 shown]
	v_mov_b32_e32 v51, 0x6b47b09a
	v_mov_b32_e32 v52, 0x3fc38538
	v_add_f64 v[25:26], v[25:26], v[49:50]
	v_add_f64 v[49:50], v[53:54], v[55:56]
	;; [unrolled: 1-line block ×3, first 2 shown]
	v_add_f64 v[43:44], v[49:50], -v[53:54]
	v_add_f64 v[25:26], v[59:60], v[25:26]
	v_add_f64 v[43:44], v[55:56], -v[43:44]
	v_mul_f64 v[25:26], v[27:28], v[25:26]
	v_add_f64 v[25:26], v[43:44], v[25:26]
	v_add_f64 v[27:28], v[49:50], v[25:26]
	v_mul_f64 v[43:44], v[27:28], v[27:28]
	v_fma_f64 v[51:52], v[43:44], s[30:31], v[51:52]
	s_mov_b32 s30, 0xd7f4df2e
	s_mov_b32 s31, 0x3fc7474d
	v_mul_f64 v[53:54], v[27:28], v[43:44]
	v_fma_f64 v[51:52], v[43:44], v[51:52], s[30:31]
	s_mov_b32 s30, 0x16291751
	s_mov_b32 s31, 0x3fcc71c0
	v_fma_f64 v[51:52], v[43:44], v[51:52], s[30:31]
	s_mov_b32 s30, 0x9b27acf1
	s_mov_b32 s31, 0x3fd24924
	;; [unrolled: 3-line block ×3, first 2 shown]
	v_fma_f64 v[51:52], v[43:44], v[51:52], s[30:31]
	v_fma_f64 v[43:44], v[43:44], v[51:52], s[18:19]
	v_ldexp_f64 v[51:52], v[27:28], 1
	v_add_f64 v[27:28], v[27:28], -v[49:50]
	s_mov_b32 s18, 0
	s_mov_b32 s19, 0x7ff00000
	v_cmp_neq_f64_e64 s[18:19], s[18:19], v[23:24]
	v_mul_f64 v[43:44], v[53:54], v[43:44]
	v_cvt_f64_i32_e32 v[53:54], v68
	v_add_f64 v[25:26], v[25:26], -v[27:28]
	v_mul_f64 v[55:56], v[53:54], s[24:25]
	s_and_b64 vcc, vcc, s[18:19]
	v_add_f64 v[49:50], v[51:52], v[43:44]
	v_ldexp_f64 v[25:26], v[25:26], 1
	v_add_f64 v[27:28], v[49:50], -v[51:52]
	v_fma_f64 v[51:52], v[53:54], s[24:25], -v[55:56]
	v_add_f64 v[27:28], v[43:44], -v[27:28]
	v_fma_f64 v[43:44], v[53:54], s[26:27], v[51:52]
	v_add_f64 v[25:26], v[25:26], v[27:28]
	v_add_f64 v[27:28], v[55:56], v[43:44]
	;; [unrolled: 1-line block ×3, first 2 shown]
	v_add_f64 v[55:56], v[27:28], -v[55:56]
	v_add_f64 v[53:54], v[27:28], v[51:52]
	v_add_f64 v[49:50], v[51:52], -v[49:50]
	v_add_f64 v[43:44], v[43:44], -v[55:56]
	;; [unrolled: 1-line block ×6, first 2 shown]
	v_add_f64 v[51:52], v[43:44], v[25:26]
	v_add_f64 v[27:28], v[27:28], -v[59:60]
	v_add_f64 v[27:28], v[49:50], v[27:28]
	v_add_f64 v[49:50], v[51:52], -v[43:44]
	;; [unrolled: 2-line block ×3, first 2 shown]
	v_add_f64 v[25:26], v[25:26], -v[49:50]
	v_add_f64 v[55:56], v[53:54], v[27:28]
	v_add_f64 v[43:44], v[43:44], -v[51:52]
	v_add_f64 v[49:50], v[55:56], -v[53:54]
	v_add_f64 v[25:26], v[25:26], v[43:44]
	v_add_f64 v[27:28], v[27:28], -v[49:50]
	v_add_f64 v[25:26], v[25:26], v[27:28]
	v_mov_b32_e32 v27, 0x7ff80000
	v_mov_b32_e32 v28, 0xfff00000
	v_add_f64 v[25:26], v[55:56], v[25:26]
	v_cndmask_b32_e32 v25, 0, v25, vcc
	v_cmp_ngt_f64_e32 vcc, -1.0, v[23:24]
	v_cndmask_b32_e64 v26, v67, v26, s[18:19]
	v_cndmask_b32_e32 v26, v27, v26, vcc
	v_cmp_neq_f64_e32 vcc, -1.0, v[23:24]
	v_cndmask_b32_e32 v26, v28, v26, vcc
	v_add_f64 v[49:50], v[21:22], v[25:26]
.LBB5_41:
	s_or_b64 exec, exec, s[22:23]
	v_max_f64 v[43:44], v[7:8], v[7:8]
	v_max_f64 v[21:22], v[49:50], v[49:50]
	v_cmp_u_f64_e32 vcc, v[49:50], v[49:50]
	v_cmp_u_f64_e64 s[18:19], v[7:8], v[7:8]
	v_min_f64 v[23:24], v[21:22], v[43:44]
	v_max_f64 v[21:22], v[21:22], v[43:44]
	v_cndmask_b32_e32 v23, v23, v49, vcc
	v_cndmask_b32_e32 v24, v24, v50, vcc
	;; [unrolled: 1-line block ×4, first 2 shown]
	v_cndmask_b32_e64 v24, v24, v8, s[18:19]
	v_cndmask_b32_e64 v23, v23, v7, s[18:19]
	;; [unrolled: 1-line block ×4, first 2 shown]
	v_cmp_neq_f64_e32 vcc, v[23:24], v[21:22]
	v_cmp_class_f64_e64 s[22:23], v[23:24], s7
	s_or_b64 s[22:23], vcc, s[22:23]
	s_and_saveexec_b64 s[24:25], s[22:23]
	s_cbranch_execz .LBB5_43
; %bb.42:
	v_add_f64 v[23:24], v[23:24], -v[21:22]
	s_mov_b32 s22, 0x652b82fe
	s_mov_b32 s23, 0x3ff71547
	;; [unrolled: 1-line block ×6, first 2 shown]
	v_mov_b32_e32 v49, 0xfca7ab0c
	v_mul_f64 v[25:26], v[23:24], s[22:23]
	s_mov_b32 s22, 0x6a5dcb37
	v_mov_b32_e32 v50, 0x3e928af3
	s_mov_b32 s23, 0x3e5ade15
	s_mov_b32 s36, 0
	;; [unrolled: 1-line block ×3, first 2 shown]
	v_mov_b32_e32 v69, 0x7ff00000
	v_rndne_f64_e32 v[25:26], v[25:26]
	v_fma_f64 v[27:28], v[25:26], s[26:27], v[23:24]
	s_mov_b32 s27, 0x3fe62e42
	v_fma_f64 v[27:28], v[25:26], s[30:31], v[27:28]
	v_cvt_i32_f64_e32 v25, v[25:26]
	s_mov_b32 s31, 0x3c7abc9e
	v_fma_f64 v[49:50], v[27:28], s[22:23], v[49:50]
	s_mov_b32 s22, 0x623fde64
	s_mov_b32 s23, 0x3ec71dee
	v_fma_f64 v[49:50], v[27:28], v[49:50], s[22:23]
	s_mov_b32 s22, 0x7c89e6b0
	;; [unrolled: 3-line block ×9, first 2 shown]
	s_mov_b32 s23, 0x40900000
	v_cmp_nlt_f64_e32 vcc, s[22:23], v[23:24]
	v_cmp_ngt_f64_e64 s[22:23], s[36:37], v[23:24]
	s_mov_b32 s36, 0xbf559e2b
	s_mov_b32 s37, 0x3fc3ab76
	v_fma_f64 v[49:50], v[27:28], v[49:50], 1.0
	v_fma_f64 v[27:28], v[27:28], v[49:50], 1.0
	v_ldexp_f64 v[25:26], v[27:28], v25
	v_cndmask_b32_e32 v26, v69, v26, vcc
	s_and_b64 vcc, s[22:23], vcc
	v_cndmask_b32_e64 v24, 0, v26, s[22:23]
	v_cndmask_b32_e32 v23, 0, v25, vcc
	v_add_f64 v[25:26], v[23:24], 1.0
	s_mov_b32 s23, 0x3fe55555
	s_mov_b32 s22, 0x55555555
	v_frexp_mant_f64_e32 v[49:50], v[25:26]
	v_frexp_exp_i32_f64_e32 v53, v[25:26]
	v_add_f64 v[27:28], v[25:26], -1.0
	v_cmp_gt_f64_e32 vcc, s[22:23], v[49:50]
	s_mov_b32 s22, 0x55555780
	v_add_f64 v[51:52], v[27:28], -v[25:26]
	v_add_f64 v[27:28], v[23:24], -v[27:28]
	v_subbrev_co_u32_e32 v70, vcc, 0, v53, vcc
	v_sub_u32_e32 v53, 0, v70
	v_ldexp_f64 v[25:26], v[25:26], v53
	v_add_f64 v[49:50], v[51:52], 1.0
	v_cmp_nge_f64_e32 vcc, -1.0, v[23:24]
	v_add_f64 v[51:52], v[25:26], 1.0
	v_add_f64 v[27:28], v[27:28], v[49:50]
	v_add_f64 v[57:58], v[25:26], -1.0
	v_add_f64 v[49:50], v[51:52], -1.0
	v_ldexp_f64 v[27:28], v[27:28], v53
	v_add_f64 v[59:60], v[57:58], 1.0
	v_add_f64 v[49:50], v[25:26], -v[49:50]
	v_add_f64 v[25:26], v[25:26], -v[59:60]
	v_add_f64 v[49:50], v[27:28], v[49:50]
	v_add_f64 v[25:26], v[27:28], v[25:26]
	;; [unrolled: 1-line block ×4, first 2 shown]
	v_rcp_f64_e32 v[55:56], v[53:54]
	v_add_f64 v[51:52], v[53:54], -v[51:52]
	v_add_f64 v[57:58], v[59:60], -v[57:58]
	;; [unrolled: 1-line block ×4, first 2 shown]
	v_fma_f64 v[61:62], -v[53:54], v[55:56], 1.0
	v_fma_f64 v[55:56], v[61:62], v[55:56], v[55:56]
	v_fma_f64 v[27:28], -v[53:54], v[55:56], 1.0
	v_fma_f64 v[27:28], v[27:28], v[55:56], v[55:56]
	v_mul_f64 v[55:56], v[59:60], v[27:28]
	v_mul_f64 v[61:62], v[53:54], v[55:56]
	v_fma_f64 v[51:52], v[55:56], v[53:54], -v[61:62]
	v_fma_f64 v[51:52], v[55:56], v[49:50], v[51:52]
	v_add_f64 v[63:64], v[61:62], v[51:52]
	v_add_f64 v[67:68], v[59:60], -v[63:64]
	v_add_f64 v[57:58], v[63:64], -v[61:62]
	;; [unrolled: 1-line block ×5, first 2 shown]
	v_add_f64 v[25:26], v[25:26], v[59:60]
	v_add_f64 v[25:26], v[51:52], v[25:26]
	;; [unrolled: 1-line block ×3, first 2 shown]
	v_mul_f64 v[57:58], v[27:28], v[51:52]
	v_add_f64 v[63:64], v[67:68], -v[51:52]
	v_mul_f64 v[59:60], v[53:54], v[57:58]
	v_add_f64 v[25:26], v[25:26], v[63:64]
	v_fma_f64 v[53:54], v[57:58], v[53:54], -v[59:60]
	v_fma_f64 v[49:50], v[57:58], v[49:50], v[53:54]
	v_add_f64 v[53:54], v[59:60], v[49:50]
	v_add_f64 v[61:62], v[51:52], -v[53:54]
	v_add_f64 v[59:60], v[53:54], -v[59:60]
	v_add_f64 v[51:52], v[51:52], -v[61:62]
	v_add_f64 v[49:50], v[59:60], -v[49:50]
	v_add_f64 v[51:52], v[51:52], -v[53:54]
	v_mov_b32_e32 v53, 0x6b47b09a
	v_mov_b32_e32 v54, 0x3fc38538
	v_add_f64 v[25:26], v[25:26], v[51:52]
	v_add_f64 v[51:52], v[55:56], v[57:58]
	v_add_f64 v[25:26], v[49:50], v[25:26]
	v_add_f64 v[49:50], v[51:52], -v[55:56]
	v_add_f64 v[25:26], v[61:62], v[25:26]
	v_add_f64 v[49:50], v[57:58], -v[49:50]
	v_mul_f64 v[25:26], v[27:28], v[25:26]
	v_add_f64 v[25:26], v[49:50], v[25:26]
	v_add_f64 v[27:28], v[51:52], v[25:26]
	v_mul_f64 v[49:50], v[27:28], v[27:28]
	v_fma_f64 v[53:54], v[49:50], s[36:37], v[53:54]
	s_mov_b32 s36, 0xd7f4df2e
	s_mov_b32 s37, 0x3fc7474d
	v_mul_f64 v[55:56], v[27:28], v[49:50]
	v_fma_f64 v[53:54], v[49:50], v[53:54], s[36:37]
	s_mov_b32 s36, 0x16291751
	s_mov_b32 s37, 0x3fcc71c0
	v_fma_f64 v[53:54], v[49:50], v[53:54], s[36:37]
	s_mov_b32 s36, 0x9b27acf1
	s_mov_b32 s37, 0x3fd24924
	;; [unrolled: 3-line block ×3, first 2 shown]
	v_fma_f64 v[53:54], v[49:50], v[53:54], s[36:37]
	v_fma_f64 v[49:50], v[49:50], v[53:54], s[22:23]
	v_ldexp_f64 v[53:54], v[27:28], 1
	v_add_f64 v[27:28], v[27:28], -v[51:52]
	s_mov_b32 s22, 0
	s_mov_b32 s23, 0x7ff00000
	v_cmp_neq_f64_e64 s[22:23], s[22:23], v[23:24]
	v_mul_f64 v[49:50], v[55:56], v[49:50]
	v_cvt_f64_i32_e32 v[55:56], v70
	v_add_f64 v[25:26], v[25:26], -v[27:28]
	v_mul_f64 v[57:58], v[55:56], s[26:27]
	s_and_b64 vcc, vcc, s[22:23]
	v_add_f64 v[51:52], v[53:54], v[49:50]
	v_ldexp_f64 v[25:26], v[25:26], 1
	v_add_f64 v[27:28], v[51:52], -v[53:54]
	v_fma_f64 v[53:54], v[55:56], s[26:27], -v[57:58]
	v_add_f64 v[27:28], v[49:50], -v[27:28]
	v_fma_f64 v[49:50], v[55:56], s[30:31], v[53:54]
	v_add_f64 v[25:26], v[25:26], v[27:28]
	v_add_f64 v[27:28], v[57:58], v[49:50]
	;; [unrolled: 1-line block ×3, first 2 shown]
	v_add_f64 v[57:58], v[27:28], -v[57:58]
	v_add_f64 v[55:56], v[27:28], v[53:54]
	v_add_f64 v[51:52], v[53:54], -v[51:52]
	v_add_f64 v[49:50], v[49:50], -v[57:58]
	;; [unrolled: 1-line block ×6, first 2 shown]
	v_add_f64 v[53:54], v[49:50], v[25:26]
	v_add_f64 v[27:28], v[27:28], -v[61:62]
	v_add_f64 v[27:28], v[51:52], v[27:28]
	v_add_f64 v[51:52], v[53:54], -v[49:50]
	v_add_f64 v[27:28], v[53:54], v[27:28]
	v_add_f64 v[53:54], v[53:54], -v[51:52]
	v_add_f64 v[25:26], v[25:26], -v[51:52]
	v_add_f64 v[57:58], v[55:56], v[27:28]
	v_add_f64 v[49:50], v[49:50], -v[53:54]
	v_add_f64 v[51:52], v[57:58], -v[55:56]
	v_add_f64 v[25:26], v[25:26], v[49:50]
	v_add_f64 v[27:28], v[27:28], -v[51:52]
	v_add_f64 v[25:26], v[25:26], v[27:28]
	v_mov_b32_e32 v27, 0x7ff80000
	v_mov_b32_e32 v28, 0xfff00000
	v_add_f64 v[25:26], v[57:58], v[25:26]
	v_cndmask_b32_e32 v25, 0, v25, vcc
	v_cmp_ngt_f64_e32 vcc, -1.0, v[23:24]
	v_cndmask_b32_e64 v26, v69, v26, s[22:23]
	v_cndmask_b32_e32 v26, v27, v26, vcc
	v_cmp_neq_f64_e32 vcc, -1.0, v[23:24]
	v_cndmask_b32_e32 v26, v28, v26, vcc
	v_add_f64 v[49:50], v[21:22], v[25:26]
.LBB5_43:
	s_or_b64 exec, exec, s[24:25]
	v_lshrrev_b32_e32 v21, 2, v0
	v_and_b32_e32 v21, 24, v21
	v_lshl_add_u32 v21, v0, 3, v21
	v_cmp_gt_u32_e32 vcc, 64, v0
	ds_write_b64 v21, v[49:50]
	s_waitcnt lgkmcnt(0)
	s_barrier
	s_and_saveexec_b64 s[30:31], vcc
	s_cbranch_execz .LBB5_75
; %bb.44:
	v_lshrrev_b32_e32 v21, 1, v0
	v_and_b32_e32 v21, 56, v21
	v_lshlrev_b32_e32 v22, 4, v0
	v_add_u32_e32 v53, v21, v22
	ds_read2_b64 v[21:24], v53 offset1:1
	s_waitcnt lgkmcnt(0)
	v_max_f64 v[27:28], v[23:24], v[23:24]
	v_max_f64 v[25:26], v[21:22], v[21:22]
	v_cmp_u_f64_e64 s[22:23], v[21:22], v[21:22]
	v_cmp_u_f64_e64 s[24:25], v[23:24], v[23:24]
	v_min_f64 v[51:52], v[25:26], v[27:28]
	v_max_f64 v[27:28], v[25:26], v[27:28]
	v_cndmask_b32_e64 v51, v51, v21, s[22:23]
	v_cndmask_b32_e64 v52, v52, v22, s[22:23]
	;; [unrolled: 1-line block ×8, first 2 shown]
	v_cmp_neq_f64_e64 s[24:25], v[51:52], v[27:28]
	v_cmp_class_f64_e64 s[26:27], v[51:52], s7
	v_mov_b32_e32 v24, v22
	v_mov_b32_e32 v23, v21
	s_or_b64 s[24:25], s[24:25], s[26:27]
	s_and_saveexec_b64 s[44:45], s[24:25]
	s_cbranch_execz .LBB5_46
; %bb.45:
	v_add_f64 v[23:24], v[51:52], -v[27:28]
	s_mov_b32 s24, 0x652b82fe
	s_mov_b32 s25, 0x3ff71547
	;; [unrolled: 1-line block ×6, first 2 shown]
	v_mov_b32_e32 v56, 0xfca7ab0c
	v_mul_f64 v[51:52], v[23:24], s[24:25]
	s_mov_b32 s24, 0x6a5dcb37
	v_mov_b32_e32 v57, 0x3e928af3
	s_mov_b32 s25, 0x3e5ade15
	s_mov_b32 s26, 0
	;; [unrolled: 1-line block ×3, first 2 shown]
	v_cmp_ngt_f64_e64 s[26:27], s[26:27], v[23:24]
	v_mov_b32_e32 v64, 0x7ff00000
	v_rndne_f64_e32 v[51:52], v[51:52]
	v_fma_f64 v[54:55], v[51:52], s[36:37], v[23:24]
	s_mov_b32 s37, 0x3fe62e42
	v_fma_f64 v[54:55], v[51:52], s[46:47], v[54:55]
	v_cvt_i32_f64_e32 v51, v[51:52]
	s_mov_b32 s47, 0x3c7abc9e
	v_fma_f64 v[56:57], v[54:55], s[24:25], v[56:57]
	s_mov_b32 s24, 0x623fde64
	s_mov_b32 s25, 0x3ec71dee
	v_fma_f64 v[56:57], v[54:55], v[56:57], s[24:25]
	s_mov_b32 s24, 0x7c89e6b0
	;; [unrolled: 3-line block ×9, first 2 shown]
	s_mov_b32 s25, 0x40900000
	v_cmp_nlt_f64_e64 s[24:25], s[24:25], v[23:24]
	v_fma_f64 v[56:57], v[54:55], v[56:57], 1.0
	v_fma_f64 v[54:55], v[54:55], v[56:57], 1.0
	v_ldexp_f64 v[51:52], v[54:55], v51
	v_cndmask_b32_e64 v52, v64, v52, s[24:25]
	s_and_b64 s[24:25], s[26:27], s[24:25]
	v_cndmask_b32_e64 v24, 0, v52, s[26:27]
	v_cndmask_b32_e64 v23, 0, v51, s[24:25]
	v_add_f64 v[51:52], v[23:24], 1.0
	s_mov_b32 s27, 0x3fe55555
	s_mov_b32 s26, 0x55555555
	v_frexp_mant_f64_e32 v[56:57], v[51:52]
	v_frexp_exp_i32_f64_e32 v60, v[51:52]
	v_add_f64 v[54:55], v[51:52], -1.0
	v_cmp_gt_f64_e64 s[24:25], s[26:27], v[56:57]
	s_mov_b32 s26, 0x55555780
	v_add_f64 v[58:59], v[54:55], -v[51:52]
	v_add_f64 v[54:55], v[23:24], -v[54:55]
	v_subbrev_co_u32_e64 v77, s[24:25], 0, v60, s[24:25]
	v_sub_u32_e32 v60, 0, v77
	v_ldexp_f64 v[51:52], v[51:52], v60
	v_add_f64 v[56:57], v[58:59], 1.0
	s_mov_b32 s24, 0xbf559e2b
	s_mov_b32 s25, 0x3fc3ab76
	v_add_f64 v[58:59], v[51:52], 1.0
	v_add_f64 v[54:55], v[54:55], v[56:57]
	v_add_f64 v[67:68], v[51:52], -1.0
	v_add_f64 v[56:57], v[58:59], -1.0
	v_ldexp_f64 v[54:55], v[54:55], v60
	v_add_f64 v[69:70], v[67:68], 1.0
	v_add_f64 v[56:57], v[51:52], -v[56:57]
	v_add_f64 v[51:52], v[51:52], -v[69:70]
	v_add_f64 v[56:57], v[54:55], v[56:57]
	v_add_f64 v[51:52], v[54:55], v[51:52]
	;; [unrolled: 1-line block ×4, first 2 shown]
	v_rcp_f64_e32 v[62:63], v[60:61]
	v_add_f64 v[58:59], v[60:61], -v[58:59]
	v_add_f64 v[67:68], v[69:70], -v[67:68]
	;; [unrolled: 1-line block ×4, first 2 shown]
	v_fma_f64 v[71:72], -v[60:61], v[62:63], 1.0
	v_fma_f64 v[62:63], v[71:72], v[62:63], v[62:63]
	v_fma_f64 v[54:55], -v[60:61], v[62:63], 1.0
	v_fma_f64 v[54:55], v[54:55], v[62:63], v[62:63]
	v_mul_f64 v[62:63], v[69:70], v[54:55]
	v_mul_f64 v[71:72], v[60:61], v[62:63]
	v_fma_f64 v[58:59], v[62:63], v[60:61], -v[71:72]
	v_fma_f64 v[58:59], v[62:63], v[56:57], v[58:59]
	v_add_f64 v[73:74], v[71:72], v[58:59]
	v_add_f64 v[75:76], v[69:70], -v[73:74]
	v_add_f64 v[67:68], v[73:74], -v[71:72]
	;; [unrolled: 1-line block ×5, first 2 shown]
	v_add_f64 v[51:52], v[51:52], v[69:70]
	v_add_f64 v[51:52], v[58:59], v[51:52]
	;; [unrolled: 1-line block ×3, first 2 shown]
	v_mul_f64 v[67:68], v[54:55], v[58:59]
	v_add_f64 v[73:74], v[75:76], -v[58:59]
	v_mul_f64 v[69:70], v[60:61], v[67:68]
	v_add_f64 v[51:52], v[51:52], v[73:74]
	v_fma_f64 v[60:61], v[67:68], v[60:61], -v[69:70]
	v_fma_f64 v[56:57], v[67:68], v[56:57], v[60:61]
	v_add_f64 v[60:61], v[69:70], v[56:57]
	v_add_f64 v[71:72], v[58:59], -v[60:61]
	v_add_f64 v[69:70], v[60:61], -v[69:70]
	;; [unrolled: 1-line block ×5, first 2 shown]
	v_mov_b32_e32 v60, 0x6b47b09a
	v_mov_b32_e32 v61, 0x3fc38538
	v_add_f64 v[51:52], v[51:52], v[58:59]
	v_add_f64 v[58:59], v[62:63], v[67:68]
	;; [unrolled: 1-line block ×3, first 2 shown]
	v_add_f64 v[56:57], v[58:59], -v[62:63]
	v_add_f64 v[51:52], v[71:72], v[51:52]
	v_add_f64 v[56:57], v[67:68], -v[56:57]
	v_mul_f64 v[51:52], v[54:55], v[51:52]
	v_add_f64 v[51:52], v[56:57], v[51:52]
	v_add_f64 v[54:55], v[58:59], v[51:52]
	v_mul_f64 v[56:57], v[54:55], v[54:55]
	v_fma_f64 v[60:61], v[56:57], s[24:25], v[60:61]
	s_mov_b32 s24, 0xd7f4df2e
	s_mov_b32 s25, 0x3fc7474d
	v_mul_f64 v[62:63], v[54:55], v[56:57]
	v_fma_f64 v[60:61], v[56:57], v[60:61], s[24:25]
	s_mov_b32 s24, 0x16291751
	s_mov_b32 s25, 0x3fcc71c0
	v_fma_f64 v[60:61], v[56:57], v[60:61], s[24:25]
	s_mov_b32 s24, 0x9b27acf1
	s_mov_b32 s25, 0x3fd24924
	;; [unrolled: 3-line block ×3, first 2 shown]
	v_fma_f64 v[60:61], v[56:57], v[60:61], s[24:25]
	v_cmp_nge_f64_e64 s[24:25], -1.0, v[23:24]
	v_fma_f64 v[56:57], v[56:57], v[60:61], s[26:27]
	v_ldexp_f64 v[60:61], v[54:55], 1
	v_add_f64 v[54:55], v[54:55], -v[58:59]
	s_mov_b32 s26, 0
	s_mov_b32 s27, 0x7ff00000
	v_cmp_neq_f64_e64 s[26:27], s[26:27], v[23:24]
	v_mul_f64 v[56:57], v[62:63], v[56:57]
	v_cvt_f64_i32_e32 v[62:63], v77
	v_add_f64 v[51:52], v[51:52], -v[54:55]
	v_mul_f64 v[67:68], v[62:63], s[36:37]
	s_and_b64 s[24:25], s[24:25], s[26:27]
	v_add_f64 v[58:59], v[60:61], v[56:57]
	v_ldexp_f64 v[51:52], v[51:52], 1
	v_add_f64 v[54:55], v[58:59], -v[60:61]
	v_fma_f64 v[60:61], v[62:63], s[36:37], -v[67:68]
	v_add_f64 v[54:55], v[56:57], -v[54:55]
	v_fma_f64 v[56:57], v[62:63], s[46:47], v[60:61]
	v_add_f64 v[51:52], v[51:52], v[54:55]
	v_add_f64 v[54:55], v[67:68], v[56:57]
	;; [unrolled: 1-line block ×3, first 2 shown]
	v_add_f64 v[67:68], v[54:55], -v[67:68]
	v_add_f64 v[62:63], v[54:55], v[60:61]
	v_add_f64 v[58:59], v[60:61], -v[58:59]
	v_add_f64 v[56:57], v[56:57], -v[67:68]
	v_add_f64 v[69:70], v[62:63], -v[54:55]
	v_add_f64 v[51:52], v[51:52], -v[58:59]
	v_add_f64 v[71:72], v[62:63], -v[69:70]
	v_add_f64 v[58:59], v[60:61], -v[69:70]
	v_add_f64 v[60:61], v[56:57], v[51:52]
	v_add_f64 v[54:55], v[54:55], -v[71:72]
	v_add_f64 v[54:55], v[58:59], v[54:55]
	v_add_f64 v[58:59], v[60:61], -v[56:57]
	;; [unrolled: 2-line block ×3, first 2 shown]
	v_add_f64 v[51:52], v[51:52], -v[58:59]
	v_add_f64 v[67:68], v[62:63], v[54:55]
	v_add_f64 v[56:57], v[56:57], -v[60:61]
	v_add_f64 v[58:59], v[67:68], -v[62:63]
	v_add_f64 v[51:52], v[51:52], v[56:57]
	v_add_f64 v[54:55], v[54:55], -v[58:59]
	v_add_f64 v[51:52], v[51:52], v[54:55]
	v_mov_b32_e32 v54, 0x7ff80000
	v_mov_b32_e32 v55, 0xfff00000
	v_add_f64 v[51:52], v[67:68], v[51:52]
	v_cndmask_b32_e64 v51, 0, v51, s[24:25]
	v_cmp_ngt_f64_e64 s[24:25], -1.0, v[23:24]
	v_cndmask_b32_e64 v52, v64, v52, s[26:27]
	v_cndmask_b32_e64 v52, v54, v52, s[24:25]
	v_cmp_neq_f64_e64 s[24:25], -1.0, v[23:24]
	v_cndmask_b32_e64 v52, v55, v52, s[24:25]
	v_add_f64 v[23:24], v[27:28], v[51:52]
.LBB5_46:
	s_or_b64 exec, exec, s[44:45]
	v_mbcnt_lo_u32_b32 v27, -1, 0
	v_mbcnt_hi_u32_b32 v54, -1, v27
	v_and_b32_e32 v55, 15, v54
	v_mov_b32_dpp v27, v23 row_shr:1 row_mask:0xf bank_mask:0xf
	v_mov_b32_dpp v28, v24 row_shr:1 row_mask:0xf bank_mask:0xf
	v_cmp_ne_u32_e64 s[24:25], 0, v55
	v_mov_b32_e32 v51, v23
	v_mov_b32_e32 v52, v24
	s_and_saveexec_b64 s[26:27], s[24:25]
	s_xor_b64 s[44:45], exec, s[26:27]
	s_cbranch_execz .LBB5_50
; %bb.47:
	v_max_f64 v[51:52], v[27:28], v[27:28]
	v_max_f64 v[56:57], v[23:24], v[23:24]
	v_cmp_u_f64_e64 s[24:25], v[27:28], v[27:28]
	v_cmp_u_f64_e64 s[26:27], v[23:24], v[23:24]
	v_min_f64 v[58:59], v[51:52], v[56:57]
	v_max_f64 v[51:52], v[51:52], v[56:57]
	v_cndmask_b32_e64 v56, v59, v28, s[24:25]
	v_cndmask_b32_e64 v57, v58, v27, s[24:25]
	;; [unrolled: 1-line block ×8, first 2 shown]
	v_cmp_neq_f64_e64 s[24:25], v[51:52], v[23:24]
	v_cmp_class_f64_e64 s[26:27], v[51:52], s7
	s_or_b64 s[24:25], s[24:25], s[26:27]
	s_and_saveexec_b64 s[46:47], s[24:25]
	s_cbranch_execz .LBB5_49
; %bb.48:
	v_add_f64 v[27:28], v[51:52], -v[23:24]
	s_mov_b32 s24, 0x652b82fe
	s_mov_b32 s25, 0x3ff71547
	;; [unrolled: 1-line block ×6, first 2 shown]
	v_mov_b32_e32 v58, 0xfca7ab0c
	v_mul_f64 v[51:52], v[27:28], s[24:25]
	s_mov_b32 s24, 0x6a5dcb37
	v_mov_b32_e32 v59, 0x3e928af3
	s_mov_b32 s25, 0x3e5ade15
	s_mov_b32 s26, 0
	;; [unrolled: 1-line block ×3, first 2 shown]
	v_cmp_ngt_f64_e64 s[26:27], s[26:27], v[27:28]
	v_mov_b32_e32 v64, 0x7ff00000
	v_rndne_f64_e32 v[51:52], v[51:52]
	v_fma_f64 v[56:57], v[51:52], s[36:37], v[27:28]
	s_mov_b32 s37, 0x3fe62e42
	v_fma_f64 v[56:57], v[51:52], s[48:49], v[56:57]
	v_cvt_i32_f64_e32 v51, v[51:52]
	s_mov_b32 s49, 0x3c7abc9e
	v_fma_f64 v[58:59], v[56:57], s[24:25], v[58:59]
	s_mov_b32 s24, 0x623fde64
	s_mov_b32 s25, 0x3ec71dee
	v_fma_f64 v[58:59], v[56:57], v[58:59], s[24:25]
	s_mov_b32 s24, 0x7c89e6b0
	;; [unrolled: 3-line block ×9, first 2 shown]
	s_mov_b32 s25, 0x40900000
	v_cmp_nlt_f64_e64 s[24:25], s[24:25], v[27:28]
	v_fma_f64 v[58:59], v[56:57], v[58:59], 1.0
	v_fma_f64 v[56:57], v[56:57], v[58:59], 1.0
	v_ldexp_f64 v[51:52], v[56:57], v51
	v_cndmask_b32_e64 v52, v64, v52, s[24:25]
	s_and_b64 s[24:25], s[26:27], s[24:25]
	v_cndmask_b32_e64 v28, 0, v52, s[26:27]
	v_cndmask_b32_e64 v27, 0, v51, s[24:25]
	v_add_f64 v[51:52], v[27:28], 1.0
	s_mov_b32 s27, 0x3fe55555
	s_mov_b32 s26, 0x55555555
	v_frexp_mant_f64_e32 v[58:59], v[51:52]
	v_frexp_exp_i32_f64_e32 v62, v[51:52]
	v_add_f64 v[56:57], v[51:52], -1.0
	v_cmp_gt_f64_e64 s[24:25], s[26:27], v[58:59]
	s_mov_b32 s26, 0x55555780
	v_add_f64 v[60:61], v[56:57], -v[51:52]
	v_add_f64 v[56:57], v[27:28], -v[56:57]
	v_subbrev_co_u32_e64 v79, s[24:25], 0, v62, s[24:25]
	v_sub_u32_e32 v62, 0, v79
	v_ldexp_f64 v[51:52], v[51:52], v62
	v_add_f64 v[58:59], v[60:61], 1.0
	s_mov_b32 s24, 0xbf559e2b
	s_mov_b32 s25, 0x3fc3ab76
	v_add_f64 v[60:61], v[51:52], 1.0
	v_add_f64 v[56:57], v[56:57], v[58:59]
	v_add_f64 v[69:70], v[51:52], -1.0
	v_add_f64 v[58:59], v[60:61], -1.0
	v_ldexp_f64 v[56:57], v[56:57], v62
	v_add_f64 v[71:72], v[69:70], 1.0
	v_add_f64 v[58:59], v[51:52], -v[58:59]
	v_add_f64 v[51:52], v[51:52], -v[71:72]
	v_add_f64 v[58:59], v[56:57], v[58:59]
	v_add_f64 v[51:52], v[56:57], v[51:52]
	;; [unrolled: 1-line block ×4, first 2 shown]
	v_rcp_f64_e32 v[67:68], v[62:63]
	v_add_f64 v[60:61], v[62:63], -v[60:61]
	v_add_f64 v[69:70], v[71:72], -v[69:70]
	;; [unrolled: 1-line block ×4, first 2 shown]
	v_fma_f64 v[73:74], -v[62:63], v[67:68], 1.0
	v_fma_f64 v[67:68], v[73:74], v[67:68], v[67:68]
	v_fma_f64 v[56:57], -v[62:63], v[67:68], 1.0
	v_fma_f64 v[56:57], v[56:57], v[67:68], v[67:68]
	v_mul_f64 v[67:68], v[71:72], v[56:57]
	v_mul_f64 v[73:74], v[62:63], v[67:68]
	v_fma_f64 v[60:61], v[67:68], v[62:63], -v[73:74]
	v_fma_f64 v[60:61], v[67:68], v[58:59], v[60:61]
	v_add_f64 v[75:76], v[73:74], v[60:61]
	v_add_f64 v[77:78], v[71:72], -v[75:76]
	v_add_f64 v[69:70], v[75:76], -v[73:74]
	;; [unrolled: 1-line block ×5, first 2 shown]
	v_add_f64 v[51:52], v[51:52], v[71:72]
	v_add_f64 v[51:52], v[60:61], v[51:52]
	;; [unrolled: 1-line block ×3, first 2 shown]
	v_mul_f64 v[69:70], v[56:57], v[60:61]
	v_add_f64 v[75:76], v[77:78], -v[60:61]
	v_mul_f64 v[71:72], v[62:63], v[69:70]
	v_add_f64 v[51:52], v[51:52], v[75:76]
	v_fma_f64 v[62:63], v[69:70], v[62:63], -v[71:72]
	v_fma_f64 v[58:59], v[69:70], v[58:59], v[62:63]
	v_add_f64 v[62:63], v[71:72], v[58:59]
	v_add_f64 v[73:74], v[60:61], -v[62:63]
	v_add_f64 v[71:72], v[62:63], -v[71:72]
	;; [unrolled: 1-line block ×5, first 2 shown]
	v_mov_b32_e32 v62, 0x6b47b09a
	v_mov_b32_e32 v63, 0x3fc38538
	v_add_f64 v[51:52], v[51:52], v[60:61]
	v_add_f64 v[60:61], v[67:68], v[69:70]
	;; [unrolled: 1-line block ×3, first 2 shown]
	v_add_f64 v[58:59], v[60:61], -v[67:68]
	v_add_f64 v[51:52], v[73:74], v[51:52]
	v_add_f64 v[58:59], v[69:70], -v[58:59]
	v_mul_f64 v[51:52], v[56:57], v[51:52]
	v_add_f64 v[51:52], v[58:59], v[51:52]
	v_add_f64 v[56:57], v[60:61], v[51:52]
	v_mul_f64 v[58:59], v[56:57], v[56:57]
	v_fma_f64 v[62:63], v[58:59], s[24:25], v[62:63]
	s_mov_b32 s24, 0xd7f4df2e
	s_mov_b32 s25, 0x3fc7474d
	v_mul_f64 v[67:68], v[56:57], v[58:59]
	v_fma_f64 v[62:63], v[58:59], v[62:63], s[24:25]
	s_mov_b32 s24, 0x16291751
	s_mov_b32 s25, 0x3fcc71c0
	v_fma_f64 v[62:63], v[58:59], v[62:63], s[24:25]
	s_mov_b32 s24, 0x9b27acf1
	s_mov_b32 s25, 0x3fd24924
	;; [unrolled: 3-line block ×3, first 2 shown]
	v_fma_f64 v[62:63], v[58:59], v[62:63], s[24:25]
	v_cmp_nge_f64_e64 s[24:25], -1.0, v[27:28]
	v_fma_f64 v[58:59], v[58:59], v[62:63], s[26:27]
	v_ldexp_f64 v[62:63], v[56:57], 1
	v_add_f64 v[56:57], v[56:57], -v[60:61]
	s_mov_b32 s26, 0
	s_mov_b32 s27, 0x7ff00000
	v_cmp_neq_f64_e64 s[26:27], s[26:27], v[27:28]
	v_mul_f64 v[58:59], v[67:68], v[58:59]
	v_cvt_f64_i32_e32 v[67:68], v79
	v_add_f64 v[51:52], v[51:52], -v[56:57]
	v_mul_f64 v[69:70], v[67:68], s[36:37]
	s_and_b64 s[24:25], s[24:25], s[26:27]
	v_add_f64 v[60:61], v[62:63], v[58:59]
	v_ldexp_f64 v[51:52], v[51:52], 1
	v_add_f64 v[56:57], v[60:61], -v[62:63]
	v_fma_f64 v[62:63], v[67:68], s[36:37], -v[69:70]
	v_add_f64 v[56:57], v[58:59], -v[56:57]
	v_fma_f64 v[58:59], v[67:68], s[48:49], v[62:63]
	v_add_f64 v[51:52], v[51:52], v[56:57]
	v_add_f64 v[56:57], v[69:70], v[58:59]
	v_add_f64 v[62:63], v[60:61], v[51:52]
	v_add_f64 v[69:70], v[56:57], -v[69:70]
	v_add_f64 v[67:68], v[56:57], v[62:63]
	v_add_f64 v[60:61], v[62:63], -v[60:61]
	v_add_f64 v[58:59], v[58:59], -v[69:70]
	;; [unrolled: 1-line block ×6, first 2 shown]
	v_add_f64 v[62:63], v[58:59], v[51:52]
	v_add_f64 v[56:57], v[56:57], -v[73:74]
	v_add_f64 v[56:57], v[60:61], v[56:57]
	v_add_f64 v[60:61], v[62:63], -v[58:59]
	;; [unrolled: 2-line block ×3, first 2 shown]
	v_add_f64 v[51:52], v[51:52], -v[60:61]
	v_add_f64 v[69:70], v[67:68], v[56:57]
	v_add_f64 v[58:59], v[58:59], -v[62:63]
	v_add_f64 v[60:61], v[69:70], -v[67:68]
	v_add_f64 v[51:52], v[51:52], v[58:59]
	v_add_f64 v[56:57], v[56:57], -v[60:61]
	v_add_f64 v[51:52], v[51:52], v[56:57]
	v_mov_b32_e32 v56, 0x7ff80000
	v_mov_b32_e32 v57, 0xfff00000
	v_add_f64 v[51:52], v[69:70], v[51:52]
	v_cndmask_b32_e64 v51, 0, v51, s[24:25]
	v_cmp_ngt_f64_e64 s[24:25], -1.0, v[27:28]
	v_cndmask_b32_e64 v52, v64, v52, s[26:27]
	v_cndmask_b32_e64 v52, v56, v52, s[24:25]
	v_cmp_neq_f64_e64 s[24:25], -1.0, v[27:28]
	v_cndmask_b32_e64 v52, v57, v52, s[24:25]
	v_add_f64 v[27:28], v[23:24], v[51:52]
.LBB5_49:
	s_or_b64 exec, exec, s[46:47]
	v_mov_b32_e32 v23, v27
	v_mov_b32_e32 v51, v27
	;; [unrolled: 1-line block ×4, first 2 shown]
.LBB5_50:
	s_or_b64 exec, exec, s[44:45]
	v_mov_b32_dpp v27, v51 row_shr:2 row_mask:0xf bank_mask:0xf
	v_mov_b32_dpp v28, v52 row_shr:2 row_mask:0xf bank_mask:0xf
	v_cmp_lt_u32_e64 s[24:25], 1, v55
	s_and_saveexec_b64 s[44:45], s[24:25]
	s_cbranch_execz .LBB5_54
; %bb.51:
	v_max_f64 v[51:52], v[27:28], v[27:28]
	v_max_f64 v[56:57], v[23:24], v[23:24]
	v_cmp_u_f64_e64 s[24:25], v[27:28], v[27:28]
	v_cmp_u_f64_e64 s[26:27], v[23:24], v[23:24]
	v_min_f64 v[58:59], v[51:52], v[56:57]
	v_max_f64 v[51:52], v[51:52], v[56:57]
	v_cndmask_b32_e64 v56, v59, v28, s[24:25]
	v_cndmask_b32_e64 v57, v58, v27, s[24:25]
	;; [unrolled: 1-line block ×8, first 2 shown]
	v_cmp_neq_f64_e64 s[24:25], v[51:52], v[23:24]
	v_cmp_class_f64_e64 s[26:27], v[51:52], s7
	s_or_b64 s[24:25], s[24:25], s[26:27]
	s_and_saveexec_b64 s[46:47], s[24:25]
	s_cbranch_execz .LBB5_53
; %bb.52:
	v_add_f64 v[27:28], v[51:52], -v[23:24]
	s_mov_b32 s24, 0x652b82fe
	s_mov_b32 s25, 0x3ff71547
	;; [unrolled: 1-line block ×6, first 2 shown]
	v_mov_b32_e32 v58, 0xfca7ab0c
	v_mul_f64 v[51:52], v[27:28], s[24:25]
	s_mov_b32 s24, 0x6a5dcb37
	v_mov_b32_e32 v59, 0x3e928af3
	s_mov_b32 s25, 0x3e5ade15
	s_mov_b32 s26, 0
	;; [unrolled: 1-line block ×3, first 2 shown]
	v_cmp_ngt_f64_e64 s[26:27], s[26:27], v[27:28]
	v_mov_b32_e32 v64, 0x7ff00000
	v_rndne_f64_e32 v[51:52], v[51:52]
	v_fma_f64 v[56:57], v[51:52], s[36:37], v[27:28]
	s_mov_b32 s37, 0x3fe62e42
	v_fma_f64 v[56:57], v[51:52], s[48:49], v[56:57]
	v_cvt_i32_f64_e32 v51, v[51:52]
	s_mov_b32 s49, 0x3c7abc9e
	v_fma_f64 v[58:59], v[56:57], s[24:25], v[58:59]
	s_mov_b32 s24, 0x623fde64
	s_mov_b32 s25, 0x3ec71dee
	v_fma_f64 v[58:59], v[56:57], v[58:59], s[24:25]
	s_mov_b32 s24, 0x7c89e6b0
	;; [unrolled: 3-line block ×9, first 2 shown]
	s_mov_b32 s25, 0x40900000
	v_cmp_nlt_f64_e64 s[24:25], s[24:25], v[27:28]
	v_fma_f64 v[58:59], v[56:57], v[58:59], 1.0
	v_fma_f64 v[56:57], v[56:57], v[58:59], 1.0
	v_ldexp_f64 v[51:52], v[56:57], v51
	v_cndmask_b32_e64 v52, v64, v52, s[24:25]
	s_and_b64 s[24:25], s[26:27], s[24:25]
	v_cndmask_b32_e64 v28, 0, v52, s[26:27]
	v_cndmask_b32_e64 v27, 0, v51, s[24:25]
	v_add_f64 v[51:52], v[27:28], 1.0
	s_mov_b32 s27, 0x3fe55555
	s_mov_b32 s26, 0x55555555
	v_frexp_mant_f64_e32 v[58:59], v[51:52]
	v_frexp_exp_i32_f64_e32 v62, v[51:52]
	v_add_f64 v[56:57], v[51:52], -1.0
	v_cmp_gt_f64_e64 s[24:25], s[26:27], v[58:59]
	s_mov_b32 s26, 0x55555780
	v_add_f64 v[60:61], v[56:57], -v[51:52]
	v_add_f64 v[56:57], v[27:28], -v[56:57]
	v_subbrev_co_u32_e64 v79, s[24:25], 0, v62, s[24:25]
	v_sub_u32_e32 v62, 0, v79
	v_ldexp_f64 v[51:52], v[51:52], v62
	v_add_f64 v[58:59], v[60:61], 1.0
	s_mov_b32 s24, 0xbf559e2b
	s_mov_b32 s25, 0x3fc3ab76
	v_add_f64 v[60:61], v[51:52], 1.0
	v_add_f64 v[56:57], v[56:57], v[58:59]
	v_add_f64 v[69:70], v[51:52], -1.0
	v_add_f64 v[58:59], v[60:61], -1.0
	v_ldexp_f64 v[56:57], v[56:57], v62
	v_add_f64 v[71:72], v[69:70], 1.0
	v_add_f64 v[58:59], v[51:52], -v[58:59]
	v_add_f64 v[51:52], v[51:52], -v[71:72]
	v_add_f64 v[58:59], v[56:57], v[58:59]
	v_add_f64 v[51:52], v[56:57], v[51:52]
	v_add_f64 v[62:63], v[60:61], v[58:59]
	v_add_f64 v[71:72], v[69:70], v[51:52]
	v_rcp_f64_e32 v[67:68], v[62:63]
	v_add_f64 v[60:61], v[62:63], -v[60:61]
	v_add_f64 v[69:70], v[71:72], -v[69:70]
	v_add_f64 v[58:59], v[58:59], -v[60:61]
	v_add_f64 v[51:52], v[51:52], -v[69:70]
	v_fma_f64 v[73:74], -v[62:63], v[67:68], 1.0
	v_fma_f64 v[67:68], v[73:74], v[67:68], v[67:68]
	v_fma_f64 v[56:57], -v[62:63], v[67:68], 1.0
	v_fma_f64 v[56:57], v[56:57], v[67:68], v[67:68]
	v_mul_f64 v[67:68], v[71:72], v[56:57]
	v_mul_f64 v[73:74], v[62:63], v[67:68]
	v_fma_f64 v[60:61], v[67:68], v[62:63], -v[73:74]
	v_fma_f64 v[60:61], v[67:68], v[58:59], v[60:61]
	v_add_f64 v[75:76], v[73:74], v[60:61]
	v_add_f64 v[77:78], v[71:72], -v[75:76]
	v_add_f64 v[69:70], v[75:76], -v[73:74]
	;; [unrolled: 1-line block ×5, first 2 shown]
	v_add_f64 v[51:52], v[51:52], v[71:72]
	v_add_f64 v[51:52], v[60:61], v[51:52]
	v_add_f64 v[60:61], v[77:78], v[51:52]
	v_mul_f64 v[69:70], v[56:57], v[60:61]
	v_add_f64 v[75:76], v[77:78], -v[60:61]
	v_mul_f64 v[71:72], v[62:63], v[69:70]
	v_add_f64 v[51:52], v[51:52], v[75:76]
	v_fma_f64 v[62:63], v[69:70], v[62:63], -v[71:72]
	v_fma_f64 v[58:59], v[69:70], v[58:59], v[62:63]
	v_add_f64 v[62:63], v[71:72], v[58:59]
	v_add_f64 v[73:74], v[60:61], -v[62:63]
	v_add_f64 v[71:72], v[62:63], -v[71:72]
	;; [unrolled: 1-line block ×5, first 2 shown]
	v_mov_b32_e32 v62, 0x6b47b09a
	v_mov_b32_e32 v63, 0x3fc38538
	v_add_f64 v[51:52], v[51:52], v[60:61]
	v_add_f64 v[60:61], v[67:68], v[69:70]
	;; [unrolled: 1-line block ×3, first 2 shown]
	v_add_f64 v[58:59], v[60:61], -v[67:68]
	v_add_f64 v[51:52], v[73:74], v[51:52]
	v_add_f64 v[58:59], v[69:70], -v[58:59]
	v_mul_f64 v[51:52], v[56:57], v[51:52]
	v_add_f64 v[51:52], v[58:59], v[51:52]
	v_add_f64 v[56:57], v[60:61], v[51:52]
	v_mul_f64 v[58:59], v[56:57], v[56:57]
	v_fma_f64 v[62:63], v[58:59], s[24:25], v[62:63]
	s_mov_b32 s24, 0xd7f4df2e
	s_mov_b32 s25, 0x3fc7474d
	v_mul_f64 v[67:68], v[56:57], v[58:59]
	v_fma_f64 v[62:63], v[58:59], v[62:63], s[24:25]
	s_mov_b32 s24, 0x16291751
	s_mov_b32 s25, 0x3fcc71c0
	v_fma_f64 v[62:63], v[58:59], v[62:63], s[24:25]
	s_mov_b32 s24, 0x9b27acf1
	s_mov_b32 s25, 0x3fd24924
	;; [unrolled: 3-line block ×3, first 2 shown]
	v_fma_f64 v[62:63], v[58:59], v[62:63], s[24:25]
	v_cmp_nge_f64_e64 s[24:25], -1.0, v[27:28]
	v_fma_f64 v[58:59], v[58:59], v[62:63], s[26:27]
	v_ldexp_f64 v[62:63], v[56:57], 1
	v_add_f64 v[56:57], v[56:57], -v[60:61]
	s_mov_b32 s26, 0
	s_mov_b32 s27, 0x7ff00000
	v_cmp_neq_f64_e64 s[26:27], s[26:27], v[27:28]
	v_mul_f64 v[58:59], v[67:68], v[58:59]
	v_cvt_f64_i32_e32 v[67:68], v79
	v_add_f64 v[51:52], v[51:52], -v[56:57]
	v_mul_f64 v[69:70], v[67:68], s[36:37]
	s_and_b64 s[24:25], s[24:25], s[26:27]
	v_add_f64 v[60:61], v[62:63], v[58:59]
	v_ldexp_f64 v[51:52], v[51:52], 1
	v_add_f64 v[56:57], v[60:61], -v[62:63]
	v_fma_f64 v[62:63], v[67:68], s[36:37], -v[69:70]
	v_add_f64 v[56:57], v[58:59], -v[56:57]
	v_fma_f64 v[58:59], v[67:68], s[48:49], v[62:63]
	v_add_f64 v[51:52], v[51:52], v[56:57]
	v_add_f64 v[56:57], v[69:70], v[58:59]
	;; [unrolled: 1-line block ×3, first 2 shown]
	v_add_f64 v[69:70], v[56:57], -v[69:70]
	v_add_f64 v[67:68], v[56:57], v[62:63]
	v_add_f64 v[60:61], v[62:63], -v[60:61]
	v_add_f64 v[58:59], v[58:59], -v[69:70]
	v_add_f64 v[71:72], v[67:68], -v[56:57]
	v_add_f64 v[51:52], v[51:52], -v[60:61]
	v_add_f64 v[73:74], v[67:68], -v[71:72]
	v_add_f64 v[60:61], v[62:63], -v[71:72]
	v_add_f64 v[62:63], v[58:59], v[51:52]
	v_add_f64 v[56:57], v[56:57], -v[73:74]
	v_add_f64 v[56:57], v[60:61], v[56:57]
	v_add_f64 v[60:61], v[62:63], -v[58:59]
	;; [unrolled: 2-line block ×3, first 2 shown]
	v_add_f64 v[51:52], v[51:52], -v[60:61]
	v_add_f64 v[69:70], v[67:68], v[56:57]
	v_add_f64 v[58:59], v[58:59], -v[62:63]
	v_add_f64 v[60:61], v[69:70], -v[67:68]
	v_add_f64 v[51:52], v[51:52], v[58:59]
	v_add_f64 v[56:57], v[56:57], -v[60:61]
	v_add_f64 v[51:52], v[51:52], v[56:57]
	v_mov_b32_e32 v56, 0x7ff80000
	v_mov_b32_e32 v57, 0xfff00000
	v_add_f64 v[51:52], v[69:70], v[51:52]
	v_cndmask_b32_e64 v51, 0, v51, s[24:25]
	v_cmp_ngt_f64_e64 s[24:25], -1.0, v[27:28]
	v_cndmask_b32_e64 v52, v64, v52, s[26:27]
	v_cndmask_b32_e64 v52, v56, v52, s[24:25]
	v_cmp_neq_f64_e64 s[24:25], -1.0, v[27:28]
	v_cndmask_b32_e64 v52, v57, v52, s[24:25]
	v_add_f64 v[27:28], v[23:24], v[51:52]
.LBB5_53:
	s_or_b64 exec, exec, s[46:47]
	v_mov_b32_e32 v23, v27
	v_mov_b32_e32 v24, v28
	;; [unrolled: 1-line block ×4, first 2 shown]
.LBB5_54:
	s_or_b64 exec, exec, s[44:45]
	v_mov_b32_dpp v27, v51 row_shr:4 row_mask:0xf bank_mask:0xf
	v_mov_b32_dpp v28, v52 row_shr:4 row_mask:0xf bank_mask:0xf
	v_cmp_lt_u32_e64 s[24:25], 3, v55
	s_and_saveexec_b64 s[44:45], s[24:25]
	s_cbranch_execz .LBB5_58
; %bb.55:
	v_max_f64 v[51:52], v[27:28], v[27:28]
	v_max_f64 v[56:57], v[23:24], v[23:24]
	v_cmp_u_f64_e64 s[24:25], v[27:28], v[27:28]
	v_cmp_u_f64_e64 s[26:27], v[23:24], v[23:24]
	v_min_f64 v[58:59], v[51:52], v[56:57]
	v_max_f64 v[51:52], v[51:52], v[56:57]
	v_cndmask_b32_e64 v56, v59, v28, s[24:25]
	v_cndmask_b32_e64 v57, v58, v27, s[24:25]
	;; [unrolled: 1-line block ×8, first 2 shown]
	v_cmp_neq_f64_e64 s[24:25], v[51:52], v[23:24]
	v_cmp_class_f64_e64 s[26:27], v[51:52], s7
	s_or_b64 s[24:25], s[24:25], s[26:27]
	s_and_saveexec_b64 s[46:47], s[24:25]
	s_cbranch_execz .LBB5_57
; %bb.56:
	v_add_f64 v[27:28], v[51:52], -v[23:24]
	s_mov_b32 s24, 0x652b82fe
	s_mov_b32 s25, 0x3ff71547
	;; [unrolled: 1-line block ×6, first 2 shown]
	v_mov_b32_e32 v58, 0xfca7ab0c
	v_mul_f64 v[51:52], v[27:28], s[24:25]
	s_mov_b32 s24, 0x6a5dcb37
	v_mov_b32_e32 v59, 0x3e928af3
	s_mov_b32 s25, 0x3e5ade15
	s_mov_b32 s26, 0
	;; [unrolled: 1-line block ×3, first 2 shown]
	v_cmp_ngt_f64_e64 s[26:27], s[26:27], v[27:28]
	v_mov_b32_e32 v64, 0x7ff00000
	v_rndne_f64_e32 v[51:52], v[51:52]
	v_fma_f64 v[56:57], v[51:52], s[36:37], v[27:28]
	s_mov_b32 s37, 0x3fe62e42
	v_fma_f64 v[56:57], v[51:52], s[48:49], v[56:57]
	v_cvt_i32_f64_e32 v51, v[51:52]
	s_mov_b32 s49, 0x3c7abc9e
	v_fma_f64 v[58:59], v[56:57], s[24:25], v[58:59]
	s_mov_b32 s24, 0x623fde64
	s_mov_b32 s25, 0x3ec71dee
	v_fma_f64 v[58:59], v[56:57], v[58:59], s[24:25]
	s_mov_b32 s24, 0x7c89e6b0
	;; [unrolled: 3-line block ×9, first 2 shown]
	s_mov_b32 s25, 0x40900000
	v_cmp_nlt_f64_e64 s[24:25], s[24:25], v[27:28]
	v_fma_f64 v[58:59], v[56:57], v[58:59], 1.0
	v_fma_f64 v[56:57], v[56:57], v[58:59], 1.0
	v_ldexp_f64 v[51:52], v[56:57], v51
	v_cndmask_b32_e64 v52, v64, v52, s[24:25]
	s_and_b64 s[24:25], s[26:27], s[24:25]
	v_cndmask_b32_e64 v28, 0, v52, s[26:27]
	v_cndmask_b32_e64 v27, 0, v51, s[24:25]
	v_add_f64 v[51:52], v[27:28], 1.0
	s_mov_b32 s27, 0x3fe55555
	s_mov_b32 s26, 0x55555555
	v_frexp_mant_f64_e32 v[58:59], v[51:52]
	v_frexp_exp_i32_f64_e32 v62, v[51:52]
	v_add_f64 v[56:57], v[51:52], -1.0
	v_cmp_gt_f64_e64 s[24:25], s[26:27], v[58:59]
	s_mov_b32 s26, 0x55555780
	v_add_f64 v[60:61], v[56:57], -v[51:52]
	v_add_f64 v[56:57], v[27:28], -v[56:57]
	v_subbrev_co_u32_e64 v79, s[24:25], 0, v62, s[24:25]
	v_sub_u32_e32 v62, 0, v79
	v_ldexp_f64 v[51:52], v[51:52], v62
	v_add_f64 v[58:59], v[60:61], 1.0
	s_mov_b32 s24, 0xbf559e2b
	s_mov_b32 s25, 0x3fc3ab76
	v_add_f64 v[60:61], v[51:52], 1.0
	v_add_f64 v[56:57], v[56:57], v[58:59]
	v_add_f64 v[69:70], v[51:52], -1.0
	v_add_f64 v[58:59], v[60:61], -1.0
	v_ldexp_f64 v[56:57], v[56:57], v62
	v_add_f64 v[71:72], v[69:70], 1.0
	v_add_f64 v[58:59], v[51:52], -v[58:59]
	v_add_f64 v[51:52], v[51:52], -v[71:72]
	v_add_f64 v[58:59], v[56:57], v[58:59]
	v_add_f64 v[51:52], v[56:57], v[51:52]
	;; [unrolled: 1-line block ×4, first 2 shown]
	v_rcp_f64_e32 v[67:68], v[62:63]
	v_add_f64 v[60:61], v[62:63], -v[60:61]
	v_add_f64 v[69:70], v[71:72], -v[69:70]
	;; [unrolled: 1-line block ×4, first 2 shown]
	v_fma_f64 v[73:74], -v[62:63], v[67:68], 1.0
	v_fma_f64 v[67:68], v[73:74], v[67:68], v[67:68]
	v_fma_f64 v[56:57], -v[62:63], v[67:68], 1.0
	v_fma_f64 v[56:57], v[56:57], v[67:68], v[67:68]
	v_mul_f64 v[67:68], v[71:72], v[56:57]
	v_mul_f64 v[73:74], v[62:63], v[67:68]
	v_fma_f64 v[60:61], v[67:68], v[62:63], -v[73:74]
	v_fma_f64 v[60:61], v[67:68], v[58:59], v[60:61]
	v_add_f64 v[75:76], v[73:74], v[60:61]
	v_add_f64 v[77:78], v[71:72], -v[75:76]
	v_add_f64 v[69:70], v[75:76], -v[73:74]
	;; [unrolled: 1-line block ×5, first 2 shown]
	v_add_f64 v[51:52], v[51:52], v[71:72]
	v_add_f64 v[51:52], v[60:61], v[51:52]
	;; [unrolled: 1-line block ×3, first 2 shown]
	v_mul_f64 v[69:70], v[56:57], v[60:61]
	v_add_f64 v[75:76], v[77:78], -v[60:61]
	v_mul_f64 v[71:72], v[62:63], v[69:70]
	v_add_f64 v[51:52], v[51:52], v[75:76]
	v_fma_f64 v[62:63], v[69:70], v[62:63], -v[71:72]
	v_fma_f64 v[58:59], v[69:70], v[58:59], v[62:63]
	v_add_f64 v[62:63], v[71:72], v[58:59]
	v_add_f64 v[73:74], v[60:61], -v[62:63]
	v_add_f64 v[71:72], v[62:63], -v[71:72]
	;; [unrolled: 1-line block ×5, first 2 shown]
	v_mov_b32_e32 v62, 0x6b47b09a
	v_mov_b32_e32 v63, 0x3fc38538
	v_add_f64 v[51:52], v[51:52], v[60:61]
	v_add_f64 v[60:61], v[67:68], v[69:70]
	;; [unrolled: 1-line block ×3, first 2 shown]
	v_add_f64 v[58:59], v[60:61], -v[67:68]
	v_add_f64 v[51:52], v[73:74], v[51:52]
	v_add_f64 v[58:59], v[69:70], -v[58:59]
	v_mul_f64 v[51:52], v[56:57], v[51:52]
	v_add_f64 v[51:52], v[58:59], v[51:52]
	v_add_f64 v[56:57], v[60:61], v[51:52]
	v_mul_f64 v[58:59], v[56:57], v[56:57]
	v_fma_f64 v[62:63], v[58:59], s[24:25], v[62:63]
	s_mov_b32 s24, 0xd7f4df2e
	s_mov_b32 s25, 0x3fc7474d
	v_mul_f64 v[67:68], v[56:57], v[58:59]
	v_fma_f64 v[62:63], v[58:59], v[62:63], s[24:25]
	s_mov_b32 s24, 0x16291751
	s_mov_b32 s25, 0x3fcc71c0
	v_fma_f64 v[62:63], v[58:59], v[62:63], s[24:25]
	s_mov_b32 s24, 0x9b27acf1
	s_mov_b32 s25, 0x3fd24924
	;; [unrolled: 3-line block ×3, first 2 shown]
	v_fma_f64 v[62:63], v[58:59], v[62:63], s[24:25]
	v_cmp_nge_f64_e64 s[24:25], -1.0, v[27:28]
	v_fma_f64 v[58:59], v[58:59], v[62:63], s[26:27]
	v_ldexp_f64 v[62:63], v[56:57], 1
	v_add_f64 v[56:57], v[56:57], -v[60:61]
	s_mov_b32 s26, 0
	s_mov_b32 s27, 0x7ff00000
	v_cmp_neq_f64_e64 s[26:27], s[26:27], v[27:28]
	v_mul_f64 v[58:59], v[67:68], v[58:59]
	v_cvt_f64_i32_e32 v[67:68], v79
	v_add_f64 v[51:52], v[51:52], -v[56:57]
	v_mul_f64 v[69:70], v[67:68], s[36:37]
	s_and_b64 s[24:25], s[24:25], s[26:27]
	v_add_f64 v[60:61], v[62:63], v[58:59]
	v_ldexp_f64 v[51:52], v[51:52], 1
	v_add_f64 v[56:57], v[60:61], -v[62:63]
	v_fma_f64 v[62:63], v[67:68], s[36:37], -v[69:70]
	v_add_f64 v[56:57], v[58:59], -v[56:57]
	v_fma_f64 v[58:59], v[67:68], s[48:49], v[62:63]
	v_add_f64 v[51:52], v[51:52], v[56:57]
	v_add_f64 v[56:57], v[69:70], v[58:59]
	;; [unrolled: 1-line block ×3, first 2 shown]
	v_add_f64 v[69:70], v[56:57], -v[69:70]
	v_add_f64 v[67:68], v[56:57], v[62:63]
	v_add_f64 v[60:61], v[62:63], -v[60:61]
	v_add_f64 v[58:59], v[58:59], -v[69:70]
	;; [unrolled: 1-line block ×6, first 2 shown]
	v_add_f64 v[62:63], v[58:59], v[51:52]
	v_add_f64 v[56:57], v[56:57], -v[73:74]
	v_add_f64 v[56:57], v[60:61], v[56:57]
	v_add_f64 v[60:61], v[62:63], -v[58:59]
	;; [unrolled: 2-line block ×3, first 2 shown]
	v_add_f64 v[51:52], v[51:52], -v[60:61]
	v_add_f64 v[69:70], v[67:68], v[56:57]
	v_add_f64 v[58:59], v[58:59], -v[62:63]
	v_add_f64 v[60:61], v[69:70], -v[67:68]
	v_add_f64 v[51:52], v[51:52], v[58:59]
	v_add_f64 v[56:57], v[56:57], -v[60:61]
	v_add_f64 v[51:52], v[51:52], v[56:57]
	v_mov_b32_e32 v56, 0x7ff80000
	v_mov_b32_e32 v57, 0xfff00000
	v_add_f64 v[51:52], v[69:70], v[51:52]
	v_cndmask_b32_e64 v51, 0, v51, s[24:25]
	v_cmp_ngt_f64_e64 s[24:25], -1.0, v[27:28]
	v_cndmask_b32_e64 v52, v64, v52, s[26:27]
	v_cndmask_b32_e64 v52, v56, v52, s[24:25]
	v_cmp_neq_f64_e64 s[24:25], -1.0, v[27:28]
	v_cndmask_b32_e64 v52, v57, v52, s[24:25]
	v_add_f64 v[27:28], v[23:24], v[51:52]
.LBB5_57:
	s_or_b64 exec, exec, s[46:47]
	v_mov_b32_e32 v23, v27
	v_mov_b32_e32 v24, v28
	;; [unrolled: 1-line block ×4, first 2 shown]
.LBB5_58:
	s_or_b64 exec, exec, s[44:45]
	v_mov_b32_dpp v27, v51 row_shr:8 row_mask:0xf bank_mask:0xf
	v_mov_b32_dpp v28, v52 row_shr:8 row_mask:0xf bank_mask:0xf
	v_cmp_lt_u32_e64 s[24:25], 7, v55
	s_and_saveexec_b64 s[44:45], s[24:25]
	s_cbranch_execz .LBB5_62
; %bb.59:
	v_max_f64 v[51:52], v[27:28], v[27:28]
	v_max_f64 v[55:56], v[23:24], v[23:24]
	v_cmp_u_f64_e64 s[24:25], v[27:28], v[27:28]
	v_cmp_u_f64_e64 s[26:27], v[23:24], v[23:24]
	v_min_f64 v[57:58], v[51:52], v[55:56]
	v_max_f64 v[51:52], v[51:52], v[55:56]
	v_cndmask_b32_e64 v55, v58, v28, s[24:25]
	v_cndmask_b32_e64 v56, v57, v27, s[24:25]
	;; [unrolled: 1-line block ×8, first 2 shown]
	v_cmp_neq_f64_e64 s[24:25], v[51:52], v[23:24]
	v_cmp_class_f64_e64 s[26:27], v[51:52], s7
	s_or_b64 s[24:25], s[24:25], s[26:27]
	s_and_saveexec_b64 s[46:47], s[24:25]
	s_cbranch_execz .LBB5_61
; %bb.60:
	v_add_f64 v[27:28], v[51:52], -v[23:24]
	s_mov_b32 s24, 0x652b82fe
	s_mov_b32 s25, 0x3ff71547
	;; [unrolled: 1-line block ×6, first 2 shown]
	v_mov_b32_e32 v57, 0xfca7ab0c
	v_mul_f64 v[51:52], v[27:28], s[24:25]
	s_mov_b32 s24, 0x6a5dcb37
	v_mov_b32_e32 v58, 0x3e928af3
	s_mov_b32 s25, 0x3e5ade15
	s_mov_b32 s26, 0
	s_mov_b32 s27, 0xc090cc00
	v_cmp_ngt_f64_e64 s[26:27], s[26:27], v[27:28]
	v_mov_b32_e32 v77, 0x7ff00000
	v_rndne_f64_e32 v[51:52], v[51:52]
	v_fma_f64 v[55:56], v[51:52], s[36:37], v[27:28]
	s_mov_b32 s37, 0x3fe62e42
	v_fma_f64 v[55:56], v[51:52], s[48:49], v[55:56]
	v_cvt_i32_f64_e32 v51, v[51:52]
	s_mov_b32 s49, 0x3c7abc9e
	v_fma_f64 v[57:58], v[55:56], s[24:25], v[57:58]
	s_mov_b32 s24, 0x623fde64
	s_mov_b32 s25, 0x3ec71dee
	v_fma_f64 v[57:58], v[55:56], v[57:58], s[24:25]
	s_mov_b32 s24, 0x7c89e6b0
	;; [unrolled: 3-line block ×9, first 2 shown]
	s_mov_b32 s25, 0x40900000
	v_cmp_nlt_f64_e64 s[24:25], s[24:25], v[27:28]
	v_fma_f64 v[57:58], v[55:56], v[57:58], 1.0
	v_fma_f64 v[55:56], v[55:56], v[57:58], 1.0
	v_ldexp_f64 v[51:52], v[55:56], v51
	v_cndmask_b32_e64 v52, v77, v52, s[24:25]
	s_and_b64 s[24:25], s[26:27], s[24:25]
	v_cndmask_b32_e64 v28, 0, v52, s[26:27]
	v_cndmask_b32_e64 v27, 0, v51, s[24:25]
	v_add_f64 v[51:52], v[27:28], 1.0
	s_mov_b32 s27, 0x3fe55555
	s_mov_b32 s26, 0x55555555
	v_frexp_mant_f64_e32 v[57:58], v[51:52]
	v_frexp_exp_i32_f64_e32 v61, v[51:52]
	v_add_f64 v[55:56], v[51:52], -1.0
	v_cmp_gt_f64_e64 s[24:25], s[26:27], v[57:58]
	s_mov_b32 s26, 0x55555780
	v_add_f64 v[59:60], v[55:56], -v[51:52]
	v_add_f64 v[55:56], v[27:28], -v[55:56]
	v_subbrev_co_u32_e64 v78, s[24:25], 0, v61, s[24:25]
	v_sub_u32_e32 v61, 0, v78
	v_ldexp_f64 v[51:52], v[51:52], v61
	v_add_f64 v[57:58], v[59:60], 1.0
	s_mov_b32 s24, 0xbf559e2b
	s_mov_b32 s25, 0x3fc3ab76
	v_add_f64 v[59:60], v[51:52], 1.0
	v_add_f64 v[55:56], v[55:56], v[57:58]
	v_add_f64 v[67:68], v[51:52], -1.0
	v_add_f64 v[57:58], v[59:60], -1.0
	v_ldexp_f64 v[55:56], v[55:56], v61
	v_add_f64 v[69:70], v[67:68], 1.0
	v_add_f64 v[57:58], v[51:52], -v[57:58]
	v_add_f64 v[51:52], v[51:52], -v[69:70]
	v_add_f64 v[57:58], v[55:56], v[57:58]
	v_add_f64 v[51:52], v[55:56], v[51:52]
	;; [unrolled: 1-line block ×4, first 2 shown]
	v_rcp_f64_e32 v[63:64], v[61:62]
	v_add_f64 v[59:60], v[61:62], -v[59:60]
	v_add_f64 v[67:68], v[69:70], -v[67:68]
	;; [unrolled: 1-line block ×4, first 2 shown]
	v_fma_f64 v[71:72], -v[61:62], v[63:64], 1.0
	v_fma_f64 v[63:64], v[71:72], v[63:64], v[63:64]
	v_fma_f64 v[55:56], -v[61:62], v[63:64], 1.0
	v_fma_f64 v[55:56], v[55:56], v[63:64], v[63:64]
	v_mul_f64 v[63:64], v[69:70], v[55:56]
	v_mul_f64 v[71:72], v[61:62], v[63:64]
	v_fma_f64 v[59:60], v[63:64], v[61:62], -v[71:72]
	v_fma_f64 v[59:60], v[63:64], v[57:58], v[59:60]
	v_add_f64 v[73:74], v[71:72], v[59:60]
	v_add_f64 v[75:76], v[69:70], -v[73:74]
	v_add_f64 v[67:68], v[73:74], -v[71:72]
	v_add_f64 v[69:70], v[69:70], -v[75:76]
	v_add_f64 v[59:60], v[67:68], -v[59:60]
	v_add_f64 v[69:70], v[69:70], -v[73:74]
	v_add_f64 v[51:52], v[51:52], v[69:70]
	v_add_f64 v[51:52], v[59:60], v[51:52]
	;; [unrolled: 1-line block ×3, first 2 shown]
	v_mul_f64 v[67:68], v[55:56], v[59:60]
	v_add_f64 v[73:74], v[75:76], -v[59:60]
	v_mul_f64 v[69:70], v[61:62], v[67:68]
	v_add_f64 v[51:52], v[51:52], v[73:74]
	v_fma_f64 v[61:62], v[67:68], v[61:62], -v[69:70]
	v_fma_f64 v[57:58], v[67:68], v[57:58], v[61:62]
	v_add_f64 v[61:62], v[69:70], v[57:58]
	v_add_f64 v[71:72], v[59:60], -v[61:62]
	v_add_f64 v[69:70], v[61:62], -v[69:70]
	;; [unrolled: 1-line block ×5, first 2 shown]
	v_mov_b32_e32 v61, 0x6b47b09a
	v_mov_b32_e32 v62, 0x3fc38538
	v_add_f64 v[51:52], v[51:52], v[59:60]
	v_add_f64 v[59:60], v[63:64], v[67:68]
	;; [unrolled: 1-line block ×3, first 2 shown]
	v_add_f64 v[57:58], v[59:60], -v[63:64]
	v_add_f64 v[51:52], v[71:72], v[51:52]
	v_add_f64 v[57:58], v[67:68], -v[57:58]
	v_mul_f64 v[51:52], v[55:56], v[51:52]
	v_add_f64 v[51:52], v[57:58], v[51:52]
	v_add_f64 v[55:56], v[59:60], v[51:52]
	v_mul_f64 v[57:58], v[55:56], v[55:56]
	v_fma_f64 v[61:62], v[57:58], s[24:25], v[61:62]
	s_mov_b32 s24, 0xd7f4df2e
	s_mov_b32 s25, 0x3fc7474d
	v_mul_f64 v[63:64], v[55:56], v[57:58]
	v_fma_f64 v[61:62], v[57:58], v[61:62], s[24:25]
	s_mov_b32 s24, 0x16291751
	s_mov_b32 s25, 0x3fcc71c0
	v_fma_f64 v[61:62], v[57:58], v[61:62], s[24:25]
	s_mov_b32 s24, 0x9b27acf1
	s_mov_b32 s25, 0x3fd24924
	;; [unrolled: 3-line block ×3, first 2 shown]
	v_fma_f64 v[61:62], v[57:58], v[61:62], s[24:25]
	v_cmp_nge_f64_e64 s[24:25], -1.0, v[27:28]
	v_fma_f64 v[57:58], v[57:58], v[61:62], s[26:27]
	v_ldexp_f64 v[61:62], v[55:56], 1
	v_add_f64 v[55:56], v[55:56], -v[59:60]
	s_mov_b32 s26, 0
	s_mov_b32 s27, 0x7ff00000
	v_cmp_neq_f64_e64 s[26:27], s[26:27], v[27:28]
	v_mul_f64 v[57:58], v[63:64], v[57:58]
	v_cvt_f64_i32_e32 v[63:64], v78
	v_add_f64 v[51:52], v[51:52], -v[55:56]
	v_mul_f64 v[67:68], v[63:64], s[36:37]
	s_and_b64 s[24:25], s[24:25], s[26:27]
	v_add_f64 v[59:60], v[61:62], v[57:58]
	v_ldexp_f64 v[51:52], v[51:52], 1
	v_add_f64 v[55:56], v[59:60], -v[61:62]
	v_fma_f64 v[61:62], v[63:64], s[36:37], -v[67:68]
	v_add_f64 v[55:56], v[57:58], -v[55:56]
	v_fma_f64 v[57:58], v[63:64], s[48:49], v[61:62]
	v_add_f64 v[51:52], v[51:52], v[55:56]
	v_add_f64 v[55:56], v[67:68], v[57:58]
	v_add_f64 v[61:62], v[59:60], v[51:52]
	v_add_f64 v[67:68], v[55:56], -v[67:68]
	v_add_f64 v[63:64], v[55:56], v[61:62]
	v_add_f64 v[59:60], v[61:62], -v[59:60]
	v_add_f64 v[57:58], v[57:58], -v[67:68]
	;; [unrolled: 1-line block ×6, first 2 shown]
	v_add_f64 v[61:62], v[57:58], v[51:52]
	v_add_f64 v[55:56], v[55:56], -v[71:72]
	v_add_f64 v[55:56], v[59:60], v[55:56]
	v_add_f64 v[59:60], v[61:62], -v[57:58]
	;; [unrolled: 2-line block ×3, first 2 shown]
	v_add_f64 v[51:52], v[51:52], -v[59:60]
	v_add_f64 v[67:68], v[63:64], v[55:56]
	v_add_f64 v[57:58], v[57:58], -v[61:62]
	v_add_f64 v[59:60], v[67:68], -v[63:64]
	v_add_f64 v[51:52], v[51:52], v[57:58]
	v_add_f64 v[55:56], v[55:56], -v[59:60]
	v_add_f64 v[51:52], v[51:52], v[55:56]
	v_mov_b32_e32 v55, 0x7ff80000
	v_mov_b32_e32 v56, 0xfff00000
	v_add_f64 v[51:52], v[67:68], v[51:52]
	v_cndmask_b32_e64 v51, 0, v51, s[24:25]
	v_cmp_ngt_f64_e64 s[24:25], -1.0, v[27:28]
	v_cndmask_b32_e64 v52, v77, v52, s[26:27]
	v_cndmask_b32_e64 v52, v55, v52, s[24:25]
	v_cmp_neq_f64_e64 s[24:25], -1.0, v[27:28]
	v_cndmask_b32_e64 v52, v56, v52, s[24:25]
	v_add_f64 v[27:28], v[23:24], v[51:52]
.LBB5_61:
	s_or_b64 exec, exec, s[46:47]
	v_mov_b32_e32 v23, v27
	v_mov_b32_e32 v24, v28
	;; [unrolled: 1-line block ×4, first 2 shown]
.LBB5_62:
	s_or_b64 exec, exec, s[44:45]
	v_and_b32_e32 v55, 16, v54
	v_mov_b32_dpp v27, v51 row_bcast:15 row_mask:0xf bank_mask:0xf
	v_mov_b32_dpp v28, v52 row_bcast:15 row_mask:0xf bank_mask:0xf
	v_cmp_ne_u32_e64 s[24:25], 0, v55
	s_and_saveexec_b64 s[44:45], s[24:25]
	s_cbranch_execz .LBB5_66
; %bb.63:
	v_max_f64 v[51:52], v[27:28], v[27:28]
	v_max_f64 v[55:56], v[23:24], v[23:24]
	v_cmp_u_f64_e64 s[24:25], v[27:28], v[27:28]
	v_cmp_u_f64_e64 s[26:27], v[23:24], v[23:24]
	v_min_f64 v[57:58], v[51:52], v[55:56]
	v_max_f64 v[51:52], v[51:52], v[55:56]
	v_cndmask_b32_e64 v55, v58, v28, s[24:25]
	v_cndmask_b32_e64 v56, v57, v27, s[24:25]
	;; [unrolled: 1-line block ×8, first 2 shown]
	v_cmp_neq_f64_e64 s[24:25], v[51:52], v[23:24]
	v_cmp_class_f64_e64 s[26:27], v[51:52], s7
	s_or_b64 s[24:25], s[24:25], s[26:27]
	s_and_saveexec_b64 s[46:47], s[24:25]
	s_cbranch_execz .LBB5_65
; %bb.64:
	v_add_f64 v[27:28], v[51:52], -v[23:24]
	s_mov_b32 s24, 0x652b82fe
	s_mov_b32 s25, 0x3ff71547
	;; [unrolled: 1-line block ×6, first 2 shown]
	v_mov_b32_e32 v57, 0xfca7ab0c
	v_mul_f64 v[51:52], v[27:28], s[24:25]
	s_mov_b32 s24, 0x6a5dcb37
	v_mov_b32_e32 v58, 0x3e928af3
	s_mov_b32 s25, 0x3e5ade15
	s_mov_b32 s26, 0
	s_mov_b32 s27, 0xc090cc00
	v_cmp_ngt_f64_e64 s[26:27], s[26:27], v[27:28]
	v_mov_b32_e32 v77, 0x7ff00000
	v_rndne_f64_e32 v[51:52], v[51:52]
	v_fma_f64 v[55:56], v[51:52], s[36:37], v[27:28]
	s_mov_b32 s37, 0x3fe62e42
	v_fma_f64 v[55:56], v[51:52], s[48:49], v[55:56]
	v_cvt_i32_f64_e32 v51, v[51:52]
	s_mov_b32 s49, 0x3c7abc9e
	v_fma_f64 v[57:58], v[55:56], s[24:25], v[57:58]
	s_mov_b32 s24, 0x623fde64
	s_mov_b32 s25, 0x3ec71dee
	v_fma_f64 v[57:58], v[55:56], v[57:58], s[24:25]
	s_mov_b32 s24, 0x7c89e6b0
	s_mov_b32 s25, 0x3efa0199
	v_fma_f64 v[57:58], v[55:56], v[57:58], s[24:25]
	s_mov_b32 s24, 0x14761f6e
	s_mov_b32 s25, 0x3f2a01a0
	v_fma_f64 v[57:58], v[55:56], v[57:58], s[24:25]
	s_mov_b32 s24, 0x1852b7b0
	s_mov_b32 s25, 0x3f56c16c
	v_fma_f64 v[57:58], v[55:56], v[57:58], s[24:25]
	s_mov_b32 s24, 0x11122322
	s_mov_b32 s25, 0x3f811111
	v_fma_f64 v[57:58], v[55:56], v[57:58], s[24:25]
	s_mov_b32 s24, 0x555502a1
	s_mov_b32 s25, 0x3fa55555
	v_fma_f64 v[57:58], v[55:56], v[57:58], s[24:25]
	s_mov_b32 s24, 0x55555511
	s_mov_b32 s25, 0x3fc55555
	v_fma_f64 v[57:58], v[55:56], v[57:58], s[24:25]
	s_mov_b32 s24, 11
	s_mov_b32 s25, 0x3fe00000
	v_fma_f64 v[57:58], v[55:56], v[57:58], s[24:25]
	s_mov_b32 s24, 0
	s_mov_b32 s25, 0x40900000
	v_cmp_nlt_f64_e64 s[24:25], s[24:25], v[27:28]
	v_fma_f64 v[57:58], v[55:56], v[57:58], 1.0
	v_fma_f64 v[55:56], v[55:56], v[57:58], 1.0
	v_ldexp_f64 v[51:52], v[55:56], v51
	v_cndmask_b32_e64 v52, v77, v52, s[24:25]
	s_and_b64 s[24:25], s[26:27], s[24:25]
	v_cndmask_b32_e64 v28, 0, v52, s[26:27]
	v_cndmask_b32_e64 v27, 0, v51, s[24:25]
	v_add_f64 v[51:52], v[27:28], 1.0
	s_mov_b32 s27, 0x3fe55555
	s_mov_b32 s26, 0x55555555
	v_frexp_mant_f64_e32 v[57:58], v[51:52]
	v_frexp_exp_i32_f64_e32 v61, v[51:52]
	v_add_f64 v[55:56], v[51:52], -1.0
	v_cmp_gt_f64_e64 s[24:25], s[26:27], v[57:58]
	s_mov_b32 s26, 0x55555780
	v_add_f64 v[59:60], v[55:56], -v[51:52]
	v_add_f64 v[55:56], v[27:28], -v[55:56]
	v_subbrev_co_u32_e64 v78, s[24:25], 0, v61, s[24:25]
	v_sub_u32_e32 v61, 0, v78
	v_ldexp_f64 v[51:52], v[51:52], v61
	v_add_f64 v[57:58], v[59:60], 1.0
	s_mov_b32 s24, 0xbf559e2b
	s_mov_b32 s25, 0x3fc3ab76
	v_add_f64 v[59:60], v[51:52], 1.0
	v_add_f64 v[55:56], v[55:56], v[57:58]
	v_add_f64 v[67:68], v[51:52], -1.0
	v_add_f64 v[57:58], v[59:60], -1.0
	v_ldexp_f64 v[55:56], v[55:56], v61
	v_add_f64 v[69:70], v[67:68], 1.0
	v_add_f64 v[57:58], v[51:52], -v[57:58]
	v_add_f64 v[51:52], v[51:52], -v[69:70]
	v_add_f64 v[57:58], v[55:56], v[57:58]
	v_add_f64 v[51:52], v[55:56], v[51:52]
	;; [unrolled: 1-line block ×4, first 2 shown]
	v_rcp_f64_e32 v[63:64], v[61:62]
	v_add_f64 v[59:60], v[61:62], -v[59:60]
	v_add_f64 v[67:68], v[69:70], -v[67:68]
	;; [unrolled: 1-line block ×4, first 2 shown]
	v_fma_f64 v[71:72], -v[61:62], v[63:64], 1.0
	v_fma_f64 v[63:64], v[71:72], v[63:64], v[63:64]
	v_fma_f64 v[55:56], -v[61:62], v[63:64], 1.0
	v_fma_f64 v[55:56], v[55:56], v[63:64], v[63:64]
	v_mul_f64 v[63:64], v[69:70], v[55:56]
	v_mul_f64 v[71:72], v[61:62], v[63:64]
	v_fma_f64 v[59:60], v[63:64], v[61:62], -v[71:72]
	v_fma_f64 v[59:60], v[63:64], v[57:58], v[59:60]
	v_add_f64 v[73:74], v[71:72], v[59:60]
	v_add_f64 v[75:76], v[69:70], -v[73:74]
	v_add_f64 v[67:68], v[73:74], -v[71:72]
	;; [unrolled: 1-line block ×5, first 2 shown]
	v_add_f64 v[51:52], v[51:52], v[69:70]
	v_add_f64 v[51:52], v[59:60], v[51:52]
	;; [unrolled: 1-line block ×3, first 2 shown]
	v_mul_f64 v[67:68], v[55:56], v[59:60]
	v_add_f64 v[73:74], v[75:76], -v[59:60]
	v_mul_f64 v[69:70], v[61:62], v[67:68]
	v_add_f64 v[51:52], v[51:52], v[73:74]
	v_fma_f64 v[61:62], v[67:68], v[61:62], -v[69:70]
	v_fma_f64 v[57:58], v[67:68], v[57:58], v[61:62]
	v_add_f64 v[61:62], v[69:70], v[57:58]
	v_add_f64 v[71:72], v[59:60], -v[61:62]
	v_add_f64 v[69:70], v[61:62], -v[69:70]
	;; [unrolled: 1-line block ×5, first 2 shown]
	v_mov_b32_e32 v61, 0x6b47b09a
	v_mov_b32_e32 v62, 0x3fc38538
	v_add_f64 v[51:52], v[51:52], v[59:60]
	v_add_f64 v[59:60], v[63:64], v[67:68]
	;; [unrolled: 1-line block ×3, first 2 shown]
	v_add_f64 v[57:58], v[59:60], -v[63:64]
	v_add_f64 v[51:52], v[71:72], v[51:52]
	v_add_f64 v[57:58], v[67:68], -v[57:58]
	v_mul_f64 v[51:52], v[55:56], v[51:52]
	v_add_f64 v[51:52], v[57:58], v[51:52]
	v_add_f64 v[55:56], v[59:60], v[51:52]
	v_mul_f64 v[57:58], v[55:56], v[55:56]
	v_fma_f64 v[61:62], v[57:58], s[24:25], v[61:62]
	s_mov_b32 s24, 0xd7f4df2e
	s_mov_b32 s25, 0x3fc7474d
	v_mul_f64 v[63:64], v[55:56], v[57:58]
	v_fma_f64 v[61:62], v[57:58], v[61:62], s[24:25]
	s_mov_b32 s24, 0x16291751
	s_mov_b32 s25, 0x3fcc71c0
	v_fma_f64 v[61:62], v[57:58], v[61:62], s[24:25]
	s_mov_b32 s24, 0x9b27acf1
	s_mov_b32 s25, 0x3fd24924
	;; [unrolled: 3-line block ×3, first 2 shown]
	v_fma_f64 v[61:62], v[57:58], v[61:62], s[24:25]
	v_cmp_nge_f64_e64 s[24:25], -1.0, v[27:28]
	v_fma_f64 v[57:58], v[57:58], v[61:62], s[26:27]
	v_ldexp_f64 v[61:62], v[55:56], 1
	v_add_f64 v[55:56], v[55:56], -v[59:60]
	s_mov_b32 s26, 0
	s_mov_b32 s27, 0x7ff00000
	v_cmp_neq_f64_e64 s[26:27], s[26:27], v[27:28]
	v_mul_f64 v[57:58], v[63:64], v[57:58]
	v_cvt_f64_i32_e32 v[63:64], v78
	v_add_f64 v[51:52], v[51:52], -v[55:56]
	v_mul_f64 v[67:68], v[63:64], s[36:37]
	s_and_b64 s[24:25], s[24:25], s[26:27]
	v_add_f64 v[59:60], v[61:62], v[57:58]
	v_ldexp_f64 v[51:52], v[51:52], 1
	v_add_f64 v[55:56], v[59:60], -v[61:62]
	v_fma_f64 v[61:62], v[63:64], s[36:37], -v[67:68]
	v_add_f64 v[55:56], v[57:58], -v[55:56]
	v_fma_f64 v[57:58], v[63:64], s[48:49], v[61:62]
	v_add_f64 v[51:52], v[51:52], v[55:56]
	v_add_f64 v[55:56], v[67:68], v[57:58]
	v_add_f64 v[61:62], v[59:60], v[51:52]
	v_add_f64 v[67:68], v[55:56], -v[67:68]
	v_add_f64 v[63:64], v[55:56], v[61:62]
	v_add_f64 v[59:60], v[61:62], -v[59:60]
	v_add_f64 v[57:58], v[57:58], -v[67:68]
	;; [unrolled: 1-line block ×6, first 2 shown]
	v_add_f64 v[61:62], v[57:58], v[51:52]
	v_add_f64 v[55:56], v[55:56], -v[71:72]
	v_add_f64 v[55:56], v[59:60], v[55:56]
	v_add_f64 v[59:60], v[61:62], -v[57:58]
	v_add_f64 v[55:56], v[61:62], v[55:56]
	v_add_f64 v[61:62], v[61:62], -v[59:60]
	v_add_f64 v[51:52], v[51:52], -v[59:60]
	v_add_f64 v[67:68], v[63:64], v[55:56]
	v_add_f64 v[57:58], v[57:58], -v[61:62]
	v_add_f64 v[59:60], v[67:68], -v[63:64]
	v_add_f64 v[51:52], v[51:52], v[57:58]
	v_add_f64 v[55:56], v[55:56], -v[59:60]
	v_add_f64 v[51:52], v[51:52], v[55:56]
	v_mov_b32_e32 v55, 0x7ff80000
	v_mov_b32_e32 v56, 0xfff00000
	v_add_f64 v[51:52], v[67:68], v[51:52]
	v_cndmask_b32_e64 v51, 0, v51, s[24:25]
	v_cmp_ngt_f64_e64 s[24:25], -1.0, v[27:28]
	v_cndmask_b32_e64 v52, v77, v52, s[26:27]
	v_cndmask_b32_e64 v52, v55, v52, s[24:25]
	v_cmp_neq_f64_e64 s[24:25], -1.0, v[27:28]
	v_cndmask_b32_e64 v52, v56, v52, s[24:25]
	v_add_f64 v[27:28], v[23:24], v[51:52]
.LBB5_65:
	s_or_b64 exec, exec, s[46:47]
	v_mov_b32_e32 v23, v27
	v_mov_b32_e32 v51, v27
	v_mov_b32_e32 v52, v28
	v_mov_b32_e32 v24, v28
.LBB5_66:
	s_or_b64 exec, exec, s[44:45]
	v_mov_b32_dpp v27, v51 row_bcast:31 row_mask:0xf bank_mask:0xf
	v_mov_b32_dpp v28, v52 row_bcast:31 row_mask:0xf bank_mask:0xf
	v_cmp_lt_u32_e64 s[24:25], 31, v54
	s_and_saveexec_b64 s[44:45], s[24:25]
	s_cbranch_execz .LBB5_70
; %bb.67:
	v_max_f64 v[51:52], v[27:28], v[27:28]
	v_max_f64 v[55:56], v[23:24], v[23:24]
	v_cmp_u_f64_e64 s[24:25], v[27:28], v[27:28]
	v_cmp_u_f64_e64 s[26:27], v[23:24], v[23:24]
	v_min_f64 v[57:58], v[51:52], v[55:56]
	v_max_f64 v[51:52], v[51:52], v[55:56]
	v_cndmask_b32_e64 v55, v58, v28, s[24:25]
	v_cndmask_b32_e64 v56, v57, v27, s[24:25]
	;; [unrolled: 1-line block ×8, first 2 shown]
	v_cmp_neq_f64_e64 s[24:25], v[51:52], v[23:24]
	v_cmp_class_f64_e64 s[26:27], v[51:52], s7
	s_or_b64 s[24:25], s[24:25], s[26:27]
	s_and_saveexec_b64 s[46:47], s[24:25]
	s_cbranch_execz .LBB5_69
; %bb.68:
	v_add_f64 v[27:28], v[51:52], -v[23:24]
	s_mov_b32 s24, 0x652b82fe
	s_mov_b32 s25, 0x3ff71547
	;; [unrolled: 1-line block ×6, first 2 shown]
	v_mov_b32_e32 v57, 0xfca7ab0c
	v_mul_f64 v[51:52], v[27:28], s[24:25]
	s_mov_b32 s24, 0x6a5dcb37
	v_mov_b32_e32 v58, 0x3e928af3
	s_mov_b32 s25, 0x3e5ade15
	s_mov_b32 s26, 0
	;; [unrolled: 1-line block ×3, first 2 shown]
	v_cmp_ngt_f64_e64 s[26:27], s[26:27], v[27:28]
	v_mov_b32_e32 v77, 0x7ff00000
	v_rndne_f64_e32 v[51:52], v[51:52]
	v_fma_f64 v[55:56], v[51:52], s[36:37], v[27:28]
	s_mov_b32 s37, 0x3fe62e42
	v_fma_f64 v[55:56], v[51:52], s[48:49], v[55:56]
	v_cvt_i32_f64_e32 v51, v[51:52]
	s_mov_b32 s49, 0x3c7abc9e
	v_fma_f64 v[57:58], v[55:56], s[24:25], v[57:58]
	s_mov_b32 s24, 0x623fde64
	s_mov_b32 s25, 0x3ec71dee
	v_fma_f64 v[57:58], v[55:56], v[57:58], s[24:25]
	s_mov_b32 s24, 0x7c89e6b0
	s_mov_b32 s25, 0x3efa0199
	v_fma_f64 v[57:58], v[55:56], v[57:58], s[24:25]
	s_mov_b32 s24, 0x14761f6e
	s_mov_b32 s25, 0x3f2a01a0
	v_fma_f64 v[57:58], v[55:56], v[57:58], s[24:25]
	s_mov_b32 s24, 0x1852b7b0
	s_mov_b32 s25, 0x3f56c16c
	v_fma_f64 v[57:58], v[55:56], v[57:58], s[24:25]
	s_mov_b32 s24, 0x11122322
	s_mov_b32 s25, 0x3f811111
	v_fma_f64 v[57:58], v[55:56], v[57:58], s[24:25]
	s_mov_b32 s24, 0x555502a1
	s_mov_b32 s25, 0x3fa55555
	v_fma_f64 v[57:58], v[55:56], v[57:58], s[24:25]
	s_mov_b32 s24, 0x55555511
	s_mov_b32 s25, 0x3fc55555
	v_fma_f64 v[57:58], v[55:56], v[57:58], s[24:25]
	s_mov_b32 s24, 11
	s_mov_b32 s25, 0x3fe00000
	v_fma_f64 v[57:58], v[55:56], v[57:58], s[24:25]
	s_mov_b32 s24, 0
	s_mov_b32 s25, 0x40900000
	v_cmp_nlt_f64_e64 s[24:25], s[24:25], v[27:28]
	v_fma_f64 v[57:58], v[55:56], v[57:58], 1.0
	v_fma_f64 v[55:56], v[55:56], v[57:58], 1.0
	v_ldexp_f64 v[51:52], v[55:56], v51
	v_cndmask_b32_e64 v52, v77, v52, s[24:25]
	s_and_b64 s[24:25], s[26:27], s[24:25]
	v_cndmask_b32_e64 v28, 0, v52, s[26:27]
	v_cndmask_b32_e64 v27, 0, v51, s[24:25]
	v_add_f64 v[51:52], v[27:28], 1.0
	s_mov_b32 s27, 0x3fe55555
	s_mov_b32 s26, 0x55555555
	v_frexp_mant_f64_e32 v[57:58], v[51:52]
	v_frexp_exp_i32_f64_e32 v61, v[51:52]
	v_add_f64 v[55:56], v[51:52], -1.0
	v_cmp_gt_f64_e64 s[24:25], s[26:27], v[57:58]
	s_mov_b32 s26, 0x55555780
	v_add_f64 v[59:60], v[55:56], -v[51:52]
	v_add_f64 v[55:56], v[27:28], -v[55:56]
	v_subbrev_co_u32_e64 v78, s[24:25], 0, v61, s[24:25]
	v_sub_u32_e32 v61, 0, v78
	v_ldexp_f64 v[51:52], v[51:52], v61
	v_add_f64 v[57:58], v[59:60], 1.0
	s_mov_b32 s24, 0xbf559e2b
	s_mov_b32 s25, 0x3fc3ab76
	v_add_f64 v[59:60], v[51:52], 1.0
	v_add_f64 v[55:56], v[55:56], v[57:58]
	v_add_f64 v[67:68], v[51:52], -1.0
	v_add_f64 v[57:58], v[59:60], -1.0
	v_ldexp_f64 v[55:56], v[55:56], v61
	v_add_f64 v[69:70], v[67:68], 1.0
	v_add_f64 v[57:58], v[51:52], -v[57:58]
	v_add_f64 v[51:52], v[51:52], -v[69:70]
	v_add_f64 v[57:58], v[55:56], v[57:58]
	v_add_f64 v[51:52], v[55:56], v[51:52]
	;; [unrolled: 1-line block ×4, first 2 shown]
	v_rcp_f64_e32 v[63:64], v[61:62]
	v_add_f64 v[59:60], v[61:62], -v[59:60]
	v_add_f64 v[67:68], v[69:70], -v[67:68]
	;; [unrolled: 1-line block ×4, first 2 shown]
	v_fma_f64 v[71:72], -v[61:62], v[63:64], 1.0
	v_fma_f64 v[63:64], v[71:72], v[63:64], v[63:64]
	v_fma_f64 v[55:56], -v[61:62], v[63:64], 1.0
	v_fma_f64 v[55:56], v[55:56], v[63:64], v[63:64]
	v_mul_f64 v[63:64], v[69:70], v[55:56]
	v_mul_f64 v[71:72], v[61:62], v[63:64]
	v_fma_f64 v[59:60], v[63:64], v[61:62], -v[71:72]
	v_fma_f64 v[59:60], v[63:64], v[57:58], v[59:60]
	v_add_f64 v[73:74], v[71:72], v[59:60]
	v_add_f64 v[75:76], v[69:70], -v[73:74]
	v_add_f64 v[67:68], v[73:74], -v[71:72]
	;; [unrolled: 1-line block ×5, first 2 shown]
	v_add_f64 v[51:52], v[51:52], v[69:70]
	v_add_f64 v[51:52], v[59:60], v[51:52]
	;; [unrolled: 1-line block ×3, first 2 shown]
	v_mul_f64 v[67:68], v[55:56], v[59:60]
	v_add_f64 v[73:74], v[75:76], -v[59:60]
	v_mul_f64 v[69:70], v[61:62], v[67:68]
	v_add_f64 v[51:52], v[51:52], v[73:74]
	v_fma_f64 v[61:62], v[67:68], v[61:62], -v[69:70]
	v_fma_f64 v[57:58], v[67:68], v[57:58], v[61:62]
	v_add_f64 v[61:62], v[69:70], v[57:58]
	v_add_f64 v[71:72], v[59:60], -v[61:62]
	v_add_f64 v[69:70], v[61:62], -v[69:70]
	;; [unrolled: 1-line block ×5, first 2 shown]
	v_mov_b32_e32 v61, 0x6b47b09a
	v_mov_b32_e32 v62, 0x3fc38538
	v_add_f64 v[51:52], v[51:52], v[59:60]
	v_add_f64 v[59:60], v[63:64], v[67:68]
	;; [unrolled: 1-line block ×3, first 2 shown]
	v_add_f64 v[57:58], v[59:60], -v[63:64]
	v_add_f64 v[51:52], v[71:72], v[51:52]
	v_add_f64 v[57:58], v[67:68], -v[57:58]
	v_mul_f64 v[51:52], v[55:56], v[51:52]
	v_add_f64 v[51:52], v[57:58], v[51:52]
	v_add_f64 v[55:56], v[59:60], v[51:52]
	v_mul_f64 v[57:58], v[55:56], v[55:56]
	v_fma_f64 v[61:62], v[57:58], s[24:25], v[61:62]
	s_mov_b32 s24, 0xd7f4df2e
	s_mov_b32 s25, 0x3fc7474d
	v_mul_f64 v[63:64], v[55:56], v[57:58]
	v_fma_f64 v[61:62], v[57:58], v[61:62], s[24:25]
	s_mov_b32 s24, 0x16291751
	s_mov_b32 s25, 0x3fcc71c0
	v_fma_f64 v[61:62], v[57:58], v[61:62], s[24:25]
	s_mov_b32 s24, 0x9b27acf1
	s_mov_b32 s25, 0x3fd24924
	;; [unrolled: 3-line block ×3, first 2 shown]
	v_fma_f64 v[61:62], v[57:58], v[61:62], s[24:25]
	v_cmp_nge_f64_e64 s[24:25], -1.0, v[27:28]
	v_fma_f64 v[57:58], v[57:58], v[61:62], s[26:27]
	v_ldexp_f64 v[61:62], v[55:56], 1
	v_add_f64 v[55:56], v[55:56], -v[59:60]
	s_mov_b32 s26, 0
	s_mov_b32 s27, 0x7ff00000
	v_cmp_neq_f64_e64 s[26:27], s[26:27], v[27:28]
	v_mul_f64 v[57:58], v[63:64], v[57:58]
	v_cvt_f64_i32_e32 v[63:64], v78
	v_add_f64 v[51:52], v[51:52], -v[55:56]
	v_mul_f64 v[67:68], v[63:64], s[36:37]
	s_and_b64 s[24:25], s[24:25], s[26:27]
	v_add_f64 v[59:60], v[61:62], v[57:58]
	v_ldexp_f64 v[51:52], v[51:52], 1
	v_add_f64 v[55:56], v[59:60], -v[61:62]
	v_fma_f64 v[61:62], v[63:64], s[36:37], -v[67:68]
	v_add_f64 v[55:56], v[57:58], -v[55:56]
	v_fma_f64 v[57:58], v[63:64], s[48:49], v[61:62]
	v_add_f64 v[51:52], v[51:52], v[55:56]
	v_add_f64 v[55:56], v[67:68], v[57:58]
	;; [unrolled: 1-line block ×3, first 2 shown]
	v_add_f64 v[67:68], v[55:56], -v[67:68]
	v_add_f64 v[63:64], v[55:56], v[61:62]
	v_add_f64 v[59:60], v[61:62], -v[59:60]
	v_add_f64 v[57:58], v[57:58], -v[67:68]
	;; [unrolled: 1-line block ×6, first 2 shown]
	v_add_f64 v[61:62], v[57:58], v[51:52]
	v_add_f64 v[55:56], v[55:56], -v[71:72]
	v_add_f64 v[55:56], v[59:60], v[55:56]
	v_add_f64 v[59:60], v[61:62], -v[57:58]
	;; [unrolled: 2-line block ×3, first 2 shown]
	v_add_f64 v[51:52], v[51:52], -v[59:60]
	v_add_f64 v[67:68], v[63:64], v[55:56]
	v_add_f64 v[57:58], v[57:58], -v[61:62]
	v_add_f64 v[59:60], v[67:68], -v[63:64]
	v_add_f64 v[51:52], v[51:52], v[57:58]
	v_add_f64 v[55:56], v[55:56], -v[59:60]
	v_add_f64 v[51:52], v[51:52], v[55:56]
	v_mov_b32_e32 v55, 0x7ff80000
	v_mov_b32_e32 v56, 0xfff00000
	v_add_f64 v[51:52], v[67:68], v[51:52]
	v_cndmask_b32_e64 v51, 0, v51, s[24:25]
	v_cmp_ngt_f64_e64 s[24:25], -1.0, v[27:28]
	v_cndmask_b32_e64 v52, v77, v52, s[26:27]
	v_cndmask_b32_e64 v52, v55, v52, s[24:25]
	v_cmp_neq_f64_e64 s[24:25], -1.0, v[27:28]
	v_cndmask_b32_e64 v52, v56, v52, s[24:25]
	v_add_f64 v[27:28], v[23:24], v[51:52]
.LBB5_69:
	s_or_b64 exec, exec, s[46:47]
	v_mov_b32_e32 v23, v27
	v_mov_b32_e32 v24, v28
.LBB5_70:
	s_or_b64 exec, exec, s[44:45]
	v_add_u32_e32 v27, -1, v54
	v_and_b32_e32 v28, 64, v54
	v_cmp_lt_i32_e64 s[24:25], v27, v28
	v_cndmask_b32_e64 v27, v27, v54, s[24:25]
	v_lshlrev_b32_e32 v27, 2, v27
	ds_bpermute_b32 v23, v27, v23
	ds_bpermute_b32 v24, v27, v24
	s_waitcnt lgkmcnt(0)
	v_max_f64 v[27:28], v[23:24], v[23:24]
	v_cmp_u_f64_e64 s[24:25], v[23:24], v[23:24]
	v_min_f64 v[51:52], v[27:28], v[25:26]
	v_max_f64 v[25:26], v[27:28], v[25:26]
	v_cndmask_b32_e64 v27, v51, v23, s[24:25]
	v_cndmask_b32_e64 v28, v52, v24, s[24:25]
	;; [unrolled: 1-line block ×8, first 2 shown]
	v_cmp_neq_f64_e64 s[22:23], v[25:26], v[21:22]
	v_cmp_class_f64_e64 s[24:25], v[25:26], s7
	s_or_b64 s[22:23], s[22:23], s[24:25]
	s_and_saveexec_b64 s[26:27], s[22:23]
	s_cbranch_execz .LBB5_72
; %bb.71:
	v_add_f64 v[23:24], v[25:26], -v[21:22]
	s_mov_b32 s22, 0x652b82fe
	s_mov_b32 s23, 0x3ff71547
	;; [unrolled: 1-line block ×6, first 2 shown]
	v_mov_b32_e32 v51, 0xfca7ab0c
	v_mul_f64 v[25:26], v[23:24], s[22:23]
	s_mov_b32 s22, 0x6a5dcb37
	v_mov_b32_e32 v52, 0x3e928af3
	s_mov_b32 s23, 0x3e5ade15
	s_mov_b32 s24, 0
	;; [unrolled: 1-line block ×3, first 2 shown]
	v_cmp_ngt_f64_e64 s[24:25], s[24:25], v[23:24]
	v_mov_b32_e32 v64, 0x7ff00000
	v_rndne_f64_e32 v[25:26], v[25:26]
	v_fma_f64 v[27:28], v[25:26], s[36:37], v[23:24]
	s_mov_b32 s37, 0x3fe62e42
	v_fma_f64 v[27:28], v[25:26], s[44:45], v[27:28]
	v_cvt_i32_f64_e32 v25, v[25:26]
	s_mov_b32 s45, 0x3c7abc9e
	v_fma_f64 v[51:52], v[27:28], s[22:23], v[51:52]
	s_mov_b32 s22, 0x623fde64
	s_mov_b32 s23, 0x3ec71dee
	v_fma_f64 v[51:52], v[27:28], v[51:52], s[22:23]
	s_mov_b32 s22, 0x7c89e6b0
	;; [unrolled: 3-line block ×9, first 2 shown]
	s_mov_b32 s23, 0x40900000
	v_cmp_nlt_f64_e64 s[22:23], s[22:23], v[23:24]
	v_fma_f64 v[51:52], v[27:28], v[51:52], 1.0
	v_fma_f64 v[27:28], v[27:28], v[51:52], 1.0
	v_ldexp_f64 v[25:26], v[27:28], v25
	v_cndmask_b32_e64 v26, v64, v26, s[22:23]
	s_and_b64 s[22:23], s[24:25], s[22:23]
	v_cndmask_b32_e64 v24, 0, v26, s[24:25]
	v_cndmask_b32_e64 v23, 0, v25, s[22:23]
	v_add_f64 v[25:26], v[23:24], 1.0
	s_mov_b32 s25, 0x3fe55555
	s_mov_b32 s24, 0x55555555
	v_frexp_mant_f64_e32 v[51:52], v[25:26]
	v_frexp_exp_i32_f64_e32 v56, v[25:26]
	v_add_f64 v[27:28], v[25:26], -1.0
	v_cmp_gt_f64_e64 s[22:23], s[24:25], v[51:52]
	s_mov_b32 s24, 0x55555780
	v_add_f64 v[54:55], v[27:28], -v[25:26]
	v_add_f64 v[27:28], v[23:24], -v[27:28]
	v_subbrev_co_u32_e64 v73, s[22:23], 0, v56, s[22:23]
	v_sub_u32_e32 v56, 0, v73
	v_ldexp_f64 v[25:26], v[25:26], v56
	v_add_f64 v[51:52], v[54:55], 1.0
	s_mov_b32 s22, 0xbf559e2b
	s_mov_b32 s23, 0x3fc3ab76
	v_add_f64 v[54:55], v[25:26], 1.0
	v_add_f64 v[27:28], v[27:28], v[51:52]
	v_add_f64 v[60:61], v[25:26], -1.0
	v_add_f64 v[51:52], v[54:55], -1.0
	v_ldexp_f64 v[27:28], v[27:28], v56
	v_add_f64 v[62:63], v[60:61], 1.0
	v_add_f64 v[51:52], v[25:26], -v[51:52]
	v_add_f64 v[25:26], v[25:26], -v[62:63]
	v_add_f64 v[51:52], v[27:28], v[51:52]
	v_add_f64 v[25:26], v[27:28], v[25:26]
	;; [unrolled: 1-line block ×4, first 2 shown]
	v_rcp_f64_e32 v[58:59], v[56:57]
	v_add_f64 v[54:55], v[56:57], -v[54:55]
	v_add_f64 v[60:61], v[62:63], -v[60:61]
	v_add_f64 v[51:52], v[51:52], -v[54:55]
	v_add_f64 v[25:26], v[25:26], -v[60:61]
	v_fma_f64 v[67:68], -v[56:57], v[58:59], 1.0
	v_fma_f64 v[58:59], v[67:68], v[58:59], v[58:59]
	v_fma_f64 v[27:28], -v[56:57], v[58:59], 1.0
	v_fma_f64 v[27:28], v[27:28], v[58:59], v[58:59]
	v_mul_f64 v[58:59], v[62:63], v[27:28]
	v_mul_f64 v[67:68], v[56:57], v[58:59]
	v_fma_f64 v[54:55], v[58:59], v[56:57], -v[67:68]
	v_fma_f64 v[54:55], v[58:59], v[51:52], v[54:55]
	v_add_f64 v[69:70], v[67:68], v[54:55]
	v_add_f64 v[71:72], v[62:63], -v[69:70]
	v_add_f64 v[60:61], v[69:70], -v[67:68]
	;; [unrolled: 1-line block ×5, first 2 shown]
	v_add_f64 v[25:26], v[25:26], v[62:63]
	v_add_f64 v[25:26], v[54:55], v[25:26]
	;; [unrolled: 1-line block ×3, first 2 shown]
	v_mul_f64 v[60:61], v[27:28], v[54:55]
	v_add_f64 v[69:70], v[71:72], -v[54:55]
	v_mul_f64 v[62:63], v[56:57], v[60:61]
	v_add_f64 v[25:26], v[25:26], v[69:70]
	v_fma_f64 v[56:57], v[60:61], v[56:57], -v[62:63]
	v_fma_f64 v[51:52], v[60:61], v[51:52], v[56:57]
	v_add_f64 v[56:57], v[62:63], v[51:52]
	v_add_f64 v[67:68], v[54:55], -v[56:57]
	v_add_f64 v[62:63], v[56:57], -v[62:63]
	;; [unrolled: 1-line block ×5, first 2 shown]
	v_mov_b32_e32 v56, 0x6b47b09a
	v_mov_b32_e32 v57, 0x3fc38538
	v_add_f64 v[25:26], v[25:26], v[54:55]
	v_add_f64 v[54:55], v[58:59], v[60:61]
	;; [unrolled: 1-line block ×3, first 2 shown]
	v_add_f64 v[51:52], v[54:55], -v[58:59]
	v_add_f64 v[25:26], v[67:68], v[25:26]
	v_add_f64 v[51:52], v[60:61], -v[51:52]
	v_mul_f64 v[25:26], v[27:28], v[25:26]
	v_add_f64 v[25:26], v[51:52], v[25:26]
	v_add_f64 v[27:28], v[54:55], v[25:26]
	v_mul_f64 v[51:52], v[27:28], v[27:28]
	v_fma_f64 v[56:57], v[51:52], s[22:23], v[56:57]
	s_mov_b32 s22, 0xd7f4df2e
	s_mov_b32 s23, 0x3fc7474d
	v_mul_f64 v[58:59], v[27:28], v[51:52]
	v_fma_f64 v[56:57], v[51:52], v[56:57], s[22:23]
	s_mov_b32 s22, 0x16291751
	s_mov_b32 s23, 0x3fcc71c0
	v_fma_f64 v[56:57], v[51:52], v[56:57], s[22:23]
	s_mov_b32 s22, 0x9b27acf1
	s_mov_b32 s23, 0x3fd24924
	;; [unrolled: 3-line block ×3, first 2 shown]
	v_fma_f64 v[56:57], v[51:52], v[56:57], s[22:23]
	v_cmp_nge_f64_e64 s[22:23], -1.0, v[23:24]
	v_fma_f64 v[51:52], v[51:52], v[56:57], s[24:25]
	v_ldexp_f64 v[56:57], v[27:28], 1
	v_add_f64 v[27:28], v[27:28], -v[54:55]
	s_mov_b32 s24, 0
	s_mov_b32 s25, 0x7ff00000
	v_cmp_neq_f64_e64 s[24:25], s[24:25], v[23:24]
	v_mul_f64 v[51:52], v[58:59], v[51:52]
	v_cvt_f64_i32_e32 v[58:59], v73
	v_add_f64 v[25:26], v[25:26], -v[27:28]
	v_mul_f64 v[60:61], v[58:59], s[36:37]
	s_and_b64 s[22:23], s[22:23], s[24:25]
	v_add_f64 v[54:55], v[56:57], v[51:52]
	v_ldexp_f64 v[25:26], v[25:26], 1
	v_add_f64 v[27:28], v[54:55], -v[56:57]
	v_fma_f64 v[56:57], v[58:59], s[36:37], -v[60:61]
	v_add_f64 v[27:28], v[51:52], -v[27:28]
	v_fma_f64 v[51:52], v[58:59], s[44:45], v[56:57]
	v_add_f64 v[25:26], v[25:26], v[27:28]
	v_add_f64 v[27:28], v[60:61], v[51:52]
	;; [unrolled: 1-line block ×3, first 2 shown]
	v_add_f64 v[60:61], v[27:28], -v[60:61]
	v_add_f64 v[58:59], v[27:28], v[56:57]
	v_add_f64 v[54:55], v[56:57], -v[54:55]
	v_add_f64 v[51:52], v[51:52], -v[60:61]
	;; [unrolled: 1-line block ×6, first 2 shown]
	v_add_f64 v[56:57], v[51:52], v[25:26]
	v_add_f64 v[27:28], v[27:28], -v[67:68]
	v_add_f64 v[27:28], v[54:55], v[27:28]
	v_add_f64 v[54:55], v[56:57], -v[51:52]
	;; [unrolled: 2-line block ×3, first 2 shown]
	v_add_f64 v[25:26], v[25:26], -v[54:55]
	v_add_f64 v[60:61], v[58:59], v[27:28]
	v_add_f64 v[51:52], v[51:52], -v[56:57]
	v_add_f64 v[54:55], v[60:61], -v[58:59]
	v_add_f64 v[25:26], v[25:26], v[51:52]
	v_add_f64 v[27:28], v[27:28], -v[54:55]
	v_add_f64 v[25:26], v[25:26], v[27:28]
	v_mov_b32_e32 v27, 0x7ff80000
	v_mov_b32_e32 v28, 0xfff00000
	v_add_f64 v[25:26], v[60:61], v[25:26]
	v_cndmask_b32_e64 v25, 0, v25, s[22:23]
	v_cmp_ngt_f64_e64 s[22:23], -1.0, v[23:24]
	v_cndmask_b32_e64 v26, v64, v26, s[24:25]
	v_cndmask_b32_e64 v26, v27, v26, s[22:23]
	v_cmp_neq_f64_e64 s[22:23], -1.0, v[23:24]
	v_cndmask_b32_e64 v26, v28, v26, s[22:23]
	v_add_f64 v[23:24], v[21:22], v[25:26]
.LBB5_72:
	s_or_b64 exec, exec, s[26:27]
	v_cmp_eq_u32_e64 s[22:23], 0, v0
	v_cndmask_b32_e64 v24, v24, v50, s[22:23]
	v_cndmask_b32_e64 v23, v23, v49, s[22:23]
	; wave barrier
	ds_write_b64 v53, v[23:24]
	; wave barrier
	ds_read_b64 v[21:22], v53 offset:8
	v_max_f64 v[25:26], v[23:24], v[23:24]
	v_cmp_u_f64_e64 s[22:23], v[23:24], v[23:24]
	s_waitcnt lgkmcnt(0)
	v_max_f64 v[27:28], v[21:22], v[21:22]
	v_cmp_u_f64_e64 s[24:25], v[21:22], v[21:22]
	v_min_f64 v[51:52], v[25:26], v[27:28]
	v_max_f64 v[25:26], v[25:26], v[27:28]
	v_cndmask_b32_e64 v27, v51, v23, s[22:23]
	v_cndmask_b32_e64 v28, v52, v24, s[22:23]
	;; [unrolled: 1-line block ×8, first 2 shown]
	v_cmp_neq_f64_e64 s[22:23], v[25:26], v[21:22]
	v_cmp_class_f64_e64 s[24:25], v[25:26], s7
	s_or_b64 s[22:23], s[22:23], s[24:25]
	s_and_saveexec_b64 s[26:27], s[22:23]
	s_cbranch_execz .LBB5_74
; %bb.73:
	v_add_f64 v[23:24], v[25:26], -v[21:22]
	s_mov_b32 s22, 0x652b82fe
	s_mov_b32 s23, 0x3ff71547
	;; [unrolled: 1-line block ×6, first 2 shown]
	v_mov_b32_e32 v51, 0xfca7ab0c
	v_mul_f64 v[25:26], v[23:24], s[22:23]
	s_mov_b32 s22, 0x6a5dcb37
	v_mov_b32_e32 v52, 0x3e928af3
	s_mov_b32 s23, 0x3e5ade15
	s_mov_b32 s24, 0
	;; [unrolled: 1-line block ×3, first 2 shown]
	v_cmp_ngt_f64_e64 s[24:25], s[24:25], v[23:24]
	v_mov_b32_e32 v64, 0x7ff00000
	v_rndne_f64_e32 v[25:26], v[25:26]
	v_fma_f64 v[27:28], v[25:26], s[36:37], v[23:24]
	s_mov_b32 s37, 0x3fe62e42
	v_fma_f64 v[27:28], v[25:26], s[44:45], v[27:28]
	v_cvt_i32_f64_e32 v25, v[25:26]
	s_mov_b32 s45, 0x3c7abc9e
	v_fma_f64 v[51:52], v[27:28], s[22:23], v[51:52]
	s_mov_b32 s22, 0x623fde64
	s_mov_b32 s23, 0x3ec71dee
	v_fma_f64 v[51:52], v[27:28], v[51:52], s[22:23]
	s_mov_b32 s22, 0x7c89e6b0
	;; [unrolled: 3-line block ×9, first 2 shown]
	s_mov_b32 s23, 0x40900000
	v_cmp_nlt_f64_e64 s[22:23], s[22:23], v[23:24]
	v_fma_f64 v[51:52], v[27:28], v[51:52], 1.0
	v_fma_f64 v[27:28], v[27:28], v[51:52], 1.0
	v_ldexp_f64 v[25:26], v[27:28], v25
	v_cndmask_b32_e64 v26, v64, v26, s[22:23]
	s_and_b64 s[22:23], s[24:25], s[22:23]
	v_cndmask_b32_e64 v24, 0, v26, s[24:25]
	v_cndmask_b32_e64 v23, 0, v25, s[22:23]
	v_add_f64 v[25:26], v[23:24], 1.0
	s_mov_b32 s25, 0x3fe55555
	s_mov_b32 s24, 0x55555555
	v_frexp_mant_f64_e32 v[51:52], v[25:26]
	v_frexp_exp_i32_f64_e32 v56, v[25:26]
	v_add_f64 v[27:28], v[25:26], -1.0
	v_cmp_gt_f64_e64 s[22:23], s[24:25], v[51:52]
	s_mov_b32 s24, 0x55555780
	v_add_f64 v[54:55], v[27:28], -v[25:26]
	v_add_f64 v[27:28], v[23:24], -v[27:28]
	v_subbrev_co_u32_e64 v73, s[22:23], 0, v56, s[22:23]
	v_sub_u32_e32 v56, 0, v73
	v_ldexp_f64 v[25:26], v[25:26], v56
	v_add_f64 v[51:52], v[54:55], 1.0
	s_mov_b32 s22, 0xbf559e2b
	s_mov_b32 s23, 0x3fc3ab76
	v_add_f64 v[54:55], v[25:26], 1.0
	v_add_f64 v[27:28], v[27:28], v[51:52]
	v_add_f64 v[60:61], v[25:26], -1.0
	v_add_f64 v[51:52], v[54:55], -1.0
	v_ldexp_f64 v[27:28], v[27:28], v56
	v_add_f64 v[62:63], v[60:61], 1.0
	v_add_f64 v[51:52], v[25:26], -v[51:52]
	v_add_f64 v[25:26], v[25:26], -v[62:63]
	v_add_f64 v[51:52], v[27:28], v[51:52]
	v_add_f64 v[25:26], v[27:28], v[25:26]
	;; [unrolled: 1-line block ×4, first 2 shown]
	v_rcp_f64_e32 v[58:59], v[56:57]
	v_add_f64 v[54:55], v[56:57], -v[54:55]
	v_add_f64 v[60:61], v[62:63], -v[60:61]
	;; [unrolled: 1-line block ×4, first 2 shown]
	v_fma_f64 v[67:68], -v[56:57], v[58:59], 1.0
	v_fma_f64 v[58:59], v[67:68], v[58:59], v[58:59]
	v_fma_f64 v[27:28], -v[56:57], v[58:59], 1.0
	v_fma_f64 v[27:28], v[27:28], v[58:59], v[58:59]
	v_mul_f64 v[58:59], v[62:63], v[27:28]
	v_mul_f64 v[67:68], v[56:57], v[58:59]
	v_fma_f64 v[54:55], v[58:59], v[56:57], -v[67:68]
	v_fma_f64 v[54:55], v[58:59], v[51:52], v[54:55]
	v_add_f64 v[69:70], v[67:68], v[54:55]
	v_add_f64 v[71:72], v[62:63], -v[69:70]
	v_add_f64 v[60:61], v[69:70], -v[67:68]
	;; [unrolled: 1-line block ×5, first 2 shown]
	v_add_f64 v[25:26], v[25:26], v[62:63]
	v_add_f64 v[25:26], v[54:55], v[25:26]
	;; [unrolled: 1-line block ×3, first 2 shown]
	v_mul_f64 v[60:61], v[27:28], v[54:55]
	v_add_f64 v[69:70], v[71:72], -v[54:55]
	v_mul_f64 v[62:63], v[56:57], v[60:61]
	v_add_f64 v[25:26], v[25:26], v[69:70]
	v_fma_f64 v[56:57], v[60:61], v[56:57], -v[62:63]
	v_fma_f64 v[51:52], v[60:61], v[51:52], v[56:57]
	v_add_f64 v[56:57], v[62:63], v[51:52]
	v_add_f64 v[67:68], v[54:55], -v[56:57]
	v_add_f64 v[62:63], v[56:57], -v[62:63]
	;; [unrolled: 1-line block ×5, first 2 shown]
	v_mov_b32_e32 v56, 0x6b47b09a
	v_mov_b32_e32 v57, 0x3fc38538
	v_add_f64 v[25:26], v[25:26], v[54:55]
	v_add_f64 v[54:55], v[58:59], v[60:61]
	;; [unrolled: 1-line block ×3, first 2 shown]
	v_add_f64 v[51:52], v[54:55], -v[58:59]
	v_add_f64 v[25:26], v[67:68], v[25:26]
	v_add_f64 v[51:52], v[60:61], -v[51:52]
	v_mul_f64 v[25:26], v[27:28], v[25:26]
	v_add_f64 v[25:26], v[51:52], v[25:26]
	v_add_f64 v[27:28], v[54:55], v[25:26]
	v_mul_f64 v[51:52], v[27:28], v[27:28]
	v_fma_f64 v[56:57], v[51:52], s[22:23], v[56:57]
	s_mov_b32 s22, 0xd7f4df2e
	s_mov_b32 s23, 0x3fc7474d
	v_mul_f64 v[58:59], v[27:28], v[51:52]
	v_fma_f64 v[56:57], v[51:52], v[56:57], s[22:23]
	s_mov_b32 s22, 0x16291751
	s_mov_b32 s23, 0x3fcc71c0
	v_fma_f64 v[56:57], v[51:52], v[56:57], s[22:23]
	s_mov_b32 s22, 0x9b27acf1
	s_mov_b32 s23, 0x3fd24924
	;; [unrolled: 3-line block ×3, first 2 shown]
	v_fma_f64 v[56:57], v[51:52], v[56:57], s[22:23]
	v_cmp_nge_f64_e64 s[22:23], -1.0, v[23:24]
	v_fma_f64 v[51:52], v[51:52], v[56:57], s[24:25]
	v_ldexp_f64 v[56:57], v[27:28], 1
	v_add_f64 v[27:28], v[27:28], -v[54:55]
	s_mov_b32 s24, 0
	s_mov_b32 s25, 0x7ff00000
	v_cmp_neq_f64_e64 s[24:25], s[24:25], v[23:24]
	v_mul_f64 v[51:52], v[58:59], v[51:52]
	v_cvt_f64_i32_e32 v[58:59], v73
	v_add_f64 v[25:26], v[25:26], -v[27:28]
	v_mul_f64 v[60:61], v[58:59], s[36:37]
	s_and_b64 s[22:23], s[22:23], s[24:25]
	v_add_f64 v[54:55], v[56:57], v[51:52]
	v_ldexp_f64 v[25:26], v[25:26], 1
	v_add_f64 v[27:28], v[54:55], -v[56:57]
	v_fma_f64 v[56:57], v[58:59], s[36:37], -v[60:61]
	v_add_f64 v[27:28], v[51:52], -v[27:28]
	v_fma_f64 v[51:52], v[58:59], s[44:45], v[56:57]
	v_add_f64 v[25:26], v[25:26], v[27:28]
	v_add_f64 v[27:28], v[60:61], v[51:52]
	;; [unrolled: 1-line block ×3, first 2 shown]
	v_add_f64 v[60:61], v[27:28], -v[60:61]
	v_add_f64 v[58:59], v[27:28], v[56:57]
	v_add_f64 v[54:55], v[56:57], -v[54:55]
	v_add_f64 v[51:52], v[51:52], -v[60:61]
	;; [unrolled: 1-line block ×6, first 2 shown]
	v_add_f64 v[56:57], v[51:52], v[25:26]
	v_add_f64 v[27:28], v[27:28], -v[67:68]
	v_add_f64 v[27:28], v[54:55], v[27:28]
	v_add_f64 v[54:55], v[56:57], -v[51:52]
	;; [unrolled: 2-line block ×3, first 2 shown]
	v_add_f64 v[25:26], v[25:26], -v[54:55]
	v_add_f64 v[60:61], v[58:59], v[27:28]
	v_add_f64 v[51:52], v[51:52], -v[56:57]
	v_add_f64 v[54:55], v[60:61], -v[58:59]
	v_add_f64 v[25:26], v[25:26], v[51:52]
	v_add_f64 v[27:28], v[27:28], -v[54:55]
	v_add_f64 v[25:26], v[25:26], v[27:28]
	v_mov_b32_e32 v27, 0x7ff80000
	v_mov_b32_e32 v28, 0xfff00000
	v_add_f64 v[25:26], v[60:61], v[25:26]
	v_cndmask_b32_e64 v25, 0, v25, s[22:23]
	v_cmp_ngt_f64_e64 s[22:23], -1.0, v[23:24]
	v_cndmask_b32_e64 v26, v64, v26, s[24:25]
	v_cndmask_b32_e64 v26, v27, v26, s[22:23]
	v_cmp_neq_f64_e64 s[22:23], -1.0, v[23:24]
	v_cndmask_b32_e64 v26, v28, v26, s[22:23]
	v_add_f64 v[23:24], v[21:22], v[25:26]
.LBB5_74:
	s_or_b64 exec, exec, s[26:27]
	ds_write_b64 v53, v[23:24] offset:8
.LBB5_75:
	s_or_b64 exec, exec, s[30:31]
	v_cmp_eq_u32_e64 s[24:25], 0, v0
	v_cmp_ne_u32_e64 s[22:23], 0, v0
	s_waitcnt lgkmcnt(0)
	s_barrier
	s_and_saveexec_b64 s[26:27], s[22:23]
; %bb.76:
	v_add_u32_e32 v21, -1, v0
	v_lshrrev_b32_e32 v22, 2, v21
	v_and_b32_e32 v22, 0x3ffffff8, v22
	v_lshl_add_u32 v21, v21, 3, v22
	ds_read_b64 v[49:50], v21
; %bb.77:
	s_or_b64 exec, exec, s[26:27]
	s_and_saveexec_b64 s[44:45], vcc
	s_cbranch_execz .LBB5_149
; %bb.78:
	v_mov_b32_e32 v24, 0
	ds_read_b64 v[21:22], v24 offset:1040
	v_mbcnt_lo_u32_b32 v23, -1, 0
	v_mbcnt_hi_u32_b32 v56, -1, v23
	s_mov_b32 s37, 0
	v_cmp_eq_u32_e64 s[26:27], 0, v56
	s_and_saveexec_b64 s[30:31], s[26:27]
	s_cbranch_execz .LBB5_80
; %bb.79:
	s_add_i32 s36, s6, 64
	s_lshl_b64 s[36:37], s[36:37], 4
	s_add_u32 s36, s42, s36
	s_addc_u32 s37, s43, s37
	v_mov_b32_e32 v25, s36
	v_mov_b32_e32 v23, 1
	;; [unrolled: 1-line block ×3, first 2 shown]
	s_waitcnt lgkmcnt(0)
	;;#ASMSTART
	global_store_dwordx4 v[25:26], v[21:24] off	
s_waitcnt vmcnt(0)
	;;#ASMEND
.LBB5_80:
	s_or_b64 exec, exec, s[30:31]
	v_xad_u32 v51, v56, -1, s6
	v_add_u32_e32 v23, 64, v51
	v_lshlrev_b64 v[25:26], 4, v[23:24]
	v_mov_b32_e32 v23, s43
	v_add_co_u32_e32 v52, vcc, s42, v25
	v_addc_co_u32_e32 v53, vcc, v23, v26, vcc
	;;#ASMSTART
	global_load_dwordx4 v[25:28], v[52:53] off glc	
s_waitcnt vmcnt(0)
	;;#ASMEND
	v_cmp_eq_u16_sdwa s[36:37], v27, v24 src0_sel:BYTE_0 src1_sel:DWORD
	s_and_saveexec_b64 s[30:31], s[36:37]
	s_cbranch_execz .LBB5_84
; %bb.81:
	s_mov_b64 s[36:37], 0
	v_mov_b32_e32 v23, 0
.LBB5_82:                               ; =>This Inner Loop Header: Depth=1
	;;#ASMSTART
	global_load_dwordx4 v[25:28], v[52:53] off glc	
s_waitcnt vmcnt(0)
	;;#ASMEND
	v_cmp_ne_u16_sdwa s[46:47], v27, v23 src0_sel:BYTE_0 src1_sel:DWORD
	s_or_b64 s[36:37], s[46:47], s[36:37]
	s_andn2_b64 exec, exec, s[36:37]
	s_cbranch_execnz .LBB5_82
; %bb.83:
	s_or_b64 exec, exec, s[36:37]
.LBB5_84:
	s_or_b64 exec, exec, s[30:31]
	v_and_b32_e32 v67, 63, v56
	v_mov_b32_e32 v28, 2
	v_lshlrev_b64 v[23:24], v56, -1
	v_cmp_ne_u32_e32 vcc, 63, v67
	v_cmp_eq_u16_sdwa s[30:31], v27, v28 src0_sel:BYTE_0 src1_sel:DWORD
	v_addc_co_u32_e32 v52, vcc, 0, v56, vcc
	v_and_b32_e32 v28, s31, v24
	v_lshlrev_b32_e32 v68, 2, v52
	v_or_b32_e32 v28, 0x80000000, v28
	ds_bpermute_b32 v52, v68, v25
	ds_bpermute_b32 v53, v68, v26
	v_and_b32_e32 v54, s30, v23
	v_ffbl_b32_e32 v28, v28
	v_add_u32_e32 v28, 32, v28
	v_ffbl_b32_e32 v54, v54
	v_min_u32_e32 v28, v54, v28
	v_mov_b32_e32 v60, v26
	v_cmp_lt_u32_e32 vcc, v67, v28
	v_mov_b32_e32 v59, v25
	s_and_saveexec_b64 s[46:47], vcc
	s_cbranch_execz .LBB5_88
; %bb.85:
	s_waitcnt lgkmcnt(0)
	v_max_f64 v[54:55], v[52:53], v[52:53]
	v_max_f64 v[57:58], v[25:26], v[25:26]
	v_cmp_u_f64_e32 vcc, v[52:53], v[52:53]
	v_cmp_u_f64_e64 s[30:31], v[25:26], v[25:26]
	s_movk_i32 s7, 0x1f8
	v_min_f64 v[59:60], v[54:55], v[57:58]
	v_max_f64 v[54:55], v[54:55], v[57:58]
	v_cndmask_b32_e32 v57, v60, v53, vcc
	v_cndmask_b32_e32 v58, v59, v52, vcc
	;; [unrolled: 1-line block ×4, first 2 shown]
	v_cndmask_b32_e64 v55, v57, v26, s[30:31]
	v_cndmask_b32_e64 v54, v58, v25, s[30:31]
	v_cndmask_b32_e64 v26, v59, v26, s[30:31]
	v_cndmask_b32_e64 v25, v60, v25, s[30:31]
	v_cmp_neq_f64_e32 vcc, v[54:55], v[25:26]
	v_cmp_class_f64_e64 s[30:31], v[54:55], s7
	s_or_b64 s[30:31], vcc, s[30:31]
	s_and_saveexec_b64 s[48:49], s[30:31]
	s_cbranch_execz .LBB5_87
; %bb.86:
	v_add_f64 v[52:53], v[54:55], -v[25:26]
	s_mov_b32 s30, 0x652b82fe
	s_mov_b32 s31, 0x3ff71547
	;; [unrolled: 1-line block ×6, first 2 shown]
	v_mov_b32_e32 v59, 0xfca7ab0c
	v_mul_f64 v[54:55], v[52:53], s[30:31]
	s_mov_b32 s30, 0x6a5dcb37
	v_mov_b32_e32 v60, 0x3e928af3
	s_mov_b32 s31, 0x3e5ade15
	v_mov_b32_e32 v79, 0x7ff00000
	s_mov_b32 s52, 0xbf559e2b
	s_mov_b32 s53, 0x3fc3ab76
	v_rndne_f64_e32 v[54:55], v[54:55]
	v_fma_f64 v[57:58], v[54:55], s[36:37], v[52:53]
	s_mov_b32 s37, 0x3fe62e42
	v_fma_f64 v[57:58], v[54:55], s[50:51], v[57:58]
	v_cvt_i32_f64_e32 v54, v[54:55]
	s_mov_b32 s51, 0x3c7abc9e
	v_fma_f64 v[59:60], v[57:58], s[30:31], v[59:60]
	s_mov_b32 s30, 0x623fde64
	s_mov_b32 s31, 0x3ec71dee
	v_fma_f64 v[59:60], v[57:58], v[59:60], s[30:31]
	s_mov_b32 s30, 0x7c89e6b0
	;; [unrolled: 3-line block ×9, first 2 shown]
	s_mov_b32 s31, 0x40900000
	v_cmp_nlt_f64_e32 vcc, s[30:31], v[52:53]
	s_mov_b32 s30, 0
	s_mov_b32 s31, 0xc090cc00
	v_cmp_ngt_f64_e64 s[30:31], s[30:31], v[52:53]
	v_fma_f64 v[59:60], v[57:58], v[59:60], 1.0
	v_fma_f64 v[57:58], v[57:58], v[59:60], 1.0
	v_ldexp_f64 v[54:55], v[57:58], v54
	v_cndmask_b32_e32 v55, v79, v55, vcc
	s_and_b64 vcc, s[30:31], vcc
	v_cndmask_b32_e32 v52, 0, v54, vcc
	v_cndmask_b32_e64 v53, 0, v55, s[30:31]
	v_add_f64 v[54:55], v[52:53], 1.0
	s_mov_b32 s31, 0x3fe55555
	s_mov_b32 s30, 0x55555555
	v_add_f64 v[57:58], v[54:55], -1.0
	v_frexp_exp_i32_f64_e32 v61, v[54:55]
	v_add_f64 v[59:60], v[57:58], -v[54:55]
	v_add_f64 v[57:58], v[52:53], -v[57:58]
	v_add_f64 v[59:60], v[59:60], 1.0
	v_add_f64 v[57:58], v[57:58], v[59:60]
	v_frexp_mant_f64_e32 v[59:60], v[54:55]
	v_cmp_gt_f64_e32 vcc, s[30:31], v[59:60]
	s_mov_b32 s30, 0x55555780
	v_subbrev_co_u32_e32 v80, vcc, 0, v61, vcc
	v_sub_u32_e32 v59, 0, v80
	v_ldexp_f64 v[54:55], v[54:55], v59
	v_ldexp_f64 v[57:58], v[57:58], v59
	v_add_f64 v[59:60], v[54:55], -1.0
	v_add_f64 v[61:62], v[59:60], 1.0
	v_add_f64 v[61:62], v[54:55], -v[61:62]
	v_add_f64 v[61:62], v[57:58], v[61:62]
	v_add_f64 v[63:64], v[59:60], v[61:62]
	v_add_f64 v[59:60], v[63:64], -v[59:60]
	v_add_f64 v[59:60], v[61:62], -v[59:60]
	v_add_f64 v[61:62], v[54:55], 1.0
	v_add_f64 v[69:70], v[61:62], -1.0
	v_add_f64 v[54:55], v[54:55], -v[69:70]
	v_add_f64 v[54:55], v[57:58], v[54:55]
	v_add_f64 v[57:58], v[61:62], v[54:55]
	v_add_f64 v[61:62], v[57:58], -v[61:62]
	v_add_f64 v[54:55], v[54:55], -v[61:62]
	v_rcp_f64_e32 v[61:62], v[57:58]
	v_fma_f64 v[69:70], -v[57:58], v[61:62], 1.0
	v_fma_f64 v[61:62], v[69:70], v[61:62], v[61:62]
	v_fma_f64 v[69:70], -v[57:58], v[61:62], 1.0
	v_fma_f64 v[61:62], v[69:70], v[61:62], v[61:62]
	v_mul_f64 v[69:70], v[63:64], v[61:62]
	v_mul_f64 v[71:72], v[57:58], v[69:70]
	v_fma_f64 v[73:74], v[69:70], v[57:58], -v[71:72]
	v_fma_f64 v[73:74], v[69:70], v[54:55], v[73:74]
	v_add_f64 v[75:76], v[71:72], v[73:74]
	v_add_f64 v[77:78], v[63:64], -v[75:76]
	v_add_f64 v[71:72], v[75:76], -v[71:72]
	;; [unrolled: 1-line block ×4, first 2 shown]
	v_add_f64 v[59:60], v[59:60], v[63:64]
	v_add_f64 v[63:64], v[71:72], -v[73:74]
	v_add_f64 v[59:60], v[63:64], v[59:60]
	v_add_f64 v[63:64], v[77:78], v[59:60]
	v_add_f64 v[71:72], v[77:78], -v[63:64]
	v_add_f64 v[59:60], v[59:60], v[71:72]
	v_mul_f64 v[71:72], v[61:62], v[63:64]
	v_mul_f64 v[73:74], v[57:58], v[71:72]
	v_fma_f64 v[57:58], v[71:72], v[57:58], -v[73:74]
	v_fma_f64 v[54:55], v[71:72], v[54:55], v[57:58]
	v_add_f64 v[57:58], v[73:74], v[54:55]
	v_add_f64 v[75:76], v[63:64], -v[57:58]
	v_add_f64 v[73:74], v[57:58], -v[73:74]
	;; [unrolled: 1-line block ×5, first 2 shown]
	v_cvt_f64_i32_e32 v[63:64], v80
	v_add_f64 v[57:58], v[59:60], v[57:58]
	v_add_f64 v[54:55], v[54:55], v[57:58]
	;; [unrolled: 1-line block ×4, first 2 shown]
	v_add_f64 v[59:60], v[57:58], -v[69:70]
	v_mul_f64 v[69:70], v[63:64], s[36:37]
	v_mul_f64 v[54:55], v[61:62], v[54:55]
	v_add_f64 v[59:60], v[71:72], -v[59:60]
	v_mov_b32_e32 v61, 0x6b47b09a
	v_mov_b32_e32 v62, 0x3fc38538
	v_fma_f64 v[71:72], v[63:64], s[36:37], -v[69:70]
	v_add_f64 v[54:55], v[59:60], v[54:55]
	v_fma_f64 v[63:64], v[63:64], s[50:51], v[71:72]
	v_add_f64 v[59:60], v[57:58], v[54:55]
	v_add_f64 v[71:72], v[69:70], v[63:64]
	v_add_f64 v[57:58], v[59:60], -v[57:58]
	v_add_f64 v[69:70], v[71:72], -v[69:70]
	;; [unrolled: 1-line block ×3, first 2 shown]
	v_mul_f64 v[57:58], v[59:60], v[59:60]
	v_add_f64 v[63:64], v[63:64], -v[69:70]
	v_ldexp_f64 v[69:70], v[59:60], 1
	v_ldexp_f64 v[54:55], v[54:55], 1
	v_fma_f64 v[61:62], v[57:58], s[52:53], v[61:62]
	s_mov_b32 s52, 0xd7f4df2e
	s_mov_b32 s53, 0x3fc7474d
	v_fma_f64 v[61:62], v[57:58], v[61:62], s[52:53]
	s_mov_b32 s52, 0x16291751
	s_mov_b32 s53, 0x3fcc71c0
	v_fma_f64 v[61:62], v[57:58], v[61:62], s[52:53]
	s_mov_b32 s52, 0x9b27acf1
	s_mov_b32 s53, 0x3fd24924
	v_fma_f64 v[61:62], v[57:58], v[61:62], s[52:53]
	s_mov_b32 s52, 0x998ef7b6
	s_mov_b32 s53, 0x3fd99999
	v_fma_f64 v[61:62], v[57:58], v[61:62], s[52:53]
	v_fma_f64 v[61:62], v[57:58], v[61:62], s[30:31]
	v_mul_f64 v[57:58], v[59:60], v[57:58]
	s_mov_b32 s30, 0
	s_mov_b32 s31, 0x7ff00000
	v_cmp_neq_f64_e32 vcc, s[30:31], v[52:53]
	v_cmp_ngt_f64_e64 s[30:31], -1.0, v[52:53]
	v_mul_f64 v[57:58], v[57:58], v[61:62]
	v_add_f64 v[59:60], v[69:70], v[57:58]
	v_add_f64 v[61:62], v[59:60], -v[69:70]
	v_add_f64 v[57:58], v[57:58], -v[61:62]
	v_add_f64 v[54:55], v[54:55], v[57:58]
	v_add_f64 v[57:58], v[59:60], v[54:55]
	v_add_f64 v[59:60], v[57:58], -v[59:60]
	v_add_f64 v[54:55], v[54:55], -v[59:60]
	v_add_f64 v[59:60], v[71:72], v[57:58]
	v_add_f64 v[61:62], v[59:60], -v[71:72]
	v_add_f64 v[69:70], v[59:60], -v[61:62]
	;; [unrolled: 1-line block ×3, first 2 shown]
	v_add_f64 v[61:62], v[63:64], v[54:55]
	v_add_f64 v[69:70], v[71:72], -v[69:70]
	v_add_f64 v[57:58], v[57:58], v[69:70]
	v_add_f64 v[69:70], v[61:62], -v[63:64]
	;; [unrolled: 2-line block ×3, first 2 shown]
	v_add_f64 v[54:55], v[54:55], -v[69:70]
	v_add_f64 v[61:62], v[59:60], v[57:58]
	v_add_f64 v[63:64], v[63:64], -v[71:72]
	v_add_f64 v[59:60], v[61:62], -v[59:60]
	v_add_f64 v[54:55], v[54:55], v[63:64]
	v_add_f64 v[57:58], v[57:58], -v[59:60]
	v_add_f64 v[54:55], v[54:55], v[57:58]
	v_mov_b32_e32 v57, 0x7ff80000
	v_add_f64 v[54:55], v[61:62], v[54:55]
	v_cndmask_b32_e32 v55, v79, v55, vcc
	v_cndmask_b32_e64 v55, v57, v55, s[30:31]
	v_cmp_nge_f64_e64 s[30:31], -1.0, v[52:53]
	s_and_b64 vcc, s[30:31], vcc
	v_cndmask_b32_e32 v54, 0, v54, vcc
	v_cmp_neq_f64_e32 vcc, -1.0, v[52:53]
	v_mov_b32_e32 v52, 0xfff00000
	v_cndmask_b32_e32 v55, v52, v55, vcc
	v_add_f64 v[52:53], v[25:26], v[54:55]
.LBB5_87:
	s_or_b64 exec, exec, s[48:49]
	v_mov_b32_e32 v60, v53
	v_mov_b32_e32 v25, v52
	;; [unrolled: 1-line block ×4, first 2 shown]
.LBB5_88:
	s_or_b64 exec, exec, s[46:47]
	v_cmp_gt_u32_e32 vcc, 62, v67
	s_waitcnt lgkmcnt(1)
	v_cndmask_b32_e64 v52, 0, 2, vcc
	v_add_lshl_u32 v69, v52, v56, 2
	ds_bpermute_b32 v52, v69, v25
	s_waitcnt lgkmcnt(1)
	ds_bpermute_b32 v53, v69, v26
	v_add_u32_e32 v70, 2, v67
	v_cmp_le_u32_e32 vcc, v70, v28
	s_and_saveexec_b64 s[46:47], vcc
	s_cbranch_execz .LBB5_92
; %bb.89:
	s_waitcnt lgkmcnt(0)
	v_max_f64 v[25:26], v[52:53], v[52:53]
	v_max_f64 v[54:55], v[59:60], v[59:60]
	v_cmp_u_f64_e32 vcc, v[52:53], v[52:53]
	v_cmp_u_f64_e64 s[30:31], v[59:60], v[59:60]
	s_movk_i32 s7, 0x1f8
	v_min_f64 v[57:58], v[25:26], v[54:55]
	v_max_f64 v[25:26], v[25:26], v[54:55]
	v_cndmask_b32_e32 v54, v58, v53, vcc
	v_cndmask_b32_e32 v57, v57, v52, vcc
	;; [unrolled: 1-line block ×4, first 2 shown]
	v_cndmask_b32_e64 v55, v54, v60, s[30:31]
	v_cndmask_b32_e64 v54, v57, v59, s[30:31]
	;; [unrolled: 1-line block ×4, first 2 shown]
	v_cmp_neq_f64_e32 vcc, v[54:55], v[25:26]
	v_cmp_class_f64_e64 s[30:31], v[54:55], s7
	s_or_b64 s[30:31], vcc, s[30:31]
	s_and_saveexec_b64 s[48:49], s[30:31]
	s_cbranch_execz .LBB5_91
; %bb.90:
	v_add_f64 v[52:53], v[54:55], -v[25:26]
	s_mov_b32 s30, 0x652b82fe
	s_mov_b32 s31, 0x3ff71547
	;; [unrolled: 1-line block ×6, first 2 shown]
	v_mov_b32_e32 v59, 0xfca7ab0c
	v_mul_f64 v[54:55], v[52:53], s[30:31]
	s_mov_b32 s30, 0x6a5dcb37
	v_mov_b32_e32 v60, 0x3e928af3
	s_mov_b32 s31, 0x3e5ade15
	s_mov_b32 s52, 0
	;; [unrolled: 1-line block ×3, first 2 shown]
	v_mov_b32_e32 v83, 0x7ff00000
	v_rndne_f64_e32 v[54:55], v[54:55]
	v_fma_f64 v[57:58], v[54:55], s[36:37], v[52:53]
	s_mov_b32 s37, 0x3fe62e42
	v_fma_f64 v[57:58], v[54:55], s[50:51], v[57:58]
	v_cvt_i32_f64_e32 v54, v[54:55]
	s_mov_b32 s51, 0x3c7abc9e
	v_fma_f64 v[59:60], v[57:58], s[30:31], v[59:60]
	s_mov_b32 s30, 0x623fde64
	s_mov_b32 s31, 0x3ec71dee
	v_fma_f64 v[59:60], v[57:58], v[59:60], s[30:31]
	s_mov_b32 s30, 0x7c89e6b0
	;; [unrolled: 3-line block ×9, first 2 shown]
	s_mov_b32 s31, 0x40900000
	v_cmp_nlt_f64_e32 vcc, s[30:31], v[52:53]
	v_cmp_ngt_f64_e64 s[30:31], s[52:53], v[52:53]
	s_mov_b32 s52, 0xbf559e2b
	s_mov_b32 s53, 0x3fc3ab76
	v_fma_f64 v[59:60], v[57:58], v[59:60], 1.0
	v_fma_f64 v[57:58], v[57:58], v[59:60], 1.0
	v_ldexp_f64 v[54:55], v[57:58], v54
	v_cndmask_b32_e32 v55, v83, v55, vcc
	s_and_b64 vcc, s[30:31], vcc
	v_cndmask_b32_e64 v53, 0, v55, s[30:31]
	v_cndmask_b32_e32 v52, 0, v54, vcc
	v_add_f64 v[54:55], v[52:53], 1.0
	s_mov_b32 s31, 0x3fe55555
	s_mov_b32 s30, 0x55555555
	v_frexp_mant_f64_e32 v[59:60], v[54:55]
	v_frexp_exp_i32_f64_e32 v63, v[54:55]
	v_add_f64 v[57:58], v[54:55], -1.0
	v_cmp_gt_f64_e32 vcc, s[30:31], v[59:60]
	s_mov_b32 s30, 0x55555780
	v_add_f64 v[61:62], v[57:58], -v[54:55]
	v_add_f64 v[57:58], v[52:53], -v[57:58]
	v_subbrev_co_u32_e32 v84, vcc, 0, v63, vcc
	v_sub_u32_e32 v63, 0, v84
	v_ldexp_f64 v[54:55], v[54:55], v63
	v_add_f64 v[59:60], v[61:62], 1.0
	v_cmp_nge_f64_e32 vcc, -1.0, v[52:53]
	v_add_f64 v[61:62], v[54:55], 1.0
	v_add_f64 v[57:58], v[57:58], v[59:60]
	v_add_f64 v[73:74], v[54:55], -1.0
	v_add_f64 v[59:60], v[61:62], -1.0
	v_ldexp_f64 v[57:58], v[57:58], v63
	v_add_f64 v[75:76], v[73:74], 1.0
	v_add_f64 v[59:60], v[54:55], -v[59:60]
	v_add_f64 v[54:55], v[54:55], -v[75:76]
	v_add_f64 v[59:60], v[57:58], v[59:60]
	v_add_f64 v[54:55], v[57:58], v[54:55]
	;; [unrolled: 1-line block ×4, first 2 shown]
	v_rcp_f64_e32 v[71:72], v[63:64]
	v_add_f64 v[61:62], v[63:64], -v[61:62]
	v_add_f64 v[73:74], v[75:76], -v[73:74]
	;; [unrolled: 1-line block ×4, first 2 shown]
	v_fma_f64 v[77:78], -v[63:64], v[71:72], 1.0
	v_fma_f64 v[71:72], v[77:78], v[71:72], v[71:72]
	v_fma_f64 v[57:58], -v[63:64], v[71:72], 1.0
	v_fma_f64 v[57:58], v[57:58], v[71:72], v[71:72]
	v_mul_f64 v[71:72], v[75:76], v[57:58]
	v_mul_f64 v[77:78], v[63:64], v[71:72]
	v_fma_f64 v[61:62], v[71:72], v[63:64], -v[77:78]
	v_fma_f64 v[61:62], v[71:72], v[59:60], v[61:62]
	v_add_f64 v[79:80], v[77:78], v[61:62]
	v_add_f64 v[81:82], v[75:76], -v[79:80]
	v_add_f64 v[73:74], v[79:80], -v[77:78]
	;; [unrolled: 1-line block ×5, first 2 shown]
	v_add_f64 v[54:55], v[54:55], v[75:76]
	v_add_f64 v[54:55], v[61:62], v[54:55]
	;; [unrolled: 1-line block ×3, first 2 shown]
	v_mul_f64 v[73:74], v[57:58], v[61:62]
	v_add_f64 v[79:80], v[81:82], -v[61:62]
	v_mul_f64 v[75:76], v[63:64], v[73:74]
	v_add_f64 v[54:55], v[54:55], v[79:80]
	v_fma_f64 v[63:64], v[73:74], v[63:64], -v[75:76]
	v_fma_f64 v[59:60], v[73:74], v[59:60], v[63:64]
	v_add_f64 v[63:64], v[75:76], v[59:60]
	v_add_f64 v[77:78], v[61:62], -v[63:64]
	v_add_f64 v[75:76], v[63:64], -v[75:76]
	;; [unrolled: 1-line block ×5, first 2 shown]
	v_mov_b32_e32 v63, 0x6b47b09a
	v_mov_b32_e32 v64, 0x3fc38538
	v_add_f64 v[54:55], v[54:55], v[61:62]
	v_add_f64 v[61:62], v[71:72], v[73:74]
	;; [unrolled: 1-line block ×3, first 2 shown]
	v_add_f64 v[59:60], v[61:62], -v[71:72]
	v_add_f64 v[54:55], v[77:78], v[54:55]
	v_add_f64 v[59:60], v[73:74], -v[59:60]
	v_mul_f64 v[54:55], v[57:58], v[54:55]
	v_add_f64 v[54:55], v[59:60], v[54:55]
	v_add_f64 v[57:58], v[61:62], v[54:55]
	v_mul_f64 v[59:60], v[57:58], v[57:58]
	v_fma_f64 v[63:64], v[59:60], s[52:53], v[63:64]
	s_mov_b32 s52, 0xd7f4df2e
	s_mov_b32 s53, 0x3fc7474d
	v_mul_f64 v[71:72], v[57:58], v[59:60]
	v_fma_f64 v[63:64], v[59:60], v[63:64], s[52:53]
	s_mov_b32 s52, 0x16291751
	s_mov_b32 s53, 0x3fcc71c0
	v_fma_f64 v[63:64], v[59:60], v[63:64], s[52:53]
	s_mov_b32 s52, 0x9b27acf1
	s_mov_b32 s53, 0x3fd24924
	;; [unrolled: 3-line block ×3, first 2 shown]
	v_fma_f64 v[63:64], v[59:60], v[63:64], s[52:53]
	v_fma_f64 v[59:60], v[59:60], v[63:64], s[30:31]
	v_ldexp_f64 v[63:64], v[57:58], 1
	v_add_f64 v[57:58], v[57:58], -v[61:62]
	s_mov_b32 s30, 0
	s_mov_b32 s31, 0x7ff00000
	v_cmp_neq_f64_e64 s[30:31], s[30:31], v[52:53]
	v_mul_f64 v[59:60], v[71:72], v[59:60]
	v_cvt_f64_i32_e32 v[71:72], v84
	v_add_f64 v[54:55], v[54:55], -v[57:58]
	v_mul_f64 v[73:74], v[71:72], s[36:37]
	s_and_b64 vcc, vcc, s[30:31]
	v_add_f64 v[61:62], v[63:64], v[59:60]
	v_ldexp_f64 v[54:55], v[54:55], 1
	v_add_f64 v[57:58], v[61:62], -v[63:64]
	v_fma_f64 v[63:64], v[71:72], s[36:37], -v[73:74]
	v_add_f64 v[57:58], v[59:60], -v[57:58]
	v_fma_f64 v[59:60], v[71:72], s[50:51], v[63:64]
	v_add_f64 v[54:55], v[54:55], v[57:58]
	v_add_f64 v[57:58], v[73:74], v[59:60]
	v_add_f64 v[63:64], v[61:62], v[54:55]
	v_add_f64 v[73:74], v[57:58], -v[73:74]
	v_add_f64 v[71:72], v[57:58], v[63:64]
	v_add_f64 v[61:62], v[63:64], -v[61:62]
	v_add_f64 v[59:60], v[59:60], -v[73:74]
	;; [unrolled: 1-line block ×6, first 2 shown]
	v_add_f64 v[63:64], v[59:60], v[54:55]
	v_add_f64 v[57:58], v[57:58], -v[77:78]
	v_add_f64 v[57:58], v[61:62], v[57:58]
	v_add_f64 v[61:62], v[63:64], -v[59:60]
	;; [unrolled: 2-line block ×3, first 2 shown]
	v_add_f64 v[54:55], v[54:55], -v[61:62]
	v_add_f64 v[73:74], v[71:72], v[57:58]
	v_add_f64 v[59:60], v[59:60], -v[63:64]
	v_add_f64 v[61:62], v[73:74], -v[71:72]
	v_add_f64 v[54:55], v[54:55], v[59:60]
	v_add_f64 v[57:58], v[57:58], -v[61:62]
	v_add_f64 v[54:55], v[54:55], v[57:58]
	v_mov_b32_e32 v57, 0x7ff80000
	v_mov_b32_e32 v58, 0xfff00000
	v_add_f64 v[54:55], v[73:74], v[54:55]
	v_cndmask_b32_e32 v54, 0, v54, vcc
	v_cmp_ngt_f64_e32 vcc, -1.0, v[52:53]
	v_cndmask_b32_e64 v55, v83, v55, s[30:31]
	v_cndmask_b32_e32 v55, v57, v55, vcc
	v_cmp_neq_f64_e32 vcc, -1.0, v[52:53]
	v_cndmask_b32_e32 v55, v58, v55, vcc
	v_add_f64 v[52:53], v[25:26], v[54:55]
.LBB5_91:
	s_or_b64 exec, exec, s[48:49]
	v_mov_b32_e32 v60, v53
	v_mov_b32_e32 v25, v52
	;; [unrolled: 1-line block ×4, first 2 shown]
.LBB5_92:
	s_or_b64 exec, exec, s[46:47]
	v_cmp_gt_u32_e32 vcc, 60, v67
	s_waitcnt lgkmcnt(1)
	v_cndmask_b32_e64 v52, 0, 4, vcc
	v_add_lshl_u32 v71, v52, v56, 2
	ds_bpermute_b32 v52, v71, v25
	s_waitcnt lgkmcnt(1)
	ds_bpermute_b32 v53, v71, v26
	v_add_u32_e32 v72, 4, v67
	v_cmp_le_u32_e32 vcc, v72, v28
	s_and_saveexec_b64 s[46:47], vcc
	s_cbranch_execz .LBB5_96
; %bb.93:
	s_waitcnt lgkmcnt(0)
	v_max_f64 v[25:26], v[52:53], v[52:53]
	v_max_f64 v[54:55], v[59:60], v[59:60]
	v_cmp_u_f64_e32 vcc, v[52:53], v[52:53]
	v_cmp_u_f64_e64 s[30:31], v[59:60], v[59:60]
	s_movk_i32 s7, 0x1f8
	v_min_f64 v[57:58], v[25:26], v[54:55]
	v_max_f64 v[25:26], v[25:26], v[54:55]
	v_cndmask_b32_e32 v54, v58, v53, vcc
	v_cndmask_b32_e32 v57, v57, v52, vcc
	;; [unrolled: 1-line block ×4, first 2 shown]
	v_cndmask_b32_e64 v55, v54, v60, s[30:31]
	v_cndmask_b32_e64 v54, v57, v59, s[30:31]
	;; [unrolled: 1-line block ×4, first 2 shown]
	v_cmp_neq_f64_e32 vcc, v[54:55], v[25:26]
	v_cmp_class_f64_e64 s[30:31], v[54:55], s7
	s_or_b64 s[30:31], vcc, s[30:31]
	s_and_saveexec_b64 s[48:49], s[30:31]
	s_cbranch_execz .LBB5_95
; %bb.94:
	v_add_f64 v[52:53], v[54:55], -v[25:26]
	s_mov_b32 s30, 0x652b82fe
	s_mov_b32 s31, 0x3ff71547
	;; [unrolled: 1-line block ×6, first 2 shown]
	v_mov_b32_e32 v59, 0xfca7ab0c
	v_mul_f64 v[54:55], v[52:53], s[30:31]
	s_mov_b32 s30, 0x6a5dcb37
	v_mov_b32_e32 v60, 0x3e928af3
	s_mov_b32 s31, 0x3e5ade15
	s_mov_b32 s52, 0
	;; [unrolled: 1-line block ×3, first 2 shown]
	v_mov_b32_e32 v85, 0x7ff00000
	v_rndne_f64_e32 v[54:55], v[54:55]
	v_fma_f64 v[57:58], v[54:55], s[36:37], v[52:53]
	s_mov_b32 s37, 0x3fe62e42
	v_fma_f64 v[57:58], v[54:55], s[50:51], v[57:58]
	v_cvt_i32_f64_e32 v54, v[54:55]
	s_mov_b32 s51, 0x3c7abc9e
	v_fma_f64 v[59:60], v[57:58], s[30:31], v[59:60]
	s_mov_b32 s30, 0x623fde64
	s_mov_b32 s31, 0x3ec71dee
	v_fma_f64 v[59:60], v[57:58], v[59:60], s[30:31]
	s_mov_b32 s30, 0x7c89e6b0
	;; [unrolled: 3-line block ×9, first 2 shown]
	s_mov_b32 s31, 0x40900000
	v_cmp_nlt_f64_e32 vcc, s[30:31], v[52:53]
	v_cmp_ngt_f64_e64 s[30:31], s[52:53], v[52:53]
	s_mov_b32 s52, 0xbf559e2b
	s_mov_b32 s53, 0x3fc3ab76
	v_fma_f64 v[59:60], v[57:58], v[59:60], 1.0
	v_fma_f64 v[57:58], v[57:58], v[59:60], 1.0
	v_ldexp_f64 v[54:55], v[57:58], v54
	v_cndmask_b32_e32 v55, v85, v55, vcc
	s_and_b64 vcc, s[30:31], vcc
	v_cndmask_b32_e64 v53, 0, v55, s[30:31]
	v_cndmask_b32_e32 v52, 0, v54, vcc
	v_add_f64 v[54:55], v[52:53], 1.0
	s_mov_b32 s31, 0x3fe55555
	s_mov_b32 s30, 0x55555555
	v_frexp_mant_f64_e32 v[59:60], v[54:55]
	v_frexp_exp_i32_f64_e32 v63, v[54:55]
	v_add_f64 v[57:58], v[54:55], -1.0
	v_cmp_gt_f64_e32 vcc, s[30:31], v[59:60]
	s_mov_b32 s30, 0x55555780
	v_add_f64 v[61:62], v[57:58], -v[54:55]
	v_add_f64 v[57:58], v[52:53], -v[57:58]
	v_subbrev_co_u32_e32 v86, vcc, 0, v63, vcc
	v_sub_u32_e32 v63, 0, v86
	v_ldexp_f64 v[54:55], v[54:55], v63
	v_add_f64 v[59:60], v[61:62], 1.0
	v_cmp_nge_f64_e32 vcc, -1.0, v[52:53]
	v_add_f64 v[61:62], v[54:55], 1.0
	v_add_f64 v[57:58], v[57:58], v[59:60]
	v_add_f64 v[75:76], v[54:55], -1.0
	v_add_f64 v[59:60], v[61:62], -1.0
	v_ldexp_f64 v[57:58], v[57:58], v63
	v_add_f64 v[77:78], v[75:76], 1.0
	v_add_f64 v[59:60], v[54:55], -v[59:60]
	v_add_f64 v[54:55], v[54:55], -v[77:78]
	v_add_f64 v[59:60], v[57:58], v[59:60]
	v_add_f64 v[54:55], v[57:58], v[54:55]
	;; [unrolled: 1-line block ×4, first 2 shown]
	v_rcp_f64_e32 v[73:74], v[63:64]
	v_add_f64 v[61:62], v[63:64], -v[61:62]
	v_add_f64 v[75:76], v[77:78], -v[75:76]
	v_add_f64 v[59:60], v[59:60], -v[61:62]
	v_add_f64 v[54:55], v[54:55], -v[75:76]
	v_fma_f64 v[79:80], -v[63:64], v[73:74], 1.0
	v_fma_f64 v[73:74], v[79:80], v[73:74], v[73:74]
	v_fma_f64 v[57:58], -v[63:64], v[73:74], 1.0
	v_fma_f64 v[57:58], v[57:58], v[73:74], v[73:74]
	v_mul_f64 v[73:74], v[77:78], v[57:58]
	v_mul_f64 v[79:80], v[63:64], v[73:74]
	v_fma_f64 v[61:62], v[73:74], v[63:64], -v[79:80]
	v_fma_f64 v[61:62], v[73:74], v[59:60], v[61:62]
	v_add_f64 v[81:82], v[79:80], v[61:62]
	v_add_f64 v[83:84], v[77:78], -v[81:82]
	v_add_f64 v[75:76], v[81:82], -v[79:80]
	;; [unrolled: 1-line block ×5, first 2 shown]
	v_add_f64 v[54:55], v[54:55], v[77:78]
	v_add_f64 v[54:55], v[61:62], v[54:55]
	;; [unrolled: 1-line block ×3, first 2 shown]
	v_mul_f64 v[75:76], v[57:58], v[61:62]
	v_add_f64 v[81:82], v[83:84], -v[61:62]
	v_mul_f64 v[77:78], v[63:64], v[75:76]
	v_add_f64 v[54:55], v[54:55], v[81:82]
	v_fma_f64 v[63:64], v[75:76], v[63:64], -v[77:78]
	v_fma_f64 v[59:60], v[75:76], v[59:60], v[63:64]
	v_add_f64 v[63:64], v[77:78], v[59:60]
	v_add_f64 v[79:80], v[61:62], -v[63:64]
	v_add_f64 v[77:78], v[63:64], -v[77:78]
	;; [unrolled: 1-line block ×5, first 2 shown]
	v_mov_b32_e32 v63, 0x6b47b09a
	v_mov_b32_e32 v64, 0x3fc38538
	v_add_f64 v[54:55], v[54:55], v[61:62]
	v_add_f64 v[61:62], v[73:74], v[75:76]
	;; [unrolled: 1-line block ×3, first 2 shown]
	v_add_f64 v[59:60], v[61:62], -v[73:74]
	v_add_f64 v[54:55], v[79:80], v[54:55]
	v_add_f64 v[59:60], v[75:76], -v[59:60]
	v_mul_f64 v[54:55], v[57:58], v[54:55]
	v_add_f64 v[54:55], v[59:60], v[54:55]
	v_add_f64 v[57:58], v[61:62], v[54:55]
	v_mul_f64 v[59:60], v[57:58], v[57:58]
	v_fma_f64 v[63:64], v[59:60], s[52:53], v[63:64]
	s_mov_b32 s52, 0xd7f4df2e
	s_mov_b32 s53, 0x3fc7474d
	v_mul_f64 v[73:74], v[57:58], v[59:60]
	v_fma_f64 v[63:64], v[59:60], v[63:64], s[52:53]
	s_mov_b32 s52, 0x16291751
	s_mov_b32 s53, 0x3fcc71c0
	v_fma_f64 v[63:64], v[59:60], v[63:64], s[52:53]
	s_mov_b32 s52, 0x9b27acf1
	s_mov_b32 s53, 0x3fd24924
	;; [unrolled: 3-line block ×3, first 2 shown]
	v_fma_f64 v[63:64], v[59:60], v[63:64], s[52:53]
	v_fma_f64 v[59:60], v[59:60], v[63:64], s[30:31]
	v_ldexp_f64 v[63:64], v[57:58], 1
	v_add_f64 v[57:58], v[57:58], -v[61:62]
	s_mov_b32 s30, 0
	s_mov_b32 s31, 0x7ff00000
	v_cmp_neq_f64_e64 s[30:31], s[30:31], v[52:53]
	v_mul_f64 v[59:60], v[73:74], v[59:60]
	v_cvt_f64_i32_e32 v[73:74], v86
	v_add_f64 v[54:55], v[54:55], -v[57:58]
	v_mul_f64 v[75:76], v[73:74], s[36:37]
	s_and_b64 vcc, vcc, s[30:31]
	v_add_f64 v[61:62], v[63:64], v[59:60]
	v_ldexp_f64 v[54:55], v[54:55], 1
	v_add_f64 v[57:58], v[61:62], -v[63:64]
	v_fma_f64 v[63:64], v[73:74], s[36:37], -v[75:76]
	v_add_f64 v[57:58], v[59:60], -v[57:58]
	v_fma_f64 v[59:60], v[73:74], s[50:51], v[63:64]
	v_add_f64 v[54:55], v[54:55], v[57:58]
	v_add_f64 v[57:58], v[75:76], v[59:60]
	;; [unrolled: 1-line block ×3, first 2 shown]
	v_add_f64 v[75:76], v[57:58], -v[75:76]
	v_add_f64 v[73:74], v[57:58], v[63:64]
	v_add_f64 v[61:62], v[63:64], -v[61:62]
	v_add_f64 v[59:60], v[59:60], -v[75:76]
	;; [unrolled: 1-line block ×6, first 2 shown]
	v_add_f64 v[63:64], v[59:60], v[54:55]
	v_add_f64 v[57:58], v[57:58], -v[79:80]
	v_add_f64 v[57:58], v[61:62], v[57:58]
	v_add_f64 v[61:62], v[63:64], -v[59:60]
	;; [unrolled: 2-line block ×3, first 2 shown]
	v_add_f64 v[54:55], v[54:55], -v[61:62]
	v_add_f64 v[75:76], v[73:74], v[57:58]
	v_add_f64 v[59:60], v[59:60], -v[63:64]
	v_add_f64 v[61:62], v[75:76], -v[73:74]
	v_add_f64 v[54:55], v[54:55], v[59:60]
	v_add_f64 v[57:58], v[57:58], -v[61:62]
	v_add_f64 v[54:55], v[54:55], v[57:58]
	v_mov_b32_e32 v57, 0x7ff80000
	v_mov_b32_e32 v58, 0xfff00000
	v_add_f64 v[54:55], v[75:76], v[54:55]
	v_cndmask_b32_e32 v54, 0, v54, vcc
	v_cmp_ngt_f64_e32 vcc, -1.0, v[52:53]
	v_cndmask_b32_e64 v55, v85, v55, s[30:31]
	v_cndmask_b32_e32 v55, v57, v55, vcc
	v_cmp_neq_f64_e32 vcc, -1.0, v[52:53]
	v_cndmask_b32_e32 v55, v58, v55, vcc
	v_add_f64 v[52:53], v[25:26], v[54:55]
.LBB5_95:
	s_or_b64 exec, exec, s[48:49]
	v_mov_b32_e32 v60, v53
	v_mov_b32_e32 v25, v52
	;; [unrolled: 1-line block ×4, first 2 shown]
.LBB5_96:
	s_or_b64 exec, exec, s[46:47]
	v_cmp_gt_u32_e32 vcc, 56, v67
	s_waitcnt lgkmcnt(1)
	v_cndmask_b32_e64 v52, 0, 8, vcc
	v_add_lshl_u32 v73, v52, v56, 2
	ds_bpermute_b32 v52, v73, v25
	s_waitcnt lgkmcnt(1)
	ds_bpermute_b32 v53, v73, v26
	v_add_u32_e32 v74, 8, v67
	v_cmp_le_u32_e32 vcc, v74, v28
	s_and_saveexec_b64 s[46:47], vcc
	s_cbranch_execz .LBB5_100
; %bb.97:
	s_waitcnt lgkmcnt(0)
	v_max_f64 v[25:26], v[52:53], v[52:53]
	v_max_f64 v[54:55], v[59:60], v[59:60]
	v_cmp_u_f64_e32 vcc, v[52:53], v[52:53]
	v_cmp_u_f64_e64 s[30:31], v[59:60], v[59:60]
	s_movk_i32 s7, 0x1f8
	v_min_f64 v[57:58], v[25:26], v[54:55]
	v_max_f64 v[25:26], v[25:26], v[54:55]
	v_cndmask_b32_e32 v54, v58, v53, vcc
	v_cndmask_b32_e32 v57, v57, v52, vcc
	;; [unrolled: 1-line block ×4, first 2 shown]
	v_cndmask_b32_e64 v55, v54, v60, s[30:31]
	v_cndmask_b32_e64 v54, v57, v59, s[30:31]
	;; [unrolled: 1-line block ×4, first 2 shown]
	v_cmp_neq_f64_e32 vcc, v[54:55], v[25:26]
	v_cmp_class_f64_e64 s[30:31], v[54:55], s7
	s_or_b64 s[30:31], vcc, s[30:31]
	s_and_saveexec_b64 s[48:49], s[30:31]
	s_cbranch_execz .LBB5_99
; %bb.98:
	v_add_f64 v[52:53], v[54:55], -v[25:26]
	s_mov_b32 s30, 0x652b82fe
	s_mov_b32 s31, 0x3ff71547
	;; [unrolled: 1-line block ×6, first 2 shown]
	v_mov_b32_e32 v59, 0xfca7ab0c
	v_mul_f64 v[54:55], v[52:53], s[30:31]
	s_mov_b32 s30, 0x6a5dcb37
	v_mov_b32_e32 v60, 0x3e928af3
	s_mov_b32 s31, 0x3e5ade15
	s_mov_b32 s52, 0
	;; [unrolled: 1-line block ×3, first 2 shown]
	v_mov_b32_e32 v87, 0x7ff00000
	v_rndne_f64_e32 v[54:55], v[54:55]
	v_fma_f64 v[57:58], v[54:55], s[36:37], v[52:53]
	s_mov_b32 s37, 0x3fe62e42
	v_fma_f64 v[57:58], v[54:55], s[50:51], v[57:58]
	v_cvt_i32_f64_e32 v54, v[54:55]
	s_mov_b32 s51, 0x3c7abc9e
	v_fma_f64 v[59:60], v[57:58], s[30:31], v[59:60]
	s_mov_b32 s30, 0x623fde64
	s_mov_b32 s31, 0x3ec71dee
	v_fma_f64 v[59:60], v[57:58], v[59:60], s[30:31]
	s_mov_b32 s30, 0x7c89e6b0
	;; [unrolled: 3-line block ×9, first 2 shown]
	s_mov_b32 s31, 0x40900000
	v_cmp_nlt_f64_e32 vcc, s[30:31], v[52:53]
	v_cmp_ngt_f64_e64 s[30:31], s[52:53], v[52:53]
	s_mov_b32 s52, 0xbf559e2b
	s_mov_b32 s53, 0x3fc3ab76
	v_fma_f64 v[59:60], v[57:58], v[59:60], 1.0
	v_fma_f64 v[57:58], v[57:58], v[59:60], 1.0
	v_ldexp_f64 v[54:55], v[57:58], v54
	v_cndmask_b32_e32 v55, v87, v55, vcc
	s_and_b64 vcc, s[30:31], vcc
	v_cndmask_b32_e64 v53, 0, v55, s[30:31]
	v_cndmask_b32_e32 v52, 0, v54, vcc
	v_add_f64 v[54:55], v[52:53], 1.0
	s_mov_b32 s31, 0x3fe55555
	s_mov_b32 s30, 0x55555555
	v_frexp_mant_f64_e32 v[59:60], v[54:55]
	v_frexp_exp_i32_f64_e32 v63, v[54:55]
	v_add_f64 v[57:58], v[54:55], -1.0
	v_cmp_gt_f64_e32 vcc, s[30:31], v[59:60]
	s_mov_b32 s30, 0x55555780
	v_add_f64 v[61:62], v[57:58], -v[54:55]
	v_add_f64 v[57:58], v[52:53], -v[57:58]
	v_subbrev_co_u32_e32 v88, vcc, 0, v63, vcc
	v_sub_u32_e32 v63, 0, v88
	v_ldexp_f64 v[54:55], v[54:55], v63
	v_add_f64 v[59:60], v[61:62], 1.0
	v_cmp_nge_f64_e32 vcc, -1.0, v[52:53]
	v_add_f64 v[61:62], v[54:55], 1.0
	v_add_f64 v[57:58], v[57:58], v[59:60]
	v_add_f64 v[77:78], v[54:55], -1.0
	v_add_f64 v[59:60], v[61:62], -1.0
	v_ldexp_f64 v[57:58], v[57:58], v63
	v_add_f64 v[79:80], v[77:78], 1.0
	v_add_f64 v[59:60], v[54:55], -v[59:60]
	v_add_f64 v[54:55], v[54:55], -v[79:80]
	v_add_f64 v[59:60], v[57:58], v[59:60]
	v_add_f64 v[54:55], v[57:58], v[54:55]
	;; [unrolled: 1-line block ×4, first 2 shown]
	v_rcp_f64_e32 v[75:76], v[63:64]
	v_add_f64 v[61:62], v[63:64], -v[61:62]
	v_add_f64 v[77:78], v[79:80], -v[77:78]
	;; [unrolled: 1-line block ×4, first 2 shown]
	v_fma_f64 v[81:82], -v[63:64], v[75:76], 1.0
	v_fma_f64 v[75:76], v[81:82], v[75:76], v[75:76]
	v_fma_f64 v[57:58], -v[63:64], v[75:76], 1.0
	v_fma_f64 v[57:58], v[57:58], v[75:76], v[75:76]
	v_mul_f64 v[75:76], v[79:80], v[57:58]
	v_mul_f64 v[81:82], v[63:64], v[75:76]
	v_fma_f64 v[61:62], v[75:76], v[63:64], -v[81:82]
	v_fma_f64 v[61:62], v[75:76], v[59:60], v[61:62]
	v_add_f64 v[83:84], v[81:82], v[61:62]
	v_add_f64 v[85:86], v[79:80], -v[83:84]
	v_add_f64 v[77:78], v[83:84], -v[81:82]
	;; [unrolled: 1-line block ×5, first 2 shown]
	v_add_f64 v[54:55], v[54:55], v[79:80]
	v_add_f64 v[54:55], v[61:62], v[54:55]
	;; [unrolled: 1-line block ×3, first 2 shown]
	v_mul_f64 v[77:78], v[57:58], v[61:62]
	v_add_f64 v[83:84], v[85:86], -v[61:62]
	v_mul_f64 v[79:80], v[63:64], v[77:78]
	v_add_f64 v[54:55], v[54:55], v[83:84]
	v_fma_f64 v[63:64], v[77:78], v[63:64], -v[79:80]
	v_fma_f64 v[59:60], v[77:78], v[59:60], v[63:64]
	v_add_f64 v[63:64], v[79:80], v[59:60]
	v_add_f64 v[81:82], v[61:62], -v[63:64]
	v_add_f64 v[79:80], v[63:64], -v[79:80]
	;; [unrolled: 1-line block ×5, first 2 shown]
	v_mov_b32_e32 v63, 0x6b47b09a
	v_mov_b32_e32 v64, 0x3fc38538
	v_add_f64 v[54:55], v[54:55], v[61:62]
	v_add_f64 v[61:62], v[75:76], v[77:78]
	;; [unrolled: 1-line block ×3, first 2 shown]
	v_add_f64 v[59:60], v[61:62], -v[75:76]
	v_add_f64 v[54:55], v[81:82], v[54:55]
	v_add_f64 v[59:60], v[77:78], -v[59:60]
	v_mul_f64 v[54:55], v[57:58], v[54:55]
	v_add_f64 v[54:55], v[59:60], v[54:55]
	v_add_f64 v[57:58], v[61:62], v[54:55]
	v_mul_f64 v[59:60], v[57:58], v[57:58]
	v_fma_f64 v[63:64], v[59:60], s[52:53], v[63:64]
	s_mov_b32 s52, 0xd7f4df2e
	s_mov_b32 s53, 0x3fc7474d
	v_mul_f64 v[75:76], v[57:58], v[59:60]
	v_fma_f64 v[63:64], v[59:60], v[63:64], s[52:53]
	s_mov_b32 s52, 0x16291751
	s_mov_b32 s53, 0x3fcc71c0
	v_fma_f64 v[63:64], v[59:60], v[63:64], s[52:53]
	s_mov_b32 s52, 0x9b27acf1
	s_mov_b32 s53, 0x3fd24924
	;; [unrolled: 3-line block ×3, first 2 shown]
	v_fma_f64 v[63:64], v[59:60], v[63:64], s[52:53]
	v_fma_f64 v[59:60], v[59:60], v[63:64], s[30:31]
	v_ldexp_f64 v[63:64], v[57:58], 1
	v_add_f64 v[57:58], v[57:58], -v[61:62]
	s_mov_b32 s30, 0
	s_mov_b32 s31, 0x7ff00000
	v_cmp_neq_f64_e64 s[30:31], s[30:31], v[52:53]
	v_mul_f64 v[59:60], v[75:76], v[59:60]
	v_cvt_f64_i32_e32 v[75:76], v88
	v_add_f64 v[54:55], v[54:55], -v[57:58]
	v_mul_f64 v[77:78], v[75:76], s[36:37]
	s_and_b64 vcc, vcc, s[30:31]
	v_add_f64 v[61:62], v[63:64], v[59:60]
	v_ldexp_f64 v[54:55], v[54:55], 1
	v_add_f64 v[57:58], v[61:62], -v[63:64]
	v_fma_f64 v[63:64], v[75:76], s[36:37], -v[77:78]
	v_add_f64 v[57:58], v[59:60], -v[57:58]
	v_fma_f64 v[59:60], v[75:76], s[50:51], v[63:64]
	v_add_f64 v[54:55], v[54:55], v[57:58]
	v_add_f64 v[57:58], v[77:78], v[59:60]
	;; [unrolled: 1-line block ×3, first 2 shown]
	v_add_f64 v[77:78], v[57:58], -v[77:78]
	v_add_f64 v[75:76], v[57:58], v[63:64]
	v_add_f64 v[61:62], v[63:64], -v[61:62]
	v_add_f64 v[59:60], v[59:60], -v[77:78]
	;; [unrolled: 1-line block ×6, first 2 shown]
	v_add_f64 v[63:64], v[59:60], v[54:55]
	v_add_f64 v[57:58], v[57:58], -v[81:82]
	v_add_f64 v[57:58], v[61:62], v[57:58]
	v_add_f64 v[61:62], v[63:64], -v[59:60]
	;; [unrolled: 2-line block ×3, first 2 shown]
	v_add_f64 v[54:55], v[54:55], -v[61:62]
	v_add_f64 v[77:78], v[75:76], v[57:58]
	v_add_f64 v[59:60], v[59:60], -v[63:64]
	v_add_f64 v[61:62], v[77:78], -v[75:76]
	v_add_f64 v[54:55], v[54:55], v[59:60]
	v_add_f64 v[57:58], v[57:58], -v[61:62]
	v_add_f64 v[54:55], v[54:55], v[57:58]
	v_mov_b32_e32 v57, 0x7ff80000
	v_mov_b32_e32 v58, 0xfff00000
	v_add_f64 v[54:55], v[77:78], v[54:55]
	v_cndmask_b32_e32 v54, 0, v54, vcc
	v_cmp_ngt_f64_e32 vcc, -1.0, v[52:53]
	v_cndmask_b32_e64 v55, v87, v55, s[30:31]
	v_cndmask_b32_e32 v55, v57, v55, vcc
	v_cmp_neq_f64_e32 vcc, -1.0, v[52:53]
	v_cndmask_b32_e32 v55, v58, v55, vcc
	v_add_f64 v[52:53], v[25:26], v[54:55]
.LBB5_99:
	s_or_b64 exec, exec, s[48:49]
	v_mov_b32_e32 v60, v53
	v_mov_b32_e32 v25, v52
	;; [unrolled: 1-line block ×4, first 2 shown]
.LBB5_100:
	s_or_b64 exec, exec, s[46:47]
	v_cmp_gt_u32_e32 vcc, 48, v67
	s_waitcnt lgkmcnt(1)
	v_cndmask_b32_e64 v52, 0, 16, vcc
	v_add_lshl_u32 v75, v52, v56, 2
	ds_bpermute_b32 v52, v75, v25
	s_waitcnt lgkmcnt(1)
	ds_bpermute_b32 v53, v75, v26
	v_add_u32_e32 v76, 16, v67
	v_cmp_le_u32_e32 vcc, v76, v28
	s_and_saveexec_b64 s[46:47], vcc
	s_cbranch_execz .LBB5_104
; %bb.101:
	s_waitcnt lgkmcnt(0)
	v_max_f64 v[25:26], v[52:53], v[52:53]
	v_max_f64 v[54:55], v[59:60], v[59:60]
	v_cmp_u_f64_e32 vcc, v[52:53], v[52:53]
	v_cmp_u_f64_e64 s[30:31], v[59:60], v[59:60]
	s_movk_i32 s7, 0x1f8
	v_min_f64 v[57:58], v[25:26], v[54:55]
	v_max_f64 v[25:26], v[25:26], v[54:55]
	v_cndmask_b32_e32 v54, v58, v53, vcc
	v_cndmask_b32_e32 v57, v57, v52, vcc
	;; [unrolled: 1-line block ×4, first 2 shown]
	v_cndmask_b32_e64 v55, v54, v60, s[30:31]
	v_cndmask_b32_e64 v54, v57, v59, s[30:31]
	v_cndmask_b32_e64 v26, v26, v60, s[30:31]
	v_cndmask_b32_e64 v25, v25, v59, s[30:31]
	v_cmp_neq_f64_e32 vcc, v[54:55], v[25:26]
	v_cmp_class_f64_e64 s[30:31], v[54:55], s7
	s_or_b64 s[30:31], vcc, s[30:31]
	s_and_saveexec_b64 s[48:49], s[30:31]
	s_cbranch_execz .LBB5_103
; %bb.102:
	v_add_f64 v[52:53], v[54:55], -v[25:26]
	s_mov_b32 s30, 0x652b82fe
	s_mov_b32 s31, 0x3ff71547
	;; [unrolled: 1-line block ×6, first 2 shown]
	v_mov_b32_e32 v59, 0xfca7ab0c
	v_mul_f64 v[54:55], v[52:53], s[30:31]
	s_mov_b32 s30, 0x6a5dcb37
	v_mov_b32_e32 v60, 0x3e928af3
	s_mov_b32 s31, 0x3e5ade15
	s_mov_b32 s52, 0
	;; [unrolled: 1-line block ×3, first 2 shown]
	v_mov_b32_e32 v89, 0x7ff00000
	v_rndne_f64_e32 v[54:55], v[54:55]
	v_fma_f64 v[57:58], v[54:55], s[36:37], v[52:53]
	s_mov_b32 s37, 0x3fe62e42
	v_fma_f64 v[57:58], v[54:55], s[50:51], v[57:58]
	v_cvt_i32_f64_e32 v54, v[54:55]
	s_mov_b32 s51, 0x3c7abc9e
	v_fma_f64 v[59:60], v[57:58], s[30:31], v[59:60]
	s_mov_b32 s30, 0x623fde64
	s_mov_b32 s31, 0x3ec71dee
	v_fma_f64 v[59:60], v[57:58], v[59:60], s[30:31]
	s_mov_b32 s30, 0x7c89e6b0
	;; [unrolled: 3-line block ×9, first 2 shown]
	s_mov_b32 s31, 0x40900000
	v_cmp_nlt_f64_e32 vcc, s[30:31], v[52:53]
	v_cmp_ngt_f64_e64 s[30:31], s[52:53], v[52:53]
	s_mov_b32 s52, 0xbf559e2b
	s_mov_b32 s53, 0x3fc3ab76
	v_fma_f64 v[59:60], v[57:58], v[59:60], 1.0
	v_fma_f64 v[57:58], v[57:58], v[59:60], 1.0
	v_ldexp_f64 v[54:55], v[57:58], v54
	v_cndmask_b32_e32 v55, v89, v55, vcc
	s_and_b64 vcc, s[30:31], vcc
	v_cndmask_b32_e64 v53, 0, v55, s[30:31]
	v_cndmask_b32_e32 v52, 0, v54, vcc
	v_add_f64 v[54:55], v[52:53], 1.0
	s_mov_b32 s31, 0x3fe55555
	s_mov_b32 s30, 0x55555555
	v_frexp_mant_f64_e32 v[59:60], v[54:55]
	v_frexp_exp_i32_f64_e32 v63, v[54:55]
	v_add_f64 v[57:58], v[54:55], -1.0
	v_cmp_gt_f64_e32 vcc, s[30:31], v[59:60]
	s_mov_b32 s30, 0x55555780
	v_add_f64 v[61:62], v[57:58], -v[54:55]
	v_add_f64 v[57:58], v[52:53], -v[57:58]
	v_subbrev_co_u32_e32 v90, vcc, 0, v63, vcc
	v_sub_u32_e32 v63, 0, v90
	v_ldexp_f64 v[54:55], v[54:55], v63
	v_add_f64 v[59:60], v[61:62], 1.0
	v_cmp_nge_f64_e32 vcc, -1.0, v[52:53]
	v_add_f64 v[61:62], v[54:55], 1.0
	v_add_f64 v[57:58], v[57:58], v[59:60]
	v_add_f64 v[79:80], v[54:55], -1.0
	v_add_f64 v[59:60], v[61:62], -1.0
	v_ldexp_f64 v[57:58], v[57:58], v63
	v_add_f64 v[81:82], v[79:80], 1.0
	v_add_f64 v[59:60], v[54:55], -v[59:60]
	v_add_f64 v[54:55], v[54:55], -v[81:82]
	v_add_f64 v[59:60], v[57:58], v[59:60]
	v_add_f64 v[54:55], v[57:58], v[54:55]
	;; [unrolled: 1-line block ×4, first 2 shown]
	v_rcp_f64_e32 v[77:78], v[63:64]
	v_add_f64 v[61:62], v[63:64], -v[61:62]
	v_add_f64 v[79:80], v[81:82], -v[79:80]
	;; [unrolled: 1-line block ×4, first 2 shown]
	v_fma_f64 v[83:84], -v[63:64], v[77:78], 1.0
	v_fma_f64 v[77:78], v[83:84], v[77:78], v[77:78]
	v_fma_f64 v[57:58], -v[63:64], v[77:78], 1.0
	v_fma_f64 v[57:58], v[57:58], v[77:78], v[77:78]
	v_mul_f64 v[77:78], v[81:82], v[57:58]
	v_mul_f64 v[83:84], v[63:64], v[77:78]
	v_fma_f64 v[61:62], v[77:78], v[63:64], -v[83:84]
	v_fma_f64 v[61:62], v[77:78], v[59:60], v[61:62]
	v_add_f64 v[85:86], v[83:84], v[61:62]
	v_add_f64 v[87:88], v[81:82], -v[85:86]
	v_add_f64 v[79:80], v[85:86], -v[83:84]
	;; [unrolled: 1-line block ×5, first 2 shown]
	v_add_f64 v[54:55], v[54:55], v[81:82]
	v_add_f64 v[54:55], v[61:62], v[54:55]
	;; [unrolled: 1-line block ×3, first 2 shown]
	v_mul_f64 v[79:80], v[57:58], v[61:62]
	v_add_f64 v[85:86], v[87:88], -v[61:62]
	v_mul_f64 v[81:82], v[63:64], v[79:80]
	v_add_f64 v[54:55], v[54:55], v[85:86]
	v_fma_f64 v[63:64], v[79:80], v[63:64], -v[81:82]
	v_fma_f64 v[59:60], v[79:80], v[59:60], v[63:64]
	v_add_f64 v[63:64], v[81:82], v[59:60]
	v_add_f64 v[83:84], v[61:62], -v[63:64]
	v_add_f64 v[81:82], v[63:64], -v[81:82]
	;; [unrolled: 1-line block ×5, first 2 shown]
	v_mov_b32_e32 v63, 0x6b47b09a
	v_mov_b32_e32 v64, 0x3fc38538
	v_add_f64 v[54:55], v[54:55], v[61:62]
	v_add_f64 v[61:62], v[77:78], v[79:80]
	;; [unrolled: 1-line block ×3, first 2 shown]
	v_add_f64 v[59:60], v[61:62], -v[77:78]
	v_add_f64 v[54:55], v[83:84], v[54:55]
	v_add_f64 v[59:60], v[79:80], -v[59:60]
	v_mul_f64 v[54:55], v[57:58], v[54:55]
	v_add_f64 v[54:55], v[59:60], v[54:55]
	v_add_f64 v[57:58], v[61:62], v[54:55]
	v_mul_f64 v[59:60], v[57:58], v[57:58]
	v_fma_f64 v[63:64], v[59:60], s[52:53], v[63:64]
	s_mov_b32 s52, 0xd7f4df2e
	s_mov_b32 s53, 0x3fc7474d
	v_mul_f64 v[77:78], v[57:58], v[59:60]
	v_fma_f64 v[63:64], v[59:60], v[63:64], s[52:53]
	s_mov_b32 s52, 0x16291751
	s_mov_b32 s53, 0x3fcc71c0
	v_fma_f64 v[63:64], v[59:60], v[63:64], s[52:53]
	s_mov_b32 s52, 0x9b27acf1
	s_mov_b32 s53, 0x3fd24924
	;; [unrolled: 3-line block ×3, first 2 shown]
	v_fma_f64 v[63:64], v[59:60], v[63:64], s[52:53]
	v_fma_f64 v[59:60], v[59:60], v[63:64], s[30:31]
	v_ldexp_f64 v[63:64], v[57:58], 1
	v_add_f64 v[57:58], v[57:58], -v[61:62]
	s_mov_b32 s30, 0
	s_mov_b32 s31, 0x7ff00000
	v_cmp_neq_f64_e64 s[30:31], s[30:31], v[52:53]
	v_mul_f64 v[59:60], v[77:78], v[59:60]
	v_cvt_f64_i32_e32 v[77:78], v90
	v_add_f64 v[54:55], v[54:55], -v[57:58]
	v_mul_f64 v[79:80], v[77:78], s[36:37]
	s_and_b64 vcc, vcc, s[30:31]
	v_add_f64 v[61:62], v[63:64], v[59:60]
	v_ldexp_f64 v[54:55], v[54:55], 1
	v_add_f64 v[57:58], v[61:62], -v[63:64]
	v_fma_f64 v[63:64], v[77:78], s[36:37], -v[79:80]
	v_add_f64 v[57:58], v[59:60], -v[57:58]
	v_fma_f64 v[59:60], v[77:78], s[50:51], v[63:64]
	v_add_f64 v[54:55], v[54:55], v[57:58]
	v_add_f64 v[57:58], v[79:80], v[59:60]
	;; [unrolled: 1-line block ×3, first 2 shown]
	v_add_f64 v[79:80], v[57:58], -v[79:80]
	v_add_f64 v[77:78], v[57:58], v[63:64]
	v_add_f64 v[61:62], v[63:64], -v[61:62]
	v_add_f64 v[59:60], v[59:60], -v[79:80]
	;; [unrolled: 1-line block ×6, first 2 shown]
	v_add_f64 v[63:64], v[59:60], v[54:55]
	v_add_f64 v[57:58], v[57:58], -v[83:84]
	v_add_f64 v[57:58], v[61:62], v[57:58]
	v_add_f64 v[61:62], v[63:64], -v[59:60]
	;; [unrolled: 2-line block ×3, first 2 shown]
	v_add_f64 v[54:55], v[54:55], -v[61:62]
	v_add_f64 v[79:80], v[77:78], v[57:58]
	v_add_f64 v[59:60], v[59:60], -v[63:64]
	v_add_f64 v[61:62], v[79:80], -v[77:78]
	v_add_f64 v[54:55], v[54:55], v[59:60]
	v_add_f64 v[57:58], v[57:58], -v[61:62]
	v_add_f64 v[54:55], v[54:55], v[57:58]
	v_mov_b32_e32 v57, 0x7ff80000
	v_mov_b32_e32 v58, 0xfff00000
	v_add_f64 v[54:55], v[79:80], v[54:55]
	v_cndmask_b32_e32 v54, 0, v54, vcc
	v_cmp_ngt_f64_e32 vcc, -1.0, v[52:53]
	v_cndmask_b32_e64 v55, v89, v55, s[30:31]
	v_cndmask_b32_e32 v55, v57, v55, vcc
	v_cmp_neq_f64_e32 vcc, -1.0, v[52:53]
	v_cndmask_b32_e32 v55, v58, v55, vcc
	v_add_f64 v[52:53], v[25:26], v[54:55]
.LBB5_103:
	s_or_b64 exec, exec, s[48:49]
	v_mov_b32_e32 v60, v53
	v_mov_b32_e32 v25, v52
	v_mov_b32_e32 v26, v53
	v_mov_b32_e32 v59, v52
.LBB5_104:
	s_or_b64 exec, exec, s[46:47]
	s_waitcnt lgkmcnt(1)
	v_mov_b32_e32 v52, 0x80
	v_lshl_or_b32 v77, v56, 2, v52
	ds_bpermute_b32 v52, v77, v25
	s_waitcnt lgkmcnt(1)
	ds_bpermute_b32 v53, v77, v26
	v_add_u32_e32 v78, 32, v67
	v_cmp_le_u32_e32 vcc, v78, v28
	s_and_saveexec_b64 s[46:47], vcc
	s_cbranch_execz .LBB5_108
; %bb.105:
	s_waitcnt lgkmcnt(0)
	v_max_f64 v[25:26], v[52:53], v[52:53]
	v_max_f64 v[54:55], v[59:60], v[59:60]
	v_cmp_u_f64_e32 vcc, v[52:53], v[52:53]
	v_cmp_u_f64_e64 s[30:31], v[59:60], v[59:60]
	s_movk_i32 s7, 0x1f8
	v_min_f64 v[56:57], v[25:26], v[54:55]
	v_max_f64 v[25:26], v[25:26], v[54:55]
	v_cndmask_b32_e32 v28, v57, v53, vcc
	v_cndmask_b32_e32 v54, v56, v52, vcc
	;; [unrolled: 1-line block ×4, first 2 shown]
	v_cndmask_b32_e64 v55, v28, v60, s[30:31]
	v_cndmask_b32_e64 v54, v54, v59, s[30:31]
	;; [unrolled: 1-line block ×4, first 2 shown]
	v_cmp_neq_f64_e32 vcc, v[54:55], v[25:26]
	v_cmp_class_f64_e64 s[30:31], v[54:55], s7
	s_or_b64 s[30:31], vcc, s[30:31]
	s_and_saveexec_b64 s[48:49], s[30:31]
	s_cbranch_execz .LBB5_107
; %bb.106:
	v_add_f64 v[52:53], v[54:55], -v[25:26]
	s_mov_b32 s30, 0x652b82fe
	s_mov_b32 s31, 0x3ff71547
	;; [unrolled: 1-line block ×6, first 2 shown]
	v_mov_b32_e32 v58, 0xfca7ab0c
	v_mul_f64 v[54:55], v[52:53], s[30:31]
	s_mov_b32 s30, 0x6a5dcb37
	v_mov_b32_e32 v59, 0x3e928af3
	s_mov_b32 s31, 0x3e5ade15
	s_mov_b32 s52, 0
	;; [unrolled: 1-line block ×3, first 2 shown]
	v_rndne_f64_e32 v[54:55], v[54:55]
	v_fma_f64 v[56:57], v[54:55], s[36:37], v[52:53]
	v_cvt_i32_f64_e32 v28, v[54:55]
	s_mov_b32 s37, 0x3fe62e42
	v_fma_f64 v[56:57], v[54:55], s[50:51], v[56:57]
	s_mov_b32 s51, 0x3c7abc9e
	v_fma_f64 v[58:59], v[56:57], s[30:31], v[58:59]
	s_mov_b32 s30, 0x623fde64
	s_mov_b32 s31, 0x3ec71dee
	v_fma_f64 v[58:59], v[56:57], v[58:59], s[30:31]
	s_mov_b32 s30, 0x7c89e6b0
	;; [unrolled: 3-line block ×9, first 2 shown]
	s_mov_b32 s31, 0x40900000
	v_cmp_nlt_f64_e32 vcc, s[30:31], v[52:53]
	v_cmp_ngt_f64_e64 s[30:31], s[52:53], v[52:53]
	s_mov_b32 s52, 0xbf559e2b
	s_mov_b32 s53, 0x3fc3ab76
	v_fma_f64 v[58:59], v[56:57], v[58:59], 1.0
	v_fma_f64 v[56:57], v[56:57], v[58:59], 1.0
	v_ldexp_f64 v[54:55], v[56:57], v28
	v_mov_b32_e32 v28, 0x7ff00000
	v_cndmask_b32_e32 v55, v28, v55, vcc
	s_and_b64 vcc, s[30:31], vcc
	v_cndmask_b32_e64 v53, 0, v55, s[30:31]
	v_cndmask_b32_e32 v52, 0, v54, vcc
	v_add_f64 v[54:55], v[52:53], 1.0
	s_mov_b32 s31, 0x3fe55555
	s_mov_b32 s30, 0x55555555
	v_frexp_mant_f64_e32 v[58:59], v[54:55]
	v_frexp_exp_i32_f64_e32 v62, v[54:55]
	v_add_f64 v[56:57], v[54:55], -1.0
	v_cmp_gt_f64_e32 vcc, s[30:31], v[58:59]
	s_mov_b32 s30, 0x55555780
	v_add_f64 v[60:61], v[56:57], -v[54:55]
	v_add_f64 v[56:57], v[52:53], -v[56:57]
	v_subbrev_co_u32_e32 v64, vcc, 0, v62, vcc
	v_sub_u32_e32 v62, 0, v64
	v_ldexp_f64 v[54:55], v[54:55], v62
	v_add_f64 v[58:59], v[60:61], 1.0
	v_cmp_nge_f64_e32 vcc, -1.0, v[52:53]
	v_add_f64 v[60:61], v[54:55], 1.0
	v_add_f64 v[56:57], v[56:57], v[58:59]
	v_add_f64 v[81:82], v[54:55], -1.0
	v_add_f64 v[58:59], v[60:61], -1.0
	v_ldexp_f64 v[56:57], v[56:57], v62
	v_add_f64 v[83:84], v[81:82], 1.0
	v_add_f64 v[58:59], v[54:55], -v[58:59]
	v_add_f64 v[54:55], v[54:55], -v[83:84]
	v_add_f64 v[58:59], v[56:57], v[58:59]
	v_add_f64 v[54:55], v[56:57], v[54:55]
	;; [unrolled: 1-line block ×4, first 2 shown]
	v_rcp_f64_e32 v[79:80], v[62:63]
	v_add_f64 v[60:61], v[62:63], -v[60:61]
	v_add_f64 v[81:82], v[83:84], -v[81:82]
	;; [unrolled: 1-line block ×4, first 2 shown]
	v_fma_f64 v[85:86], -v[62:63], v[79:80], 1.0
	v_fma_f64 v[79:80], v[85:86], v[79:80], v[79:80]
	v_fma_f64 v[56:57], -v[62:63], v[79:80], 1.0
	v_fma_f64 v[56:57], v[56:57], v[79:80], v[79:80]
	v_mul_f64 v[79:80], v[83:84], v[56:57]
	v_mul_f64 v[85:86], v[62:63], v[79:80]
	v_fma_f64 v[60:61], v[79:80], v[62:63], -v[85:86]
	v_fma_f64 v[60:61], v[79:80], v[58:59], v[60:61]
	v_add_f64 v[87:88], v[85:86], v[60:61]
	v_add_f64 v[89:90], v[83:84], -v[87:88]
	v_add_f64 v[81:82], v[87:88], -v[85:86]
	;; [unrolled: 1-line block ×5, first 2 shown]
	v_add_f64 v[54:55], v[54:55], v[83:84]
	v_add_f64 v[54:55], v[60:61], v[54:55]
	;; [unrolled: 1-line block ×3, first 2 shown]
	v_mul_f64 v[81:82], v[56:57], v[60:61]
	v_add_f64 v[87:88], v[89:90], -v[60:61]
	v_mul_f64 v[83:84], v[62:63], v[81:82]
	v_add_f64 v[54:55], v[54:55], v[87:88]
	v_fma_f64 v[62:63], v[81:82], v[62:63], -v[83:84]
	v_fma_f64 v[58:59], v[81:82], v[58:59], v[62:63]
	v_add_f64 v[62:63], v[83:84], v[58:59]
	v_add_f64 v[85:86], v[60:61], -v[62:63]
	v_add_f64 v[83:84], v[62:63], -v[83:84]
	;; [unrolled: 1-line block ×5, first 2 shown]
	v_mov_b32_e32 v62, 0x6b47b09a
	v_mov_b32_e32 v63, 0x3fc38538
	v_add_f64 v[54:55], v[54:55], v[60:61]
	v_add_f64 v[60:61], v[79:80], v[81:82]
	v_add_f64 v[54:55], v[58:59], v[54:55]
	v_add_f64 v[58:59], v[60:61], -v[79:80]
	v_add_f64 v[54:55], v[85:86], v[54:55]
	v_add_f64 v[58:59], v[81:82], -v[58:59]
	v_mul_f64 v[54:55], v[56:57], v[54:55]
	v_add_f64 v[54:55], v[58:59], v[54:55]
	v_add_f64 v[56:57], v[60:61], v[54:55]
	v_mul_f64 v[58:59], v[56:57], v[56:57]
	v_fma_f64 v[62:63], v[58:59], s[52:53], v[62:63]
	s_mov_b32 s52, 0xd7f4df2e
	s_mov_b32 s53, 0x3fc7474d
	v_mul_f64 v[79:80], v[56:57], v[58:59]
	v_fma_f64 v[62:63], v[58:59], v[62:63], s[52:53]
	s_mov_b32 s52, 0x16291751
	s_mov_b32 s53, 0x3fcc71c0
	v_fma_f64 v[62:63], v[58:59], v[62:63], s[52:53]
	s_mov_b32 s52, 0x9b27acf1
	s_mov_b32 s53, 0x3fd24924
	;; [unrolled: 3-line block ×3, first 2 shown]
	v_fma_f64 v[62:63], v[58:59], v[62:63], s[52:53]
	v_fma_f64 v[58:59], v[58:59], v[62:63], s[30:31]
	v_ldexp_f64 v[62:63], v[56:57], 1
	v_add_f64 v[56:57], v[56:57], -v[60:61]
	s_mov_b32 s30, 0
	s_mov_b32 s31, 0x7ff00000
	v_cmp_neq_f64_e64 s[30:31], s[30:31], v[52:53]
	v_mul_f64 v[58:59], v[79:80], v[58:59]
	v_cvt_f64_i32_e32 v[79:80], v64
	v_add_f64 v[54:55], v[54:55], -v[56:57]
	v_mul_f64 v[81:82], v[79:80], s[36:37]
	s_and_b64 vcc, vcc, s[30:31]
	v_add_f64 v[60:61], v[62:63], v[58:59]
	v_ldexp_f64 v[54:55], v[54:55], 1
	v_add_f64 v[56:57], v[60:61], -v[62:63]
	v_fma_f64 v[62:63], v[79:80], s[36:37], -v[81:82]
	v_add_f64 v[56:57], v[58:59], -v[56:57]
	v_fma_f64 v[58:59], v[79:80], s[50:51], v[62:63]
	v_add_f64 v[54:55], v[54:55], v[56:57]
	v_add_f64 v[56:57], v[81:82], v[58:59]
	;; [unrolled: 1-line block ×3, first 2 shown]
	v_add_f64 v[81:82], v[56:57], -v[81:82]
	v_add_f64 v[79:80], v[56:57], v[62:63]
	v_add_f64 v[60:61], v[62:63], -v[60:61]
	v_add_f64 v[58:59], v[58:59], -v[81:82]
	;; [unrolled: 1-line block ×6, first 2 shown]
	v_add_f64 v[62:63], v[58:59], v[54:55]
	v_add_f64 v[56:57], v[56:57], -v[85:86]
	v_add_f64 v[56:57], v[60:61], v[56:57]
	v_add_f64 v[60:61], v[62:63], -v[58:59]
	v_add_f64 v[56:57], v[62:63], v[56:57]
	v_add_f64 v[62:63], v[62:63], -v[60:61]
	v_add_f64 v[54:55], v[54:55], -v[60:61]
	v_add_f64 v[81:82], v[79:80], v[56:57]
	v_add_f64 v[58:59], v[58:59], -v[62:63]
	v_add_f64 v[60:61], v[81:82], -v[79:80]
	v_add_f64 v[54:55], v[54:55], v[58:59]
	v_add_f64 v[56:57], v[56:57], -v[60:61]
	v_add_f64 v[54:55], v[54:55], v[56:57]
	v_mov_b32_e32 v56, 0x7ff80000
	v_mov_b32_e32 v57, 0xfff00000
	v_add_f64 v[54:55], v[81:82], v[54:55]
	v_cndmask_b32_e32 v54, 0, v54, vcc
	v_cmp_ngt_f64_e32 vcc, -1.0, v[52:53]
	v_cndmask_b32_e64 v28, v28, v55, s[30:31]
	v_cndmask_b32_e32 v28, v56, v28, vcc
	v_cmp_neq_f64_e32 vcc, -1.0, v[52:53]
	v_cndmask_b32_e32 v55, v57, v28, vcc
	v_add_f64 v[52:53], v[25:26], v[54:55]
.LBB5_107:
	s_or_b64 exec, exec, s[48:49]
	v_mov_b32_e32 v60, v53
	v_mov_b32_e32 v59, v52
.LBB5_108:
	s_or_b64 exec, exec, s[46:47]
	s_mov_b32 s46, 0x652b82fe
	s_mov_b32 s48, 0xfefa39ef
	;; [unrolled: 1-line block ×21, first 2 shown]
	s_waitcnt lgkmcnt(1)
	v_mov_b32_e32 v52, 0
	s_movk_i32 s7, 0x1f8
	s_mov_b32 s47, 0x3ff71547
	s_mov_b32 s49, 0xbfe62e42
	s_mov_b32 s51, 0xbc7abc9e
	s_mov_b32 s53, 0x3e5ade15
	s_mov_b32 s55, 0x3ec71dee
	s_mov_b32 s57, 0x3efa0199
	s_mov_b32 s59, 0x3f2a01a0
	s_mov_b32 s61, 0x3f56c16c
	s_mov_b32 s63, 0x3f811111
	s_mov_b32 s65, 0x3fa55555
	s_mov_b32 s67, 0x3fc55555
	s_mov_b32 s69, 0x3fe00000
	s_mov_b32 s71, 0x40900000
	s_mov_b32 s73, 0xc090cc00
	s_mov_b32 s75, 0x3fe55555
	s_mov_b32 s77, 0x3fc3ab76
	s_mov_b32 s79, 0x3fc7474d
	s_mov_b32 s81, 0x3fcc71c0
	s_mov_b32 s83, 0x3fd24924
	s_mov_b32 s85, 0x3fd99999
	s_mov_b32 s86, 0x55555780
	s_mov_b32 s89, 0x3fe62e42
	s_mov_b32 s91, 0x3c7abc9e
	s_mov_b32 s93, 0x7ff00000
	v_mov_b32_e32 v79, 2
	v_mov_b32_e32 v55, 0xfca7ab0c
	v_mov_b32_e32 v56, 0x3e928af3
	v_mov_b32_e32 v80, 0x7ff00000
	v_mov_b32_e32 v57, 0x6b47b09a
	v_mov_b32_e32 v58, 0x3fc38538
	v_mov_b32_e32 v81, 0x7ff80000
	v_mov_b32_e32 v82, 0xfff00000
	s_branch .LBB5_111
.LBB5_109:                              ;   in Loop: Header=BB5_111 Depth=1
	s_or_b64 exec, exec, s[36:37]
	v_subrev_u32_e32 v51, 64, v51
	s_mov_b64 s[30:31], 0
.LBB5_110:                              ;   in Loop: Header=BB5_111 Depth=1
	s_and_b64 vcc, exec, s[30:31]
	s_cbranch_vccnz .LBB5_143
.LBB5_111:                              ; =>This Loop Header: Depth=1
                                        ;     Child Loop BB5_114 Depth 2
	s_waitcnt lgkmcnt(0)
	v_mov_b32_e32 v53, v59
	v_cmp_ne_u16_sdwa s[30:31], v27, v79 src0_sel:BYTE_0 src1_sel:DWORD
	v_mov_b32_e32 v54, v60
	s_cmp_lg_u64 s[30:31], exec
	s_mov_b64 s[30:31], -1
                                        ; implicit-def: $vgpr59_vgpr60
                                        ; implicit-def: $vgpr27
	s_cbranch_scc1 .LBB5_110
; %bb.112:                              ;   in Loop: Header=BB5_111 Depth=1
	v_lshlrev_b64 v[25:26], 4, v[51:52]
	v_mov_b32_e32 v27, s43
	v_add_co_u32_e32 v59, vcc, s42, v25
	v_addc_co_u32_e32 v60, vcc, v27, v26, vcc
	;;#ASMSTART
	global_load_dwordx4 v[25:28], v[59:60] off glc	
s_waitcnt vmcnt(0)
	;;#ASMEND
	v_cmp_eq_u16_sdwa s[36:37], v27, v52 src0_sel:BYTE_0 src1_sel:DWORD
	s_and_saveexec_b64 s[30:31], s[36:37]
	s_cbranch_execz .LBB5_116
; %bb.113:                              ;   in Loop: Header=BB5_111 Depth=1
	s_mov_b64 s[36:37], 0
.LBB5_114:                              ;   Parent Loop BB5_111 Depth=1
                                        ; =>  This Inner Loop Header: Depth=2
	;;#ASMSTART
	global_load_dwordx4 v[25:28], v[59:60] off glc	
s_waitcnt vmcnt(0)
	;;#ASMEND
	v_cmp_ne_u16_sdwa s[94:95], v27, v52 src0_sel:BYTE_0 src1_sel:DWORD
	s_or_b64 s[36:37], s[94:95], s[36:37]
	s_andn2_b64 exec, exec, s[36:37]
	s_cbranch_execnz .LBB5_114
; %bb.115:                              ;   in Loop: Header=BB5_111 Depth=1
	s_or_b64 exec, exec, s[36:37]
.LBB5_116:                              ;   in Loop: Header=BB5_111 Depth=1
	s_or_b64 exec, exec, s[30:31]
	v_cmp_eq_u16_sdwa s[30:31], v27, v79 src0_sel:BYTE_0 src1_sel:DWORD
	v_and_b32_e32 v28, s31, v24
	v_or_b32_e32 v28, 0x80000000, v28
	ds_bpermute_b32 v61, v68, v25
	ds_bpermute_b32 v62, v68, v26
	v_and_b32_e32 v59, s30, v23
	v_ffbl_b32_e32 v28, v28
	v_add_u32_e32 v28, 32, v28
	v_ffbl_b32_e32 v59, v59
	v_min_u32_e32 v28, v59, v28
	v_mov_b32_e32 v60, v26
	v_cmp_lt_u32_e32 vcc, v67, v28
	v_mov_b32_e32 v59, v25
	s_and_saveexec_b64 s[94:95], vcc
	s_cbranch_execz .LBB5_120
; %bb.117:                              ;   in Loop: Header=BB5_111 Depth=1
	s_waitcnt lgkmcnt(0)
	v_max_f64 v[59:60], v[61:62], v[61:62]
	v_max_f64 v[63:64], v[25:26], v[25:26]
	v_cmp_u_f64_e32 vcc, v[61:62], v[61:62]
	v_cmp_u_f64_e64 s[30:31], v[25:26], v[25:26]
	v_min_f64 v[83:84], v[59:60], v[63:64]
	v_max_f64 v[59:60], v[59:60], v[63:64]
	v_cndmask_b32_e32 v63, v84, v62, vcc
	v_cndmask_b32_e32 v64, v83, v61, vcc
	;; [unrolled: 1-line block ×4, first 2 shown]
	v_cndmask_b32_e64 v60, v63, v26, s[30:31]
	v_cndmask_b32_e64 v59, v64, v25, s[30:31]
	;; [unrolled: 1-line block ×4, first 2 shown]
	v_cmp_neq_f64_e32 vcc, v[59:60], v[25:26]
	v_cmp_class_f64_e64 s[30:31], v[59:60], s7
	s_or_b64 s[30:31], vcc, s[30:31]
	s_and_saveexec_b64 s[36:37], s[30:31]
	s_cbranch_execz .LBB5_119
; %bb.118:                              ;   in Loop: Header=BB5_111 Depth=1
	v_add_f64 v[59:60], v[59:60], -v[25:26]
	s_mov_b32 s87, s75
	s_mov_b32 s88, s48
	;; [unrolled: 1-line block ×3, first 2 shown]
	v_mul_f64 v[61:62], v[59:60], s[46:47]
	v_cmp_nlt_f64_e32 vcc, s[70:71], v[59:60]
	v_cmp_ngt_f64_e64 s[30:31], s[72:73], v[59:60]
	v_rndne_f64_e32 v[61:62], v[61:62]
	v_fma_f64 v[63:64], v[61:62], s[48:49], v[59:60]
	v_fma_f64 v[63:64], v[61:62], s[50:51], v[63:64]
	v_cvt_i32_f64_e32 v61, v[61:62]
	v_fma_f64 v[83:84], v[63:64], s[52:53], v[55:56]
	v_fma_f64 v[83:84], v[63:64], v[83:84], s[54:55]
	;; [unrolled: 1-line block ×9, first 2 shown]
	v_fma_f64 v[83:84], v[63:64], v[83:84], 1.0
	v_fma_f64 v[63:64], v[63:64], v[83:84], 1.0
	v_ldexp_f64 v[61:62], v[63:64], v61
	v_cndmask_b32_e32 v62, v80, v62, vcc
	s_and_b64 vcc, s[30:31], vcc
	v_cndmask_b32_e64 v60, 0, v62, s[30:31]
	v_cndmask_b32_e32 v59, 0, v61, vcc
	v_add_f64 v[61:62], v[59:60], 1.0
	v_cmp_neq_f64_e64 s[30:31], s[92:93], v[59:60]
	v_frexp_mant_f64_e32 v[83:84], v[61:62]
	v_frexp_exp_i32_f64_e32 v87, v[61:62]
	v_add_f64 v[63:64], v[61:62], -1.0
	v_cmp_gt_f64_e32 vcc, s[74:75], v[83:84]
	v_add_f64 v[85:86], v[63:64], -v[61:62]
	v_add_f64 v[63:64], v[59:60], -v[63:64]
	v_subbrev_co_u32_e32 v101, vcc, 0, v87, vcc
	v_sub_u32_e32 v87, 0, v101
	v_ldexp_f64 v[61:62], v[61:62], v87
	v_add_f64 v[83:84], v[85:86], 1.0
	v_cmp_nge_f64_e32 vcc, -1.0, v[59:60]
	v_add_f64 v[85:86], v[61:62], 1.0
	v_add_f64 v[63:64], v[63:64], v[83:84]
	v_add_f64 v[91:92], v[61:62], -1.0
	s_and_b64 vcc, vcc, s[30:31]
	v_add_f64 v[83:84], v[85:86], -1.0
	v_ldexp_f64 v[63:64], v[63:64], v87
	v_add_f64 v[93:94], v[91:92], 1.0
	v_add_f64 v[83:84], v[61:62], -v[83:84]
	v_add_f64 v[61:62], v[61:62], -v[93:94]
	v_add_f64 v[83:84], v[63:64], v[83:84]
	v_add_f64 v[61:62], v[63:64], v[61:62]
	;; [unrolled: 1-line block ×4, first 2 shown]
	v_rcp_f64_e32 v[89:90], v[87:88]
	v_add_f64 v[85:86], v[87:88], -v[85:86]
	v_add_f64 v[91:92], v[93:94], -v[91:92]
	;; [unrolled: 1-line block ×4, first 2 shown]
	v_fma_f64 v[95:96], -v[87:88], v[89:90], 1.0
	v_fma_f64 v[89:90], v[95:96], v[89:90], v[89:90]
	v_fma_f64 v[63:64], -v[87:88], v[89:90], 1.0
	v_fma_f64 v[63:64], v[63:64], v[89:90], v[89:90]
	v_mul_f64 v[89:90], v[93:94], v[63:64]
	v_mul_f64 v[95:96], v[87:88], v[89:90]
	v_fma_f64 v[85:86], v[89:90], v[87:88], -v[95:96]
	v_fma_f64 v[85:86], v[89:90], v[83:84], v[85:86]
	v_add_f64 v[97:98], v[95:96], v[85:86]
	v_add_f64 v[99:100], v[93:94], -v[97:98]
	v_add_f64 v[91:92], v[97:98], -v[95:96]
	;; [unrolled: 1-line block ×5, first 2 shown]
	v_add_f64 v[61:62], v[61:62], v[93:94]
	v_add_f64 v[61:62], v[85:86], v[61:62]
	;; [unrolled: 1-line block ×3, first 2 shown]
	v_mul_f64 v[91:92], v[63:64], v[85:86]
	v_add_f64 v[97:98], v[99:100], -v[85:86]
	v_mul_f64 v[93:94], v[87:88], v[91:92]
	v_add_f64 v[61:62], v[61:62], v[97:98]
	v_fma_f64 v[87:88], v[91:92], v[87:88], -v[93:94]
	v_fma_f64 v[83:84], v[91:92], v[83:84], v[87:88]
	v_add_f64 v[87:88], v[93:94], v[83:84]
	v_add_f64 v[95:96], v[85:86], -v[87:88]
	v_add_f64 v[93:94], v[87:88], -v[93:94]
	;; [unrolled: 1-line block ×5, first 2 shown]
	v_add_f64 v[61:62], v[61:62], v[85:86]
	v_add_f64 v[85:86], v[89:90], v[91:92]
	;; [unrolled: 1-line block ×3, first 2 shown]
	v_add_f64 v[83:84], v[85:86], -v[89:90]
	v_add_f64 v[61:62], v[95:96], v[61:62]
	v_add_f64 v[83:84], v[91:92], -v[83:84]
	v_mul_f64 v[61:62], v[63:64], v[61:62]
	v_add_f64 v[61:62], v[83:84], v[61:62]
	v_add_f64 v[63:64], v[85:86], v[61:62]
	v_mul_f64 v[83:84], v[63:64], v[63:64]
	v_fma_f64 v[87:88], v[83:84], s[76:77], v[57:58]
	v_mul_f64 v[89:90], v[63:64], v[83:84]
	v_fma_f64 v[87:88], v[83:84], v[87:88], s[78:79]
	v_fma_f64 v[87:88], v[83:84], v[87:88], s[80:81]
	;; [unrolled: 1-line block ×5, first 2 shown]
	v_ldexp_f64 v[87:88], v[63:64], 1
	v_add_f64 v[63:64], v[63:64], -v[85:86]
	v_mul_f64 v[83:84], v[89:90], v[83:84]
	v_cvt_f64_i32_e32 v[89:90], v101
	v_add_f64 v[61:62], v[61:62], -v[63:64]
	v_mul_f64 v[91:92], v[89:90], s[88:89]
	v_add_f64 v[85:86], v[87:88], v[83:84]
	v_ldexp_f64 v[61:62], v[61:62], 1
	v_add_f64 v[63:64], v[85:86], -v[87:88]
	v_fma_f64 v[87:88], v[89:90], s[88:89], -v[91:92]
	v_add_f64 v[63:64], v[83:84], -v[63:64]
	v_fma_f64 v[83:84], v[89:90], s[90:91], v[87:88]
	v_add_f64 v[61:62], v[61:62], v[63:64]
	v_add_f64 v[63:64], v[91:92], v[83:84]
	;; [unrolled: 1-line block ×3, first 2 shown]
	v_add_f64 v[91:92], v[63:64], -v[91:92]
	v_add_f64 v[89:90], v[63:64], v[87:88]
	v_add_f64 v[85:86], v[87:88], -v[85:86]
	v_add_f64 v[83:84], v[83:84], -v[91:92]
	;; [unrolled: 1-line block ×6, first 2 shown]
	v_add_f64 v[87:88], v[83:84], v[61:62]
	v_add_f64 v[63:64], v[63:64], -v[95:96]
	v_add_f64 v[63:64], v[85:86], v[63:64]
	v_add_f64 v[85:86], v[87:88], -v[83:84]
	;; [unrolled: 2-line block ×3, first 2 shown]
	v_add_f64 v[61:62], v[61:62], -v[85:86]
	v_add_f64 v[91:92], v[89:90], v[63:64]
	v_add_f64 v[83:84], v[83:84], -v[87:88]
	v_add_f64 v[85:86], v[91:92], -v[89:90]
	v_add_f64 v[61:62], v[61:62], v[83:84]
	v_add_f64 v[63:64], v[63:64], -v[85:86]
	v_add_f64 v[61:62], v[61:62], v[63:64]
	v_add_f64 v[61:62], v[91:92], v[61:62]
	v_cndmask_b32_e32 v61, 0, v61, vcc
	v_cmp_ngt_f64_e32 vcc, -1.0, v[59:60]
	v_cndmask_b32_e64 v62, v80, v62, s[30:31]
	v_cndmask_b32_e32 v62, v81, v62, vcc
	v_cmp_neq_f64_e32 vcc, -1.0, v[59:60]
	v_cndmask_b32_e32 v62, v82, v62, vcc
	v_add_f64 v[61:62], v[25:26], v[61:62]
.LBB5_119:                              ;   in Loop: Header=BB5_111 Depth=1
	s_or_b64 exec, exec, s[36:37]
	v_mov_b32_e32 v59, v61
	v_mov_b32_e32 v25, v61
	;; [unrolled: 1-line block ×4, first 2 shown]
.LBB5_120:                              ;   in Loop: Header=BB5_111 Depth=1
	s_or_b64 exec, exec, s[94:95]
	s_waitcnt lgkmcnt(1)
	ds_bpermute_b32 v61, v69, v25
	s_waitcnt lgkmcnt(1)
	ds_bpermute_b32 v62, v69, v26
	v_cmp_le_u32_e32 vcc, v70, v28
	s_and_saveexec_b64 s[94:95], vcc
	s_cbranch_execz .LBB5_124
; %bb.121:                              ;   in Loop: Header=BB5_111 Depth=1
	s_waitcnt lgkmcnt(0)
	v_max_f64 v[25:26], v[61:62], v[61:62]
	v_max_f64 v[63:64], v[59:60], v[59:60]
	v_cmp_u_f64_e32 vcc, v[61:62], v[61:62]
	v_cmp_u_f64_e64 s[30:31], v[59:60], v[59:60]
	v_min_f64 v[83:84], v[25:26], v[63:64]
	v_max_f64 v[25:26], v[25:26], v[63:64]
	v_cndmask_b32_e32 v63, v84, v62, vcc
	v_cndmask_b32_e32 v83, v83, v61, vcc
	;; [unrolled: 1-line block ×4, first 2 shown]
	v_cndmask_b32_e64 v64, v63, v60, s[30:31]
	v_cndmask_b32_e64 v63, v83, v59, s[30:31]
	v_cndmask_b32_e64 v26, v26, v60, s[30:31]
	v_cndmask_b32_e64 v25, v25, v59, s[30:31]
	v_cmp_neq_f64_e32 vcc, v[63:64], v[25:26]
	v_cmp_class_f64_e64 s[30:31], v[63:64], s7
	s_or_b64 s[30:31], vcc, s[30:31]
	s_and_saveexec_b64 s[36:37], s[30:31]
	s_cbranch_execz .LBB5_123
; %bb.122:                              ;   in Loop: Header=BB5_111 Depth=1
	v_add_f64 v[59:60], v[63:64], -v[25:26]
	s_mov_b32 s87, s75
	s_mov_b32 s88, s48
	s_mov_b32 s90, s50
	v_mul_f64 v[61:62], v[59:60], s[46:47]
	v_cmp_nlt_f64_e32 vcc, s[70:71], v[59:60]
	v_cmp_ngt_f64_e64 s[30:31], s[72:73], v[59:60]
	v_rndne_f64_e32 v[61:62], v[61:62]
	v_fma_f64 v[63:64], v[61:62], s[48:49], v[59:60]
	v_fma_f64 v[63:64], v[61:62], s[50:51], v[63:64]
	v_cvt_i32_f64_e32 v61, v[61:62]
	v_fma_f64 v[83:84], v[63:64], s[52:53], v[55:56]
	v_fma_f64 v[83:84], v[63:64], v[83:84], s[54:55]
	v_fma_f64 v[83:84], v[63:64], v[83:84], s[56:57]
	v_fma_f64 v[83:84], v[63:64], v[83:84], s[58:59]
	v_fma_f64 v[83:84], v[63:64], v[83:84], s[60:61]
	v_fma_f64 v[83:84], v[63:64], v[83:84], s[62:63]
	v_fma_f64 v[83:84], v[63:64], v[83:84], s[64:65]
	v_fma_f64 v[83:84], v[63:64], v[83:84], s[66:67]
	v_fma_f64 v[83:84], v[63:64], v[83:84], s[68:69]
	v_fma_f64 v[83:84], v[63:64], v[83:84], 1.0
	v_fma_f64 v[63:64], v[63:64], v[83:84], 1.0
	v_ldexp_f64 v[61:62], v[63:64], v61
	v_cndmask_b32_e32 v62, v80, v62, vcc
	s_and_b64 vcc, s[30:31], vcc
	v_cndmask_b32_e64 v60, 0, v62, s[30:31]
	v_cndmask_b32_e32 v59, 0, v61, vcc
	v_add_f64 v[61:62], v[59:60], 1.0
	v_cmp_neq_f64_e64 s[30:31], s[92:93], v[59:60]
	v_frexp_mant_f64_e32 v[83:84], v[61:62]
	v_frexp_exp_i32_f64_e32 v87, v[61:62]
	v_add_f64 v[63:64], v[61:62], -1.0
	v_cmp_gt_f64_e32 vcc, s[74:75], v[83:84]
	v_add_f64 v[85:86], v[63:64], -v[61:62]
	v_add_f64 v[63:64], v[59:60], -v[63:64]
	v_subbrev_co_u32_e32 v101, vcc, 0, v87, vcc
	v_sub_u32_e32 v87, 0, v101
	v_ldexp_f64 v[61:62], v[61:62], v87
	v_add_f64 v[83:84], v[85:86], 1.0
	v_cmp_nge_f64_e32 vcc, -1.0, v[59:60]
	v_add_f64 v[85:86], v[61:62], 1.0
	v_add_f64 v[63:64], v[63:64], v[83:84]
	v_add_f64 v[91:92], v[61:62], -1.0
	s_and_b64 vcc, vcc, s[30:31]
	v_add_f64 v[83:84], v[85:86], -1.0
	v_ldexp_f64 v[63:64], v[63:64], v87
	v_add_f64 v[93:94], v[91:92], 1.0
	v_add_f64 v[83:84], v[61:62], -v[83:84]
	v_add_f64 v[61:62], v[61:62], -v[93:94]
	v_add_f64 v[83:84], v[63:64], v[83:84]
	v_add_f64 v[61:62], v[63:64], v[61:62]
	;; [unrolled: 1-line block ×4, first 2 shown]
	v_rcp_f64_e32 v[89:90], v[87:88]
	v_add_f64 v[85:86], v[87:88], -v[85:86]
	v_add_f64 v[91:92], v[93:94], -v[91:92]
	;; [unrolled: 1-line block ×4, first 2 shown]
	v_fma_f64 v[95:96], -v[87:88], v[89:90], 1.0
	v_fma_f64 v[89:90], v[95:96], v[89:90], v[89:90]
	v_fma_f64 v[63:64], -v[87:88], v[89:90], 1.0
	v_fma_f64 v[63:64], v[63:64], v[89:90], v[89:90]
	v_mul_f64 v[89:90], v[93:94], v[63:64]
	v_mul_f64 v[95:96], v[87:88], v[89:90]
	v_fma_f64 v[85:86], v[89:90], v[87:88], -v[95:96]
	v_fma_f64 v[85:86], v[89:90], v[83:84], v[85:86]
	v_add_f64 v[97:98], v[95:96], v[85:86]
	v_add_f64 v[99:100], v[93:94], -v[97:98]
	v_add_f64 v[91:92], v[97:98], -v[95:96]
	;; [unrolled: 1-line block ×5, first 2 shown]
	v_add_f64 v[61:62], v[61:62], v[93:94]
	v_add_f64 v[61:62], v[85:86], v[61:62]
	;; [unrolled: 1-line block ×3, first 2 shown]
	v_mul_f64 v[91:92], v[63:64], v[85:86]
	v_add_f64 v[97:98], v[99:100], -v[85:86]
	v_mul_f64 v[93:94], v[87:88], v[91:92]
	v_add_f64 v[61:62], v[61:62], v[97:98]
	v_fma_f64 v[87:88], v[91:92], v[87:88], -v[93:94]
	v_fma_f64 v[83:84], v[91:92], v[83:84], v[87:88]
	v_add_f64 v[87:88], v[93:94], v[83:84]
	v_add_f64 v[95:96], v[85:86], -v[87:88]
	v_add_f64 v[93:94], v[87:88], -v[93:94]
	;; [unrolled: 1-line block ×5, first 2 shown]
	v_add_f64 v[61:62], v[61:62], v[85:86]
	v_add_f64 v[85:86], v[89:90], v[91:92]
	;; [unrolled: 1-line block ×3, first 2 shown]
	v_add_f64 v[83:84], v[85:86], -v[89:90]
	v_add_f64 v[61:62], v[95:96], v[61:62]
	v_add_f64 v[83:84], v[91:92], -v[83:84]
	v_mul_f64 v[61:62], v[63:64], v[61:62]
	v_add_f64 v[61:62], v[83:84], v[61:62]
	v_add_f64 v[63:64], v[85:86], v[61:62]
	v_mul_f64 v[83:84], v[63:64], v[63:64]
	v_fma_f64 v[87:88], v[83:84], s[76:77], v[57:58]
	v_mul_f64 v[89:90], v[63:64], v[83:84]
	v_fma_f64 v[87:88], v[83:84], v[87:88], s[78:79]
	v_fma_f64 v[87:88], v[83:84], v[87:88], s[80:81]
	;; [unrolled: 1-line block ×5, first 2 shown]
	v_ldexp_f64 v[87:88], v[63:64], 1
	v_add_f64 v[63:64], v[63:64], -v[85:86]
	v_mul_f64 v[83:84], v[89:90], v[83:84]
	v_cvt_f64_i32_e32 v[89:90], v101
	v_add_f64 v[61:62], v[61:62], -v[63:64]
	v_mul_f64 v[91:92], v[89:90], s[88:89]
	v_add_f64 v[85:86], v[87:88], v[83:84]
	v_ldexp_f64 v[61:62], v[61:62], 1
	v_add_f64 v[63:64], v[85:86], -v[87:88]
	v_fma_f64 v[87:88], v[89:90], s[88:89], -v[91:92]
	v_add_f64 v[63:64], v[83:84], -v[63:64]
	v_fma_f64 v[83:84], v[89:90], s[90:91], v[87:88]
	v_add_f64 v[61:62], v[61:62], v[63:64]
	v_add_f64 v[63:64], v[91:92], v[83:84]
	;; [unrolled: 1-line block ×3, first 2 shown]
	v_add_f64 v[91:92], v[63:64], -v[91:92]
	v_add_f64 v[89:90], v[63:64], v[87:88]
	v_add_f64 v[85:86], v[87:88], -v[85:86]
	v_add_f64 v[83:84], v[83:84], -v[91:92]
	;; [unrolled: 1-line block ×6, first 2 shown]
	v_add_f64 v[87:88], v[83:84], v[61:62]
	v_add_f64 v[63:64], v[63:64], -v[95:96]
	v_add_f64 v[63:64], v[85:86], v[63:64]
	v_add_f64 v[85:86], v[87:88], -v[83:84]
	v_add_f64 v[63:64], v[87:88], v[63:64]
	v_add_f64 v[87:88], v[87:88], -v[85:86]
	v_add_f64 v[61:62], v[61:62], -v[85:86]
	v_add_f64 v[91:92], v[89:90], v[63:64]
	v_add_f64 v[83:84], v[83:84], -v[87:88]
	v_add_f64 v[85:86], v[91:92], -v[89:90]
	v_add_f64 v[61:62], v[61:62], v[83:84]
	v_add_f64 v[63:64], v[63:64], -v[85:86]
	v_add_f64 v[61:62], v[61:62], v[63:64]
	v_add_f64 v[61:62], v[91:92], v[61:62]
	v_cndmask_b32_e32 v61, 0, v61, vcc
	v_cmp_ngt_f64_e32 vcc, -1.0, v[59:60]
	v_cndmask_b32_e64 v62, v80, v62, s[30:31]
	v_cndmask_b32_e32 v62, v81, v62, vcc
	v_cmp_neq_f64_e32 vcc, -1.0, v[59:60]
	v_cndmask_b32_e32 v62, v82, v62, vcc
	v_add_f64 v[61:62], v[25:26], v[61:62]
.LBB5_123:                              ;   in Loop: Header=BB5_111 Depth=1
	s_or_b64 exec, exec, s[36:37]
	v_mov_b32_e32 v59, v61
	v_mov_b32_e32 v25, v61
	;; [unrolled: 1-line block ×4, first 2 shown]
.LBB5_124:                              ;   in Loop: Header=BB5_111 Depth=1
	s_or_b64 exec, exec, s[94:95]
	s_waitcnt lgkmcnt(1)
	ds_bpermute_b32 v61, v71, v25
	s_waitcnt lgkmcnt(1)
	ds_bpermute_b32 v62, v71, v26
	v_cmp_le_u32_e32 vcc, v72, v28
	s_and_saveexec_b64 s[94:95], vcc
	s_cbranch_execz .LBB5_128
; %bb.125:                              ;   in Loop: Header=BB5_111 Depth=1
	s_waitcnt lgkmcnt(0)
	v_max_f64 v[25:26], v[61:62], v[61:62]
	v_max_f64 v[63:64], v[59:60], v[59:60]
	v_cmp_u_f64_e32 vcc, v[61:62], v[61:62]
	v_cmp_u_f64_e64 s[30:31], v[59:60], v[59:60]
	v_min_f64 v[83:84], v[25:26], v[63:64]
	v_max_f64 v[25:26], v[25:26], v[63:64]
	v_cndmask_b32_e32 v63, v84, v62, vcc
	v_cndmask_b32_e32 v83, v83, v61, vcc
	;; [unrolled: 1-line block ×4, first 2 shown]
	v_cndmask_b32_e64 v64, v63, v60, s[30:31]
	v_cndmask_b32_e64 v63, v83, v59, s[30:31]
	;; [unrolled: 1-line block ×4, first 2 shown]
	v_cmp_neq_f64_e32 vcc, v[63:64], v[25:26]
	v_cmp_class_f64_e64 s[30:31], v[63:64], s7
	s_or_b64 s[30:31], vcc, s[30:31]
	s_and_saveexec_b64 s[36:37], s[30:31]
	s_cbranch_execz .LBB5_127
; %bb.126:                              ;   in Loop: Header=BB5_111 Depth=1
	v_add_f64 v[59:60], v[63:64], -v[25:26]
	s_mov_b32 s87, s75
	s_mov_b32 s88, s48
	;; [unrolled: 1-line block ×3, first 2 shown]
	v_mul_f64 v[61:62], v[59:60], s[46:47]
	v_cmp_nlt_f64_e32 vcc, s[70:71], v[59:60]
	v_cmp_ngt_f64_e64 s[30:31], s[72:73], v[59:60]
	v_rndne_f64_e32 v[61:62], v[61:62]
	v_fma_f64 v[63:64], v[61:62], s[48:49], v[59:60]
	v_fma_f64 v[63:64], v[61:62], s[50:51], v[63:64]
	v_cvt_i32_f64_e32 v61, v[61:62]
	v_fma_f64 v[83:84], v[63:64], s[52:53], v[55:56]
	v_fma_f64 v[83:84], v[63:64], v[83:84], s[54:55]
	;; [unrolled: 1-line block ×9, first 2 shown]
	v_fma_f64 v[83:84], v[63:64], v[83:84], 1.0
	v_fma_f64 v[63:64], v[63:64], v[83:84], 1.0
	v_ldexp_f64 v[61:62], v[63:64], v61
	v_cndmask_b32_e32 v62, v80, v62, vcc
	s_and_b64 vcc, s[30:31], vcc
	v_cndmask_b32_e64 v60, 0, v62, s[30:31]
	v_cndmask_b32_e32 v59, 0, v61, vcc
	v_add_f64 v[61:62], v[59:60], 1.0
	v_cmp_neq_f64_e64 s[30:31], s[92:93], v[59:60]
	v_frexp_mant_f64_e32 v[83:84], v[61:62]
	v_frexp_exp_i32_f64_e32 v87, v[61:62]
	v_add_f64 v[63:64], v[61:62], -1.0
	v_cmp_gt_f64_e32 vcc, s[74:75], v[83:84]
	v_add_f64 v[85:86], v[63:64], -v[61:62]
	v_add_f64 v[63:64], v[59:60], -v[63:64]
	v_subbrev_co_u32_e32 v101, vcc, 0, v87, vcc
	v_sub_u32_e32 v87, 0, v101
	v_ldexp_f64 v[61:62], v[61:62], v87
	v_add_f64 v[83:84], v[85:86], 1.0
	v_cmp_nge_f64_e32 vcc, -1.0, v[59:60]
	v_add_f64 v[85:86], v[61:62], 1.0
	v_add_f64 v[63:64], v[63:64], v[83:84]
	v_add_f64 v[91:92], v[61:62], -1.0
	s_and_b64 vcc, vcc, s[30:31]
	v_add_f64 v[83:84], v[85:86], -1.0
	v_ldexp_f64 v[63:64], v[63:64], v87
	v_add_f64 v[93:94], v[91:92], 1.0
	v_add_f64 v[83:84], v[61:62], -v[83:84]
	v_add_f64 v[61:62], v[61:62], -v[93:94]
	v_add_f64 v[83:84], v[63:64], v[83:84]
	v_add_f64 v[61:62], v[63:64], v[61:62]
	;; [unrolled: 1-line block ×4, first 2 shown]
	v_rcp_f64_e32 v[89:90], v[87:88]
	v_add_f64 v[85:86], v[87:88], -v[85:86]
	v_add_f64 v[91:92], v[93:94], -v[91:92]
	;; [unrolled: 1-line block ×4, first 2 shown]
	v_fma_f64 v[95:96], -v[87:88], v[89:90], 1.0
	v_fma_f64 v[89:90], v[95:96], v[89:90], v[89:90]
	v_fma_f64 v[63:64], -v[87:88], v[89:90], 1.0
	v_fma_f64 v[63:64], v[63:64], v[89:90], v[89:90]
	v_mul_f64 v[89:90], v[93:94], v[63:64]
	v_mul_f64 v[95:96], v[87:88], v[89:90]
	v_fma_f64 v[85:86], v[89:90], v[87:88], -v[95:96]
	v_fma_f64 v[85:86], v[89:90], v[83:84], v[85:86]
	v_add_f64 v[97:98], v[95:96], v[85:86]
	v_add_f64 v[99:100], v[93:94], -v[97:98]
	v_add_f64 v[91:92], v[97:98], -v[95:96]
	;; [unrolled: 1-line block ×5, first 2 shown]
	v_add_f64 v[61:62], v[61:62], v[93:94]
	v_add_f64 v[61:62], v[85:86], v[61:62]
	;; [unrolled: 1-line block ×3, first 2 shown]
	v_mul_f64 v[91:92], v[63:64], v[85:86]
	v_add_f64 v[97:98], v[99:100], -v[85:86]
	v_mul_f64 v[93:94], v[87:88], v[91:92]
	v_add_f64 v[61:62], v[61:62], v[97:98]
	v_fma_f64 v[87:88], v[91:92], v[87:88], -v[93:94]
	v_fma_f64 v[83:84], v[91:92], v[83:84], v[87:88]
	v_add_f64 v[87:88], v[93:94], v[83:84]
	v_add_f64 v[95:96], v[85:86], -v[87:88]
	v_add_f64 v[93:94], v[87:88], -v[93:94]
	;; [unrolled: 1-line block ×5, first 2 shown]
	v_add_f64 v[61:62], v[61:62], v[85:86]
	v_add_f64 v[85:86], v[89:90], v[91:92]
	;; [unrolled: 1-line block ×3, first 2 shown]
	v_add_f64 v[83:84], v[85:86], -v[89:90]
	v_add_f64 v[61:62], v[95:96], v[61:62]
	v_add_f64 v[83:84], v[91:92], -v[83:84]
	v_mul_f64 v[61:62], v[63:64], v[61:62]
	v_add_f64 v[61:62], v[83:84], v[61:62]
	v_add_f64 v[63:64], v[85:86], v[61:62]
	v_mul_f64 v[83:84], v[63:64], v[63:64]
	v_fma_f64 v[87:88], v[83:84], s[76:77], v[57:58]
	v_mul_f64 v[89:90], v[63:64], v[83:84]
	v_fma_f64 v[87:88], v[83:84], v[87:88], s[78:79]
	v_fma_f64 v[87:88], v[83:84], v[87:88], s[80:81]
	;; [unrolled: 1-line block ×5, first 2 shown]
	v_ldexp_f64 v[87:88], v[63:64], 1
	v_add_f64 v[63:64], v[63:64], -v[85:86]
	v_mul_f64 v[83:84], v[89:90], v[83:84]
	v_cvt_f64_i32_e32 v[89:90], v101
	v_add_f64 v[61:62], v[61:62], -v[63:64]
	v_mul_f64 v[91:92], v[89:90], s[88:89]
	v_add_f64 v[85:86], v[87:88], v[83:84]
	v_ldexp_f64 v[61:62], v[61:62], 1
	v_add_f64 v[63:64], v[85:86], -v[87:88]
	v_fma_f64 v[87:88], v[89:90], s[88:89], -v[91:92]
	v_add_f64 v[63:64], v[83:84], -v[63:64]
	v_fma_f64 v[83:84], v[89:90], s[90:91], v[87:88]
	v_add_f64 v[61:62], v[61:62], v[63:64]
	v_add_f64 v[63:64], v[91:92], v[83:84]
	;; [unrolled: 1-line block ×3, first 2 shown]
	v_add_f64 v[91:92], v[63:64], -v[91:92]
	v_add_f64 v[89:90], v[63:64], v[87:88]
	v_add_f64 v[85:86], v[87:88], -v[85:86]
	v_add_f64 v[83:84], v[83:84], -v[91:92]
	;; [unrolled: 1-line block ×6, first 2 shown]
	v_add_f64 v[87:88], v[83:84], v[61:62]
	v_add_f64 v[63:64], v[63:64], -v[95:96]
	v_add_f64 v[63:64], v[85:86], v[63:64]
	v_add_f64 v[85:86], v[87:88], -v[83:84]
	;; [unrolled: 2-line block ×3, first 2 shown]
	v_add_f64 v[61:62], v[61:62], -v[85:86]
	v_add_f64 v[91:92], v[89:90], v[63:64]
	v_add_f64 v[83:84], v[83:84], -v[87:88]
	v_add_f64 v[85:86], v[91:92], -v[89:90]
	v_add_f64 v[61:62], v[61:62], v[83:84]
	v_add_f64 v[63:64], v[63:64], -v[85:86]
	v_add_f64 v[61:62], v[61:62], v[63:64]
	v_add_f64 v[61:62], v[91:92], v[61:62]
	v_cndmask_b32_e32 v61, 0, v61, vcc
	v_cmp_ngt_f64_e32 vcc, -1.0, v[59:60]
	v_cndmask_b32_e64 v62, v80, v62, s[30:31]
	v_cndmask_b32_e32 v62, v81, v62, vcc
	v_cmp_neq_f64_e32 vcc, -1.0, v[59:60]
	v_cndmask_b32_e32 v62, v82, v62, vcc
	v_add_f64 v[61:62], v[25:26], v[61:62]
.LBB5_127:                              ;   in Loop: Header=BB5_111 Depth=1
	s_or_b64 exec, exec, s[36:37]
	v_mov_b32_e32 v59, v61
	v_mov_b32_e32 v25, v61
	;; [unrolled: 1-line block ×4, first 2 shown]
.LBB5_128:                              ;   in Loop: Header=BB5_111 Depth=1
	s_or_b64 exec, exec, s[94:95]
	s_waitcnt lgkmcnt(1)
	ds_bpermute_b32 v61, v73, v25
	s_waitcnt lgkmcnt(1)
	ds_bpermute_b32 v62, v73, v26
	v_cmp_le_u32_e32 vcc, v74, v28
	s_and_saveexec_b64 s[94:95], vcc
	s_cbranch_execz .LBB5_132
; %bb.129:                              ;   in Loop: Header=BB5_111 Depth=1
	s_waitcnt lgkmcnt(0)
	v_max_f64 v[25:26], v[61:62], v[61:62]
	v_max_f64 v[63:64], v[59:60], v[59:60]
	v_cmp_u_f64_e32 vcc, v[61:62], v[61:62]
	v_cmp_u_f64_e64 s[30:31], v[59:60], v[59:60]
	v_min_f64 v[83:84], v[25:26], v[63:64]
	v_max_f64 v[25:26], v[25:26], v[63:64]
	v_cndmask_b32_e32 v63, v84, v62, vcc
	v_cndmask_b32_e32 v83, v83, v61, vcc
	;; [unrolled: 1-line block ×4, first 2 shown]
	v_cndmask_b32_e64 v64, v63, v60, s[30:31]
	v_cndmask_b32_e64 v63, v83, v59, s[30:31]
	;; [unrolled: 1-line block ×4, first 2 shown]
	v_cmp_neq_f64_e32 vcc, v[63:64], v[25:26]
	v_cmp_class_f64_e64 s[30:31], v[63:64], s7
	s_or_b64 s[30:31], vcc, s[30:31]
	s_and_saveexec_b64 s[36:37], s[30:31]
	s_cbranch_execz .LBB5_131
; %bb.130:                              ;   in Loop: Header=BB5_111 Depth=1
	v_add_f64 v[59:60], v[63:64], -v[25:26]
	s_mov_b32 s87, s75
	s_mov_b32 s88, s48
	;; [unrolled: 1-line block ×3, first 2 shown]
	v_mul_f64 v[61:62], v[59:60], s[46:47]
	v_cmp_nlt_f64_e32 vcc, s[70:71], v[59:60]
	v_cmp_ngt_f64_e64 s[30:31], s[72:73], v[59:60]
	v_rndne_f64_e32 v[61:62], v[61:62]
	v_fma_f64 v[63:64], v[61:62], s[48:49], v[59:60]
	v_fma_f64 v[63:64], v[61:62], s[50:51], v[63:64]
	v_cvt_i32_f64_e32 v61, v[61:62]
	v_fma_f64 v[83:84], v[63:64], s[52:53], v[55:56]
	v_fma_f64 v[83:84], v[63:64], v[83:84], s[54:55]
	;; [unrolled: 1-line block ×9, first 2 shown]
	v_fma_f64 v[83:84], v[63:64], v[83:84], 1.0
	v_fma_f64 v[63:64], v[63:64], v[83:84], 1.0
	v_ldexp_f64 v[61:62], v[63:64], v61
	v_cndmask_b32_e32 v62, v80, v62, vcc
	s_and_b64 vcc, s[30:31], vcc
	v_cndmask_b32_e64 v60, 0, v62, s[30:31]
	v_cndmask_b32_e32 v59, 0, v61, vcc
	v_add_f64 v[61:62], v[59:60], 1.0
	v_cmp_neq_f64_e64 s[30:31], s[92:93], v[59:60]
	v_frexp_mant_f64_e32 v[83:84], v[61:62]
	v_frexp_exp_i32_f64_e32 v87, v[61:62]
	v_add_f64 v[63:64], v[61:62], -1.0
	v_cmp_gt_f64_e32 vcc, s[74:75], v[83:84]
	v_add_f64 v[85:86], v[63:64], -v[61:62]
	v_add_f64 v[63:64], v[59:60], -v[63:64]
	v_subbrev_co_u32_e32 v101, vcc, 0, v87, vcc
	v_sub_u32_e32 v87, 0, v101
	v_ldexp_f64 v[61:62], v[61:62], v87
	v_add_f64 v[83:84], v[85:86], 1.0
	v_cmp_nge_f64_e32 vcc, -1.0, v[59:60]
	v_add_f64 v[85:86], v[61:62], 1.0
	v_add_f64 v[63:64], v[63:64], v[83:84]
	v_add_f64 v[91:92], v[61:62], -1.0
	s_and_b64 vcc, vcc, s[30:31]
	v_add_f64 v[83:84], v[85:86], -1.0
	v_ldexp_f64 v[63:64], v[63:64], v87
	v_add_f64 v[93:94], v[91:92], 1.0
	v_add_f64 v[83:84], v[61:62], -v[83:84]
	v_add_f64 v[61:62], v[61:62], -v[93:94]
	v_add_f64 v[83:84], v[63:64], v[83:84]
	v_add_f64 v[61:62], v[63:64], v[61:62]
	;; [unrolled: 1-line block ×4, first 2 shown]
	v_rcp_f64_e32 v[89:90], v[87:88]
	v_add_f64 v[85:86], v[87:88], -v[85:86]
	v_add_f64 v[91:92], v[93:94], -v[91:92]
	;; [unrolled: 1-line block ×4, first 2 shown]
	v_fma_f64 v[95:96], -v[87:88], v[89:90], 1.0
	v_fma_f64 v[89:90], v[95:96], v[89:90], v[89:90]
	v_fma_f64 v[63:64], -v[87:88], v[89:90], 1.0
	v_fma_f64 v[63:64], v[63:64], v[89:90], v[89:90]
	v_mul_f64 v[89:90], v[93:94], v[63:64]
	v_mul_f64 v[95:96], v[87:88], v[89:90]
	v_fma_f64 v[85:86], v[89:90], v[87:88], -v[95:96]
	v_fma_f64 v[85:86], v[89:90], v[83:84], v[85:86]
	v_add_f64 v[97:98], v[95:96], v[85:86]
	v_add_f64 v[99:100], v[93:94], -v[97:98]
	v_add_f64 v[91:92], v[97:98], -v[95:96]
	;; [unrolled: 1-line block ×5, first 2 shown]
	v_add_f64 v[61:62], v[61:62], v[93:94]
	v_add_f64 v[61:62], v[85:86], v[61:62]
	;; [unrolled: 1-line block ×3, first 2 shown]
	v_mul_f64 v[91:92], v[63:64], v[85:86]
	v_add_f64 v[97:98], v[99:100], -v[85:86]
	v_mul_f64 v[93:94], v[87:88], v[91:92]
	v_add_f64 v[61:62], v[61:62], v[97:98]
	v_fma_f64 v[87:88], v[91:92], v[87:88], -v[93:94]
	v_fma_f64 v[83:84], v[91:92], v[83:84], v[87:88]
	v_add_f64 v[87:88], v[93:94], v[83:84]
	v_add_f64 v[95:96], v[85:86], -v[87:88]
	v_add_f64 v[93:94], v[87:88], -v[93:94]
	;; [unrolled: 1-line block ×5, first 2 shown]
	v_add_f64 v[61:62], v[61:62], v[85:86]
	v_add_f64 v[85:86], v[89:90], v[91:92]
	;; [unrolled: 1-line block ×3, first 2 shown]
	v_add_f64 v[83:84], v[85:86], -v[89:90]
	v_add_f64 v[61:62], v[95:96], v[61:62]
	v_add_f64 v[83:84], v[91:92], -v[83:84]
	v_mul_f64 v[61:62], v[63:64], v[61:62]
	v_add_f64 v[61:62], v[83:84], v[61:62]
	v_add_f64 v[63:64], v[85:86], v[61:62]
	v_mul_f64 v[83:84], v[63:64], v[63:64]
	v_fma_f64 v[87:88], v[83:84], s[76:77], v[57:58]
	v_mul_f64 v[89:90], v[63:64], v[83:84]
	v_fma_f64 v[87:88], v[83:84], v[87:88], s[78:79]
	v_fma_f64 v[87:88], v[83:84], v[87:88], s[80:81]
	;; [unrolled: 1-line block ×5, first 2 shown]
	v_ldexp_f64 v[87:88], v[63:64], 1
	v_add_f64 v[63:64], v[63:64], -v[85:86]
	v_mul_f64 v[83:84], v[89:90], v[83:84]
	v_cvt_f64_i32_e32 v[89:90], v101
	v_add_f64 v[61:62], v[61:62], -v[63:64]
	v_mul_f64 v[91:92], v[89:90], s[88:89]
	v_add_f64 v[85:86], v[87:88], v[83:84]
	v_ldexp_f64 v[61:62], v[61:62], 1
	v_add_f64 v[63:64], v[85:86], -v[87:88]
	v_fma_f64 v[87:88], v[89:90], s[88:89], -v[91:92]
	v_add_f64 v[63:64], v[83:84], -v[63:64]
	v_fma_f64 v[83:84], v[89:90], s[90:91], v[87:88]
	v_add_f64 v[61:62], v[61:62], v[63:64]
	v_add_f64 v[63:64], v[91:92], v[83:84]
	;; [unrolled: 1-line block ×3, first 2 shown]
	v_add_f64 v[91:92], v[63:64], -v[91:92]
	v_add_f64 v[89:90], v[63:64], v[87:88]
	v_add_f64 v[85:86], v[87:88], -v[85:86]
	v_add_f64 v[83:84], v[83:84], -v[91:92]
	;; [unrolled: 1-line block ×6, first 2 shown]
	v_add_f64 v[87:88], v[83:84], v[61:62]
	v_add_f64 v[63:64], v[63:64], -v[95:96]
	v_add_f64 v[63:64], v[85:86], v[63:64]
	v_add_f64 v[85:86], v[87:88], -v[83:84]
	;; [unrolled: 2-line block ×3, first 2 shown]
	v_add_f64 v[61:62], v[61:62], -v[85:86]
	v_add_f64 v[91:92], v[89:90], v[63:64]
	v_add_f64 v[83:84], v[83:84], -v[87:88]
	v_add_f64 v[85:86], v[91:92], -v[89:90]
	v_add_f64 v[61:62], v[61:62], v[83:84]
	v_add_f64 v[63:64], v[63:64], -v[85:86]
	v_add_f64 v[61:62], v[61:62], v[63:64]
	v_add_f64 v[61:62], v[91:92], v[61:62]
	v_cndmask_b32_e32 v61, 0, v61, vcc
	v_cmp_ngt_f64_e32 vcc, -1.0, v[59:60]
	v_cndmask_b32_e64 v62, v80, v62, s[30:31]
	v_cndmask_b32_e32 v62, v81, v62, vcc
	v_cmp_neq_f64_e32 vcc, -1.0, v[59:60]
	v_cndmask_b32_e32 v62, v82, v62, vcc
	v_add_f64 v[61:62], v[25:26], v[61:62]
.LBB5_131:                              ;   in Loop: Header=BB5_111 Depth=1
	s_or_b64 exec, exec, s[36:37]
	v_mov_b32_e32 v59, v61
	v_mov_b32_e32 v25, v61
	;; [unrolled: 1-line block ×4, first 2 shown]
.LBB5_132:                              ;   in Loop: Header=BB5_111 Depth=1
	s_or_b64 exec, exec, s[94:95]
	s_waitcnt lgkmcnt(1)
	ds_bpermute_b32 v61, v75, v25
	s_waitcnt lgkmcnt(1)
	ds_bpermute_b32 v62, v75, v26
	v_cmp_le_u32_e32 vcc, v76, v28
	s_and_saveexec_b64 s[94:95], vcc
	s_cbranch_execz .LBB5_136
; %bb.133:                              ;   in Loop: Header=BB5_111 Depth=1
	s_waitcnt lgkmcnt(0)
	v_max_f64 v[25:26], v[61:62], v[61:62]
	v_max_f64 v[63:64], v[59:60], v[59:60]
	v_cmp_u_f64_e32 vcc, v[61:62], v[61:62]
	v_cmp_u_f64_e64 s[30:31], v[59:60], v[59:60]
	v_min_f64 v[83:84], v[25:26], v[63:64]
	v_max_f64 v[25:26], v[25:26], v[63:64]
	v_cndmask_b32_e32 v63, v84, v62, vcc
	v_cndmask_b32_e32 v83, v83, v61, vcc
	;; [unrolled: 1-line block ×4, first 2 shown]
	v_cndmask_b32_e64 v64, v63, v60, s[30:31]
	v_cndmask_b32_e64 v63, v83, v59, s[30:31]
	;; [unrolled: 1-line block ×4, first 2 shown]
	v_cmp_neq_f64_e32 vcc, v[63:64], v[25:26]
	v_cmp_class_f64_e64 s[30:31], v[63:64], s7
	s_or_b64 s[30:31], vcc, s[30:31]
	s_and_saveexec_b64 s[36:37], s[30:31]
	s_cbranch_execz .LBB5_135
; %bb.134:                              ;   in Loop: Header=BB5_111 Depth=1
	v_add_f64 v[59:60], v[63:64], -v[25:26]
	s_mov_b32 s87, s75
	s_mov_b32 s88, s48
	;; [unrolled: 1-line block ×3, first 2 shown]
	v_mul_f64 v[61:62], v[59:60], s[46:47]
	v_cmp_nlt_f64_e32 vcc, s[70:71], v[59:60]
	v_cmp_ngt_f64_e64 s[30:31], s[72:73], v[59:60]
	v_rndne_f64_e32 v[61:62], v[61:62]
	v_fma_f64 v[63:64], v[61:62], s[48:49], v[59:60]
	v_fma_f64 v[63:64], v[61:62], s[50:51], v[63:64]
	v_cvt_i32_f64_e32 v61, v[61:62]
	v_fma_f64 v[83:84], v[63:64], s[52:53], v[55:56]
	v_fma_f64 v[83:84], v[63:64], v[83:84], s[54:55]
	v_fma_f64 v[83:84], v[63:64], v[83:84], s[56:57]
	v_fma_f64 v[83:84], v[63:64], v[83:84], s[58:59]
	v_fma_f64 v[83:84], v[63:64], v[83:84], s[60:61]
	v_fma_f64 v[83:84], v[63:64], v[83:84], s[62:63]
	v_fma_f64 v[83:84], v[63:64], v[83:84], s[64:65]
	v_fma_f64 v[83:84], v[63:64], v[83:84], s[66:67]
	v_fma_f64 v[83:84], v[63:64], v[83:84], s[68:69]
	v_fma_f64 v[83:84], v[63:64], v[83:84], 1.0
	v_fma_f64 v[63:64], v[63:64], v[83:84], 1.0
	v_ldexp_f64 v[61:62], v[63:64], v61
	v_cndmask_b32_e32 v62, v80, v62, vcc
	s_and_b64 vcc, s[30:31], vcc
	v_cndmask_b32_e64 v60, 0, v62, s[30:31]
	v_cndmask_b32_e32 v59, 0, v61, vcc
	v_add_f64 v[61:62], v[59:60], 1.0
	v_cmp_neq_f64_e64 s[30:31], s[92:93], v[59:60]
	v_frexp_mant_f64_e32 v[83:84], v[61:62]
	v_frexp_exp_i32_f64_e32 v87, v[61:62]
	v_add_f64 v[63:64], v[61:62], -1.0
	v_cmp_gt_f64_e32 vcc, s[74:75], v[83:84]
	v_add_f64 v[85:86], v[63:64], -v[61:62]
	v_add_f64 v[63:64], v[59:60], -v[63:64]
	v_subbrev_co_u32_e32 v101, vcc, 0, v87, vcc
	v_sub_u32_e32 v87, 0, v101
	v_ldexp_f64 v[61:62], v[61:62], v87
	v_add_f64 v[83:84], v[85:86], 1.0
	v_cmp_nge_f64_e32 vcc, -1.0, v[59:60]
	v_add_f64 v[85:86], v[61:62], 1.0
	v_add_f64 v[63:64], v[63:64], v[83:84]
	v_add_f64 v[91:92], v[61:62], -1.0
	s_and_b64 vcc, vcc, s[30:31]
	v_add_f64 v[83:84], v[85:86], -1.0
	v_ldexp_f64 v[63:64], v[63:64], v87
	v_add_f64 v[93:94], v[91:92], 1.0
	v_add_f64 v[83:84], v[61:62], -v[83:84]
	v_add_f64 v[61:62], v[61:62], -v[93:94]
	v_add_f64 v[83:84], v[63:64], v[83:84]
	v_add_f64 v[61:62], v[63:64], v[61:62]
	;; [unrolled: 1-line block ×4, first 2 shown]
	v_rcp_f64_e32 v[89:90], v[87:88]
	v_add_f64 v[85:86], v[87:88], -v[85:86]
	v_add_f64 v[91:92], v[93:94], -v[91:92]
	;; [unrolled: 1-line block ×4, first 2 shown]
	v_fma_f64 v[95:96], -v[87:88], v[89:90], 1.0
	v_fma_f64 v[89:90], v[95:96], v[89:90], v[89:90]
	v_fma_f64 v[63:64], -v[87:88], v[89:90], 1.0
	v_fma_f64 v[63:64], v[63:64], v[89:90], v[89:90]
	v_mul_f64 v[89:90], v[93:94], v[63:64]
	v_mul_f64 v[95:96], v[87:88], v[89:90]
	v_fma_f64 v[85:86], v[89:90], v[87:88], -v[95:96]
	v_fma_f64 v[85:86], v[89:90], v[83:84], v[85:86]
	v_add_f64 v[97:98], v[95:96], v[85:86]
	v_add_f64 v[99:100], v[93:94], -v[97:98]
	v_add_f64 v[91:92], v[97:98], -v[95:96]
	;; [unrolled: 1-line block ×5, first 2 shown]
	v_add_f64 v[61:62], v[61:62], v[93:94]
	v_add_f64 v[61:62], v[85:86], v[61:62]
	;; [unrolled: 1-line block ×3, first 2 shown]
	v_mul_f64 v[91:92], v[63:64], v[85:86]
	v_add_f64 v[97:98], v[99:100], -v[85:86]
	v_mul_f64 v[93:94], v[87:88], v[91:92]
	v_add_f64 v[61:62], v[61:62], v[97:98]
	v_fma_f64 v[87:88], v[91:92], v[87:88], -v[93:94]
	v_fma_f64 v[83:84], v[91:92], v[83:84], v[87:88]
	v_add_f64 v[87:88], v[93:94], v[83:84]
	v_add_f64 v[95:96], v[85:86], -v[87:88]
	v_add_f64 v[93:94], v[87:88], -v[93:94]
	;; [unrolled: 1-line block ×5, first 2 shown]
	v_add_f64 v[61:62], v[61:62], v[85:86]
	v_add_f64 v[85:86], v[89:90], v[91:92]
	v_add_f64 v[61:62], v[83:84], v[61:62]
	v_add_f64 v[83:84], v[85:86], -v[89:90]
	v_add_f64 v[61:62], v[95:96], v[61:62]
	v_add_f64 v[83:84], v[91:92], -v[83:84]
	v_mul_f64 v[61:62], v[63:64], v[61:62]
	v_add_f64 v[61:62], v[83:84], v[61:62]
	v_add_f64 v[63:64], v[85:86], v[61:62]
	v_mul_f64 v[83:84], v[63:64], v[63:64]
	v_fma_f64 v[87:88], v[83:84], s[76:77], v[57:58]
	v_mul_f64 v[89:90], v[63:64], v[83:84]
	v_fma_f64 v[87:88], v[83:84], v[87:88], s[78:79]
	v_fma_f64 v[87:88], v[83:84], v[87:88], s[80:81]
	;; [unrolled: 1-line block ×5, first 2 shown]
	v_ldexp_f64 v[87:88], v[63:64], 1
	v_add_f64 v[63:64], v[63:64], -v[85:86]
	v_mul_f64 v[83:84], v[89:90], v[83:84]
	v_cvt_f64_i32_e32 v[89:90], v101
	v_add_f64 v[61:62], v[61:62], -v[63:64]
	v_mul_f64 v[91:92], v[89:90], s[88:89]
	v_add_f64 v[85:86], v[87:88], v[83:84]
	v_ldexp_f64 v[61:62], v[61:62], 1
	v_add_f64 v[63:64], v[85:86], -v[87:88]
	v_fma_f64 v[87:88], v[89:90], s[88:89], -v[91:92]
	v_add_f64 v[63:64], v[83:84], -v[63:64]
	v_fma_f64 v[83:84], v[89:90], s[90:91], v[87:88]
	v_add_f64 v[61:62], v[61:62], v[63:64]
	v_add_f64 v[63:64], v[91:92], v[83:84]
	;; [unrolled: 1-line block ×3, first 2 shown]
	v_add_f64 v[91:92], v[63:64], -v[91:92]
	v_add_f64 v[89:90], v[63:64], v[87:88]
	v_add_f64 v[85:86], v[87:88], -v[85:86]
	v_add_f64 v[83:84], v[83:84], -v[91:92]
	;; [unrolled: 1-line block ×6, first 2 shown]
	v_add_f64 v[87:88], v[83:84], v[61:62]
	v_add_f64 v[63:64], v[63:64], -v[95:96]
	v_add_f64 v[63:64], v[85:86], v[63:64]
	v_add_f64 v[85:86], v[87:88], -v[83:84]
	;; [unrolled: 2-line block ×3, first 2 shown]
	v_add_f64 v[61:62], v[61:62], -v[85:86]
	v_add_f64 v[91:92], v[89:90], v[63:64]
	v_add_f64 v[83:84], v[83:84], -v[87:88]
	v_add_f64 v[85:86], v[91:92], -v[89:90]
	v_add_f64 v[61:62], v[61:62], v[83:84]
	v_add_f64 v[63:64], v[63:64], -v[85:86]
	v_add_f64 v[61:62], v[61:62], v[63:64]
	v_add_f64 v[61:62], v[91:92], v[61:62]
	v_cndmask_b32_e32 v61, 0, v61, vcc
	v_cmp_ngt_f64_e32 vcc, -1.0, v[59:60]
	v_cndmask_b32_e64 v62, v80, v62, s[30:31]
	v_cndmask_b32_e32 v62, v81, v62, vcc
	v_cmp_neq_f64_e32 vcc, -1.0, v[59:60]
	v_cndmask_b32_e32 v62, v82, v62, vcc
	v_add_f64 v[61:62], v[25:26], v[61:62]
.LBB5_135:                              ;   in Loop: Header=BB5_111 Depth=1
	s_or_b64 exec, exec, s[36:37]
	v_mov_b32_e32 v59, v61
	v_mov_b32_e32 v25, v61
	;; [unrolled: 1-line block ×4, first 2 shown]
.LBB5_136:                              ;   in Loop: Header=BB5_111 Depth=1
	s_or_b64 exec, exec, s[94:95]
	s_waitcnt lgkmcnt(1)
	ds_bpermute_b32 v61, v77, v25
	s_waitcnt lgkmcnt(1)
	ds_bpermute_b32 v62, v77, v26
	v_cmp_le_u32_e32 vcc, v78, v28
	s_and_saveexec_b64 s[94:95], vcc
	s_cbranch_execz .LBB5_140
; %bb.137:                              ;   in Loop: Header=BB5_111 Depth=1
	s_waitcnt lgkmcnt(0)
	v_max_f64 v[25:26], v[61:62], v[61:62]
	v_max_f64 v[63:64], v[59:60], v[59:60]
	v_cmp_u_f64_e32 vcc, v[61:62], v[61:62]
	v_cmp_u_f64_e64 s[30:31], v[59:60], v[59:60]
	v_min_f64 v[83:84], v[25:26], v[63:64]
	v_max_f64 v[25:26], v[25:26], v[63:64]
	v_cndmask_b32_e32 v28, v84, v62, vcc
	v_cndmask_b32_e32 v63, v83, v61, vcc
	;; [unrolled: 1-line block ×4, first 2 shown]
	v_cndmask_b32_e64 v64, v28, v60, s[30:31]
	v_cndmask_b32_e64 v63, v63, v59, s[30:31]
	v_cndmask_b32_e64 v26, v26, v60, s[30:31]
	v_cndmask_b32_e64 v25, v25, v59, s[30:31]
	v_cmp_neq_f64_e32 vcc, v[63:64], v[25:26]
	v_cmp_class_f64_e64 s[30:31], v[63:64], s7
	s_or_b64 s[30:31], vcc, s[30:31]
	s_and_saveexec_b64 s[36:37], s[30:31]
	s_cbranch_execz .LBB5_139
; %bb.138:                              ;   in Loop: Header=BB5_111 Depth=1
	v_add_f64 v[59:60], v[63:64], -v[25:26]
	s_mov_b32 s87, s75
	s_mov_b32 s88, s48
	;; [unrolled: 1-line block ×3, first 2 shown]
	v_mul_f64 v[61:62], v[59:60], s[46:47]
	v_cmp_nlt_f64_e32 vcc, s[70:71], v[59:60]
	v_cmp_ngt_f64_e64 s[30:31], s[72:73], v[59:60]
	v_rndne_f64_e32 v[61:62], v[61:62]
	v_fma_f64 v[63:64], v[61:62], s[48:49], v[59:60]
	v_cvt_i32_f64_e32 v28, v[61:62]
	v_fma_f64 v[63:64], v[61:62], s[50:51], v[63:64]
	v_fma_f64 v[83:84], v[63:64], s[52:53], v[55:56]
	;; [unrolled: 1-line block ×10, first 2 shown]
	v_fma_f64 v[83:84], v[63:64], v[83:84], 1.0
	v_fma_f64 v[63:64], v[63:64], v[83:84], 1.0
	v_ldexp_f64 v[61:62], v[63:64], v28
	v_cndmask_b32_e32 v28, v80, v62, vcc
	s_and_b64 vcc, s[30:31], vcc
	v_cndmask_b32_e64 v60, 0, v28, s[30:31]
	v_cndmask_b32_e32 v59, 0, v61, vcc
	v_add_f64 v[61:62], v[59:60], 1.0
	v_cmp_neq_f64_e64 s[30:31], s[92:93], v[59:60]
	v_frexp_mant_f64_e32 v[83:84], v[61:62]
	v_frexp_exp_i32_f64_e32 v28, v[61:62]
	v_add_f64 v[63:64], v[61:62], -1.0
	v_cmp_gt_f64_e32 vcc, s[74:75], v[83:84]
	v_add_f64 v[85:86], v[63:64], -v[61:62]
	v_add_f64 v[63:64], v[59:60], -v[63:64]
	v_subbrev_co_u32_e32 v28, vcc, 0, v28, vcc
	v_sub_u32_e32 v87, 0, v28
	v_ldexp_f64 v[61:62], v[61:62], v87
	v_add_f64 v[83:84], v[85:86], 1.0
	v_cmp_nge_f64_e32 vcc, -1.0, v[59:60]
	v_add_f64 v[85:86], v[61:62], 1.0
	v_add_f64 v[63:64], v[63:64], v[83:84]
	v_add_f64 v[91:92], v[61:62], -1.0
	s_and_b64 vcc, vcc, s[30:31]
	v_add_f64 v[83:84], v[85:86], -1.0
	v_ldexp_f64 v[63:64], v[63:64], v87
	v_add_f64 v[93:94], v[91:92], 1.0
	v_add_f64 v[83:84], v[61:62], -v[83:84]
	v_add_f64 v[61:62], v[61:62], -v[93:94]
	v_add_f64 v[83:84], v[63:64], v[83:84]
	v_add_f64 v[61:62], v[63:64], v[61:62]
	;; [unrolled: 1-line block ×4, first 2 shown]
	v_rcp_f64_e32 v[89:90], v[87:88]
	v_add_f64 v[85:86], v[87:88], -v[85:86]
	v_add_f64 v[91:92], v[93:94], -v[91:92]
	;; [unrolled: 1-line block ×4, first 2 shown]
	v_fma_f64 v[95:96], -v[87:88], v[89:90], 1.0
	v_fma_f64 v[89:90], v[95:96], v[89:90], v[89:90]
	v_fma_f64 v[63:64], -v[87:88], v[89:90], 1.0
	v_fma_f64 v[63:64], v[63:64], v[89:90], v[89:90]
	v_mul_f64 v[89:90], v[93:94], v[63:64]
	v_mul_f64 v[95:96], v[87:88], v[89:90]
	v_fma_f64 v[85:86], v[89:90], v[87:88], -v[95:96]
	v_fma_f64 v[85:86], v[89:90], v[83:84], v[85:86]
	v_add_f64 v[97:98], v[95:96], v[85:86]
	v_add_f64 v[99:100], v[93:94], -v[97:98]
	v_add_f64 v[91:92], v[97:98], -v[95:96]
	;; [unrolled: 1-line block ×5, first 2 shown]
	v_add_f64 v[61:62], v[61:62], v[93:94]
	v_add_f64 v[61:62], v[85:86], v[61:62]
	;; [unrolled: 1-line block ×3, first 2 shown]
	v_mul_f64 v[91:92], v[63:64], v[85:86]
	v_add_f64 v[97:98], v[99:100], -v[85:86]
	v_mul_f64 v[93:94], v[87:88], v[91:92]
	v_add_f64 v[61:62], v[61:62], v[97:98]
	v_fma_f64 v[87:88], v[91:92], v[87:88], -v[93:94]
	v_fma_f64 v[83:84], v[91:92], v[83:84], v[87:88]
	v_add_f64 v[87:88], v[93:94], v[83:84]
	v_add_f64 v[95:96], v[85:86], -v[87:88]
	v_add_f64 v[93:94], v[87:88], -v[93:94]
	;; [unrolled: 1-line block ×5, first 2 shown]
	v_add_f64 v[61:62], v[61:62], v[85:86]
	v_add_f64 v[85:86], v[89:90], v[91:92]
	;; [unrolled: 1-line block ×3, first 2 shown]
	v_add_f64 v[83:84], v[85:86], -v[89:90]
	v_add_f64 v[61:62], v[95:96], v[61:62]
	v_add_f64 v[83:84], v[91:92], -v[83:84]
	v_mul_f64 v[61:62], v[63:64], v[61:62]
	v_add_f64 v[61:62], v[83:84], v[61:62]
	v_add_f64 v[63:64], v[85:86], v[61:62]
	v_mul_f64 v[83:84], v[63:64], v[63:64]
	v_fma_f64 v[87:88], v[83:84], s[76:77], v[57:58]
	v_mul_f64 v[89:90], v[63:64], v[83:84]
	v_fma_f64 v[87:88], v[83:84], v[87:88], s[78:79]
	v_fma_f64 v[87:88], v[83:84], v[87:88], s[80:81]
	;; [unrolled: 1-line block ×5, first 2 shown]
	v_ldexp_f64 v[87:88], v[63:64], 1
	v_add_f64 v[63:64], v[63:64], -v[85:86]
	v_mul_f64 v[83:84], v[89:90], v[83:84]
	v_cvt_f64_i32_e32 v[89:90], v28
	v_add_f64 v[61:62], v[61:62], -v[63:64]
	v_mul_f64 v[91:92], v[89:90], s[88:89]
	v_add_f64 v[85:86], v[87:88], v[83:84]
	v_ldexp_f64 v[61:62], v[61:62], 1
	v_add_f64 v[63:64], v[85:86], -v[87:88]
	v_fma_f64 v[87:88], v[89:90], s[88:89], -v[91:92]
	v_add_f64 v[63:64], v[83:84], -v[63:64]
	v_fma_f64 v[83:84], v[89:90], s[90:91], v[87:88]
	v_add_f64 v[61:62], v[61:62], v[63:64]
	v_add_f64 v[63:64], v[91:92], v[83:84]
	;; [unrolled: 1-line block ×3, first 2 shown]
	v_add_f64 v[91:92], v[63:64], -v[91:92]
	v_add_f64 v[89:90], v[63:64], v[87:88]
	v_add_f64 v[85:86], v[87:88], -v[85:86]
	v_add_f64 v[83:84], v[83:84], -v[91:92]
	;; [unrolled: 1-line block ×6, first 2 shown]
	v_add_f64 v[87:88], v[83:84], v[61:62]
	v_add_f64 v[63:64], v[63:64], -v[95:96]
	v_add_f64 v[63:64], v[85:86], v[63:64]
	v_add_f64 v[85:86], v[87:88], -v[83:84]
	;; [unrolled: 2-line block ×3, first 2 shown]
	v_add_f64 v[61:62], v[61:62], -v[85:86]
	v_add_f64 v[91:92], v[89:90], v[63:64]
	v_add_f64 v[83:84], v[83:84], -v[87:88]
	v_add_f64 v[85:86], v[91:92], -v[89:90]
	v_add_f64 v[61:62], v[61:62], v[83:84]
	v_add_f64 v[63:64], v[63:64], -v[85:86]
	v_add_f64 v[61:62], v[61:62], v[63:64]
	v_add_f64 v[61:62], v[91:92], v[61:62]
	v_cndmask_b32_e32 v61, 0, v61, vcc
	v_cmp_ngt_f64_e32 vcc, -1.0, v[59:60]
	v_cndmask_b32_e64 v28, v80, v62, s[30:31]
	v_cndmask_b32_e32 v28, v81, v28, vcc
	v_cmp_neq_f64_e32 vcc, -1.0, v[59:60]
	v_cndmask_b32_e32 v62, v82, v28, vcc
	v_add_f64 v[61:62], v[25:26], v[61:62]
.LBB5_139:                              ;   in Loop: Header=BB5_111 Depth=1
	s_or_b64 exec, exec, s[36:37]
	v_mov_b32_e32 v59, v61
	v_mov_b32_e32 v60, v62
.LBB5_140:                              ;   in Loop: Header=BB5_111 Depth=1
	s_or_b64 exec, exec, s[94:95]
	v_max_f64 v[25:26], v[53:54], v[53:54]
	s_waitcnt lgkmcnt(0)
	v_max_f64 v[61:62], v[59:60], v[59:60]
	v_cmp_u_f64_e32 vcc, v[59:60], v[59:60]
	v_cmp_u_f64_e64 s[30:31], v[53:54], v[53:54]
	v_min_f64 v[63:64], v[61:62], v[25:26]
	v_max_f64 v[25:26], v[61:62], v[25:26]
	v_cndmask_b32_e32 v28, v63, v59, vcc
	v_cndmask_b32_e32 v61, v64, v60, vcc
	;; [unrolled: 1-line block ×4, first 2 shown]
	v_cndmask_b32_e64 v62, v61, v54, s[30:31]
	v_cndmask_b32_e64 v61, v28, v53, s[30:31]
	;; [unrolled: 1-line block ×4, first 2 shown]
	v_cmp_neq_f64_e32 vcc, v[61:62], v[25:26]
	v_cmp_class_f64_e64 s[30:31], v[61:62], s7
	s_or_b64 s[30:31], vcc, s[30:31]
	s_and_saveexec_b64 s[36:37], s[30:31]
	s_xor_b64 s[36:37], exec, s[36:37]
	s_cbranch_execz .LBB5_109
; %bb.141:                              ;   in Loop: Header=BB5_111 Depth=1
	v_add_f64 v[59:60], v[61:62], -v[25:26]
	s_mov_b32 s87, s75
	s_mov_b32 s88, s48
	;; [unrolled: 1-line block ×3, first 2 shown]
	v_mul_f64 v[61:62], v[59:60], s[46:47]
	v_cmp_nlt_f64_e32 vcc, s[70:71], v[59:60]
	v_cmp_ngt_f64_e64 s[30:31], s[72:73], v[59:60]
	v_rndne_f64_e32 v[61:62], v[61:62]
	v_fma_f64 v[63:64], v[61:62], s[48:49], v[59:60]
	v_cvt_i32_f64_e32 v28, v[61:62]
	v_fma_f64 v[63:64], v[61:62], s[50:51], v[63:64]
	v_fma_f64 v[83:84], v[63:64], s[52:53], v[55:56]
	v_fma_f64 v[83:84], v[63:64], v[83:84], s[54:55]
	v_fma_f64 v[83:84], v[63:64], v[83:84], s[56:57]
	v_fma_f64 v[83:84], v[63:64], v[83:84], s[58:59]
	v_fma_f64 v[83:84], v[63:64], v[83:84], s[60:61]
	v_fma_f64 v[83:84], v[63:64], v[83:84], s[62:63]
	v_fma_f64 v[83:84], v[63:64], v[83:84], s[64:65]
	v_fma_f64 v[83:84], v[63:64], v[83:84], s[66:67]
	v_fma_f64 v[83:84], v[63:64], v[83:84], s[68:69]
	v_fma_f64 v[83:84], v[63:64], v[83:84], 1.0
	v_fma_f64 v[63:64], v[63:64], v[83:84], 1.0
	v_ldexp_f64 v[61:62], v[63:64], v28
	v_cndmask_b32_e32 v28, v80, v62, vcc
	s_and_b64 vcc, s[30:31], vcc
	v_cndmask_b32_e64 v60, 0, v28, s[30:31]
	v_cndmask_b32_e32 v59, 0, v61, vcc
	v_add_f64 v[61:62], v[59:60], 1.0
	v_cmp_neq_f64_e64 s[30:31], s[92:93], v[59:60]
	v_frexp_mant_f64_e32 v[83:84], v[61:62]
	v_frexp_exp_i32_f64_e32 v28, v[61:62]
	v_add_f64 v[63:64], v[61:62], -1.0
	v_cmp_gt_f64_e32 vcc, s[74:75], v[83:84]
	v_add_f64 v[85:86], v[63:64], -v[61:62]
	v_add_f64 v[63:64], v[59:60], -v[63:64]
	v_subbrev_co_u32_e32 v28, vcc, 0, v28, vcc
	v_sub_u32_e32 v87, 0, v28
	v_ldexp_f64 v[61:62], v[61:62], v87
	v_add_f64 v[83:84], v[85:86], 1.0
	v_cmp_nge_f64_e32 vcc, -1.0, v[59:60]
	v_add_f64 v[85:86], v[61:62], 1.0
	v_add_f64 v[63:64], v[63:64], v[83:84]
	v_add_f64 v[91:92], v[61:62], -1.0
	s_and_b64 vcc, vcc, s[30:31]
	v_add_f64 v[83:84], v[85:86], -1.0
	v_ldexp_f64 v[63:64], v[63:64], v87
	v_add_f64 v[93:94], v[91:92], 1.0
	v_add_f64 v[83:84], v[61:62], -v[83:84]
	v_add_f64 v[61:62], v[61:62], -v[93:94]
	v_add_f64 v[83:84], v[63:64], v[83:84]
	v_add_f64 v[61:62], v[63:64], v[61:62]
	;; [unrolled: 1-line block ×4, first 2 shown]
	v_rcp_f64_e32 v[89:90], v[87:88]
	v_add_f64 v[85:86], v[87:88], -v[85:86]
	v_add_f64 v[91:92], v[93:94], -v[91:92]
	;; [unrolled: 1-line block ×4, first 2 shown]
	v_fma_f64 v[95:96], -v[87:88], v[89:90], 1.0
	v_fma_f64 v[89:90], v[95:96], v[89:90], v[89:90]
	v_fma_f64 v[63:64], -v[87:88], v[89:90], 1.0
	v_fma_f64 v[63:64], v[63:64], v[89:90], v[89:90]
	v_mul_f64 v[89:90], v[93:94], v[63:64]
	v_mul_f64 v[95:96], v[87:88], v[89:90]
	v_fma_f64 v[85:86], v[89:90], v[87:88], -v[95:96]
	v_fma_f64 v[85:86], v[89:90], v[83:84], v[85:86]
	v_add_f64 v[97:98], v[95:96], v[85:86]
	v_add_f64 v[99:100], v[93:94], -v[97:98]
	v_add_f64 v[91:92], v[97:98], -v[95:96]
	;; [unrolled: 1-line block ×5, first 2 shown]
	v_add_f64 v[61:62], v[61:62], v[93:94]
	v_add_f64 v[61:62], v[85:86], v[61:62]
	;; [unrolled: 1-line block ×3, first 2 shown]
	v_mul_f64 v[91:92], v[63:64], v[85:86]
	v_add_f64 v[97:98], v[99:100], -v[85:86]
	v_mul_f64 v[93:94], v[87:88], v[91:92]
	v_add_f64 v[61:62], v[61:62], v[97:98]
	v_fma_f64 v[87:88], v[91:92], v[87:88], -v[93:94]
	v_fma_f64 v[83:84], v[91:92], v[83:84], v[87:88]
	v_add_f64 v[87:88], v[93:94], v[83:84]
	v_add_f64 v[95:96], v[85:86], -v[87:88]
	v_add_f64 v[93:94], v[87:88], -v[93:94]
	;; [unrolled: 1-line block ×5, first 2 shown]
	v_add_f64 v[61:62], v[61:62], v[85:86]
	v_add_f64 v[85:86], v[89:90], v[91:92]
	;; [unrolled: 1-line block ×3, first 2 shown]
	v_add_f64 v[83:84], v[85:86], -v[89:90]
	v_add_f64 v[61:62], v[95:96], v[61:62]
	v_add_f64 v[83:84], v[91:92], -v[83:84]
	v_mul_f64 v[61:62], v[63:64], v[61:62]
	v_add_f64 v[61:62], v[83:84], v[61:62]
	v_add_f64 v[63:64], v[85:86], v[61:62]
	v_mul_f64 v[83:84], v[63:64], v[63:64]
	v_fma_f64 v[87:88], v[83:84], s[76:77], v[57:58]
	v_mul_f64 v[89:90], v[63:64], v[83:84]
	v_fma_f64 v[87:88], v[83:84], v[87:88], s[78:79]
	v_fma_f64 v[87:88], v[83:84], v[87:88], s[80:81]
	;; [unrolled: 1-line block ×5, first 2 shown]
	v_ldexp_f64 v[87:88], v[63:64], 1
	v_add_f64 v[63:64], v[63:64], -v[85:86]
	v_mul_f64 v[83:84], v[89:90], v[83:84]
	v_cvt_f64_i32_e32 v[89:90], v28
	v_add_f64 v[61:62], v[61:62], -v[63:64]
	v_mul_f64 v[91:92], v[89:90], s[88:89]
	v_add_f64 v[85:86], v[87:88], v[83:84]
	v_ldexp_f64 v[61:62], v[61:62], 1
	v_add_f64 v[63:64], v[85:86], -v[87:88]
	v_fma_f64 v[87:88], v[89:90], s[88:89], -v[91:92]
	v_add_f64 v[63:64], v[83:84], -v[63:64]
	v_fma_f64 v[83:84], v[89:90], s[90:91], v[87:88]
	v_add_f64 v[61:62], v[61:62], v[63:64]
	v_add_f64 v[63:64], v[91:92], v[83:84]
	;; [unrolled: 1-line block ×3, first 2 shown]
	v_add_f64 v[91:92], v[63:64], -v[91:92]
	v_add_f64 v[89:90], v[63:64], v[87:88]
	v_add_f64 v[85:86], v[87:88], -v[85:86]
	v_add_f64 v[83:84], v[83:84], -v[91:92]
	;; [unrolled: 1-line block ×6, first 2 shown]
	v_add_f64 v[87:88], v[83:84], v[61:62]
	v_add_f64 v[63:64], v[63:64], -v[95:96]
	v_add_f64 v[63:64], v[85:86], v[63:64]
	v_add_f64 v[85:86], v[87:88], -v[83:84]
	v_add_f64 v[63:64], v[87:88], v[63:64]
	v_add_f64 v[87:88], v[87:88], -v[85:86]
	v_add_f64 v[61:62], v[61:62], -v[85:86]
	v_add_f64 v[91:92], v[89:90], v[63:64]
	v_add_f64 v[83:84], v[83:84], -v[87:88]
	v_add_f64 v[85:86], v[91:92], -v[89:90]
	v_add_f64 v[61:62], v[61:62], v[83:84]
	v_add_f64 v[63:64], v[63:64], -v[85:86]
	v_add_f64 v[61:62], v[61:62], v[63:64]
	v_add_f64 v[61:62], v[91:92], v[61:62]
	v_cndmask_b32_e32 v61, 0, v61, vcc
	v_cmp_ngt_f64_e32 vcc, -1.0, v[59:60]
	v_cndmask_b32_e64 v28, v80, v62, s[30:31]
	v_cndmask_b32_e32 v28, v81, v28, vcc
	v_cmp_neq_f64_e32 vcc, -1.0, v[59:60]
	v_cndmask_b32_e32 v62, v82, v28, vcc
	v_add_f64 v[59:60], v[25:26], v[61:62]
	s_branch .LBB5_109
.LBB5_142:
                                        ; implicit-def: $vgpr21_vgpr22
                                        ; implicit-def: $vgpr25_vgpr26
                                        ; implicit-def: $vgpr29_vgpr30
                                        ; implicit-def: $vgpr33_vgpr34
                                        ; implicit-def: $vgpr37_vgpr38
	s_load_dwordx8 s[44:51], s[4:5], 0x40
	s_cbranch_execnz .LBB5_174
	s_branch .LBB5_253
.LBB5_143:
	s_and_saveexec_b64 s[30:31], s[26:27]
	s_cbranch_execz .LBB5_147
; %bb.144:
	v_max_f64 v[23:24], v[21:22], v[21:22]
	v_max_f64 v[25:26], v[53:54], v[53:54]
	v_cmp_u_f64_e32 vcc, v[53:54], v[53:54]
	v_cmp_u_f64_e64 s[26:27], v[21:22], v[21:22]
	s_movk_i32 s7, 0x1f8
	v_min_f64 v[27:28], v[25:26], v[23:24]
	v_max_f64 v[23:24], v[25:26], v[23:24]
	v_cndmask_b32_e32 v25, v27, v53, vcc
	v_cndmask_b32_e32 v26, v28, v54, vcc
	;; [unrolled: 1-line block ×4, first 2 shown]
	v_cndmask_b32_e64 v26, v26, v22, s[26:27]
	v_cndmask_b32_e64 v25, v25, v21, s[26:27]
	;; [unrolled: 1-line block ×4, first 2 shown]
	v_cmp_neq_f64_e32 vcc, v[25:26], v[23:24]
	v_cmp_class_f64_e64 s[26:27], v[25:26], s7
	v_mov_b32_e32 v21, v53
	v_mov_b32_e32 v22, v54
	s_or_b64 s[26:27], vcc, s[26:27]
	s_and_saveexec_b64 s[46:47], s[26:27]
	s_cbranch_execz .LBB5_146
; %bb.145:
	v_add_f64 v[21:22], v[25:26], -v[23:24]
	s_mov_b32 s26, 0x652b82fe
	s_mov_b32 s27, 0x3ff71547
	;; [unrolled: 1-line block ×6, first 2 shown]
	v_mov_b32_e32 v51, 0xfca7ab0c
	v_mul_f64 v[25:26], v[21:22], s[26:27]
	s_mov_b32 s26, 0x6a5dcb37
	v_mov_b32_e32 v52, 0x3e928af3
	s_mov_b32 s27, 0x3e5ade15
	s_mov_b32 s50, 0
	;; [unrolled: 1-line block ×3, first 2 shown]
	v_mov_b32_e32 v73, 0x7ff00000
	v_rndne_f64_e32 v[25:26], v[25:26]
	v_fma_f64 v[27:28], v[25:26], s[36:37], v[21:22]
	s_mov_b32 s37, 0x3fe62e42
	v_fma_f64 v[27:28], v[25:26], s[48:49], v[27:28]
	v_cvt_i32_f64_e32 v25, v[25:26]
	s_mov_b32 s49, 0x3c7abc9e
	v_fma_f64 v[51:52], v[27:28], s[26:27], v[51:52]
	s_mov_b32 s26, 0x623fde64
	s_mov_b32 s27, 0x3ec71dee
	v_fma_f64 v[51:52], v[27:28], v[51:52], s[26:27]
	s_mov_b32 s26, 0x7c89e6b0
	;; [unrolled: 3-line block ×9, first 2 shown]
	s_mov_b32 s27, 0x40900000
	v_cmp_nlt_f64_e32 vcc, s[26:27], v[21:22]
	v_cmp_ngt_f64_e64 s[26:27], s[50:51], v[21:22]
	s_mov_b32 s50, 0xbf559e2b
	s_mov_b32 s51, 0x3fc3ab76
	v_fma_f64 v[51:52], v[27:28], v[51:52], 1.0
	v_fma_f64 v[27:28], v[27:28], v[51:52], 1.0
	v_ldexp_f64 v[25:26], v[27:28], v25
	v_cndmask_b32_e32 v26, v73, v26, vcc
	s_and_b64 vcc, s[26:27], vcc
	v_cndmask_b32_e64 v22, 0, v26, s[26:27]
	v_cndmask_b32_e32 v21, 0, v25, vcc
	v_add_f64 v[25:26], v[21:22], 1.0
	s_mov_b32 s27, 0x3fe55555
	s_mov_b32 s26, 0x55555555
	v_frexp_mant_f64_e32 v[51:52], v[25:26]
	v_frexp_exp_i32_f64_e32 v57, v[25:26]
	v_add_f64 v[27:28], v[25:26], -1.0
	v_cmp_gt_f64_e32 vcc, s[26:27], v[51:52]
	s_mov_b32 s26, 0x55555780
	v_add_f64 v[55:56], v[27:28], -v[25:26]
	v_add_f64 v[27:28], v[21:22], -v[27:28]
	v_subbrev_co_u32_e32 v74, vcc, 0, v57, vcc
	v_sub_u32_e32 v57, 0, v74
	v_ldexp_f64 v[25:26], v[25:26], v57
	v_add_f64 v[51:52], v[55:56], 1.0
	v_cmp_nge_f64_e32 vcc, -1.0, v[21:22]
	v_add_f64 v[55:56], v[25:26], 1.0
	v_add_f64 v[27:28], v[27:28], v[51:52]
	v_add_f64 v[61:62], v[25:26], -1.0
	v_add_f64 v[51:52], v[55:56], -1.0
	v_ldexp_f64 v[27:28], v[27:28], v57
	v_add_f64 v[63:64], v[61:62], 1.0
	v_add_f64 v[51:52], v[25:26], -v[51:52]
	v_add_f64 v[25:26], v[25:26], -v[63:64]
	v_add_f64 v[51:52], v[27:28], v[51:52]
	v_add_f64 v[25:26], v[27:28], v[25:26]
	;; [unrolled: 1-line block ×4, first 2 shown]
	v_rcp_f64_e32 v[59:60], v[57:58]
	v_add_f64 v[55:56], v[57:58], -v[55:56]
	v_add_f64 v[61:62], v[63:64], -v[61:62]
	;; [unrolled: 1-line block ×4, first 2 shown]
	v_fma_f64 v[67:68], -v[57:58], v[59:60], 1.0
	v_fma_f64 v[59:60], v[67:68], v[59:60], v[59:60]
	v_fma_f64 v[27:28], -v[57:58], v[59:60], 1.0
	v_fma_f64 v[27:28], v[27:28], v[59:60], v[59:60]
	v_mul_f64 v[59:60], v[63:64], v[27:28]
	v_mul_f64 v[67:68], v[57:58], v[59:60]
	v_fma_f64 v[55:56], v[59:60], v[57:58], -v[67:68]
	v_fma_f64 v[55:56], v[59:60], v[51:52], v[55:56]
	v_add_f64 v[69:70], v[67:68], v[55:56]
	v_add_f64 v[71:72], v[63:64], -v[69:70]
	v_add_f64 v[61:62], v[69:70], -v[67:68]
	;; [unrolled: 1-line block ×5, first 2 shown]
	v_add_f64 v[25:26], v[25:26], v[63:64]
	v_add_f64 v[25:26], v[55:56], v[25:26]
	;; [unrolled: 1-line block ×3, first 2 shown]
	v_mul_f64 v[61:62], v[27:28], v[55:56]
	v_add_f64 v[69:70], v[71:72], -v[55:56]
	v_mul_f64 v[63:64], v[57:58], v[61:62]
	v_add_f64 v[25:26], v[25:26], v[69:70]
	v_fma_f64 v[57:58], v[61:62], v[57:58], -v[63:64]
	v_fma_f64 v[51:52], v[61:62], v[51:52], v[57:58]
	v_add_f64 v[57:58], v[63:64], v[51:52]
	v_add_f64 v[67:68], v[55:56], -v[57:58]
	v_add_f64 v[63:64], v[57:58], -v[63:64]
	;; [unrolled: 1-line block ×5, first 2 shown]
	v_mov_b32_e32 v57, 0x6b47b09a
	v_mov_b32_e32 v58, 0x3fc38538
	v_add_f64 v[25:26], v[25:26], v[55:56]
	v_add_f64 v[55:56], v[59:60], v[61:62]
	;; [unrolled: 1-line block ×3, first 2 shown]
	v_add_f64 v[51:52], v[55:56], -v[59:60]
	v_add_f64 v[25:26], v[67:68], v[25:26]
	v_add_f64 v[51:52], v[61:62], -v[51:52]
	v_mul_f64 v[25:26], v[27:28], v[25:26]
	v_add_f64 v[25:26], v[51:52], v[25:26]
	v_add_f64 v[27:28], v[55:56], v[25:26]
	v_mul_f64 v[51:52], v[27:28], v[27:28]
	v_fma_f64 v[57:58], v[51:52], s[50:51], v[57:58]
	s_mov_b32 s50, 0xd7f4df2e
	s_mov_b32 s51, 0x3fc7474d
	v_mul_f64 v[59:60], v[27:28], v[51:52]
	v_fma_f64 v[57:58], v[51:52], v[57:58], s[50:51]
	s_mov_b32 s50, 0x16291751
	s_mov_b32 s51, 0x3fcc71c0
	v_fma_f64 v[57:58], v[51:52], v[57:58], s[50:51]
	s_mov_b32 s50, 0x9b27acf1
	s_mov_b32 s51, 0x3fd24924
	;; [unrolled: 3-line block ×3, first 2 shown]
	v_fma_f64 v[57:58], v[51:52], v[57:58], s[50:51]
	v_fma_f64 v[51:52], v[51:52], v[57:58], s[26:27]
	v_ldexp_f64 v[57:58], v[27:28], 1
	v_add_f64 v[27:28], v[27:28], -v[55:56]
	s_mov_b32 s26, 0
	s_mov_b32 s27, 0x7ff00000
	v_cmp_neq_f64_e64 s[26:27], s[26:27], v[21:22]
	v_mul_f64 v[51:52], v[59:60], v[51:52]
	v_cvt_f64_i32_e32 v[59:60], v74
	v_add_f64 v[25:26], v[25:26], -v[27:28]
	v_mul_f64 v[61:62], v[59:60], s[36:37]
	s_and_b64 vcc, vcc, s[26:27]
	v_add_f64 v[55:56], v[57:58], v[51:52]
	v_ldexp_f64 v[25:26], v[25:26], 1
	v_add_f64 v[27:28], v[55:56], -v[57:58]
	v_fma_f64 v[57:58], v[59:60], s[36:37], -v[61:62]
	v_add_f64 v[27:28], v[51:52], -v[27:28]
	v_fma_f64 v[51:52], v[59:60], s[48:49], v[57:58]
	v_add_f64 v[25:26], v[25:26], v[27:28]
	v_add_f64 v[27:28], v[61:62], v[51:52]
	;; [unrolled: 1-line block ×3, first 2 shown]
	v_add_f64 v[61:62], v[27:28], -v[61:62]
	v_add_f64 v[59:60], v[27:28], v[57:58]
	v_add_f64 v[55:56], v[57:58], -v[55:56]
	v_add_f64 v[51:52], v[51:52], -v[61:62]
	;; [unrolled: 1-line block ×6, first 2 shown]
	v_add_f64 v[57:58], v[51:52], v[25:26]
	v_add_f64 v[27:28], v[27:28], -v[67:68]
	v_add_f64 v[27:28], v[55:56], v[27:28]
	v_add_f64 v[55:56], v[57:58], -v[51:52]
	;; [unrolled: 2-line block ×3, first 2 shown]
	v_add_f64 v[25:26], v[25:26], -v[55:56]
	v_add_f64 v[61:62], v[59:60], v[27:28]
	v_add_f64 v[51:52], v[51:52], -v[57:58]
	v_add_f64 v[55:56], v[61:62], -v[59:60]
	v_add_f64 v[25:26], v[25:26], v[51:52]
	v_add_f64 v[27:28], v[27:28], -v[55:56]
	v_add_f64 v[25:26], v[25:26], v[27:28]
	v_mov_b32_e32 v27, 0x7ff80000
	v_mov_b32_e32 v28, 0xfff00000
	v_add_f64 v[25:26], v[61:62], v[25:26]
	v_cndmask_b32_e32 v25, 0, v25, vcc
	v_cmp_ngt_f64_e32 vcc, -1.0, v[21:22]
	v_cndmask_b32_e64 v26, v73, v26, s[26:27]
	v_cndmask_b32_e32 v26, v27, v26, vcc
	v_cmp_neq_f64_e32 vcc, -1.0, v[21:22]
	v_cndmask_b32_e32 v26, v28, v26, vcc
	v_add_f64 v[21:22], v[23:24], v[25:26]
.LBB5_146:
	s_or_b64 exec, exec, s[46:47]
	s_add_i32 s6, s6, 64
	s_mov_b32 s7, 0
	s_lshl_b64 s[6:7], s[6:7], 4
	s_add_u32 s6, s42, s6
	s_addc_u32 s7, s43, s7
	v_mov_b32_e32 v26, s7
	v_mov_b32_e32 v23, 2
	;; [unrolled: 1-line block ×4, first 2 shown]
	;;#ASMSTART
	global_store_dwordx4 v[25:26], v[21:24] off	
s_waitcnt vmcnt(0)
	;;#ASMEND
.LBB5_147:
	s_or_b64 exec, exec, s[30:31]
	s_and_b64 exec, exec, s[24:25]
; %bb.148:
	v_mov_b32_e32 v21, 0
	ds_write_b64 v21, v[53:54]
.LBB5_149:
	s_or_b64 exec, exec, s[44:45]
	v_mov_b32_e32 v21, 0
	s_waitcnt lgkmcnt(0)
	s_barrier
	ds_read_b64 v[21:22], v21
	v_mov_b32_e32 v24, v2
	v_mov_b32_e32 v23, v1
	s_and_saveexec_b64 s[24:25], s[22:23]
	s_cbranch_execz .LBB5_153
; %bb.150:
	v_max_f64 v[23:24], v[49:50], v[49:50]
	v_cmp_u_f64_e32 vcc, v[49:50], v[49:50]
	s_movk_i32 s6, 0x1f8
	v_min_f64 v[25:26], v[23:24], v[47:48]
	v_max_f64 v[23:24], v[23:24], v[47:48]
	v_cndmask_b32_e32 v25, v25, v49, vcc
	v_cndmask_b32_e32 v26, v26, v50, vcc
	;; [unrolled: 1-line block ×4, first 2 shown]
	v_cndmask_b32_e64 v26, v26, v2, s[20:21]
	v_cndmask_b32_e64 v25, v25, v1, s[20:21]
	;; [unrolled: 1-line block ×4, first 2 shown]
	v_cmp_neq_f64_e32 vcc, v[25:26], v[23:24]
	v_cmp_class_f64_e64 s[6:7], v[25:26], s6
	s_or_b64 s[6:7], vcc, s[6:7]
	s_and_saveexec_b64 s[20:21], s[6:7]
	s_cbranch_execz .LBB5_152
; %bb.151:
	v_add_f64 v[25:26], v[25:26], -v[23:24]
	s_mov_b32 s6, 0x652b82fe
	s_mov_b32 s7, 0x3ff71547
	;; [unrolled: 1-line block ×6, first 2 shown]
	v_mov_b32_e32 v49, 0xfca7ab0c
	v_mul_f64 v[27:28], v[25:26], s[6:7]
	s_mov_b32 s6, 0x6a5dcb37
	v_mov_b32_e32 v50, 0x3e928af3
	s_mov_b32 s7, 0x3e5ade15
	s_mov_b32 s30, 0
	;; [unrolled: 1-line block ×3, first 2 shown]
	v_mov_b32_e32 v69, 0x7ff00000
	v_rndne_f64_e32 v[27:28], v[27:28]
	v_fma_f64 v[47:48], v[27:28], s[22:23], v[25:26]
	s_mov_b32 s23, 0x3fe62e42
	v_fma_f64 v[47:48], v[27:28], s[26:27], v[47:48]
	v_cvt_i32_f64_e32 v27, v[27:28]
	s_mov_b32 s27, 0x3c7abc9e
	v_fma_f64 v[49:50], v[47:48], s[6:7], v[49:50]
	s_mov_b32 s6, 0x623fde64
	s_mov_b32 s7, 0x3ec71dee
	v_fma_f64 v[49:50], v[47:48], v[49:50], s[6:7]
	s_mov_b32 s6, 0x7c89e6b0
	;; [unrolled: 3-line block ×9, first 2 shown]
	s_mov_b32 s7, 0x40900000
	v_cmp_nlt_f64_e32 vcc, s[6:7], v[25:26]
	v_cmp_ngt_f64_e64 s[6:7], s[30:31], v[25:26]
	s_mov_b32 s30, 0xbf559e2b
	s_mov_b32 s31, 0x3fc3ab76
	v_fma_f64 v[49:50], v[47:48], v[49:50], 1.0
	v_fma_f64 v[47:48], v[47:48], v[49:50], 1.0
	v_ldexp_f64 v[27:28], v[47:48], v27
	v_cndmask_b32_e32 v28, v69, v28, vcc
	s_and_b64 vcc, s[6:7], vcc
	v_cndmask_b32_e64 v26, 0, v28, s[6:7]
	v_cndmask_b32_e32 v25, 0, v27, vcc
	v_add_f64 v[27:28], v[25:26], 1.0
	s_mov_b32 s7, 0x3fe55555
	s_mov_b32 s6, 0x55555555
	v_frexp_mant_f64_e32 v[49:50], v[27:28]
	v_frexp_exp_i32_f64_e32 v53, v[27:28]
	v_add_f64 v[47:48], v[27:28], -1.0
	v_cmp_gt_f64_e32 vcc, s[6:7], v[49:50]
	s_mov_b32 s6, 0x55555780
	v_add_f64 v[51:52], v[47:48], -v[27:28]
	v_add_f64 v[47:48], v[25:26], -v[47:48]
	v_subbrev_co_u32_e32 v70, vcc, 0, v53, vcc
	v_sub_u32_e32 v53, 0, v70
	v_ldexp_f64 v[27:28], v[27:28], v53
	v_add_f64 v[49:50], v[51:52], 1.0
	v_cmp_nge_f64_e32 vcc, -1.0, v[25:26]
	v_add_f64 v[51:52], v[27:28], 1.0
	v_add_f64 v[47:48], v[47:48], v[49:50]
	v_add_f64 v[57:58], v[27:28], -1.0
	v_add_f64 v[49:50], v[51:52], -1.0
	v_ldexp_f64 v[47:48], v[47:48], v53
	v_add_f64 v[59:60], v[57:58], 1.0
	v_add_f64 v[49:50], v[27:28], -v[49:50]
	v_add_f64 v[27:28], v[27:28], -v[59:60]
	v_add_f64 v[49:50], v[47:48], v[49:50]
	v_add_f64 v[27:28], v[47:48], v[27:28]
	;; [unrolled: 1-line block ×4, first 2 shown]
	v_rcp_f64_e32 v[55:56], v[53:54]
	v_add_f64 v[51:52], v[53:54], -v[51:52]
	v_add_f64 v[57:58], v[59:60], -v[57:58]
	;; [unrolled: 1-line block ×4, first 2 shown]
	v_fma_f64 v[61:62], -v[53:54], v[55:56], 1.0
	v_fma_f64 v[55:56], v[61:62], v[55:56], v[55:56]
	v_fma_f64 v[47:48], -v[53:54], v[55:56], 1.0
	v_fma_f64 v[47:48], v[47:48], v[55:56], v[55:56]
	v_mul_f64 v[55:56], v[59:60], v[47:48]
	v_mul_f64 v[61:62], v[53:54], v[55:56]
	v_fma_f64 v[51:52], v[55:56], v[53:54], -v[61:62]
	v_fma_f64 v[51:52], v[55:56], v[49:50], v[51:52]
	v_add_f64 v[63:64], v[61:62], v[51:52]
	v_add_f64 v[67:68], v[59:60], -v[63:64]
	v_add_f64 v[57:58], v[63:64], -v[61:62]
	;; [unrolled: 1-line block ×5, first 2 shown]
	v_add_f64 v[27:28], v[27:28], v[59:60]
	v_add_f64 v[27:28], v[51:52], v[27:28]
	;; [unrolled: 1-line block ×3, first 2 shown]
	v_mul_f64 v[57:58], v[47:48], v[51:52]
	v_add_f64 v[63:64], v[67:68], -v[51:52]
	v_mul_f64 v[59:60], v[53:54], v[57:58]
	v_add_f64 v[27:28], v[27:28], v[63:64]
	v_fma_f64 v[53:54], v[57:58], v[53:54], -v[59:60]
	v_fma_f64 v[49:50], v[57:58], v[49:50], v[53:54]
	v_add_f64 v[53:54], v[59:60], v[49:50]
	v_add_f64 v[61:62], v[51:52], -v[53:54]
	v_add_f64 v[59:60], v[53:54], -v[59:60]
	;; [unrolled: 1-line block ×5, first 2 shown]
	v_mov_b32_e32 v53, 0x6b47b09a
	v_mov_b32_e32 v54, 0x3fc38538
	v_add_f64 v[27:28], v[27:28], v[51:52]
	v_add_f64 v[51:52], v[55:56], v[57:58]
	;; [unrolled: 1-line block ×3, first 2 shown]
	v_add_f64 v[49:50], v[51:52], -v[55:56]
	v_add_f64 v[27:28], v[61:62], v[27:28]
	v_add_f64 v[49:50], v[57:58], -v[49:50]
	v_mul_f64 v[27:28], v[47:48], v[27:28]
	v_add_f64 v[27:28], v[49:50], v[27:28]
	v_add_f64 v[47:48], v[51:52], v[27:28]
	v_mul_f64 v[49:50], v[47:48], v[47:48]
	v_fma_f64 v[53:54], v[49:50], s[30:31], v[53:54]
	s_mov_b32 s30, 0xd7f4df2e
	s_mov_b32 s31, 0x3fc7474d
	v_mul_f64 v[55:56], v[47:48], v[49:50]
	v_fma_f64 v[53:54], v[49:50], v[53:54], s[30:31]
	s_mov_b32 s30, 0x16291751
	s_mov_b32 s31, 0x3fcc71c0
	v_fma_f64 v[53:54], v[49:50], v[53:54], s[30:31]
	s_mov_b32 s30, 0x9b27acf1
	s_mov_b32 s31, 0x3fd24924
	;; [unrolled: 3-line block ×3, first 2 shown]
	v_fma_f64 v[53:54], v[49:50], v[53:54], s[30:31]
	v_fma_f64 v[49:50], v[49:50], v[53:54], s[6:7]
	v_ldexp_f64 v[53:54], v[47:48], 1
	v_add_f64 v[47:48], v[47:48], -v[51:52]
	s_mov_b32 s6, 0
	s_mov_b32 s7, 0x7ff00000
	v_cmp_neq_f64_e64 s[6:7], s[6:7], v[25:26]
	v_mul_f64 v[49:50], v[55:56], v[49:50]
	v_cvt_f64_i32_e32 v[55:56], v70
	v_add_f64 v[27:28], v[27:28], -v[47:48]
	v_mul_f64 v[57:58], v[55:56], s[22:23]
	s_and_b64 vcc, vcc, s[6:7]
	v_add_f64 v[51:52], v[53:54], v[49:50]
	v_ldexp_f64 v[27:28], v[27:28], 1
	v_add_f64 v[47:48], v[51:52], -v[53:54]
	v_fma_f64 v[53:54], v[55:56], s[22:23], -v[57:58]
	v_add_f64 v[47:48], v[49:50], -v[47:48]
	v_fma_f64 v[49:50], v[55:56], s[26:27], v[53:54]
	v_add_f64 v[27:28], v[27:28], v[47:48]
	v_add_f64 v[47:48], v[57:58], v[49:50]
	;; [unrolled: 1-line block ×3, first 2 shown]
	v_add_f64 v[57:58], v[47:48], -v[57:58]
	v_add_f64 v[55:56], v[47:48], v[53:54]
	v_add_f64 v[51:52], v[53:54], -v[51:52]
	v_add_f64 v[49:50], v[49:50], -v[57:58]
	;; [unrolled: 1-line block ×6, first 2 shown]
	v_add_f64 v[53:54], v[49:50], v[27:28]
	v_add_f64 v[47:48], v[47:48], -v[61:62]
	v_add_f64 v[47:48], v[51:52], v[47:48]
	v_add_f64 v[51:52], v[53:54], -v[49:50]
	;; [unrolled: 2-line block ×3, first 2 shown]
	v_add_f64 v[27:28], v[27:28], -v[51:52]
	v_add_f64 v[57:58], v[55:56], v[47:48]
	v_add_f64 v[49:50], v[49:50], -v[53:54]
	v_add_f64 v[51:52], v[57:58], -v[55:56]
	v_add_f64 v[27:28], v[27:28], v[49:50]
	v_add_f64 v[47:48], v[47:48], -v[51:52]
	v_add_f64 v[27:28], v[27:28], v[47:48]
	v_mov_b32_e32 v47, 0x7ff80000
	v_mov_b32_e32 v48, 0xfff00000
	v_add_f64 v[27:28], v[57:58], v[27:28]
	v_cndmask_b32_e32 v27, 0, v27, vcc
	v_cmp_ngt_f64_e32 vcc, -1.0, v[25:26]
	v_cndmask_b32_e64 v28, v69, v28, s[6:7]
	v_cndmask_b32_e32 v28, v47, v28, vcc
	v_cmp_neq_f64_e32 vcc, -1.0, v[25:26]
	v_cndmask_b32_e32 v28, v48, v28, vcc
	v_add_f64 v[49:50], v[23:24], v[27:28]
.LBB5_152:
	s_or_b64 exec, exec, s[20:21]
	v_mov_b32_e32 v23, v49
	v_mov_b32_e32 v24, v50
.LBB5_153:
	s_or_b64 exec, exec, s[24:25]
	v_max_f64 v[25:26], v[23:24], v[23:24]
	s_waitcnt lgkmcnt(0)
	v_max_f64 v[27:28], v[21:22], v[21:22]
	v_cmp_u_f64_e32 vcc, v[21:22], v[21:22]
	v_cmp_u_f64_e64 s[6:7], v[23:24], v[23:24]
	s_movk_i32 s26, 0x1f8
	v_min_f64 v[47:48], v[27:28], v[25:26]
	v_max_f64 v[25:26], v[27:28], v[25:26]
	v_cndmask_b32_e32 v27, v47, v21, vcc
	v_cndmask_b32_e32 v28, v48, v22, vcc
	;; [unrolled: 1-line block ×4, first 2 shown]
	v_cndmask_b32_e64 v26, v28, v24, s[6:7]
	v_cndmask_b32_e64 v25, v27, v23, s[6:7]
	;; [unrolled: 1-line block ×4, first 2 shown]
	v_cmp_neq_f64_e32 vcc, v[25:26], v[23:24]
	v_cmp_class_f64_e64 s[6:7], v[25:26], s26
	s_or_b64 s[6:7], vcc, s[6:7]
	s_and_saveexec_b64 s[20:21], s[6:7]
	s_cbranch_execz .LBB5_155
; %bb.154:
	v_add_f64 v[21:22], v[25:26], -v[23:24]
	s_mov_b32 s6, 0x652b82fe
	s_mov_b32 s7, 0x3ff71547
	;; [unrolled: 1-line block ×6, first 2 shown]
	v_mov_b32_e32 v47, 0xfca7ab0c
	v_mul_f64 v[25:26], v[21:22], s[6:7]
	s_mov_b32 s6, 0x6a5dcb37
	v_mov_b32_e32 v48, 0x3e928af3
	s_mov_b32 s7, 0x3e5ade15
	s_mov_b32 s30, 0
	;; [unrolled: 1-line block ×3, first 2 shown]
	v_mov_b32_e32 v67, 0x7ff00000
	v_rndne_f64_e32 v[25:26], v[25:26]
	v_fma_f64 v[27:28], v[25:26], s[22:23], v[21:22]
	s_mov_b32 s23, 0x3fe62e42
	v_fma_f64 v[27:28], v[25:26], s[24:25], v[27:28]
	v_cvt_i32_f64_e32 v25, v[25:26]
	s_mov_b32 s25, 0x3c7abc9e
	v_fma_f64 v[47:48], v[27:28], s[6:7], v[47:48]
	s_mov_b32 s6, 0x623fde64
	s_mov_b32 s7, 0x3ec71dee
	v_fma_f64 v[47:48], v[27:28], v[47:48], s[6:7]
	s_mov_b32 s6, 0x7c89e6b0
	;; [unrolled: 3-line block ×9, first 2 shown]
	s_mov_b32 s7, 0x40900000
	v_cmp_nlt_f64_e32 vcc, s[6:7], v[21:22]
	v_cmp_ngt_f64_e64 s[6:7], s[30:31], v[21:22]
	s_mov_b32 s30, 0xbf559e2b
	s_mov_b32 s31, 0x3fc3ab76
	v_fma_f64 v[47:48], v[27:28], v[47:48], 1.0
	v_fma_f64 v[27:28], v[27:28], v[47:48], 1.0
	v_ldexp_f64 v[25:26], v[27:28], v25
	v_cndmask_b32_e32 v26, v67, v26, vcc
	s_and_b64 vcc, s[6:7], vcc
	v_cndmask_b32_e64 v22, 0, v26, s[6:7]
	v_cndmask_b32_e32 v21, 0, v25, vcc
	v_add_f64 v[25:26], v[21:22], 1.0
	s_mov_b32 s7, 0x3fe55555
	s_mov_b32 s6, 0x55555555
	v_frexp_mant_f64_e32 v[47:48], v[25:26]
	v_frexp_exp_i32_f64_e32 v51, v[25:26]
	v_add_f64 v[27:28], v[25:26], -1.0
	v_cmp_gt_f64_e32 vcc, s[6:7], v[47:48]
	s_mov_b32 s6, 0x55555780
	v_add_f64 v[49:50], v[27:28], -v[25:26]
	v_add_f64 v[27:28], v[21:22], -v[27:28]
	v_subbrev_co_u32_e32 v68, vcc, 0, v51, vcc
	v_sub_u32_e32 v51, 0, v68
	v_ldexp_f64 v[25:26], v[25:26], v51
	v_add_f64 v[47:48], v[49:50], 1.0
	v_cmp_nge_f64_e32 vcc, -1.0, v[21:22]
	v_add_f64 v[49:50], v[25:26], 1.0
	v_add_f64 v[27:28], v[27:28], v[47:48]
	v_add_f64 v[55:56], v[25:26], -1.0
	v_add_f64 v[47:48], v[49:50], -1.0
	v_ldexp_f64 v[27:28], v[27:28], v51
	v_add_f64 v[57:58], v[55:56], 1.0
	v_add_f64 v[47:48], v[25:26], -v[47:48]
	v_add_f64 v[25:26], v[25:26], -v[57:58]
	v_add_f64 v[47:48], v[27:28], v[47:48]
	v_add_f64 v[25:26], v[27:28], v[25:26]
	;; [unrolled: 1-line block ×4, first 2 shown]
	v_rcp_f64_e32 v[53:54], v[51:52]
	v_add_f64 v[49:50], v[51:52], -v[49:50]
	v_add_f64 v[55:56], v[57:58], -v[55:56]
	;; [unrolled: 1-line block ×4, first 2 shown]
	v_fma_f64 v[59:60], -v[51:52], v[53:54], 1.0
	v_fma_f64 v[53:54], v[59:60], v[53:54], v[53:54]
	v_fma_f64 v[27:28], -v[51:52], v[53:54], 1.0
	v_fma_f64 v[27:28], v[27:28], v[53:54], v[53:54]
	v_mul_f64 v[53:54], v[57:58], v[27:28]
	v_mul_f64 v[59:60], v[51:52], v[53:54]
	v_fma_f64 v[49:50], v[53:54], v[51:52], -v[59:60]
	v_fma_f64 v[49:50], v[53:54], v[47:48], v[49:50]
	v_add_f64 v[61:62], v[59:60], v[49:50]
	v_add_f64 v[63:64], v[57:58], -v[61:62]
	v_add_f64 v[55:56], v[61:62], -v[59:60]
	;; [unrolled: 1-line block ×5, first 2 shown]
	v_add_f64 v[25:26], v[25:26], v[57:58]
	v_add_f64 v[25:26], v[49:50], v[25:26]
	v_add_f64 v[49:50], v[63:64], v[25:26]
	v_mul_f64 v[55:56], v[27:28], v[49:50]
	v_add_f64 v[61:62], v[63:64], -v[49:50]
	v_mul_f64 v[57:58], v[51:52], v[55:56]
	v_add_f64 v[25:26], v[25:26], v[61:62]
	v_fma_f64 v[51:52], v[55:56], v[51:52], -v[57:58]
	v_fma_f64 v[47:48], v[55:56], v[47:48], v[51:52]
	v_add_f64 v[51:52], v[57:58], v[47:48]
	v_add_f64 v[59:60], v[49:50], -v[51:52]
	v_add_f64 v[57:58], v[51:52], -v[57:58]
	;; [unrolled: 1-line block ×5, first 2 shown]
	v_mov_b32_e32 v51, 0x6b47b09a
	v_mov_b32_e32 v52, 0x3fc38538
	v_add_f64 v[25:26], v[25:26], v[49:50]
	v_add_f64 v[49:50], v[53:54], v[55:56]
	;; [unrolled: 1-line block ×3, first 2 shown]
	v_add_f64 v[47:48], v[49:50], -v[53:54]
	v_add_f64 v[25:26], v[59:60], v[25:26]
	v_add_f64 v[47:48], v[55:56], -v[47:48]
	v_mul_f64 v[25:26], v[27:28], v[25:26]
	v_add_f64 v[25:26], v[47:48], v[25:26]
	v_add_f64 v[27:28], v[49:50], v[25:26]
	v_mul_f64 v[47:48], v[27:28], v[27:28]
	v_fma_f64 v[51:52], v[47:48], s[30:31], v[51:52]
	s_mov_b32 s30, 0xd7f4df2e
	s_mov_b32 s31, 0x3fc7474d
	v_mul_f64 v[53:54], v[27:28], v[47:48]
	v_fma_f64 v[51:52], v[47:48], v[51:52], s[30:31]
	s_mov_b32 s30, 0x16291751
	s_mov_b32 s31, 0x3fcc71c0
	v_fma_f64 v[51:52], v[47:48], v[51:52], s[30:31]
	s_mov_b32 s30, 0x9b27acf1
	s_mov_b32 s31, 0x3fd24924
	v_fma_f64 v[51:52], v[47:48], v[51:52], s[30:31]
	s_mov_b32 s30, 0x998ef7b6
	s_mov_b32 s31, 0x3fd99999
	v_fma_f64 v[51:52], v[47:48], v[51:52], s[30:31]
	v_fma_f64 v[47:48], v[47:48], v[51:52], s[6:7]
	v_ldexp_f64 v[51:52], v[27:28], 1
	v_add_f64 v[27:28], v[27:28], -v[49:50]
	s_mov_b32 s6, 0
	s_mov_b32 s7, 0x7ff00000
	v_cmp_neq_f64_e64 s[6:7], s[6:7], v[21:22]
	v_mul_f64 v[47:48], v[53:54], v[47:48]
	v_cvt_f64_i32_e32 v[53:54], v68
	v_add_f64 v[25:26], v[25:26], -v[27:28]
	v_mul_f64 v[55:56], v[53:54], s[22:23]
	s_and_b64 vcc, vcc, s[6:7]
	v_add_f64 v[49:50], v[51:52], v[47:48]
	v_ldexp_f64 v[25:26], v[25:26], 1
	v_add_f64 v[27:28], v[49:50], -v[51:52]
	v_fma_f64 v[51:52], v[53:54], s[22:23], -v[55:56]
	v_add_f64 v[27:28], v[47:48], -v[27:28]
	v_fma_f64 v[47:48], v[53:54], s[24:25], v[51:52]
	v_add_f64 v[25:26], v[25:26], v[27:28]
	v_add_f64 v[27:28], v[55:56], v[47:48]
	;; [unrolled: 1-line block ×3, first 2 shown]
	v_add_f64 v[55:56], v[27:28], -v[55:56]
	v_add_f64 v[53:54], v[27:28], v[51:52]
	v_add_f64 v[49:50], v[51:52], -v[49:50]
	v_add_f64 v[47:48], v[47:48], -v[55:56]
	v_add_f64 v[57:58], v[53:54], -v[27:28]
	v_add_f64 v[25:26], v[25:26], -v[49:50]
	v_add_f64 v[59:60], v[53:54], -v[57:58]
	v_add_f64 v[49:50], v[51:52], -v[57:58]
	v_add_f64 v[51:52], v[47:48], v[25:26]
	v_add_f64 v[27:28], v[27:28], -v[59:60]
	v_add_f64 v[27:28], v[49:50], v[27:28]
	v_add_f64 v[49:50], v[51:52], -v[47:48]
	;; [unrolled: 2-line block ×3, first 2 shown]
	v_add_f64 v[25:26], v[25:26], -v[49:50]
	v_add_f64 v[55:56], v[53:54], v[27:28]
	v_add_f64 v[47:48], v[47:48], -v[51:52]
	v_add_f64 v[49:50], v[55:56], -v[53:54]
	v_add_f64 v[25:26], v[25:26], v[47:48]
	v_add_f64 v[27:28], v[27:28], -v[49:50]
	v_add_f64 v[25:26], v[25:26], v[27:28]
	v_mov_b32_e32 v27, 0x7ff80000
	v_mov_b32_e32 v28, 0xfff00000
	v_add_f64 v[25:26], v[55:56], v[25:26]
	v_cndmask_b32_e32 v25, 0, v25, vcc
	v_cmp_ngt_f64_e32 vcc, -1.0, v[21:22]
	v_cndmask_b32_e64 v26, v67, v26, s[6:7]
	v_cndmask_b32_e32 v26, v27, v26, vcc
	v_cmp_neq_f64_e32 vcc, -1.0, v[21:22]
	v_cndmask_b32_e32 v26, v28, v26, vcc
	v_add_f64 v[21:22], v[23:24], v[25:26]
.LBB5_155:
	s_or_b64 exec, exec, s[20:21]
	v_max_f64 v[23:24], v[21:22], v[21:22]
	v_cmp_u_f64_e32 vcc, v[21:22], v[21:22]
	v_min_f64 v[25:26], v[23:24], v[41:42]
	v_max_f64 v[23:24], v[23:24], v[41:42]
	v_cndmask_b32_e32 v25, v25, v21, vcc
	v_cndmask_b32_e32 v26, v26, v22, vcc
	;; [unrolled: 1-line block ×4, first 2 shown]
	v_cndmask_b32_e64 v28, v26, v4, s[0:1]
	v_cndmask_b32_e64 v27, v25, v3, s[0:1]
	;; [unrolled: 1-line block ×4, first 2 shown]
	v_cmp_neq_f64_e32 vcc, v[27:28], v[25:26]
	v_cmp_class_f64_e64 s[0:1], v[27:28], s26
	v_mov_b32_e32 v24, v22
	v_mov_b32_e32 v23, v21
	s_or_b64 s[0:1], vcc, s[0:1]
	s_and_saveexec_b64 s[6:7], s[0:1]
	s_cbranch_execz .LBB5_157
; %bb.156:
	v_add_f64 v[23:24], v[27:28], -v[25:26]
	s_mov_b32 s0, 0x652b82fe
	s_mov_b32 s1, 0x3ff71547
	;; [unrolled: 1-line block ×6, first 2 shown]
	v_mov_b32_e32 v49, 0xfca7ab0c
	v_mul_f64 v[27:28], v[23:24], s[0:1]
	s_mov_b32 s0, 0x6a5dcb37
	v_mov_b32_e32 v50, 0x3e928af3
	s_mov_b32 s1, 0x3e5ade15
	s_mov_b32 s24, 0
	;; [unrolled: 1-line block ×3, first 2 shown]
	v_mov_b32_e32 v69, 0x7ff00000
	v_rndne_f64_e32 v[27:28], v[27:28]
	v_fma_f64 v[47:48], v[27:28], s[20:21], v[23:24]
	s_mov_b32 s21, 0x3fe62e42
	v_fma_f64 v[47:48], v[27:28], s[22:23], v[47:48]
	v_cvt_i32_f64_e32 v27, v[27:28]
	s_mov_b32 s23, 0x3c7abc9e
	v_fma_f64 v[49:50], v[47:48], s[0:1], v[49:50]
	s_mov_b32 s0, 0x623fde64
	s_mov_b32 s1, 0x3ec71dee
	v_fma_f64 v[49:50], v[47:48], v[49:50], s[0:1]
	s_mov_b32 s0, 0x7c89e6b0
	;; [unrolled: 3-line block ×9, first 2 shown]
	s_mov_b32 s1, 0x40900000
	v_cmp_nlt_f64_e32 vcc, s[0:1], v[23:24]
	v_cmp_ngt_f64_e64 s[0:1], s[24:25], v[23:24]
	s_mov_b32 s24, 0xbf559e2b
	s_mov_b32 s25, 0x3fc3ab76
	v_fma_f64 v[49:50], v[47:48], v[49:50], 1.0
	v_fma_f64 v[47:48], v[47:48], v[49:50], 1.0
	v_ldexp_f64 v[27:28], v[47:48], v27
	v_cndmask_b32_e32 v28, v69, v28, vcc
	s_and_b64 vcc, s[0:1], vcc
	v_cndmask_b32_e64 v24, 0, v28, s[0:1]
	v_cndmask_b32_e32 v23, 0, v27, vcc
	v_add_f64 v[27:28], v[23:24], 1.0
	s_mov_b32 s1, 0x3fe55555
	s_mov_b32 s0, 0x55555555
	v_frexp_mant_f64_e32 v[49:50], v[27:28]
	v_frexp_exp_i32_f64_e32 v53, v[27:28]
	v_add_f64 v[47:48], v[27:28], -1.0
	v_cmp_gt_f64_e32 vcc, s[0:1], v[49:50]
	s_mov_b32 s0, 0x55555780
	v_add_f64 v[51:52], v[47:48], -v[27:28]
	v_add_f64 v[47:48], v[23:24], -v[47:48]
	v_subbrev_co_u32_e32 v70, vcc, 0, v53, vcc
	v_sub_u32_e32 v53, 0, v70
	v_ldexp_f64 v[27:28], v[27:28], v53
	v_add_f64 v[49:50], v[51:52], 1.0
	v_cmp_nge_f64_e32 vcc, -1.0, v[23:24]
	v_add_f64 v[51:52], v[27:28], 1.0
	v_add_f64 v[47:48], v[47:48], v[49:50]
	v_add_f64 v[57:58], v[27:28], -1.0
	v_add_f64 v[49:50], v[51:52], -1.0
	v_ldexp_f64 v[47:48], v[47:48], v53
	v_add_f64 v[59:60], v[57:58], 1.0
	v_add_f64 v[49:50], v[27:28], -v[49:50]
	v_add_f64 v[27:28], v[27:28], -v[59:60]
	v_add_f64 v[49:50], v[47:48], v[49:50]
	v_add_f64 v[27:28], v[47:48], v[27:28]
	;; [unrolled: 1-line block ×4, first 2 shown]
	v_rcp_f64_e32 v[55:56], v[53:54]
	v_add_f64 v[51:52], v[53:54], -v[51:52]
	v_add_f64 v[57:58], v[59:60], -v[57:58]
	;; [unrolled: 1-line block ×4, first 2 shown]
	v_fma_f64 v[61:62], -v[53:54], v[55:56], 1.0
	v_fma_f64 v[55:56], v[61:62], v[55:56], v[55:56]
	v_fma_f64 v[47:48], -v[53:54], v[55:56], 1.0
	v_fma_f64 v[47:48], v[47:48], v[55:56], v[55:56]
	v_mul_f64 v[55:56], v[59:60], v[47:48]
	v_mul_f64 v[61:62], v[53:54], v[55:56]
	v_fma_f64 v[51:52], v[55:56], v[53:54], -v[61:62]
	v_fma_f64 v[51:52], v[55:56], v[49:50], v[51:52]
	v_add_f64 v[63:64], v[61:62], v[51:52]
	v_add_f64 v[67:68], v[59:60], -v[63:64]
	v_add_f64 v[57:58], v[63:64], -v[61:62]
	;; [unrolled: 1-line block ×5, first 2 shown]
	v_add_f64 v[27:28], v[27:28], v[59:60]
	v_add_f64 v[27:28], v[51:52], v[27:28]
	v_add_f64 v[51:52], v[67:68], v[27:28]
	v_mul_f64 v[57:58], v[47:48], v[51:52]
	v_add_f64 v[63:64], v[67:68], -v[51:52]
	v_mul_f64 v[59:60], v[53:54], v[57:58]
	v_add_f64 v[27:28], v[27:28], v[63:64]
	v_fma_f64 v[53:54], v[57:58], v[53:54], -v[59:60]
	v_fma_f64 v[49:50], v[57:58], v[49:50], v[53:54]
	v_add_f64 v[53:54], v[59:60], v[49:50]
	v_add_f64 v[61:62], v[51:52], -v[53:54]
	v_add_f64 v[59:60], v[53:54], -v[59:60]
	;; [unrolled: 1-line block ×5, first 2 shown]
	v_mov_b32_e32 v53, 0x6b47b09a
	v_mov_b32_e32 v54, 0x3fc38538
	v_add_f64 v[27:28], v[27:28], v[51:52]
	v_add_f64 v[51:52], v[55:56], v[57:58]
	;; [unrolled: 1-line block ×3, first 2 shown]
	v_add_f64 v[49:50], v[51:52], -v[55:56]
	v_add_f64 v[27:28], v[61:62], v[27:28]
	v_add_f64 v[49:50], v[57:58], -v[49:50]
	v_mul_f64 v[27:28], v[47:48], v[27:28]
	v_add_f64 v[27:28], v[49:50], v[27:28]
	v_add_f64 v[47:48], v[51:52], v[27:28]
	v_mul_f64 v[49:50], v[47:48], v[47:48]
	v_fma_f64 v[53:54], v[49:50], s[24:25], v[53:54]
	s_mov_b32 s24, 0xd7f4df2e
	s_mov_b32 s25, 0x3fc7474d
	v_mul_f64 v[55:56], v[47:48], v[49:50]
	v_fma_f64 v[53:54], v[49:50], v[53:54], s[24:25]
	s_mov_b32 s24, 0x16291751
	s_mov_b32 s25, 0x3fcc71c0
	v_fma_f64 v[53:54], v[49:50], v[53:54], s[24:25]
	s_mov_b32 s24, 0x9b27acf1
	s_mov_b32 s25, 0x3fd24924
	;; [unrolled: 3-line block ×3, first 2 shown]
	v_fma_f64 v[53:54], v[49:50], v[53:54], s[24:25]
	v_fma_f64 v[49:50], v[49:50], v[53:54], s[0:1]
	v_ldexp_f64 v[53:54], v[47:48], 1
	v_add_f64 v[47:48], v[47:48], -v[51:52]
	s_mov_b32 s0, 0
	s_mov_b32 s1, 0x7ff00000
	v_cmp_neq_f64_e64 s[0:1], s[0:1], v[23:24]
	v_mul_f64 v[49:50], v[55:56], v[49:50]
	v_cvt_f64_i32_e32 v[55:56], v70
	v_add_f64 v[27:28], v[27:28], -v[47:48]
	v_mul_f64 v[57:58], v[55:56], s[20:21]
	s_and_b64 vcc, vcc, s[0:1]
	v_add_f64 v[51:52], v[53:54], v[49:50]
	v_ldexp_f64 v[27:28], v[27:28], 1
	v_add_f64 v[47:48], v[51:52], -v[53:54]
	v_fma_f64 v[53:54], v[55:56], s[20:21], -v[57:58]
	v_add_f64 v[47:48], v[49:50], -v[47:48]
	v_fma_f64 v[49:50], v[55:56], s[22:23], v[53:54]
	v_add_f64 v[27:28], v[27:28], v[47:48]
	v_add_f64 v[47:48], v[57:58], v[49:50]
	;; [unrolled: 1-line block ×3, first 2 shown]
	v_add_f64 v[57:58], v[47:48], -v[57:58]
	v_add_f64 v[55:56], v[47:48], v[53:54]
	v_add_f64 v[51:52], v[53:54], -v[51:52]
	v_add_f64 v[49:50], v[49:50], -v[57:58]
	v_add_f64 v[59:60], v[55:56], -v[47:48]
	v_add_f64 v[27:28], v[27:28], -v[51:52]
	v_add_f64 v[61:62], v[55:56], -v[59:60]
	v_add_f64 v[51:52], v[53:54], -v[59:60]
	v_add_f64 v[53:54], v[49:50], v[27:28]
	v_add_f64 v[47:48], v[47:48], -v[61:62]
	v_add_f64 v[47:48], v[51:52], v[47:48]
	v_add_f64 v[51:52], v[53:54], -v[49:50]
	;; [unrolled: 2-line block ×3, first 2 shown]
	v_add_f64 v[27:28], v[27:28], -v[51:52]
	v_add_f64 v[57:58], v[55:56], v[47:48]
	v_add_f64 v[49:50], v[49:50], -v[53:54]
	v_add_f64 v[51:52], v[57:58], -v[55:56]
	v_add_f64 v[27:28], v[27:28], v[49:50]
	v_add_f64 v[47:48], v[47:48], -v[51:52]
	v_add_f64 v[27:28], v[27:28], v[47:48]
	v_mov_b32_e32 v47, 0x7ff80000
	v_mov_b32_e32 v48, 0xfff00000
	v_add_f64 v[27:28], v[57:58], v[27:28]
	v_cndmask_b32_e32 v27, 0, v27, vcc
	v_cmp_ngt_f64_e32 vcc, -1.0, v[23:24]
	v_cndmask_b32_e64 v28, v69, v28, s[0:1]
	v_cndmask_b32_e32 v28, v47, v28, vcc
	v_cmp_neq_f64_e32 vcc, -1.0, v[23:24]
	v_cndmask_b32_e32 v28, v48, v28, vcc
	v_add_f64 v[23:24], v[25:26], v[27:28]
.LBB5_157:
	s_or_b64 exec, exec, s[6:7]
	v_max_f64 v[25:26], v[23:24], v[23:24]
	v_cmp_u_f64_e32 vcc, v[23:24], v[23:24]
	s_movk_i32 s22, 0x1f8
	v_min_f64 v[27:28], v[25:26], v[31:32]
	v_max_f64 v[25:26], v[25:26], v[31:32]
	v_cndmask_b32_e32 v27, v27, v23, vcc
	v_cndmask_b32_e32 v28, v28, v24, vcc
	;; [unrolled: 1-line block ×4, first 2 shown]
	v_cndmask_b32_e64 v32, v28, v18, s[2:3]
	v_cndmask_b32_e64 v31, v27, v17, s[2:3]
	;; [unrolled: 1-line block ×4, first 2 shown]
	v_cmp_neq_f64_e32 vcc, v[31:32], v[27:28]
	v_cmp_class_f64_e64 s[0:1], v[31:32], s22
	v_mov_b32_e32 v26, v24
	v_mov_b32_e32 v25, v23
	s_or_b64 s[0:1], vcc, s[0:1]
	s_and_saveexec_b64 s[2:3], s[0:1]
	s_cbranch_execz .LBB5_159
; %bb.158:
	v_add_f64 v[25:26], v[31:32], -v[27:28]
	s_mov_b32 s0, 0x652b82fe
	s_mov_b32 s1, 0x3ff71547
	;; [unrolled: 1-line block ×6, first 2 shown]
	v_mov_b32_e32 v49, 0xfca7ab0c
	v_mul_f64 v[31:32], v[25:26], s[0:1]
	s_mov_b32 s0, 0x6a5dcb37
	v_mov_b32_e32 v50, 0x3e928af3
	s_mov_b32 s1, 0x3e5ade15
	s_mov_b32 s24, 0
	;; [unrolled: 1-line block ×3, first 2 shown]
	v_mov_b32_e32 v69, 0x7ff00000
	v_rndne_f64_e32 v[31:32], v[31:32]
	v_fma_f64 v[47:48], v[31:32], s[6:7], v[25:26]
	s_mov_b32 s7, 0x3fe62e42
	v_fma_f64 v[47:48], v[31:32], s[20:21], v[47:48]
	v_cvt_i32_f64_e32 v31, v[31:32]
	s_mov_b32 s21, 0x3c7abc9e
	v_fma_f64 v[49:50], v[47:48], s[0:1], v[49:50]
	s_mov_b32 s0, 0x623fde64
	s_mov_b32 s1, 0x3ec71dee
	v_fma_f64 v[49:50], v[47:48], v[49:50], s[0:1]
	s_mov_b32 s0, 0x7c89e6b0
	;; [unrolled: 3-line block ×9, first 2 shown]
	s_mov_b32 s1, 0x40900000
	v_cmp_nlt_f64_e32 vcc, s[0:1], v[25:26]
	v_cmp_ngt_f64_e64 s[0:1], s[24:25], v[25:26]
	s_mov_b32 s24, 0xbf559e2b
	s_mov_b32 s25, 0x3fc3ab76
	v_fma_f64 v[49:50], v[47:48], v[49:50], 1.0
	v_fma_f64 v[47:48], v[47:48], v[49:50], 1.0
	v_ldexp_f64 v[31:32], v[47:48], v31
	v_cndmask_b32_e32 v32, v69, v32, vcc
	s_and_b64 vcc, s[0:1], vcc
	v_cndmask_b32_e64 v26, 0, v32, s[0:1]
	v_cndmask_b32_e32 v25, 0, v31, vcc
	v_add_f64 v[31:32], v[25:26], 1.0
	s_mov_b32 s1, 0x3fe55555
	s_mov_b32 s0, 0x55555555
	v_frexp_mant_f64_e32 v[49:50], v[31:32]
	v_frexp_exp_i32_f64_e32 v53, v[31:32]
	v_add_f64 v[47:48], v[31:32], -1.0
	v_cmp_gt_f64_e32 vcc, s[0:1], v[49:50]
	s_mov_b32 s0, 0x55555780
	v_add_f64 v[51:52], v[47:48], -v[31:32]
	v_add_f64 v[47:48], v[25:26], -v[47:48]
	v_subbrev_co_u32_e32 v70, vcc, 0, v53, vcc
	v_sub_u32_e32 v53, 0, v70
	v_ldexp_f64 v[31:32], v[31:32], v53
	v_add_f64 v[49:50], v[51:52], 1.0
	v_cmp_nge_f64_e32 vcc, -1.0, v[25:26]
	v_add_f64 v[51:52], v[31:32], 1.0
	v_add_f64 v[47:48], v[47:48], v[49:50]
	v_add_f64 v[57:58], v[31:32], -1.0
	v_add_f64 v[49:50], v[51:52], -1.0
	v_ldexp_f64 v[47:48], v[47:48], v53
	v_add_f64 v[59:60], v[57:58], 1.0
	v_add_f64 v[49:50], v[31:32], -v[49:50]
	v_add_f64 v[31:32], v[31:32], -v[59:60]
	v_add_f64 v[49:50], v[47:48], v[49:50]
	v_add_f64 v[31:32], v[47:48], v[31:32]
	;; [unrolled: 1-line block ×4, first 2 shown]
	v_rcp_f64_e32 v[55:56], v[53:54]
	v_add_f64 v[51:52], v[53:54], -v[51:52]
	v_add_f64 v[57:58], v[59:60], -v[57:58]
	;; [unrolled: 1-line block ×4, first 2 shown]
	v_fma_f64 v[61:62], -v[53:54], v[55:56], 1.0
	v_fma_f64 v[55:56], v[61:62], v[55:56], v[55:56]
	v_fma_f64 v[47:48], -v[53:54], v[55:56], 1.0
	v_fma_f64 v[47:48], v[47:48], v[55:56], v[55:56]
	v_mul_f64 v[55:56], v[59:60], v[47:48]
	v_mul_f64 v[61:62], v[53:54], v[55:56]
	v_fma_f64 v[51:52], v[55:56], v[53:54], -v[61:62]
	v_fma_f64 v[51:52], v[55:56], v[49:50], v[51:52]
	v_add_f64 v[63:64], v[61:62], v[51:52]
	v_add_f64 v[67:68], v[59:60], -v[63:64]
	v_add_f64 v[57:58], v[63:64], -v[61:62]
	;; [unrolled: 1-line block ×5, first 2 shown]
	v_add_f64 v[31:32], v[31:32], v[59:60]
	v_add_f64 v[31:32], v[51:52], v[31:32]
	;; [unrolled: 1-line block ×3, first 2 shown]
	v_mul_f64 v[57:58], v[47:48], v[51:52]
	v_add_f64 v[63:64], v[67:68], -v[51:52]
	v_mul_f64 v[59:60], v[53:54], v[57:58]
	v_add_f64 v[31:32], v[31:32], v[63:64]
	v_fma_f64 v[53:54], v[57:58], v[53:54], -v[59:60]
	v_fma_f64 v[49:50], v[57:58], v[49:50], v[53:54]
	v_add_f64 v[53:54], v[59:60], v[49:50]
	v_add_f64 v[61:62], v[51:52], -v[53:54]
	v_add_f64 v[59:60], v[53:54], -v[59:60]
	v_add_f64 v[51:52], v[51:52], -v[61:62]
	v_add_f64 v[49:50], v[59:60], -v[49:50]
	v_add_f64 v[51:52], v[51:52], -v[53:54]
	v_mov_b32_e32 v53, 0x6b47b09a
	v_mov_b32_e32 v54, 0x3fc38538
	v_add_f64 v[31:32], v[31:32], v[51:52]
	v_add_f64 v[51:52], v[55:56], v[57:58]
	;; [unrolled: 1-line block ×3, first 2 shown]
	v_add_f64 v[49:50], v[51:52], -v[55:56]
	v_add_f64 v[31:32], v[61:62], v[31:32]
	v_add_f64 v[49:50], v[57:58], -v[49:50]
	v_mul_f64 v[31:32], v[47:48], v[31:32]
	v_add_f64 v[31:32], v[49:50], v[31:32]
	v_add_f64 v[47:48], v[51:52], v[31:32]
	v_mul_f64 v[49:50], v[47:48], v[47:48]
	v_fma_f64 v[53:54], v[49:50], s[24:25], v[53:54]
	s_mov_b32 s24, 0xd7f4df2e
	s_mov_b32 s25, 0x3fc7474d
	v_mul_f64 v[55:56], v[47:48], v[49:50]
	v_fma_f64 v[53:54], v[49:50], v[53:54], s[24:25]
	s_mov_b32 s24, 0x16291751
	s_mov_b32 s25, 0x3fcc71c0
	v_fma_f64 v[53:54], v[49:50], v[53:54], s[24:25]
	s_mov_b32 s24, 0x9b27acf1
	s_mov_b32 s25, 0x3fd24924
	;; [unrolled: 3-line block ×3, first 2 shown]
	v_fma_f64 v[53:54], v[49:50], v[53:54], s[24:25]
	v_fma_f64 v[49:50], v[49:50], v[53:54], s[0:1]
	v_ldexp_f64 v[53:54], v[47:48], 1
	v_add_f64 v[47:48], v[47:48], -v[51:52]
	s_mov_b32 s0, 0
	s_mov_b32 s1, 0x7ff00000
	v_cmp_neq_f64_e64 s[0:1], s[0:1], v[25:26]
	v_mul_f64 v[49:50], v[55:56], v[49:50]
	v_cvt_f64_i32_e32 v[55:56], v70
	v_add_f64 v[31:32], v[31:32], -v[47:48]
	v_mul_f64 v[57:58], v[55:56], s[6:7]
	s_and_b64 vcc, vcc, s[0:1]
	v_add_f64 v[51:52], v[53:54], v[49:50]
	v_ldexp_f64 v[31:32], v[31:32], 1
	v_add_f64 v[47:48], v[51:52], -v[53:54]
	v_fma_f64 v[53:54], v[55:56], s[6:7], -v[57:58]
	v_add_f64 v[47:48], v[49:50], -v[47:48]
	v_fma_f64 v[49:50], v[55:56], s[20:21], v[53:54]
	v_add_f64 v[31:32], v[31:32], v[47:48]
	v_add_f64 v[47:48], v[57:58], v[49:50]
	;; [unrolled: 1-line block ×3, first 2 shown]
	v_add_f64 v[57:58], v[47:48], -v[57:58]
	v_add_f64 v[55:56], v[47:48], v[53:54]
	v_add_f64 v[51:52], v[53:54], -v[51:52]
	v_add_f64 v[49:50], v[49:50], -v[57:58]
	;; [unrolled: 1-line block ×6, first 2 shown]
	v_add_f64 v[53:54], v[49:50], v[31:32]
	v_add_f64 v[47:48], v[47:48], -v[61:62]
	v_add_f64 v[47:48], v[51:52], v[47:48]
	v_add_f64 v[51:52], v[53:54], -v[49:50]
	;; [unrolled: 2-line block ×3, first 2 shown]
	v_add_f64 v[31:32], v[31:32], -v[51:52]
	v_add_f64 v[57:58], v[55:56], v[47:48]
	v_add_f64 v[49:50], v[49:50], -v[53:54]
	v_add_f64 v[51:52], v[57:58], -v[55:56]
	v_add_f64 v[31:32], v[31:32], v[49:50]
	v_add_f64 v[47:48], v[47:48], -v[51:52]
	v_add_f64 v[31:32], v[31:32], v[47:48]
	v_mov_b32_e32 v47, 0x7ff80000
	v_mov_b32_e32 v48, 0xfff00000
	v_add_f64 v[31:32], v[57:58], v[31:32]
	v_cndmask_b32_e32 v31, 0, v31, vcc
	v_cmp_ngt_f64_e32 vcc, -1.0, v[25:26]
	v_cndmask_b32_e64 v32, v69, v32, s[0:1]
	v_cndmask_b32_e32 v32, v47, v32, vcc
	v_cmp_neq_f64_e32 vcc, -1.0, v[25:26]
	v_cndmask_b32_e32 v32, v48, v32, vcc
	v_add_f64 v[25:26], v[27:28], v[31:32]
.LBB5_159:
	s_or_b64 exec, exec, s[2:3]
	v_max_f64 v[27:28], v[25:26], v[25:26]
	v_cmp_u_f64_e32 vcc, v[25:26], v[25:26]
	v_min_f64 v[31:32], v[27:28], v[29:30]
	v_max_f64 v[27:28], v[27:28], v[29:30]
	v_cndmask_b32_e32 v29, v31, v25, vcc
	v_cndmask_b32_e32 v30, v32, v26, vcc
	;; [unrolled: 1-line block ×4, first 2 shown]
	v_cndmask_b32_e64 v32, v30, v20, s[28:29]
	v_cndmask_b32_e64 v31, v29, v19, s[28:29]
	;; [unrolled: 1-line block ×4, first 2 shown]
	v_cmp_neq_f64_e32 vcc, v[31:32], v[29:30]
	v_cmp_class_f64_e64 s[0:1], v[31:32], s22
	v_mov_b32_e32 v28, v26
	v_mov_b32_e32 v27, v25
	s_or_b64 s[0:1], vcc, s[0:1]
	s_and_saveexec_b64 s[2:3], s[0:1]
	s_cbranch_execz .LBB5_161
; %bb.160:
	v_add_f64 v[27:28], v[31:32], -v[29:30]
	s_mov_b32 s0, 0x652b82fe
	s_mov_b32 s1, 0x3ff71547
	;; [unrolled: 1-line block ×6, first 2 shown]
	v_mov_b32_e32 v49, 0xfca7ab0c
	v_mul_f64 v[31:32], v[27:28], s[0:1]
	s_mov_b32 s0, 0x6a5dcb37
	v_mov_b32_e32 v50, 0x3e928af3
	s_mov_b32 s1, 0x3e5ade15
	s_mov_b32 s22, 0
	;; [unrolled: 1-line block ×3, first 2 shown]
	v_mov_b32_e32 v69, 0x7ff00000
	v_rndne_f64_e32 v[31:32], v[31:32]
	v_fma_f64 v[47:48], v[31:32], s[6:7], v[27:28]
	s_mov_b32 s7, 0x3fe62e42
	v_fma_f64 v[47:48], v[31:32], s[20:21], v[47:48]
	v_cvt_i32_f64_e32 v31, v[31:32]
	s_mov_b32 s21, 0x3c7abc9e
	v_fma_f64 v[49:50], v[47:48], s[0:1], v[49:50]
	s_mov_b32 s0, 0x623fde64
	s_mov_b32 s1, 0x3ec71dee
	v_fma_f64 v[49:50], v[47:48], v[49:50], s[0:1]
	s_mov_b32 s0, 0x7c89e6b0
	;; [unrolled: 3-line block ×9, first 2 shown]
	s_mov_b32 s1, 0x40900000
	v_cmp_nlt_f64_e32 vcc, s[0:1], v[27:28]
	v_cmp_ngt_f64_e64 s[0:1], s[22:23], v[27:28]
	s_mov_b32 s22, 0xbf559e2b
	s_mov_b32 s23, 0x3fc3ab76
	v_fma_f64 v[49:50], v[47:48], v[49:50], 1.0
	v_fma_f64 v[47:48], v[47:48], v[49:50], 1.0
	v_ldexp_f64 v[31:32], v[47:48], v31
	v_cndmask_b32_e32 v32, v69, v32, vcc
	s_and_b64 vcc, s[0:1], vcc
	v_cndmask_b32_e64 v28, 0, v32, s[0:1]
	v_cndmask_b32_e32 v27, 0, v31, vcc
	v_add_f64 v[31:32], v[27:28], 1.0
	s_mov_b32 s1, 0x3fe55555
	s_mov_b32 s0, 0x55555555
	v_frexp_mant_f64_e32 v[49:50], v[31:32]
	v_frexp_exp_i32_f64_e32 v53, v[31:32]
	v_add_f64 v[47:48], v[31:32], -1.0
	v_cmp_gt_f64_e32 vcc, s[0:1], v[49:50]
	s_mov_b32 s0, 0x55555780
	v_add_f64 v[51:52], v[47:48], -v[31:32]
	v_add_f64 v[47:48], v[27:28], -v[47:48]
	v_subbrev_co_u32_e32 v70, vcc, 0, v53, vcc
	v_sub_u32_e32 v53, 0, v70
	v_ldexp_f64 v[31:32], v[31:32], v53
	v_add_f64 v[49:50], v[51:52], 1.0
	v_cmp_nge_f64_e32 vcc, -1.0, v[27:28]
	v_add_f64 v[51:52], v[31:32], 1.0
	v_add_f64 v[47:48], v[47:48], v[49:50]
	v_add_f64 v[57:58], v[31:32], -1.0
	v_add_f64 v[49:50], v[51:52], -1.0
	v_ldexp_f64 v[47:48], v[47:48], v53
	v_add_f64 v[59:60], v[57:58], 1.0
	v_add_f64 v[49:50], v[31:32], -v[49:50]
	v_add_f64 v[31:32], v[31:32], -v[59:60]
	v_add_f64 v[49:50], v[47:48], v[49:50]
	v_add_f64 v[31:32], v[47:48], v[31:32]
	;; [unrolled: 1-line block ×4, first 2 shown]
	v_rcp_f64_e32 v[55:56], v[53:54]
	v_add_f64 v[51:52], v[53:54], -v[51:52]
	v_add_f64 v[57:58], v[59:60], -v[57:58]
	;; [unrolled: 1-line block ×4, first 2 shown]
	v_fma_f64 v[61:62], -v[53:54], v[55:56], 1.0
	v_fma_f64 v[55:56], v[61:62], v[55:56], v[55:56]
	v_fma_f64 v[47:48], -v[53:54], v[55:56], 1.0
	v_fma_f64 v[47:48], v[47:48], v[55:56], v[55:56]
	v_mul_f64 v[55:56], v[59:60], v[47:48]
	v_mul_f64 v[61:62], v[53:54], v[55:56]
	v_fma_f64 v[51:52], v[55:56], v[53:54], -v[61:62]
	v_fma_f64 v[51:52], v[55:56], v[49:50], v[51:52]
	v_add_f64 v[63:64], v[61:62], v[51:52]
	v_add_f64 v[67:68], v[59:60], -v[63:64]
	v_add_f64 v[57:58], v[63:64], -v[61:62]
	;; [unrolled: 1-line block ×5, first 2 shown]
	v_add_f64 v[31:32], v[31:32], v[59:60]
	v_add_f64 v[31:32], v[51:52], v[31:32]
	;; [unrolled: 1-line block ×3, first 2 shown]
	v_mul_f64 v[57:58], v[47:48], v[51:52]
	v_add_f64 v[63:64], v[67:68], -v[51:52]
	v_mul_f64 v[59:60], v[53:54], v[57:58]
	v_add_f64 v[31:32], v[31:32], v[63:64]
	v_fma_f64 v[53:54], v[57:58], v[53:54], -v[59:60]
	v_fma_f64 v[49:50], v[57:58], v[49:50], v[53:54]
	v_add_f64 v[53:54], v[59:60], v[49:50]
	v_add_f64 v[61:62], v[51:52], -v[53:54]
	v_add_f64 v[59:60], v[53:54], -v[59:60]
	;; [unrolled: 1-line block ×5, first 2 shown]
	v_mov_b32_e32 v53, 0x6b47b09a
	v_mov_b32_e32 v54, 0x3fc38538
	v_add_f64 v[31:32], v[31:32], v[51:52]
	v_add_f64 v[51:52], v[55:56], v[57:58]
	;; [unrolled: 1-line block ×3, first 2 shown]
	v_add_f64 v[49:50], v[51:52], -v[55:56]
	v_add_f64 v[31:32], v[61:62], v[31:32]
	v_add_f64 v[49:50], v[57:58], -v[49:50]
	v_mul_f64 v[31:32], v[47:48], v[31:32]
	v_add_f64 v[31:32], v[49:50], v[31:32]
	v_add_f64 v[47:48], v[51:52], v[31:32]
	v_mul_f64 v[49:50], v[47:48], v[47:48]
	v_fma_f64 v[53:54], v[49:50], s[22:23], v[53:54]
	s_mov_b32 s22, 0xd7f4df2e
	s_mov_b32 s23, 0x3fc7474d
	v_mul_f64 v[55:56], v[47:48], v[49:50]
	v_fma_f64 v[53:54], v[49:50], v[53:54], s[22:23]
	s_mov_b32 s22, 0x16291751
	s_mov_b32 s23, 0x3fcc71c0
	v_fma_f64 v[53:54], v[49:50], v[53:54], s[22:23]
	s_mov_b32 s22, 0x9b27acf1
	s_mov_b32 s23, 0x3fd24924
	;; [unrolled: 3-line block ×3, first 2 shown]
	v_fma_f64 v[53:54], v[49:50], v[53:54], s[22:23]
	v_fma_f64 v[49:50], v[49:50], v[53:54], s[0:1]
	v_ldexp_f64 v[53:54], v[47:48], 1
	v_add_f64 v[47:48], v[47:48], -v[51:52]
	s_mov_b32 s0, 0
	s_mov_b32 s1, 0x7ff00000
	v_cmp_neq_f64_e64 s[0:1], s[0:1], v[27:28]
	v_mul_f64 v[49:50], v[55:56], v[49:50]
	v_cvt_f64_i32_e32 v[55:56], v70
	v_add_f64 v[31:32], v[31:32], -v[47:48]
	v_mul_f64 v[57:58], v[55:56], s[6:7]
	s_and_b64 vcc, vcc, s[0:1]
	v_add_f64 v[51:52], v[53:54], v[49:50]
	v_ldexp_f64 v[31:32], v[31:32], 1
	v_add_f64 v[47:48], v[51:52], -v[53:54]
	v_fma_f64 v[53:54], v[55:56], s[6:7], -v[57:58]
	v_add_f64 v[47:48], v[49:50], -v[47:48]
	v_fma_f64 v[49:50], v[55:56], s[20:21], v[53:54]
	v_add_f64 v[31:32], v[31:32], v[47:48]
	v_add_f64 v[47:48], v[57:58], v[49:50]
	;; [unrolled: 1-line block ×3, first 2 shown]
	v_add_f64 v[57:58], v[47:48], -v[57:58]
	v_add_f64 v[55:56], v[47:48], v[53:54]
	v_add_f64 v[51:52], v[53:54], -v[51:52]
	v_add_f64 v[49:50], v[49:50], -v[57:58]
	;; [unrolled: 1-line block ×6, first 2 shown]
	v_add_f64 v[53:54], v[49:50], v[31:32]
	v_add_f64 v[47:48], v[47:48], -v[61:62]
	v_add_f64 v[47:48], v[51:52], v[47:48]
	v_add_f64 v[51:52], v[53:54], -v[49:50]
	;; [unrolled: 2-line block ×3, first 2 shown]
	v_add_f64 v[31:32], v[31:32], -v[51:52]
	v_add_f64 v[57:58], v[55:56], v[47:48]
	v_add_f64 v[49:50], v[49:50], -v[53:54]
	v_add_f64 v[51:52], v[57:58], -v[55:56]
	v_add_f64 v[31:32], v[31:32], v[49:50]
	v_add_f64 v[47:48], v[47:48], -v[51:52]
	v_add_f64 v[31:32], v[31:32], v[47:48]
	v_mov_b32_e32 v47, 0x7ff80000
	v_mov_b32_e32 v48, 0xfff00000
	v_add_f64 v[31:32], v[57:58], v[31:32]
	v_cndmask_b32_e32 v31, 0, v31, vcc
	v_cmp_ngt_f64_e32 vcc, -1.0, v[27:28]
	v_cndmask_b32_e64 v32, v69, v32, s[0:1]
	v_cndmask_b32_e32 v32, v47, v32, vcc
	v_cmp_neq_f64_e32 vcc, -1.0, v[27:28]
	v_cndmask_b32_e32 v32, v48, v32, vcc
	v_add_f64 v[27:28], v[29:30], v[31:32]
.LBB5_161:
	s_or_b64 exec, exec, s[2:3]
	v_max_f64 v[29:30], v[27:28], v[27:28]
	v_cmp_u_f64_e32 vcc, v[27:28], v[27:28]
	s_movk_i32 s20, 0x1f8
	v_min_f64 v[31:32], v[29:30], v[35:36]
	v_max_f64 v[29:30], v[29:30], v[35:36]
	v_cndmask_b32_e32 v31, v31, v27, vcc
	v_cndmask_b32_e32 v32, v32, v28, vcc
	;; [unrolled: 1-line block ×4, first 2 shown]
	v_cndmask_b32_e64 v36, v32, v14, s[8:9]
	v_cndmask_b32_e64 v35, v31, v13, s[8:9]
	;; [unrolled: 1-line block ×4, first 2 shown]
	v_cmp_neq_f64_e32 vcc, v[35:36], v[31:32]
	v_cmp_class_f64_e64 s[0:1], v[35:36], s20
	v_mov_b32_e32 v30, v28
	v_mov_b32_e32 v29, v27
	s_or_b64 s[0:1], vcc, s[0:1]
	s_and_saveexec_b64 s[2:3], s[0:1]
	s_cbranch_execz .LBB5_163
; %bb.162:
	v_add_f64 v[29:30], v[35:36], -v[31:32]
	s_mov_b32 s0, 0x652b82fe
	s_mov_b32 s1, 0x3ff71547
	;; [unrolled: 1-line block ×6, first 2 shown]
	v_mov_b32_e32 v49, 0xfca7ab0c
	v_mul_f64 v[35:36], v[29:30], s[0:1]
	s_mov_b32 s0, 0x6a5dcb37
	v_mov_b32_e32 v50, 0x3e928af3
	s_mov_b32 s1, 0x3e5ade15
	s_mov_b32 s22, 0
	;; [unrolled: 1-line block ×3, first 2 shown]
	v_mov_b32_e32 v69, 0x7ff00000
	v_rndne_f64_e32 v[35:36], v[35:36]
	v_fma_f64 v[47:48], v[35:36], s[6:7], v[29:30]
	s_mov_b32 s7, 0x3fe62e42
	v_fma_f64 v[47:48], v[35:36], s[8:9], v[47:48]
	v_cvt_i32_f64_e32 v35, v[35:36]
	s_mov_b32 s9, 0x3c7abc9e
	v_fma_f64 v[49:50], v[47:48], s[0:1], v[49:50]
	s_mov_b32 s0, 0x623fde64
	s_mov_b32 s1, 0x3ec71dee
	v_fma_f64 v[49:50], v[47:48], v[49:50], s[0:1]
	s_mov_b32 s0, 0x7c89e6b0
	;; [unrolled: 3-line block ×9, first 2 shown]
	s_mov_b32 s1, 0x40900000
	v_cmp_nlt_f64_e32 vcc, s[0:1], v[29:30]
	v_cmp_ngt_f64_e64 s[0:1], s[22:23], v[29:30]
	s_mov_b32 s22, 0xbf559e2b
	s_mov_b32 s23, 0x3fc3ab76
	v_fma_f64 v[49:50], v[47:48], v[49:50], 1.0
	v_fma_f64 v[47:48], v[47:48], v[49:50], 1.0
	v_ldexp_f64 v[35:36], v[47:48], v35
	v_cndmask_b32_e32 v36, v69, v36, vcc
	s_and_b64 vcc, s[0:1], vcc
	v_cndmask_b32_e64 v30, 0, v36, s[0:1]
	v_cndmask_b32_e32 v29, 0, v35, vcc
	v_add_f64 v[35:36], v[29:30], 1.0
	s_mov_b32 s1, 0x3fe55555
	s_mov_b32 s0, 0x55555555
	v_frexp_mant_f64_e32 v[49:50], v[35:36]
	v_frexp_exp_i32_f64_e32 v53, v[35:36]
	v_add_f64 v[47:48], v[35:36], -1.0
	v_cmp_gt_f64_e32 vcc, s[0:1], v[49:50]
	s_mov_b32 s0, 0x55555780
	v_add_f64 v[51:52], v[47:48], -v[35:36]
	v_add_f64 v[47:48], v[29:30], -v[47:48]
	v_subbrev_co_u32_e32 v70, vcc, 0, v53, vcc
	v_sub_u32_e32 v53, 0, v70
	v_ldexp_f64 v[35:36], v[35:36], v53
	v_add_f64 v[49:50], v[51:52], 1.0
	v_cmp_nge_f64_e32 vcc, -1.0, v[29:30]
	v_add_f64 v[51:52], v[35:36], 1.0
	v_add_f64 v[47:48], v[47:48], v[49:50]
	v_add_f64 v[57:58], v[35:36], -1.0
	v_add_f64 v[49:50], v[51:52], -1.0
	v_ldexp_f64 v[47:48], v[47:48], v53
	v_add_f64 v[59:60], v[57:58], 1.0
	v_add_f64 v[49:50], v[35:36], -v[49:50]
	v_add_f64 v[35:36], v[35:36], -v[59:60]
	v_add_f64 v[49:50], v[47:48], v[49:50]
	v_add_f64 v[35:36], v[47:48], v[35:36]
	;; [unrolled: 1-line block ×4, first 2 shown]
	v_rcp_f64_e32 v[55:56], v[53:54]
	v_add_f64 v[51:52], v[53:54], -v[51:52]
	v_add_f64 v[57:58], v[59:60], -v[57:58]
	;; [unrolled: 1-line block ×4, first 2 shown]
	v_fma_f64 v[61:62], -v[53:54], v[55:56], 1.0
	v_fma_f64 v[55:56], v[61:62], v[55:56], v[55:56]
	v_fma_f64 v[47:48], -v[53:54], v[55:56], 1.0
	v_fma_f64 v[47:48], v[47:48], v[55:56], v[55:56]
	v_mul_f64 v[55:56], v[59:60], v[47:48]
	v_mul_f64 v[61:62], v[53:54], v[55:56]
	v_fma_f64 v[51:52], v[55:56], v[53:54], -v[61:62]
	v_fma_f64 v[51:52], v[55:56], v[49:50], v[51:52]
	v_add_f64 v[63:64], v[61:62], v[51:52]
	v_add_f64 v[67:68], v[59:60], -v[63:64]
	v_add_f64 v[57:58], v[63:64], -v[61:62]
	;; [unrolled: 1-line block ×5, first 2 shown]
	v_add_f64 v[35:36], v[35:36], v[59:60]
	v_add_f64 v[35:36], v[51:52], v[35:36]
	;; [unrolled: 1-line block ×3, first 2 shown]
	v_mul_f64 v[57:58], v[47:48], v[51:52]
	v_add_f64 v[63:64], v[67:68], -v[51:52]
	v_mul_f64 v[59:60], v[53:54], v[57:58]
	v_add_f64 v[35:36], v[35:36], v[63:64]
	v_fma_f64 v[53:54], v[57:58], v[53:54], -v[59:60]
	v_fma_f64 v[49:50], v[57:58], v[49:50], v[53:54]
	v_add_f64 v[53:54], v[59:60], v[49:50]
	v_add_f64 v[61:62], v[51:52], -v[53:54]
	v_add_f64 v[59:60], v[53:54], -v[59:60]
	v_add_f64 v[51:52], v[51:52], -v[61:62]
	v_add_f64 v[49:50], v[59:60], -v[49:50]
	v_add_f64 v[51:52], v[51:52], -v[53:54]
	v_mov_b32_e32 v53, 0x6b47b09a
	v_mov_b32_e32 v54, 0x3fc38538
	v_add_f64 v[35:36], v[35:36], v[51:52]
	v_add_f64 v[51:52], v[55:56], v[57:58]
	;; [unrolled: 1-line block ×3, first 2 shown]
	v_add_f64 v[49:50], v[51:52], -v[55:56]
	v_add_f64 v[35:36], v[61:62], v[35:36]
	v_add_f64 v[49:50], v[57:58], -v[49:50]
	v_mul_f64 v[35:36], v[47:48], v[35:36]
	v_add_f64 v[35:36], v[49:50], v[35:36]
	v_add_f64 v[47:48], v[51:52], v[35:36]
	v_mul_f64 v[49:50], v[47:48], v[47:48]
	v_fma_f64 v[53:54], v[49:50], s[22:23], v[53:54]
	s_mov_b32 s22, 0xd7f4df2e
	s_mov_b32 s23, 0x3fc7474d
	v_mul_f64 v[55:56], v[47:48], v[49:50]
	v_fma_f64 v[53:54], v[49:50], v[53:54], s[22:23]
	s_mov_b32 s22, 0x16291751
	s_mov_b32 s23, 0x3fcc71c0
	v_fma_f64 v[53:54], v[49:50], v[53:54], s[22:23]
	s_mov_b32 s22, 0x9b27acf1
	s_mov_b32 s23, 0x3fd24924
	;; [unrolled: 3-line block ×3, first 2 shown]
	v_fma_f64 v[53:54], v[49:50], v[53:54], s[22:23]
	v_fma_f64 v[49:50], v[49:50], v[53:54], s[0:1]
	v_ldexp_f64 v[53:54], v[47:48], 1
	v_add_f64 v[47:48], v[47:48], -v[51:52]
	s_mov_b32 s0, 0
	s_mov_b32 s1, 0x7ff00000
	v_cmp_neq_f64_e64 s[0:1], s[0:1], v[29:30]
	v_mul_f64 v[49:50], v[55:56], v[49:50]
	v_cvt_f64_i32_e32 v[55:56], v70
	v_add_f64 v[35:36], v[35:36], -v[47:48]
	v_mul_f64 v[57:58], v[55:56], s[6:7]
	s_and_b64 vcc, vcc, s[0:1]
	v_add_f64 v[51:52], v[53:54], v[49:50]
	v_ldexp_f64 v[35:36], v[35:36], 1
	v_add_f64 v[47:48], v[51:52], -v[53:54]
	v_fma_f64 v[53:54], v[55:56], s[6:7], -v[57:58]
	v_add_f64 v[47:48], v[49:50], -v[47:48]
	v_fma_f64 v[49:50], v[55:56], s[8:9], v[53:54]
	v_add_f64 v[35:36], v[35:36], v[47:48]
	v_add_f64 v[47:48], v[57:58], v[49:50]
	;; [unrolled: 1-line block ×3, first 2 shown]
	v_add_f64 v[57:58], v[47:48], -v[57:58]
	v_add_f64 v[55:56], v[47:48], v[53:54]
	v_add_f64 v[51:52], v[53:54], -v[51:52]
	v_add_f64 v[49:50], v[49:50], -v[57:58]
	;; [unrolled: 1-line block ×6, first 2 shown]
	v_add_f64 v[53:54], v[49:50], v[35:36]
	v_add_f64 v[47:48], v[47:48], -v[61:62]
	v_add_f64 v[47:48], v[51:52], v[47:48]
	v_add_f64 v[51:52], v[53:54], -v[49:50]
	;; [unrolled: 2-line block ×3, first 2 shown]
	v_add_f64 v[35:36], v[35:36], -v[51:52]
	v_add_f64 v[57:58], v[55:56], v[47:48]
	v_add_f64 v[49:50], v[49:50], -v[53:54]
	v_add_f64 v[51:52], v[57:58], -v[55:56]
	v_add_f64 v[35:36], v[35:36], v[49:50]
	v_add_f64 v[47:48], v[47:48], -v[51:52]
	v_add_f64 v[35:36], v[35:36], v[47:48]
	v_mov_b32_e32 v47, 0x7ff80000
	v_mov_b32_e32 v48, 0xfff00000
	v_add_f64 v[35:36], v[57:58], v[35:36]
	v_cndmask_b32_e32 v35, 0, v35, vcc
	v_cmp_ngt_f64_e32 vcc, -1.0, v[29:30]
	v_cndmask_b32_e64 v36, v69, v36, s[0:1]
	v_cndmask_b32_e32 v36, v47, v36, vcc
	v_cmp_neq_f64_e32 vcc, -1.0, v[29:30]
	v_cndmask_b32_e32 v36, v48, v36, vcc
	v_add_f64 v[29:30], v[31:32], v[35:36]
.LBB5_163:
	s_or_b64 exec, exec, s[2:3]
	v_max_f64 v[31:32], v[29:30], v[29:30]
	v_cmp_u_f64_e32 vcc, v[29:30], v[29:30]
	v_min_f64 v[35:36], v[31:32], v[33:34]
	v_max_f64 v[31:32], v[31:32], v[33:34]
	v_cndmask_b32_e32 v33, v35, v29, vcc
	v_cndmask_b32_e32 v34, v36, v30, vcc
	;; [unrolled: 1-line block ×4, first 2 shown]
	v_cndmask_b32_e64 v36, v34, v16, s[10:11]
	v_cndmask_b32_e64 v35, v33, v15, s[10:11]
	;; [unrolled: 1-line block ×4, first 2 shown]
	v_cmp_neq_f64_e32 vcc, v[35:36], v[33:34]
	v_cmp_class_f64_e64 s[0:1], v[35:36], s20
	v_mov_b32_e32 v32, v30
	v_mov_b32_e32 v31, v29
	s_or_b64 s[0:1], vcc, s[0:1]
	s_and_saveexec_b64 s[2:3], s[0:1]
	s_cbranch_execz .LBB5_165
; %bb.164:
	v_add_f64 v[31:32], v[35:36], -v[33:34]
	s_mov_b32 s0, 0x652b82fe
	s_mov_b32 s1, 0x3ff71547
	;; [unrolled: 1-line block ×6, first 2 shown]
	v_mov_b32_e32 v49, 0xfca7ab0c
	v_mul_f64 v[35:36], v[31:32], s[0:1]
	s_mov_b32 s0, 0x6a5dcb37
	v_mov_b32_e32 v50, 0x3e928af3
	s_mov_b32 s1, 0x3e5ade15
	s_mov_b32 s10, 0
	s_mov_b32 s11, 0xc090cc00
	v_mov_b32_e32 v69, 0x7ff00000
	v_rndne_f64_e32 v[35:36], v[35:36]
	v_fma_f64 v[47:48], v[35:36], s[6:7], v[31:32]
	s_mov_b32 s7, 0x3fe62e42
	v_fma_f64 v[47:48], v[35:36], s[8:9], v[47:48]
	v_cvt_i32_f64_e32 v35, v[35:36]
	s_mov_b32 s9, 0x3c7abc9e
	v_fma_f64 v[49:50], v[47:48], s[0:1], v[49:50]
	s_mov_b32 s0, 0x623fde64
	s_mov_b32 s1, 0x3ec71dee
	v_fma_f64 v[49:50], v[47:48], v[49:50], s[0:1]
	s_mov_b32 s0, 0x7c89e6b0
	s_mov_b32 s1, 0x3efa0199
	v_fma_f64 v[49:50], v[47:48], v[49:50], s[0:1]
	s_mov_b32 s0, 0x14761f6e
	s_mov_b32 s1, 0x3f2a01a0
	v_fma_f64 v[49:50], v[47:48], v[49:50], s[0:1]
	s_mov_b32 s0, 0x1852b7b0
	s_mov_b32 s1, 0x3f56c16c
	v_fma_f64 v[49:50], v[47:48], v[49:50], s[0:1]
	s_mov_b32 s0, 0x11122322
	s_mov_b32 s1, 0x3f811111
	v_fma_f64 v[49:50], v[47:48], v[49:50], s[0:1]
	s_mov_b32 s0, 0x555502a1
	s_mov_b32 s1, 0x3fa55555
	v_fma_f64 v[49:50], v[47:48], v[49:50], s[0:1]
	s_mov_b32 s0, 0x55555511
	s_mov_b32 s1, 0x3fc55555
	v_fma_f64 v[49:50], v[47:48], v[49:50], s[0:1]
	s_mov_b32 s0, 11
	s_mov_b32 s1, 0x3fe00000
	v_fma_f64 v[49:50], v[47:48], v[49:50], s[0:1]
	s_mov_b32 s0, 0
	s_mov_b32 s1, 0x40900000
	v_cmp_nlt_f64_e32 vcc, s[0:1], v[31:32]
	v_cmp_ngt_f64_e64 s[0:1], s[10:11], v[31:32]
	s_mov_b32 s10, 0xbf559e2b
	s_mov_b32 s11, 0x3fc3ab76
	v_fma_f64 v[49:50], v[47:48], v[49:50], 1.0
	v_fma_f64 v[47:48], v[47:48], v[49:50], 1.0
	v_ldexp_f64 v[35:36], v[47:48], v35
	v_cndmask_b32_e32 v36, v69, v36, vcc
	s_and_b64 vcc, s[0:1], vcc
	v_cndmask_b32_e64 v32, 0, v36, s[0:1]
	v_cndmask_b32_e32 v31, 0, v35, vcc
	v_add_f64 v[35:36], v[31:32], 1.0
	s_mov_b32 s1, 0x3fe55555
	s_mov_b32 s0, 0x55555555
	v_frexp_mant_f64_e32 v[49:50], v[35:36]
	v_frexp_exp_i32_f64_e32 v53, v[35:36]
	v_add_f64 v[47:48], v[35:36], -1.0
	v_cmp_gt_f64_e32 vcc, s[0:1], v[49:50]
	s_mov_b32 s0, 0x55555780
	v_add_f64 v[51:52], v[47:48], -v[35:36]
	v_add_f64 v[47:48], v[31:32], -v[47:48]
	v_subbrev_co_u32_e32 v70, vcc, 0, v53, vcc
	v_sub_u32_e32 v53, 0, v70
	v_ldexp_f64 v[35:36], v[35:36], v53
	v_add_f64 v[49:50], v[51:52], 1.0
	v_cmp_nge_f64_e32 vcc, -1.0, v[31:32]
	v_add_f64 v[51:52], v[35:36], 1.0
	v_add_f64 v[47:48], v[47:48], v[49:50]
	v_add_f64 v[57:58], v[35:36], -1.0
	v_add_f64 v[49:50], v[51:52], -1.0
	v_ldexp_f64 v[47:48], v[47:48], v53
	v_add_f64 v[59:60], v[57:58], 1.0
	v_add_f64 v[49:50], v[35:36], -v[49:50]
	v_add_f64 v[35:36], v[35:36], -v[59:60]
	v_add_f64 v[49:50], v[47:48], v[49:50]
	v_add_f64 v[35:36], v[47:48], v[35:36]
	;; [unrolled: 1-line block ×4, first 2 shown]
	v_rcp_f64_e32 v[55:56], v[53:54]
	v_add_f64 v[51:52], v[53:54], -v[51:52]
	v_add_f64 v[57:58], v[59:60], -v[57:58]
	;; [unrolled: 1-line block ×4, first 2 shown]
	v_fma_f64 v[61:62], -v[53:54], v[55:56], 1.0
	v_fma_f64 v[55:56], v[61:62], v[55:56], v[55:56]
	v_fma_f64 v[47:48], -v[53:54], v[55:56], 1.0
	v_fma_f64 v[47:48], v[47:48], v[55:56], v[55:56]
	v_mul_f64 v[55:56], v[59:60], v[47:48]
	v_mul_f64 v[61:62], v[53:54], v[55:56]
	v_fma_f64 v[51:52], v[55:56], v[53:54], -v[61:62]
	v_fma_f64 v[51:52], v[55:56], v[49:50], v[51:52]
	v_add_f64 v[63:64], v[61:62], v[51:52]
	v_add_f64 v[67:68], v[59:60], -v[63:64]
	v_add_f64 v[57:58], v[63:64], -v[61:62]
	;; [unrolled: 1-line block ×5, first 2 shown]
	v_add_f64 v[35:36], v[35:36], v[59:60]
	v_add_f64 v[35:36], v[51:52], v[35:36]
	v_add_f64 v[51:52], v[67:68], v[35:36]
	v_mul_f64 v[57:58], v[47:48], v[51:52]
	v_add_f64 v[63:64], v[67:68], -v[51:52]
	v_mul_f64 v[59:60], v[53:54], v[57:58]
	v_add_f64 v[35:36], v[35:36], v[63:64]
	v_fma_f64 v[53:54], v[57:58], v[53:54], -v[59:60]
	v_fma_f64 v[49:50], v[57:58], v[49:50], v[53:54]
	v_add_f64 v[53:54], v[59:60], v[49:50]
	v_add_f64 v[61:62], v[51:52], -v[53:54]
	v_add_f64 v[59:60], v[53:54], -v[59:60]
	;; [unrolled: 1-line block ×5, first 2 shown]
	v_mov_b32_e32 v53, 0x6b47b09a
	v_mov_b32_e32 v54, 0x3fc38538
	v_add_f64 v[35:36], v[35:36], v[51:52]
	v_add_f64 v[51:52], v[55:56], v[57:58]
	;; [unrolled: 1-line block ×3, first 2 shown]
	v_add_f64 v[49:50], v[51:52], -v[55:56]
	v_add_f64 v[35:36], v[61:62], v[35:36]
	v_add_f64 v[49:50], v[57:58], -v[49:50]
	v_mul_f64 v[35:36], v[47:48], v[35:36]
	v_add_f64 v[35:36], v[49:50], v[35:36]
	v_add_f64 v[47:48], v[51:52], v[35:36]
	v_mul_f64 v[49:50], v[47:48], v[47:48]
	v_fma_f64 v[53:54], v[49:50], s[10:11], v[53:54]
	s_mov_b32 s10, 0xd7f4df2e
	s_mov_b32 s11, 0x3fc7474d
	v_mul_f64 v[55:56], v[47:48], v[49:50]
	v_fma_f64 v[53:54], v[49:50], v[53:54], s[10:11]
	s_mov_b32 s10, 0x16291751
	s_mov_b32 s11, 0x3fcc71c0
	v_fma_f64 v[53:54], v[49:50], v[53:54], s[10:11]
	s_mov_b32 s10, 0x9b27acf1
	s_mov_b32 s11, 0x3fd24924
	;; [unrolled: 3-line block ×3, first 2 shown]
	v_fma_f64 v[53:54], v[49:50], v[53:54], s[10:11]
	v_fma_f64 v[49:50], v[49:50], v[53:54], s[0:1]
	v_ldexp_f64 v[53:54], v[47:48], 1
	v_add_f64 v[47:48], v[47:48], -v[51:52]
	s_mov_b32 s0, 0
	s_mov_b32 s1, 0x7ff00000
	v_cmp_neq_f64_e64 s[0:1], s[0:1], v[31:32]
	v_mul_f64 v[49:50], v[55:56], v[49:50]
	v_cvt_f64_i32_e32 v[55:56], v70
	v_add_f64 v[35:36], v[35:36], -v[47:48]
	v_mul_f64 v[57:58], v[55:56], s[6:7]
	s_and_b64 vcc, vcc, s[0:1]
	v_add_f64 v[51:52], v[53:54], v[49:50]
	v_ldexp_f64 v[35:36], v[35:36], 1
	v_add_f64 v[47:48], v[51:52], -v[53:54]
	v_fma_f64 v[53:54], v[55:56], s[6:7], -v[57:58]
	v_add_f64 v[47:48], v[49:50], -v[47:48]
	v_fma_f64 v[49:50], v[55:56], s[8:9], v[53:54]
	v_add_f64 v[35:36], v[35:36], v[47:48]
	v_add_f64 v[47:48], v[57:58], v[49:50]
	;; [unrolled: 1-line block ×3, first 2 shown]
	v_add_f64 v[57:58], v[47:48], -v[57:58]
	v_add_f64 v[55:56], v[47:48], v[53:54]
	v_add_f64 v[51:52], v[53:54], -v[51:52]
	v_add_f64 v[49:50], v[49:50], -v[57:58]
	v_add_f64 v[59:60], v[55:56], -v[47:48]
	v_add_f64 v[35:36], v[35:36], -v[51:52]
	v_add_f64 v[61:62], v[55:56], -v[59:60]
	v_add_f64 v[51:52], v[53:54], -v[59:60]
	v_add_f64 v[53:54], v[49:50], v[35:36]
	v_add_f64 v[47:48], v[47:48], -v[61:62]
	v_add_f64 v[47:48], v[51:52], v[47:48]
	v_add_f64 v[51:52], v[53:54], -v[49:50]
	;; [unrolled: 2-line block ×3, first 2 shown]
	v_add_f64 v[35:36], v[35:36], -v[51:52]
	v_add_f64 v[57:58], v[55:56], v[47:48]
	v_add_f64 v[49:50], v[49:50], -v[53:54]
	v_add_f64 v[51:52], v[57:58], -v[55:56]
	v_add_f64 v[35:36], v[35:36], v[49:50]
	v_add_f64 v[47:48], v[47:48], -v[51:52]
	v_add_f64 v[35:36], v[35:36], v[47:48]
	v_mov_b32_e32 v47, 0x7ff80000
	v_mov_b32_e32 v48, 0xfff00000
	v_add_f64 v[35:36], v[57:58], v[35:36]
	v_cndmask_b32_e32 v35, 0, v35, vcc
	v_cmp_ngt_f64_e32 vcc, -1.0, v[31:32]
	v_cndmask_b32_e64 v36, v69, v36, s[0:1]
	v_cndmask_b32_e32 v36, v47, v36, vcc
	v_cmp_neq_f64_e32 vcc, -1.0, v[31:32]
	v_cndmask_b32_e32 v36, v48, v36, vcc
	v_add_f64 v[31:32], v[33:34], v[35:36]
.LBB5_165:
	s_or_b64 exec, exec, s[2:3]
	v_max_f64 v[33:34], v[31:32], v[31:32]
	v_cmp_u_f64_e32 vcc, v[31:32], v[31:32]
	s_movk_i32 s10, 0x1f8
	v_min_f64 v[35:36], v[33:34], v[39:40]
	v_max_f64 v[33:34], v[33:34], v[39:40]
	v_cndmask_b32_e32 v35, v35, v31, vcc
	v_cndmask_b32_e32 v36, v36, v32, vcc
	;; [unrolled: 1-line block ×4, first 2 shown]
	v_cndmask_b32_e64 v40, v36, v10, s[12:13]
	v_cndmask_b32_e64 v39, v35, v9, s[12:13]
	;; [unrolled: 1-line block ×4, first 2 shown]
	v_cmp_neq_f64_e32 vcc, v[39:40], v[35:36]
	v_cmp_class_f64_e64 s[0:1], v[39:40], s10
	v_mov_b32_e32 v34, v32
	v_mov_b32_e32 v33, v31
	s_or_b64 s[0:1], vcc, s[0:1]
	s_and_saveexec_b64 s[2:3], s[0:1]
	s_cbranch_execz .LBB5_167
; %bb.166:
	v_add_f64 v[33:34], v[39:40], -v[35:36]
	s_mov_b32 s0, 0x652b82fe
	s_mov_b32 s1, 0x3ff71547
	;; [unrolled: 1-line block ×6, first 2 shown]
	v_mov_b32_e32 v49, 0xfca7ab0c
	v_mul_f64 v[39:40], v[33:34], s[0:1]
	s_mov_b32 s0, 0x6a5dcb37
	v_mov_b32_e32 v50, 0x3e928af3
	s_mov_b32 s1, 0x3e5ade15
	s_mov_b32 s12, 0
	;; [unrolled: 1-line block ×3, first 2 shown]
	v_mov_b32_e32 v69, 0x7ff00000
	v_rndne_f64_e32 v[39:40], v[39:40]
	v_fma_f64 v[47:48], v[39:40], s[6:7], v[33:34]
	s_mov_b32 s7, 0x3fe62e42
	v_fma_f64 v[47:48], v[39:40], s[8:9], v[47:48]
	v_cvt_i32_f64_e32 v39, v[39:40]
	s_mov_b32 s9, 0x3c7abc9e
	v_fma_f64 v[49:50], v[47:48], s[0:1], v[49:50]
	s_mov_b32 s0, 0x623fde64
	s_mov_b32 s1, 0x3ec71dee
	v_fma_f64 v[49:50], v[47:48], v[49:50], s[0:1]
	s_mov_b32 s0, 0x7c89e6b0
	;; [unrolled: 3-line block ×9, first 2 shown]
	s_mov_b32 s1, 0x40900000
	v_cmp_nlt_f64_e32 vcc, s[0:1], v[33:34]
	v_cmp_ngt_f64_e64 s[0:1], s[12:13], v[33:34]
	s_mov_b32 s12, 0xbf559e2b
	s_mov_b32 s13, 0x3fc3ab76
	v_fma_f64 v[49:50], v[47:48], v[49:50], 1.0
	v_fma_f64 v[47:48], v[47:48], v[49:50], 1.0
	v_ldexp_f64 v[39:40], v[47:48], v39
	v_cndmask_b32_e32 v40, v69, v40, vcc
	s_and_b64 vcc, s[0:1], vcc
	v_cndmask_b32_e64 v34, 0, v40, s[0:1]
	v_cndmask_b32_e32 v33, 0, v39, vcc
	v_add_f64 v[39:40], v[33:34], 1.0
	s_mov_b32 s1, 0x3fe55555
	s_mov_b32 s0, 0x55555555
	v_frexp_mant_f64_e32 v[49:50], v[39:40]
	v_frexp_exp_i32_f64_e32 v53, v[39:40]
	v_add_f64 v[47:48], v[39:40], -1.0
	v_cmp_gt_f64_e32 vcc, s[0:1], v[49:50]
	s_mov_b32 s0, 0x55555780
	v_add_f64 v[51:52], v[47:48], -v[39:40]
	v_add_f64 v[47:48], v[33:34], -v[47:48]
	v_subbrev_co_u32_e32 v70, vcc, 0, v53, vcc
	v_sub_u32_e32 v53, 0, v70
	v_ldexp_f64 v[39:40], v[39:40], v53
	v_add_f64 v[49:50], v[51:52], 1.0
	v_cmp_nge_f64_e32 vcc, -1.0, v[33:34]
	v_add_f64 v[51:52], v[39:40], 1.0
	v_add_f64 v[47:48], v[47:48], v[49:50]
	v_add_f64 v[57:58], v[39:40], -1.0
	v_add_f64 v[49:50], v[51:52], -1.0
	v_ldexp_f64 v[47:48], v[47:48], v53
	v_add_f64 v[59:60], v[57:58], 1.0
	v_add_f64 v[49:50], v[39:40], -v[49:50]
	v_add_f64 v[39:40], v[39:40], -v[59:60]
	v_add_f64 v[49:50], v[47:48], v[49:50]
	v_add_f64 v[39:40], v[47:48], v[39:40]
	;; [unrolled: 1-line block ×4, first 2 shown]
	v_rcp_f64_e32 v[55:56], v[53:54]
	v_add_f64 v[51:52], v[53:54], -v[51:52]
	v_add_f64 v[57:58], v[59:60], -v[57:58]
	v_add_f64 v[49:50], v[49:50], -v[51:52]
	v_add_f64 v[39:40], v[39:40], -v[57:58]
	v_fma_f64 v[61:62], -v[53:54], v[55:56], 1.0
	v_fma_f64 v[55:56], v[61:62], v[55:56], v[55:56]
	v_fma_f64 v[47:48], -v[53:54], v[55:56], 1.0
	v_fma_f64 v[47:48], v[47:48], v[55:56], v[55:56]
	v_mul_f64 v[55:56], v[59:60], v[47:48]
	v_mul_f64 v[61:62], v[53:54], v[55:56]
	v_fma_f64 v[51:52], v[55:56], v[53:54], -v[61:62]
	v_fma_f64 v[51:52], v[55:56], v[49:50], v[51:52]
	v_add_f64 v[63:64], v[61:62], v[51:52]
	v_add_f64 v[67:68], v[59:60], -v[63:64]
	v_add_f64 v[57:58], v[63:64], -v[61:62]
	;; [unrolled: 1-line block ×5, first 2 shown]
	v_add_f64 v[39:40], v[39:40], v[59:60]
	v_add_f64 v[39:40], v[51:52], v[39:40]
	;; [unrolled: 1-line block ×3, first 2 shown]
	v_mul_f64 v[57:58], v[47:48], v[51:52]
	v_add_f64 v[63:64], v[67:68], -v[51:52]
	v_mul_f64 v[59:60], v[53:54], v[57:58]
	v_add_f64 v[39:40], v[39:40], v[63:64]
	v_fma_f64 v[53:54], v[57:58], v[53:54], -v[59:60]
	v_fma_f64 v[49:50], v[57:58], v[49:50], v[53:54]
	v_add_f64 v[53:54], v[59:60], v[49:50]
	v_add_f64 v[61:62], v[51:52], -v[53:54]
	v_add_f64 v[59:60], v[53:54], -v[59:60]
	v_add_f64 v[51:52], v[51:52], -v[61:62]
	v_add_f64 v[49:50], v[59:60], -v[49:50]
	v_add_f64 v[51:52], v[51:52], -v[53:54]
	v_mov_b32_e32 v53, 0x6b47b09a
	v_mov_b32_e32 v54, 0x3fc38538
	v_add_f64 v[39:40], v[39:40], v[51:52]
	v_add_f64 v[51:52], v[55:56], v[57:58]
	;; [unrolled: 1-line block ×3, first 2 shown]
	v_add_f64 v[49:50], v[51:52], -v[55:56]
	v_add_f64 v[39:40], v[61:62], v[39:40]
	v_add_f64 v[49:50], v[57:58], -v[49:50]
	v_mul_f64 v[39:40], v[47:48], v[39:40]
	v_add_f64 v[39:40], v[49:50], v[39:40]
	v_add_f64 v[47:48], v[51:52], v[39:40]
	v_mul_f64 v[49:50], v[47:48], v[47:48]
	v_fma_f64 v[53:54], v[49:50], s[12:13], v[53:54]
	s_mov_b32 s12, 0xd7f4df2e
	s_mov_b32 s13, 0x3fc7474d
	v_mul_f64 v[55:56], v[47:48], v[49:50]
	v_fma_f64 v[53:54], v[49:50], v[53:54], s[12:13]
	s_mov_b32 s12, 0x16291751
	s_mov_b32 s13, 0x3fcc71c0
	v_fma_f64 v[53:54], v[49:50], v[53:54], s[12:13]
	s_mov_b32 s12, 0x9b27acf1
	s_mov_b32 s13, 0x3fd24924
	;; [unrolled: 3-line block ×3, first 2 shown]
	v_fma_f64 v[53:54], v[49:50], v[53:54], s[12:13]
	v_fma_f64 v[49:50], v[49:50], v[53:54], s[0:1]
	v_ldexp_f64 v[53:54], v[47:48], 1
	v_add_f64 v[47:48], v[47:48], -v[51:52]
	s_mov_b32 s0, 0
	s_mov_b32 s1, 0x7ff00000
	v_cmp_neq_f64_e64 s[0:1], s[0:1], v[33:34]
	v_mul_f64 v[49:50], v[55:56], v[49:50]
	v_cvt_f64_i32_e32 v[55:56], v70
	v_add_f64 v[39:40], v[39:40], -v[47:48]
	v_mul_f64 v[57:58], v[55:56], s[6:7]
	s_and_b64 vcc, vcc, s[0:1]
	v_add_f64 v[51:52], v[53:54], v[49:50]
	v_ldexp_f64 v[39:40], v[39:40], 1
	v_add_f64 v[47:48], v[51:52], -v[53:54]
	v_fma_f64 v[53:54], v[55:56], s[6:7], -v[57:58]
	v_add_f64 v[47:48], v[49:50], -v[47:48]
	v_fma_f64 v[49:50], v[55:56], s[8:9], v[53:54]
	v_add_f64 v[39:40], v[39:40], v[47:48]
	v_add_f64 v[47:48], v[57:58], v[49:50]
	;; [unrolled: 1-line block ×3, first 2 shown]
	v_add_f64 v[57:58], v[47:48], -v[57:58]
	v_add_f64 v[55:56], v[47:48], v[53:54]
	v_add_f64 v[51:52], v[53:54], -v[51:52]
	v_add_f64 v[49:50], v[49:50], -v[57:58]
	;; [unrolled: 1-line block ×6, first 2 shown]
	v_add_f64 v[53:54], v[49:50], v[39:40]
	v_add_f64 v[47:48], v[47:48], -v[61:62]
	v_add_f64 v[47:48], v[51:52], v[47:48]
	v_add_f64 v[51:52], v[53:54], -v[49:50]
	;; [unrolled: 2-line block ×3, first 2 shown]
	v_add_f64 v[39:40], v[39:40], -v[51:52]
	v_add_f64 v[57:58], v[55:56], v[47:48]
	v_add_f64 v[49:50], v[49:50], -v[53:54]
	v_add_f64 v[51:52], v[57:58], -v[55:56]
	v_add_f64 v[39:40], v[39:40], v[49:50]
	v_add_f64 v[47:48], v[47:48], -v[51:52]
	v_add_f64 v[39:40], v[39:40], v[47:48]
	v_mov_b32_e32 v47, 0x7ff80000
	v_mov_b32_e32 v48, 0xfff00000
	v_add_f64 v[39:40], v[57:58], v[39:40]
	v_cndmask_b32_e32 v39, 0, v39, vcc
	v_cmp_ngt_f64_e32 vcc, -1.0, v[33:34]
	v_cndmask_b32_e64 v40, v69, v40, s[0:1]
	v_cndmask_b32_e32 v40, v47, v40, vcc
	v_cmp_neq_f64_e32 vcc, -1.0, v[33:34]
	v_cndmask_b32_e32 v40, v48, v40, vcc
	v_add_f64 v[33:34], v[35:36], v[39:40]
.LBB5_167:
	s_or_b64 exec, exec, s[2:3]
	v_max_f64 v[35:36], v[33:34], v[33:34]
	v_cmp_u_f64_e32 vcc, v[33:34], v[33:34]
	v_min_f64 v[39:40], v[35:36], v[37:38]
	v_max_f64 v[35:36], v[35:36], v[37:38]
	v_cndmask_b32_e32 v37, v39, v33, vcc
	v_cndmask_b32_e32 v38, v40, v34, vcc
	;; [unrolled: 1-line block ×4, first 2 shown]
	v_cndmask_b32_e64 v40, v38, v12, s[14:15]
	v_cndmask_b32_e64 v39, v37, v11, s[14:15]
	;; [unrolled: 1-line block ×4, first 2 shown]
	v_cmp_neq_f64_e32 vcc, v[39:40], v[37:38]
	v_cmp_class_f64_e64 s[0:1], v[39:40], s10
	v_mov_b32_e32 v36, v34
	v_mov_b32_e32 v35, v33
	s_or_b64 s[0:1], vcc, s[0:1]
	s_and_saveexec_b64 s[2:3], s[0:1]
	s_cbranch_execz .LBB5_169
; %bb.168:
	v_add_f64 v[35:36], v[39:40], -v[37:38]
	s_mov_b32 s0, 0x652b82fe
	s_mov_b32 s1, 0x3ff71547
	;; [unrolled: 1-line block ×6, first 2 shown]
	v_mov_b32_e32 v49, 0xfca7ab0c
	v_mul_f64 v[39:40], v[35:36], s[0:1]
	s_mov_b32 s0, 0x6a5dcb37
	v_mov_b32_e32 v50, 0x3e928af3
	s_mov_b32 s1, 0x3e5ade15
	s_mov_b32 s10, 0
	;; [unrolled: 1-line block ×3, first 2 shown]
	v_mov_b32_e32 v69, 0x7ff00000
	v_rndne_f64_e32 v[39:40], v[39:40]
	v_fma_f64 v[47:48], v[39:40], s[6:7], v[35:36]
	s_mov_b32 s7, 0x3fe62e42
	v_fma_f64 v[47:48], v[39:40], s[8:9], v[47:48]
	v_cvt_i32_f64_e32 v39, v[39:40]
	s_mov_b32 s9, 0x3c7abc9e
	v_fma_f64 v[49:50], v[47:48], s[0:1], v[49:50]
	s_mov_b32 s0, 0x623fde64
	s_mov_b32 s1, 0x3ec71dee
	v_fma_f64 v[49:50], v[47:48], v[49:50], s[0:1]
	s_mov_b32 s0, 0x7c89e6b0
	;; [unrolled: 3-line block ×9, first 2 shown]
	s_mov_b32 s1, 0x40900000
	v_cmp_nlt_f64_e32 vcc, s[0:1], v[35:36]
	v_cmp_ngt_f64_e64 s[0:1], s[10:11], v[35:36]
	s_mov_b32 s10, 0xbf559e2b
	s_mov_b32 s11, 0x3fc3ab76
	v_fma_f64 v[49:50], v[47:48], v[49:50], 1.0
	v_fma_f64 v[47:48], v[47:48], v[49:50], 1.0
	v_ldexp_f64 v[39:40], v[47:48], v39
	v_cndmask_b32_e32 v40, v69, v40, vcc
	s_and_b64 vcc, s[0:1], vcc
	v_cndmask_b32_e64 v36, 0, v40, s[0:1]
	v_cndmask_b32_e32 v35, 0, v39, vcc
	v_add_f64 v[39:40], v[35:36], 1.0
	s_mov_b32 s1, 0x3fe55555
	s_mov_b32 s0, 0x55555555
	v_frexp_mant_f64_e32 v[49:50], v[39:40]
	v_frexp_exp_i32_f64_e32 v53, v[39:40]
	v_add_f64 v[47:48], v[39:40], -1.0
	v_cmp_gt_f64_e32 vcc, s[0:1], v[49:50]
	s_mov_b32 s0, 0x55555780
	v_add_f64 v[51:52], v[47:48], -v[39:40]
	v_add_f64 v[47:48], v[35:36], -v[47:48]
	v_subbrev_co_u32_e32 v70, vcc, 0, v53, vcc
	v_sub_u32_e32 v53, 0, v70
	v_ldexp_f64 v[39:40], v[39:40], v53
	v_add_f64 v[49:50], v[51:52], 1.0
	v_cmp_nge_f64_e32 vcc, -1.0, v[35:36]
	v_add_f64 v[51:52], v[39:40], 1.0
	v_add_f64 v[47:48], v[47:48], v[49:50]
	v_add_f64 v[57:58], v[39:40], -1.0
	v_add_f64 v[49:50], v[51:52], -1.0
	v_ldexp_f64 v[47:48], v[47:48], v53
	v_add_f64 v[59:60], v[57:58], 1.0
	v_add_f64 v[49:50], v[39:40], -v[49:50]
	v_add_f64 v[39:40], v[39:40], -v[59:60]
	v_add_f64 v[49:50], v[47:48], v[49:50]
	v_add_f64 v[39:40], v[47:48], v[39:40]
	;; [unrolled: 1-line block ×4, first 2 shown]
	v_rcp_f64_e32 v[55:56], v[53:54]
	v_add_f64 v[51:52], v[53:54], -v[51:52]
	v_add_f64 v[57:58], v[59:60], -v[57:58]
	;; [unrolled: 1-line block ×4, first 2 shown]
	v_fma_f64 v[61:62], -v[53:54], v[55:56], 1.0
	v_fma_f64 v[55:56], v[61:62], v[55:56], v[55:56]
	v_fma_f64 v[47:48], -v[53:54], v[55:56], 1.0
	v_fma_f64 v[47:48], v[47:48], v[55:56], v[55:56]
	v_mul_f64 v[55:56], v[59:60], v[47:48]
	v_mul_f64 v[61:62], v[53:54], v[55:56]
	v_fma_f64 v[51:52], v[55:56], v[53:54], -v[61:62]
	v_fma_f64 v[51:52], v[55:56], v[49:50], v[51:52]
	v_add_f64 v[63:64], v[61:62], v[51:52]
	v_add_f64 v[67:68], v[59:60], -v[63:64]
	v_add_f64 v[57:58], v[63:64], -v[61:62]
	;; [unrolled: 1-line block ×5, first 2 shown]
	v_add_f64 v[39:40], v[39:40], v[59:60]
	v_add_f64 v[39:40], v[51:52], v[39:40]
	;; [unrolled: 1-line block ×3, first 2 shown]
	v_mul_f64 v[57:58], v[47:48], v[51:52]
	v_add_f64 v[63:64], v[67:68], -v[51:52]
	v_mul_f64 v[59:60], v[53:54], v[57:58]
	v_add_f64 v[39:40], v[39:40], v[63:64]
	v_fma_f64 v[53:54], v[57:58], v[53:54], -v[59:60]
	v_fma_f64 v[49:50], v[57:58], v[49:50], v[53:54]
	v_add_f64 v[53:54], v[59:60], v[49:50]
	v_add_f64 v[61:62], v[51:52], -v[53:54]
	v_add_f64 v[59:60], v[53:54], -v[59:60]
	;; [unrolled: 1-line block ×5, first 2 shown]
	v_mov_b32_e32 v53, 0x6b47b09a
	v_mov_b32_e32 v54, 0x3fc38538
	v_add_f64 v[39:40], v[39:40], v[51:52]
	v_add_f64 v[51:52], v[55:56], v[57:58]
	;; [unrolled: 1-line block ×3, first 2 shown]
	v_add_f64 v[49:50], v[51:52], -v[55:56]
	v_add_f64 v[39:40], v[61:62], v[39:40]
	v_add_f64 v[49:50], v[57:58], -v[49:50]
	v_mul_f64 v[39:40], v[47:48], v[39:40]
	v_add_f64 v[39:40], v[49:50], v[39:40]
	v_add_f64 v[47:48], v[51:52], v[39:40]
	v_mul_f64 v[49:50], v[47:48], v[47:48]
	v_fma_f64 v[53:54], v[49:50], s[10:11], v[53:54]
	s_mov_b32 s10, 0xd7f4df2e
	s_mov_b32 s11, 0x3fc7474d
	v_mul_f64 v[55:56], v[47:48], v[49:50]
	v_fma_f64 v[53:54], v[49:50], v[53:54], s[10:11]
	s_mov_b32 s10, 0x16291751
	s_mov_b32 s11, 0x3fcc71c0
	v_fma_f64 v[53:54], v[49:50], v[53:54], s[10:11]
	s_mov_b32 s10, 0x9b27acf1
	s_mov_b32 s11, 0x3fd24924
	;; [unrolled: 3-line block ×3, first 2 shown]
	v_fma_f64 v[53:54], v[49:50], v[53:54], s[10:11]
	v_fma_f64 v[49:50], v[49:50], v[53:54], s[0:1]
	v_ldexp_f64 v[53:54], v[47:48], 1
	v_add_f64 v[47:48], v[47:48], -v[51:52]
	s_mov_b32 s0, 0
	s_mov_b32 s1, 0x7ff00000
	v_cmp_neq_f64_e64 s[0:1], s[0:1], v[35:36]
	v_mul_f64 v[49:50], v[55:56], v[49:50]
	v_cvt_f64_i32_e32 v[55:56], v70
	v_add_f64 v[39:40], v[39:40], -v[47:48]
	v_mul_f64 v[57:58], v[55:56], s[6:7]
	s_and_b64 vcc, vcc, s[0:1]
	v_add_f64 v[51:52], v[53:54], v[49:50]
	v_ldexp_f64 v[39:40], v[39:40], 1
	v_add_f64 v[47:48], v[51:52], -v[53:54]
	v_fma_f64 v[53:54], v[55:56], s[6:7], -v[57:58]
	v_add_f64 v[47:48], v[49:50], -v[47:48]
	v_fma_f64 v[49:50], v[55:56], s[8:9], v[53:54]
	v_add_f64 v[39:40], v[39:40], v[47:48]
	v_add_f64 v[47:48], v[57:58], v[49:50]
	;; [unrolled: 1-line block ×3, first 2 shown]
	v_add_f64 v[57:58], v[47:48], -v[57:58]
	v_add_f64 v[55:56], v[47:48], v[53:54]
	v_add_f64 v[51:52], v[53:54], -v[51:52]
	v_add_f64 v[49:50], v[49:50], -v[57:58]
	;; [unrolled: 1-line block ×6, first 2 shown]
	v_add_f64 v[53:54], v[49:50], v[39:40]
	v_add_f64 v[47:48], v[47:48], -v[61:62]
	v_add_f64 v[47:48], v[51:52], v[47:48]
	v_add_f64 v[51:52], v[53:54], -v[49:50]
	;; [unrolled: 2-line block ×3, first 2 shown]
	v_add_f64 v[39:40], v[39:40], -v[51:52]
	v_add_f64 v[57:58], v[55:56], v[47:48]
	v_add_f64 v[49:50], v[49:50], -v[53:54]
	v_add_f64 v[51:52], v[57:58], -v[55:56]
	v_add_f64 v[39:40], v[39:40], v[49:50]
	v_add_f64 v[47:48], v[47:48], -v[51:52]
	v_add_f64 v[39:40], v[39:40], v[47:48]
	v_mov_b32_e32 v47, 0x7ff80000
	v_mov_b32_e32 v48, 0xfff00000
	v_add_f64 v[39:40], v[57:58], v[39:40]
	v_cndmask_b32_e32 v39, 0, v39, vcc
	v_cmp_ngt_f64_e32 vcc, -1.0, v[35:36]
	v_cndmask_b32_e64 v40, v69, v40, s[0:1]
	v_cndmask_b32_e32 v40, v47, v40, vcc
	v_cmp_neq_f64_e32 vcc, -1.0, v[35:36]
	v_cndmask_b32_e32 v40, v48, v40, vcc
	v_add_f64 v[35:36], v[37:38], v[39:40]
.LBB5_169:
	s_or_b64 exec, exec, s[2:3]
	v_max_f64 v[37:38], v[35:36], v[35:36]
	v_cmp_u_f64_e32 vcc, v[35:36], v[35:36]
	s_movk_i32 s10, 0x1f8
	v_min_f64 v[39:40], v[37:38], v[45:46]
	v_max_f64 v[37:38], v[37:38], v[45:46]
	v_cndmask_b32_e32 v39, v39, v35, vcc
	v_cndmask_b32_e32 v40, v40, v36, vcc
	;; [unrolled: 1-line block ×4, first 2 shown]
	v_cndmask_b32_e64 v46, v40, v6, s[16:17]
	v_cndmask_b32_e64 v45, v39, v5, s[16:17]
	;; [unrolled: 1-line block ×4, first 2 shown]
	v_cmp_neq_f64_e32 vcc, v[45:46], v[39:40]
	v_cmp_class_f64_e64 s[0:1], v[45:46], s10
	v_mov_b32_e32 v38, v36
	v_mov_b32_e32 v37, v35
	s_or_b64 s[0:1], vcc, s[0:1]
	s_and_saveexec_b64 s[2:3], s[0:1]
	s_cbranch_execz .LBB5_171
; %bb.170:
	v_add_f64 v[37:38], v[45:46], -v[39:40]
	s_mov_b32 s0, 0x652b82fe
	s_mov_b32 s1, 0x3ff71547
	;; [unrolled: 1-line block ×6, first 2 shown]
	v_mov_b32_e32 v49, 0xfca7ab0c
	v_mul_f64 v[45:46], v[37:38], s[0:1]
	s_mov_b32 s0, 0x6a5dcb37
	v_mov_b32_e32 v50, 0x3e928af3
	s_mov_b32 s1, 0x3e5ade15
	s_mov_b32 s12, 0
	;; [unrolled: 1-line block ×3, first 2 shown]
	v_mov_b32_e32 v69, 0x7ff00000
	v_rndne_f64_e32 v[45:46], v[45:46]
	v_fma_f64 v[47:48], v[45:46], s[6:7], v[37:38]
	s_mov_b32 s7, 0x3fe62e42
	v_fma_f64 v[47:48], v[45:46], s[8:9], v[47:48]
	v_cvt_i32_f64_e32 v45, v[45:46]
	s_mov_b32 s9, 0x3c7abc9e
	v_fma_f64 v[49:50], v[47:48], s[0:1], v[49:50]
	s_mov_b32 s0, 0x623fde64
	s_mov_b32 s1, 0x3ec71dee
	v_fma_f64 v[49:50], v[47:48], v[49:50], s[0:1]
	s_mov_b32 s0, 0x7c89e6b0
	;; [unrolled: 3-line block ×9, first 2 shown]
	s_mov_b32 s1, 0x40900000
	v_cmp_nlt_f64_e32 vcc, s[0:1], v[37:38]
	v_cmp_ngt_f64_e64 s[0:1], s[12:13], v[37:38]
	s_mov_b32 s12, 0xbf559e2b
	s_mov_b32 s13, 0x3fc3ab76
	v_fma_f64 v[49:50], v[47:48], v[49:50], 1.0
	v_fma_f64 v[47:48], v[47:48], v[49:50], 1.0
	v_ldexp_f64 v[45:46], v[47:48], v45
	v_cndmask_b32_e32 v46, v69, v46, vcc
	s_and_b64 vcc, s[0:1], vcc
	v_cndmask_b32_e64 v38, 0, v46, s[0:1]
	v_cndmask_b32_e32 v37, 0, v45, vcc
	v_add_f64 v[45:46], v[37:38], 1.0
	s_mov_b32 s1, 0x3fe55555
	s_mov_b32 s0, 0x55555555
	v_frexp_mant_f64_e32 v[49:50], v[45:46]
	v_frexp_exp_i32_f64_e32 v53, v[45:46]
	v_add_f64 v[47:48], v[45:46], -1.0
	v_cmp_gt_f64_e32 vcc, s[0:1], v[49:50]
	s_mov_b32 s0, 0x55555780
	v_add_f64 v[51:52], v[47:48], -v[45:46]
	v_add_f64 v[47:48], v[37:38], -v[47:48]
	v_subbrev_co_u32_e32 v70, vcc, 0, v53, vcc
	v_sub_u32_e32 v53, 0, v70
	v_ldexp_f64 v[45:46], v[45:46], v53
	v_add_f64 v[49:50], v[51:52], 1.0
	v_cmp_nge_f64_e32 vcc, -1.0, v[37:38]
	v_add_f64 v[51:52], v[45:46], 1.0
	v_add_f64 v[47:48], v[47:48], v[49:50]
	v_add_f64 v[57:58], v[45:46], -1.0
	v_add_f64 v[49:50], v[51:52], -1.0
	v_ldexp_f64 v[47:48], v[47:48], v53
	v_add_f64 v[59:60], v[57:58], 1.0
	v_add_f64 v[49:50], v[45:46], -v[49:50]
	v_add_f64 v[45:46], v[45:46], -v[59:60]
	v_add_f64 v[49:50], v[47:48], v[49:50]
	v_add_f64 v[45:46], v[47:48], v[45:46]
	;; [unrolled: 1-line block ×4, first 2 shown]
	v_rcp_f64_e32 v[55:56], v[53:54]
	v_add_f64 v[51:52], v[53:54], -v[51:52]
	v_add_f64 v[57:58], v[59:60], -v[57:58]
	;; [unrolled: 1-line block ×4, first 2 shown]
	v_fma_f64 v[61:62], -v[53:54], v[55:56], 1.0
	v_fma_f64 v[55:56], v[61:62], v[55:56], v[55:56]
	v_fma_f64 v[47:48], -v[53:54], v[55:56], 1.0
	v_fma_f64 v[47:48], v[47:48], v[55:56], v[55:56]
	v_mul_f64 v[55:56], v[59:60], v[47:48]
	v_mul_f64 v[61:62], v[53:54], v[55:56]
	v_fma_f64 v[51:52], v[55:56], v[53:54], -v[61:62]
	v_fma_f64 v[51:52], v[55:56], v[49:50], v[51:52]
	v_add_f64 v[63:64], v[61:62], v[51:52]
	v_add_f64 v[67:68], v[59:60], -v[63:64]
	v_add_f64 v[57:58], v[63:64], -v[61:62]
	;; [unrolled: 1-line block ×5, first 2 shown]
	v_add_f64 v[45:46], v[45:46], v[59:60]
	v_add_f64 v[45:46], v[51:52], v[45:46]
	;; [unrolled: 1-line block ×3, first 2 shown]
	v_mul_f64 v[57:58], v[47:48], v[51:52]
	v_add_f64 v[63:64], v[67:68], -v[51:52]
	v_mul_f64 v[59:60], v[53:54], v[57:58]
	v_add_f64 v[45:46], v[45:46], v[63:64]
	v_fma_f64 v[53:54], v[57:58], v[53:54], -v[59:60]
	v_fma_f64 v[49:50], v[57:58], v[49:50], v[53:54]
	v_add_f64 v[53:54], v[59:60], v[49:50]
	v_add_f64 v[61:62], v[51:52], -v[53:54]
	v_add_f64 v[59:60], v[53:54], -v[59:60]
	;; [unrolled: 1-line block ×5, first 2 shown]
	v_mov_b32_e32 v53, 0x6b47b09a
	v_mov_b32_e32 v54, 0x3fc38538
	v_add_f64 v[45:46], v[45:46], v[51:52]
	v_add_f64 v[51:52], v[55:56], v[57:58]
	;; [unrolled: 1-line block ×3, first 2 shown]
	v_add_f64 v[49:50], v[51:52], -v[55:56]
	v_add_f64 v[45:46], v[61:62], v[45:46]
	v_add_f64 v[49:50], v[57:58], -v[49:50]
	v_mul_f64 v[45:46], v[47:48], v[45:46]
	v_add_f64 v[45:46], v[49:50], v[45:46]
	v_add_f64 v[47:48], v[51:52], v[45:46]
	v_mul_f64 v[49:50], v[47:48], v[47:48]
	v_fma_f64 v[53:54], v[49:50], s[12:13], v[53:54]
	s_mov_b32 s12, 0xd7f4df2e
	s_mov_b32 s13, 0x3fc7474d
	v_mul_f64 v[55:56], v[47:48], v[49:50]
	v_fma_f64 v[53:54], v[49:50], v[53:54], s[12:13]
	s_mov_b32 s12, 0x16291751
	s_mov_b32 s13, 0x3fcc71c0
	v_fma_f64 v[53:54], v[49:50], v[53:54], s[12:13]
	s_mov_b32 s12, 0x9b27acf1
	s_mov_b32 s13, 0x3fd24924
	;; [unrolled: 3-line block ×3, first 2 shown]
	v_fma_f64 v[53:54], v[49:50], v[53:54], s[12:13]
	v_fma_f64 v[49:50], v[49:50], v[53:54], s[0:1]
	v_ldexp_f64 v[53:54], v[47:48], 1
	v_add_f64 v[47:48], v[47:48], -v[51:52]
	s_mov_b32 s0, 0
	s_mov_b32 s1, 0x7ff00000
	v_cmp_neq_f64_e64 s[0:1], s[0:1], v[37:38]
	v_mul_f64 v[49:50], v[55:56], v[49:50]
	v_cvt_f64_i32_e32 v[55:56], v70
	v_add_f64 v[45:46], v[45:46], -v[47:48]
	v_mul_f64 v[57:58], v[55:56], s[6:7]
	s_and_b64 vcc, vcc, s[0:1]
	v_add_f64 v[51:52], v[53:54], v[49:50]
	v_ldexp_f64 v[45:46], v[45:46], 1
	v_add_f64 v[47:48], v[51:52], -v[53:54]
	v_fma_f64 v[53:54], v[55:56], s[6:7], -v[57:58]
	v_add_f64 v[47:48], v[49:50], -v[47:48]
	v_fma_f64 v[49:50], v[55:56], s[8:9], v[53:54]
	v_add_f64 v[45:46], v[45:46], v[47:48]
	v_add_f64 v[47:48], v[57:58], v[49:50]
	;; [unrolled: 1-line block ×3, first 2 shown]
	v_add_f64 v[57:58], v[47:48], -v[57:58]
	v_add_f64 v[55:56], v[47:48], v[53:54]
	v_add_f64 v[51:52], v[53:54], -v[51:52]
	v_add_f64 v[49:50], v[49:50], -v[57:58]
	;; [unrolled: 1-line block ×6, first 2 shown]
	v_add_f64 v[53:54], v[49:50], v[45:46]
	v_add_f64 v[47:48], v[47:48], -v[61:62]
	v_add_f64 v[47:48], v[51:52], v[47:48]
	v_add_f64 v[51:52], v[53:54], -v[49:50]
	;; [unrolled: 2-line block ×3, first 2 shown]
	v_add_f64 v[45:46], v[45:46], -v[51:52]
	v_add_f64 v[57:58], v[55:56], v[47:48]
	v_add_f64 v[49:50], v[49:50], -v[53:54]
	v_add_f64 v[51:52], v[57:58], -v[55:56]
	v_add_f64 v[45:46], v[45:46], v[49:50]
	v_add_f64 v[47:48], v[47:48], -v[51:52]
	v_add_f64 v[45:46], v[45:46], v[47:48]
	v_mov_b32_e32 v47, 0x7ff80000
	v_mov_b32_e32 v48, 0xfff00000
	v_add_f64 v[45:46], v[57:58], v[45:46]
	v_cndmask_b32_e32 v45, 0, v45, vcc
	v_cmp_ngt_f64_e32 vcc, -1.0, v[37:38]
	v_cndmask_b32_e64 v46, v69, v46, s[0:1]
	v_cndmask_b32_e32 v46, v47, v46, vcc
	v_cmp_neq_f64_e32 vcc, -1.0, v[37:38]
	v_cndmask_b32_e32 v46, v48, v46, vcc
	v_add_f64 v[37:38], v[39:40], v[45:46]
.LBB5_171:
	s_or_b64 exec, exec, s[2:3]
	v_max_f64 v[39:40], v[37:38], v[37:38]
	v_cmp_u_f64_e32 vcc, v[37:38], v[37:38]
	v_min_f64 v[45:46], v[39:40], v[43:44]
	v_max_f64 v[39:40], v[39:40], v[43:44]
	v_cndmask_b32_e32 v43, v45, v37, vcc
	v_cndmask_b32_e32 v44, v46, v38, vcc
	v_cndmask_b32_e32 v39, v39, v37, vcc
	v_cndmask_b32_e32 v40, v40, v38, vcc
	v_cndmask_b32_e64 v46, v44, v8, s[18:19]
	v_cndmask_b32_e64 v45, v43, v7, s[18:19]
	;; [unrolled: 1-line block ×4, first 2 shown]
	v_cmp_neq_f64_e32 vcc, v[45:46], v[43:44]
	v_cmp_class_f64_e64 s[0:1], v[45:46], s10
	v_mov_b32_e32 v40, v38
	v_mov_b32_e32 v39, v37
	s_or_b64 s[0:1], vcc, s[0:1]
	s_and_saveexec_b64 s[2:3], s[0:1]
	s_cbranch_execz .LBB5_173
; %bb.172:
	v_add_f64 v[39:40], v[45:46], -v[43:44]
	s_mov_b32 s0, 0x652b82fe
	s_mov_b32 s1, 0x3ff71547
	;; [unrolled: 1-line block ×6, first 2 shown]
	v_mov_b32_e32 v49, 0xfca7ab0c
	v_mul_f64 v[45:46], v[39:40], s[0:1]
	s_mov_b32 s0, 0x6a5dcb37
	v_mov_b32_e32 v50, 0x3e928af3
	s_mov_b32 s1, 0x3e5ade15
	s_mov_b32 s10, 0
	;; [unrolled: 1-line block ×3, first 2 shown]
	v_mov_b32_e32 v69, 0x7ff00000
	v_rndne_f64_e32 v[45:46], v[45:46]
	v_fma_f64 v[47:48], v[45:46], s[6:7], v[39:40]
	s_mov_b32 s7, 0x3fe62e42
	v_fma_f64 v[47:48], v[45:46], s[8:9], v[47:48]
	v_cvt_i32_f64_e32 v45, v[45:46]
	s_mov_b32 s9, 0x3c7abc9e
	v_fma_f64 v[49:50], v[47:48], s[0:1], v[49:50]
	s_mov_b32 s0, 0x623fde64
	s_mov_b32 s1, 0x3ec71dee
	v_fma_f64 v[49:50], v[47:48], v[49:50], s[0:1]
	s_mov_b32 s0, 0x7c89e6b0
	;; [unrolled: 3-line block ×9, first 2 shown]
	s_mov_b32 s1, 0x40900000
	v_cmp_nlt_f64_e32 vcc, s[0:1], v[39:40]
	v_cmp_ngt_f64_e64 s[0:1], s[10:11], v[39:40]
	s_mov_b32 s10, 0xbf559e2b
	s_mov_b32 s11, 0x3fc3ab76
	v_fma_f64 v[49:50], v[47:48], v[49:50], 1.0
	v_fma_f64 v[47:48], v[47:48], v[49:50], 1.0
	v_ldexp_f64 v[45:46], v[47:48], v45
	v_cndmask_b32_e32 v46, v69, v46, vcc
	s_and_b64 vcc, s[0:1], vcc
	v_cndmask_b32_e64 v40, 0, v46, s[0:1]
	v_cndmask_b32_e32 v39, 0, v45, vcc
	v_add_f64 v[45:46], v[39:40], 1.0
	s_mov_b32 s1, 0x3fe55555
	s_mov_b32 s0, 0x55555555
	v_frexp_mant_f64_e32 v[49:50], v[45:46]
	v_frexp_exp_i32_f64_e32 v53, v[45:46]
	v_add_f64 v[47:48], v[45:46], -1.0
	v_cmp_gt_f64_e32 vcc, s[0:1], v[49:50]
	s_mov_b32 s0, 0x55555780
	v_add_f64 v[51:52], v[47:48], -v[45:46]
	v_add_f64 v[47:48], v[39:40], -v[47:48]
	v_subbrev_co_u32_e32 v70, vcc, 0, v53, vcc
	v_sub_u32_e32 v53, 0, v70
	v_ldexp_f64 v[45:46], v[45:46], v53
	v_add_f64 v[49:50], v[51:52], 1.0
	v_cmp_nge_f64_e32 vcc, -1.0, v[39:40]
	v_add_f64 v[51:52], v[45:46], 1.0
	v_add_f64 v[47:48], v[47:48], v[49:50]
	v_add_f64 v[57:58], v[45:46], -1.0
	v_add_f64 v[49:50], v[51:52], -1.0
	v_ldexp_f64 v[47:48], v[47:48], v53
	v_add_f64 v[59:60], v[57:58], 1.0
	v_add_f64 v[49:50], v[45:46], -v[49:50]
	v_add_f64 v[45:46], v[45:46], -v[59:60]
	v_add_f64 v[49:50], v[47:48], v[49:50]
	v_add_f64 v[45:46], v[47:48], v[45:46]
	v_add_f64 v[53:54], v[51:52], v[49:50]
	v_add_f64 v[59:60], v[57:58], v[45:46]
	v_rcp_f64_e32 v[55:56], v[53:54]
	v_add_f64 v[51:52], v[53:54], -v[51:52]
	v_add_f64 v[57:58], v[59:60], -v[57:58]
	;; [unrolled: 1-line block ×4, first 2 shown]
	v_fma_f64 v[61:62], -v[53:54], v[55:56], 1.0
	v_fma_f64 v[55:56], v[61:62], v[55:56], v[55:56]
	v_fma_f64 v[47:48], -v[53:54], v[55:56], 1.0
	v_fma_f64 v[47:48], v[47:48], v[55:56], v[55:56]
	v_mul_f64 v[55:56], v[59:60], v[47:48]
	v_mul_f64 v[61:62], v[53:54], v[55:56]
	v_fma_f64 v[51:52], v[55:56], v[53:54], -v[61:62]
	v_fma_f64 v[51:52], v[55:56], v[49:50], v[51:52]
	v_add_f64 v[63:64], v[61:62], v[51:52]
	v_add_f64 v[67:68], v[59:60], -v[63:64]
	v_add_f64 v[57:58], v[63:64], -v[61:62]
	;; [unrolled: 1-line block ×5, first 2 shown]
	v_add_f64 v[45:46], v[45:46], v[59:60]
	v_add_f64 v[45:46], v[51:52], v[45:46]
	;; [unrolled: 1-line block ×3, first 2 shown]
	v_mul_f64 v[57:58], v[47:48], v[51:52]
	v_add_f64 v[63:64], v[67:68], -v[51:52]
	v_mul_f64 v[59:60], v[53:54], v[57:58]
	v_add_f64 v[45:46], v[45:46], v[63:64]
	v_fma_f64 v[53:54], v[57:58], v[53:54], -v[59:60]
	v_fma_f64 v[49:50], v[57:58], v[49:50], v[53:54]
	v_add_f64 v[53:54], v[59:60], v[49:50]
	v_add_f64 v[61:62], v[51:52], -v[53:54]
	v_add_f64 v[59:60], v[53:54], -v[59:60]
	;; [unrolled: 1-line block ×5, first 2 shown]
	v_mov_b32_e32 v53, 0x6b47b09a
	v_mov_b32_e32 v54, 0x3fc38538
	v_add_f64 v[45:46], v[45:46], v[51:52]
	v_add_f64 v[51:52], v[55:56], v[57:58]
	;; [unrolled: 1-line block ×3, first 2 shown]
	v_add_f64 v[49:50], v[51:52], -v[55:56]
	v_add_f64 v[45:46], v[61:62], v[45:46]
	v_add_f64 v[49:50], v[57:58], -v[49:50]
	v_mul_f64 v[45:46], v[47:48], v[45:46]
	v_add_f64 v[45:46], v[49:50], v[45:46]
	v_add_f64 v[47:48], v[51:52], v[45:46]
	v_mul_f64 v[49:50], v[47:48], v[47:48]
	v_fma_f64 v[53:54], v[49:50], s[10:11], v[53:54]
	s_mov_b32 s10, 0xd7f4df2e
	s_mov_b32 s11, 0x3fc7474d
	v_mul_f64 v[55:56], v[47:48], v[49:50]
	v_fma_f64 v[53:54], v[49:50], v[53:54], s[10:11]
	s_mov_b32 s10, 0x16291751
	s_mov_b32 s11, 0x3fcc71c0
	v_fma_f64 v[53:54], v[49:50], v[53:54], s[10:11]
	s_mov_b32 s10, 0x9b27acf1
	s_mov_b32 s11, 0x3fd24924
	;; [unrolled: 3-line block ×3, first 2 shown]
	v_fma_f64 v[53:54], v[49:50], v[53:54], s[10:11]
	v_fma_f64 v[49:50], v[49:50], v[53:54], s[0:1]
	v_ldexp_f64 v[53:54], v[47:48], 1
	v_add_f64 v[47:48], v[47:48], -v[51:52]
	s_mov_b32 s0, 0
	s_mov_b32 s1, 0x7ff00000
	v_cmp_neq_f64_e64 s[0:1], s[0:1], v[39:40]
	v_mul_f64 v[49:50], v[55:56], v[49:50]
	v_cvt_f64_i32_e32 v[55:56], v70
	v_add_f64 v[45:46], v[45:46], -v[47:48]
	v_mul_f64 v[57:58], v[55:56], s[6:7]
	s_and_b64 vcc, vcc, s[0:1]
	v_add_f64 v[51:52], v[53:54], v[49:50]
	v_ldexp_f64 v[45:46], v[45:46], 1
	v_add_f64 v[47:48], v[51:52], -v[53:54]
	v_fma_f64 v[53:54], v[55:56], s[6:7], -v[57:58]
	v_add_f64 v[47:48], v[49:50], -v[47:48]
	v_fma_f64 v[49:50], v[55:56], s[8:9], v[53:54]
	v_add_f64 v[45:46], v[45:46], v[47:48]
	v_add_f64 v[47:48], v[57:58], v[49:50]
	;; [unrolled: 1-line block ×3, first 2 shown]
	v_add_f64 v[57:58], v[47:48], -v[57:58]
	v_add_f64 v[55:56], v[47:48], v[53:54]
	v_add_f64 v[51:52], v[53:54], -v[51:52]
	v_add_f64 v[49:50], v[49:50], -v[57:58]
	v_add_f64 v[59:60], v[55:56], -v[47:48]
	v_add_f64 v[45:46], v[45:46], -v[51:52]
	v_add_f64 v[61:62], v[55:56], -v[59:60]
	v_add_f64 v[51:52], v[53:54], -v[59:60]
	v_add_f64 v[53:54], v[49:50], v[45:46]
	v_add_f64 v[47:48], v[47:48], -v[61:62]
	v_add_f64 v[47:48], v[51:52], v[47:48]
	v_add_f64 v[51:52], v[53:54], -v[49:50]
	;; [unrolled: 2-line block ×3, first 2 shown]
	v_add_f64 v[45:46], v[45:46], -v[51:52]
	v_add_f64 v[57:58], v[55:56], v[47:48]
	v_add_f64 v[49:50], v[49:50], -v[53:54]
	v_add_f64 v[51:52], v[57:58], -v[55:56]
	v_add_f64 v[45:46], v[45:46], v[49:50]
	v_add_f64 v[47:48], v[47:48], -v[51:52]
	v_add_f64 v[45:46], v[45:46], v[47:48]
	v_mov_b32_e32 v47, 0x7ff80000
	v_mov_b32_e32 v48, 0xfff00000
	v_add_f64 v[45:46], v[57:58], v[45:46]
	v_cndmask_b32_e32 v45, 0, v45, vcc
	v_cmp_ngt_f64_e32 vcc, -1.0, v[39:40]
	v_cndmask_b32_e64 v46, v69, v46, s[0:1]
	v_cndmask_b32_e32 v46, v47, v46, vcc
	v_cmp_neq_f64_e32 vcc, -1.0, v[39:40]
	v_cndmask_b32_e32 v46, v48, v46, vcc
	v_add_f64 v[39:40], v[43:44], v[45:46]
.LBB5_173:
	s_or_b64 exec, exec, s[2:3]
	s_load_dwordx8 s[44:51], s[4:5], 0x40
	s_branch .LBB5_253
.LBB5_174:
	s_waitcnt lgkmcnt(0)
	s_cmp_lg_u64 s[48:49], 0
	s_cselect_b64 s[0:1], -1, 0
	v_cmp_eq_u32_e64 s[20:21], 0, v0
	v_cmp_ne_u32_e64 s[6:7], 0, v0
	s_and_b64 s[0:1], s[20:21], s[0:1]
	s_and_saveexec_b64 s[2:3], s[0:1]
	s_cbranch_execz .LBB5_178
; %bb.175:
	v_mov_b32_e32 v21, 0
	global_load_dwordx2 v[21:22], v21, s[44:45]
	v_max_f64 v[23:24], v[1:2], v[1:2]
	v_cmp_u_f64_e64 s[0:1], v[1:2], v[1:2]
	s_movk_i32 s4, 0x1f8
	s_waitcnt vmcnt(0)
	v_max_f64 v[25:26], v[21:22], v[21:22]
	v_cmp_u_f64_e32 vcc, v[21:22], v[21:22]
	v_min_f64 v[27:28], v[25:26], v[23:24]
	v_max_f64 v[23:24], v[25:26], v[23:24]
	v_cndmask_b32_e32 v25, v27, v21, vcc
	v_cndmask_b32_e32 v26, v28, v22, vcc
	;; [unrolled: 1-line block ×4, first 2 shown]
	v_cndmask_b32_e64 v24, v26, v2, s[0:1]
	v_cndmask_b32_e64 v23, v25, v1, s[0:1]
	;; [unrolled: 1-line block ×4, first 2 shown]
	v_cmp_neq_f64_e32 vcc, v[23:24], v[1:2]
	v_cmp_class_f64_e64 s[0:1], v[23:24], s4
	s_or_b64 s[0:1], vcc, s[0:1]
	s_and_saveexec_b64 s[4:5], s[0:1]
	s_cbranch_execz .LBB5_177
; %bb.176:
	v_add_f64 v[21:22], v[23:24], -v[1:2]
	s_mov_b32 s0, 0x652b82fe
	s_mov_b32 s1, 0x3ff71547
	;; [unrolled: 1-line block ×6, first 2 shown]
	v_mov_b32_e32 v27, 0xfca7ab0c
	v_mul_f64 v[23:24], v[21:22], s[0:1]
	s_mov_b32 s0, 0x6a5dcb37
	v_mov_b32_e32 v28, 0x3e928af3
	s_mov_b32 s1, 0x3e5ade15
	s_mov_b32 s12, 0
	;; [unrolled: 1-line block ×3, first 2 shown]
	v_mov_b32_e32 v47, 0x7ff00000
	v_rndne_f64_e32 v[23:24], v[23:24]
	v_fma_f64 v[25:26], v[23:24], s[8:9], v[21:22]
	s_mov_b32 s9, 0x3fe62e42
	v_fma_f64 v[25:26], v[23:24], s[10:11], v[25:26]
	v_cvt_i32_f64_e32 v23, v[23:24]
	s_mov_b32 s11, 0x3c7abc9e
	v_fma_f64 v[27:28], v[25:26], s[0:1], v[27:28]
	s_mov_b32 s0, 0x623fde64
	s_mov_b32 s1, 0x3ec71dee
	v_fma_f64 v[27:28], v[25:26], v[27:28], s[0:1]
	s_mov_b32 s0, 0x7c89e6b0
	;; [unrolled: 3-line block ×9, first 2 shown]
	s_mov_b32 s1, 0x40900000
	v_cmp_nlt_f64_e32 vcc, s[0:1], v[21:22]
	v_cmp_ngt_f64_e64 s[0:1], s[12:13], v[21:22]
	s_mov_b32 s12, 0xbf559e2b
	s_mov_b32 s13, 0x3fc3ab76
	v_fma_f64 v[27:28], v[25:26], v[27:28], 1.0
	v_fma_f64 v[25:26], v[25:26], v[27:28], 1.0
	v_ldexp_f64 v[23:24], v[25:26], v23
	v_cndmask_b32_e32 v24, v47, v24, vcc
	s_and_b64 vcc, s[0:1], vcc
	v_cndmask_b32_e64 v22, 0, v24, s[0:1]
	v_cndmask_b32_e32 v21, 0, v23, vcc
	v_add_f64 v[23:24], v[21:22], 1.0
	s_mov_b32 s1, 0x3fe55555
	s_mov_b32 s0, 0x55555555
	v_frexp_mant_f64_e32 v[27:28], v[23:24]
	v_frexp_exp_i32_f64_e32 v31, v[23:24]
	v_add_f64 v[25:26], v[23:24], -1.0
	v_cmp_gt_f64_e32 vcc, s[0:1], v[27:28]
	s_mov_b32 s0, 0x55555780
	v_add_f64 v[29:30], v[25:26], -v[23:24]
	v_add_f64 v[25:26], v[21:22], -v[25:26]
	v_subbrev_co_u32_e32 v48, vcc, 0, v31, vcc
	v_sub_u32_e32 v31, 0, v48
	v_ldexp_f64 v[23:24], v[23:24], v31
	v_add_f64 v[27:28], v[29:30], 1.0
	v_cmp_nge_f64_e32 vcc, -1.0, v[21:22]
	v_add_f64 v[29:30], v[23:24], 1.0
	v_add_f64 v[25:26], v[25:26], v[27:28]
	v_add_f64 v[35:36], v[23:24], -1.0
	v_add_f64 v[27:28], v[29:30], -1.0
	v_ldexp_f64 v[25:26], v[25:26], v31
	v_add_f64 v[37:38], v[35:36], 1.0
	v_add_f64 v[27:28], v[23:24], -v[27:28]
	v_add_f64 v[23:24], v[23:24], -v[37:38]
	v_add_f64 v[27:28], v[25:26], v[27:28]
	v_add_f64 v[23:24], v[25:26], v[23:24]
	;; [unrolled: 1-line block ×4, first 2 shown]
	v_rcp_f64_e32 v[33:34], v[31:32]
	v_add_f64 v[29:30], v[31:32], -v[29:30]
	v_add_f64 v[35:36], v[37:38], -v[35:36]
	;; [unrolled: 1-line block ×4, first 2 shown]
	v_fma_f64 v[39:40], -v[31:32], v[33:34], 1.0
	v_fma_f64 v[33:34], v[39:40], v[33:34], v[33:34]
	v_fma_f64 v[25:26], -v[31:32], v[33:34], 1.0
	v_fma_f64 v[25:26], v[25:26], v[33:34], v[33:34]
	v_mul_f64 v[33:34], v[37:38], v[25:26]
	v_mul_f64 v[39:40], v[31:32], v[33:34]
	v_fma_f64 v[29:30], v[33:34], v[31:32], -v[39:40]
	v_fma_f64 v[29:30], v[33:34], v[27:28], v[29:30]
	v_add_f64 v[43:44], v[39:40], v[29:30]
	v_add_f64 v[45:46], v[37:38], -v[43:44]
	v_add_f64 v[35:36], v[43:44], -v[39:40]
	v_add_f64 v[37:38], v[37:38], -v[45:46]
	v_add_f64 v[29:30], v[35:36], -v[29:30]
	v_add_f64 v[37:38], v[37:38], -v[43:44]
	v_add_f64 v[23:24], v[23:24], v[37:38]
	v_add_f64 v[23:24], v[29:30], v[23:24]
	;; [unrolled: 1-line block ×3, first 2 shown]
	v_mul_f64 v[35:36], v[25:26], v[29:30]
	v_add_f64 v[43:44], v[45:46], -v[29:30]
	v_mul_f64 v[37:38], v[31:32], v[35:36]
	v_add_f64 v[23:24], v[23:24], v[43:44]
	v_fma_f64 v[31:32], v[35:36], v[31:32], -v[37:38]
	v_fma_f64 v[27:28], v[35:36], v[27:28], v[31:32]
	v_add_f64 v[31:32], v[37:38], v[27:28]
	v_add_f64 v[39:40], v[29:30], -v[31:32]
	v_add_f64 v[37:38], v[31:32], -v[37:38]
	;; [unrolled: 1-line block ×5, first 2 shown]
	v_mov_b32_e32 v31, 0x6b47b09a
	v_mov_b32_e32 v32, 0x3fc38538
	v_add_f64 v[23:24], v[23:24], v[29:30]
	v_add_f64 v[29:30], v[33:34], v[35:36]
	;; [unrolled: 1-line block ×3, first 2 shown]
	v_add_f64 v[27:28], v[29:30], -v[33:34]
	v_add_f64 v[23:24], v[39:40], v[23:24]
	v_add_f64 v[27:28], v[35:36], -v[27:28]
	v_mul_f64 v[23:24], v[25:26], v[23:24]
	v_add_f64 v[23:24], v[27:28], v[23:24]
	v_add_f64 v[25:26], v[29:30], v[23:24]
	v_mul_f64 v[27:28], v[25:26], v[25:26]
	v_fma_f64 v[31:32], v[27:28], s[12:13], v[31:32]
	s_mov_b32 s12, 0xd7f4df2e
	s_mov_b32 s13, 0x3fc7474d
	v_mul_f64 v[33:34], v[25:26], v[27:28]
	v_fma_f64 v[31:32], v[27:28], v[31:32], s[12:13]
	s_mov_b32 s12, 0x16291751
	s_mov_b32 s13, 0x3fcc71c0
	v_fma_f64 v[31:32], v[27:28], v[31:32], s[12:13]
	s_mov_b32 s12, 0x9b27acf1
	s_mov_b32 s13, 0x3fd24924
	v_fma_f64 v[31:32], v[27:28], v[31:32], s[12:13]
	s_mov_b32 s12, 0x998ef7b6
	s_mov_b32 s13, 0x3fd99999
	v_fma_f64 v[31:32], v[27:28], v[31:32], s[12:13]
	v_fma_f64 v[27:28], v[27:28], v[31:32], s[0:1]
	v_ldexp_f64 v[31:32], v[25:26], 1
	v_add_f64 v[25:26], v[25:26], -v[29:30]
	s_mov_b32 s0, 0
	s_mov_b32 s1, 0x7ff00000
	v_cmp_neq_f64_e64 s[0:1], s[0:1], v[21:22]
	v_mul_f64 v[27:28], v[33:34], v[27:28]
	v_cvt_f64_i32_e32 v[33:34], v48
	v_add_f64 v[23:24], v[23:24], -v[25:26]
	v_mul_f64 v[35:36], v[33:34], s[8:9]
	s_and_b64 vcc, vcc, s[0:1]
	v_add_f64 v[29:30], v[31:32], v[27:28]
	v_ldexp_f64 v[23:24], v[23:24], 1
	v_add_f64 v[25:26], v[29:30], -v[31:32]
	v_fma_f64 v[31:32], v[33:34], s[8:9], -v[35:36]
	v_add_f64 v[25:26], v[27:28], -v[25:26]
	v_fma_f64 v[27:28], v[33:34], s[10:11], v[31:32]
	v_add_f64 v[23:24], v[23:24], v[25:26]
	v_add_f64 v[25:26], v[35:36], v[27:28]
	;; [unrolled: 1-line block ×3, first 2 shown]
	v_add_f64 v[35:36], v[25:26], -v[35:36]
	v_add_f64 v[33:34], v[25:26], v[31:32]
	v_add_f64 v[29:30], v[31:32], -v[29:30]
	v_add_f64 v[27:28], v[27:28], -v[35:36]
	;; [unrolled: 1-line block ×6, first 2 shown]
	v_add_f64 v[31:32], v[27:28], v[23:24]
	v_add_f64 v[25:26], v[25:26], -v[39:40]
	v_add_f64 v[25:26], v[29:30], v[25:26]
	v_add_f64 v[29:30], v[31:32], -v[27:28]
	;; [unrolled: 2-line block ×3, first 2 shown]
	v_add_f64 v[23:24], v[23:24], -v[29:30]
	v_add_f64 v[35:36], v[33:34], v[25:26]
	v_add_f64 v[27:28], v[27:28], -v[31:32]
	v_add_f64 v[29:30], v[35:36], -v[33:34]
	v_add_f64 v[23:24], v[23:24], v[27:28]
	v_add_f64 v[25:26], v[25:26], -v[29:30]
	v_add_f64 v[23:24], v[23:24], v[25:26]
	v_mov_b32_e32 v25, 0x7ff80000
	v_mov_b32_e32 v26, 0xfff00000
	v_add_f64 v[23:24], v[35:36], v[23:24]
	v_cndmask_b32_e32 v23, 0, v23, vcc
	v_cmp_ngt_f64_e32 vcc, -1.0, v[21:22]
	v_cndmask_b32_e64 v24, v47, v24, s[0:1]
	v_cndmask_b32_e32 v24, v25, v24, vcc
	v_cmp_neq_f64_e32 vcc, -1.0, v[21:22]
	v_cndmask_b32_e32 v24, v26, v24, vcc
	v_add_f64 v[21:22], v[1:2], v[23:24]
.LBB5_177:
	s_or_b64 exec, exec, s[4:5]
	v_mov_b32_e32 v1, v21
	v_mov_b32_e32 v2, v22
.LBB5_178:
	s_or_b64 exec, exec, s[2:3]
	v_max_f64 v[45:46], v[1:2], v[1:2]
	v_cmp_u_f64_e64 s[18:19], v[1:2], v[1:2]
	v_cmp_u_f64_e32 vcc, v[3:4], v[3:4]
	s_movk_i32 s12, 0x1f8
	v_mov_b32_e32 v50, v2
	v_mov_b32_e32 v49, v1
	v_min_f64 v[43:44], v[45:46], v[41:42]
	v_max_f64 v[47:48], v[45:46], v[41:42]
	v_cndmask_b32_e64 v21, v43, v1, s[18:19]
	v_cndmask_b32_e64 v22, v44, v2, s[18:19]
	;; [unrolled: 1-line block ×4, first 2 shown]
	v_cndmask_b32_e32 v24, v22, v4, vcc
	v_cndmask_b32_e32 v23, v21, v3, vcc
	;; [unrolled: 1-line block ×4, first 2 shown]
	v_cmp_neq_f64_e64 s[0:1], v[23:24], v[21:22]
	v_cmp_class_f64_e64 s[2:3], v[23:24], s12
	s_or_b64 s[0:1], s[0:1], s[2:3]
	s_and_saveexec_b64 s[4:5], s[0:1]
	s_cbranch_execz .LBB5_180
; %bb.179:
	v_add_f64 v[23:24], v[23:24], -v[21:22]
	s_mov_b32 s0, 0x652b82fe
	s_mov_b32 s1, 0x3ff71547
	s_mov_b32 s9, 0xbfe62e42
	s_mov_b32 s8, 0xfefa39ef
	s_mov_b32 s11, 0xbc7abc9e
	s_mov_b32 s10, 0x3b39803f
	v_mov_b32_e32 v29, 0xfca7ab0c
	v_mul_f64 v[25:26], v[23:24], s[0:1]
	s_mov_b32 s0, 0x6a5dcb37
	v_mov_b32_e32 v30, 0x3e928af3
	s_mov_b32 s1, 0x3e5ade15
	s_mov_b32 s2, 0
	;; [unrolled: 1-line block ×3, first 2 shown]
	v_cmp_ngt_f64_e64 s[2:3], s[2:3], v[23:24]
	v_mov_b32_e32 v55, 0x7ff00000
	v_rndne_f64_e32 v[25:26], v[25:26]
	v_fma_f64 v[27:28], v[25:26], s[8:9], v[23:24]
	s_mov_b32 s9, 0x3fe62e42
	v_fma_f64 v[27:28], v[25:26], s[10:11], v[27:28]
	v_cvt_i32_f64_e32 v25, v[25:26]
	s_mov_b32 s11, 0x3c7abc9e
	v_fma_f64 v[29:30], v[27:28], s[0:1], v[29:30]
	s_mov_b32 s0, 0x623fde64
	s_mov_b32 s1, 0x3ec71dee
	v_fma_f64 v[29:30], v[27:28], v[29:30], s[0:1]
	s_mov_b32 s0, 0x7c89e6b0
	;; [unrolled: 3-line block ×9, first 2 shown]
	s_mov_b32 s1, 0x40900000
	v_cmp_nlt_f64_e64 s[0:1], s[0:1], v[23:24]
	v_fma_f64 v[29:30], v[27:28], v[29:30], 1.0
	v_fma_f64 v[27:28], v[27:28], v[29:30], 1.0
	v_ldexp_f64 v[25:26], v[27:28], v25
	v_cndmask_b32_e64 v26, v55, v26, s[0:1]
	s_and_b64 s[0:1], s[2:3], s[0:1]
	v_cndmask_b32_e64 v24, 0, v26, s[2:3]
	v_cndmask_b32_e64 v23, 0, v25, s[0:1]
	v_add_f64 v[25:26], v[23:24], 1.0
	s_mov_b32 s3, 0x3fe55555
	s_mov_b32 s2, 0x55555555
	v_frexp_mant_f64_e32 v[29:30], v[25:26]
	v_frexp_exp_i32_f64_e32 v33, v[25:26]
	v_add_f64 v[27:28], v[25:26], -1.0
	v_cmp_gt_f64_e64 s[0:1], s[2:3], v[29:30]
	s_mov_b32 s2, 0x55555780
	v_add_f64 v[31:32], v[27:28], -v[25:26]
	v_add_f64 v[27:28], v[23:24], -v[27:28]
	v_subbrev_co_u32_e64 v56, s[0:1], 0, v33, s[0:1]
	v_sub_u32_e32 v33, 0, v56
	v_ldexp_f64 v[25:26], v[25:26], v33
	v_add_f64 v[29:30], v[31:32], 1.0
	s_mov_b32 s0, 0xbf559e2b
	s_mov_b32 s1, 0x3fc3ab76
	v_add_f64 v[31:32], v[25:26], 1.0
	v_add_f64 v[27:28], v[27:28], v[29:30]
	v_add_f64 v[37:38], v[25:26], -1.0
	v_add_f64 v[29:30], v[31:32], -1.0
	v_ldexp_f64 v[27:28], v[27:28], v33
	v_add_f64 v[39:40], v[37:38], 1.0
	v_add_f64 v[29:30], v[25:26], -v[29:30]
	v_add_f64 v[25:26], v[25:26], -v[39:40]
	v_add_f64 v[29:30], v[27:28], v[29:30]
	v_add_f64 v[25:26], v[27:28], v[25:26]
	;; [unrolled: 1-line block ×4, first 2 shown]
	v_rcp_f64_e32 v[35:36], v[33:34]
	v_add_f64 v[31:32], v[33:34], -v[31:32]
	v_add_f64 v[37:38], v[39:40], -v[37:38]
	v_add_f64 v[29:30], v[29:30], -v[31:32]
	v_add_f64 v[25:26], v[25:26], -v[37:38]
	v_fma_f64 v[49:50], -v[33:34], v[35:36], 1.0
	v_fma_f64 v[35:36], v[49:50], v[35:36], v[35:36]
	v_fma_f64 v[27:28], -v[33:34], v[35:36], 1.0
	v_fma_f64 v[27:28], v[27:28], v[35:36], v[35:36]
	v_mul_f64 v[35:36], v[39:40], v[27:28]
	v_mul_f64 v[49:50], v[33:34], v[35:36]
	v_fma_f64 v[31:32], v[35:36], v[33:34], -v[49:50]
	v_fma_f64 v[31:32], v[35:36], v[29:30], v[31:32]
	v_add_f64 v[51:52], v[49:50], v[31:32]
	v_add_f64 v[53:54], v[39:40], -v[51:52]
	v_add_f64 v[37:38], v[51:52], -v[49:50]
	;; [unrolled: 1-line block ×5, first 2 shown]
	v_add_f64 v[25:26], v[25:26], v[39:40]
	v_add_f64 v[25:26], v[31:32], v[25:26]
	;; [unrolled: 1-line block ×3, first 2 shown]
	v_mul_f64 v[37:38], v[27:28], v[31:32]
	v_add_f64 v[51:52], v[53:54], -v[31:32]
	v_mul_f64 v[39:40], v[33:34], v[37:38]
	v_add_f64 v[25:26], v[25:26], v[51:52]
	v_fma_f64 v[33:34], v[37:38], v[33:34], -v[39:40]
	v_fma_f64 v[29:30], v[37:38], v[29:30], v[33:34]
	v_add_f64 v[33:34], v[39:40], v[29:30]
	v_add_f64 v[49:50], v[31:32], -v[33:34]
	v_add_f64 v[39:40], v[33:34], -v[39:40]
	;; [unrolled: 1-line block ×5, first 2 shown]
	v_mov_b32_e32 v33, 0x6b47b09a
	v_mov_b32_e32 v34, 0x3fc38538
	v_add_f64 v[25:26], v[25:26], v[31:32]
	v_add_f64 v[31:32], v[35:36], v[37:38]
	;; [unrolled: 1-line block ×3, first 2 shown]
	v_add_f64 v[29:30], v[31:32], -v[35:36]
	v_add_f64 v[25:26], v[49:50], v[25:26]
	v_add_f64 v[29:30], v[37:38], -v[29:30]
	v_mul_f64 v[25:26], v[27:28], v[25:26]
	v_add_f64 v[25:26], v[29:30], v[25:26]
	v_add_f64 v[27:28], v[31:32], v[25:26]
	v_mul_f64 v[29:30], v[27:28], v[27:28]
	v_fma_f64 v[33:34], v[29:30], s[0:1], v[33:34]
	s_mov_b32 s0, 0xd7f4df2e
	s_mov_b32 s1, 0x3fc7474d
	v_mul_f64 v[35:36], v[27:28], v[29:30]
	v_fma_f64 v[33:34], v[29:30], v[33:34], s[0:1]
	s_mov_b32 s0, 0x16291751
	s_mov_b32 s1, 0x3fcc71c0
	v_fma_f64 v[33:34], v[29:30], v[33:34], s[0:1]
	s_mov_b32 s0, 0x9b27acf1
	s_mov_b32 s1, 0x3fd24924
	;; [unrolled: 3-line block ×3, first 2 shown]
	v_fma_f64 v[33:34], v[29:30], v[33:34], s[0:1]
	v_cmp_nge_f64_e64 s[0:1], -1.0, v[23:24]
	v_fma_f64 v[29:30], v[29:30], v[33:34], s[2:3]
	v_ldexp_f64 v[33:34], v[27:28], 1
	v_add_f64 v[27:28], v[27:28], -v[31:32]
	s_mov_b32 s2, 0
	s_mov_b32 s3, 0x7ff00000
	v_cmp_neq_f64_e64 s[2:3], s[2:3], v[23:24]
	v_mul_f64 v[29:30], v[35:36], v[29:30]
	v_cvt_f64_i32_e32 v[35:36], v56
	v_add_f64 v[25:26], v[25:26], -v[27:28]
	v_mul_f64 v[37:38], v[35:36], s[8:9]
	s_and_b64 s[0:1], s[0:1], s[2:3]
	v_add_f64 v[31:32], v[33:34], v[29:30]
	v_ldexp_f64 v[25:26], v[25:26], 1
	v_add_f64 v[27:28], v[31:32], -v[33:34]
	v_fma_f64 v[33:34], v[35:36], s[8:9], -v[37:38]
	v_add_f64 v[27:28], v[29:30], -v[27:28]
	v_fma_f64 v[29:30], v[35:36], s[10:11], v[33:34]
	v_add_f64 v[25:26], v[25:26], v[27:28]
	v_add_f64 v[27:28], v[37:38], v[29:30]
	;; [unrolled: 1-line block ×3, first 2 shown]
	v_add_f64 v[37:38], v[27:28], -v[37:38]
	v_add_f64 v[35:36], v[27:28], v[33:34]
	v_add_f64 v[31:32], v[33:34], -v[31:32]
	v_add_f64 v[29:30], v[29:30], -v[37:38]
	;; [unrolled: 1-line block ×6, first 2 shown]
	v_add_f64 v[33:34], v[29:30], v[25:26]
	v_add_f64 v[27:28], v[27:28], -v[49:50]
	v_add_f64 v[27:28], v[31:32], v[27:28]
	v_add_f64 v[31:32], v[33:34], -v[29:30]
	;; [unrolled: 2-line block ×3, first 2 shown]
	v_add_f64 v[25:26], v[25:26], -v[31:32]
	v_add_f64 v[37:38], v[35:36], v[27:28]
	v_add_f64 v[29:30], v[29:30], -v[33:34]
	v_add_f64 v[31:32], v[37:38], -v[35:36]
	v_add_f64 v[25:26], v[25:26], v[29:30]
	v_add_f64 v[27:28], v[27:28], -v[31:32]
	v_add_f64 v[25:26], v[25:26], v[27:28]
	v_mov_b32_e32 v27, 0x7ff80000
	v_mov_b32_e32 v28, 0xfff00000
	v_add_f64 v[25:26], v[37:38], v[25:26]
	v_cndmask_b32_e64 v25, 0, v25, s[0:1]
	v_cmp_ngt_f64_e64 s[0:1], -1.0, v[23:24]
	v_cndmask_b32_e64 v26, v55, v26, s[2:3]
	v_cndmask_b32_e64 v26, v27, v26, s[0:1]
	v_cmp_neq_f64_e64 s[0:1], -1.0, v[23:24]
	v_cndmask_b32_e64 v26, v28, v26, s[0:1]
	v_add_f64 v[49:50], v[21:22], v[25:26]
.LBB5_180:
	s_or_b64 exec, exec, s[4:5]
	v_max_f64 v[25:26], v[17:18], v[17:18]
	v_max_f64 v[21:22], v[49:50], v[49:50]
	v_cmp_u_f64_e64 s[0:1], v[49:50], v[49:50]
	v_cmp_u_f64_e64 s[4:5], v[17:18], v[17:18]
	v_min_f64 v[23:24], v[21:22], v[25:26]
	v_max_f64 v[21:22], v[21:22], v[25:26]
	v_cndmask_b32_e64 v23, v23, v49, s[0:1]
	v_cndmask_b32_e64 v24, v24, v50, s[0:1]
	;; [unrolled: 1-line block ×8, first 2 shown]
	v_cmp_neq_f64_e64 s[0:1], v[23:24], v[21:22]
	v_cmp_class_f64_e64 s[2:3], v[23:24], s12
	s_or_b64 s[0:1], s[0:1], s[2:3]
	s_and_saveexec_b64 s[8:9], s[0:1]
	s_cbranch_execz .LBB5_182
; %bb.181:
	v_add_f64 v[23:24], v[23:24], -v[21:22]
	s_mov_b32 s0, 0x652b82fe
	s_mov_b32 s1, 0x3ff71547
	s_mov_b32 s11, 0xbfe62e42
	s_mov_b32 s10, 0xfefa39ef
	s_mov_b32 s13, 0xbc7abc9e
	s_mov_b32 s12, 0x3b39803f
	v_mov_b32_e32 v31, 0xfca7ab0c
	v_mul_f64 v[27:28], v[23:24], s[0:1]
	s_mov_b32 s0, 0x6a5dcb37
	v_mov_b32_e32 v32, 0x3e928af3
	s_mov_b32 s1, 0x3e5ade15
	s_mov_b32 s2, 0
	;; [unrolled: 1-line block ×3, first 2 shown]
	v_cmp_ngt_f64_e64 s[2:3], s[2:3], v[23:24]
	v_mov_b32_e32 v57, 0x7ff00000
	v_rndne_f64_e32 v[27:28], v[27:28]
	v_fma_f64 v[29:30], v[27:28], s[10:11], v[23:24]
	s_mov_b32 s11, 0x3fe62e42
	v_fma_f64 v[29:30], v[27:28], s[12:13], v[29:30]
	v_cvt_i32_f64_e32 v27, v[27:28]
	s_mov_b32 s13, 0x3c7abc9e
	v_fma_f64 v[31:32], v[29:30], s[0:1], v[31:32]
	s_mov_b32 s0, 0x623fde64
	s_mov_b32 s1, 0x3ec71dee
	v_fma_f64 v[31:32], v[29:30], v[31:32], s[0:1]
	s_mov_b32 s0, 0x7c89e6b0
	;; [unrolled: 3-line block ×9, first 2 shown]
	s_mov_b32 s1, 0x40900000
	v_cmp_nlt_f64_e64 s[0:1], s[0:1], v[23:24]
	v_fma_f64 v[31:32], v[29:30], v[31:32], 1.0
	v_fma_f64 v[29:30], v[29:30], v[31:32], 1.0
	v_ldexp_f64 v[27:28], v[29:30], v27
	v_cndmask_b32_e64 v28, v57, v28, s[0:1]
	s_and_b64 s[0:1], s[2:3], s[0:1]
	v_cndmask_b32_e64 v24, 0, v28, s[2:3]
	v_cndmask_b32_e64 v23, 0, v27, s[0:1]
	v_add_f64 v[27:28], v[23:24], 1.0
	s_mov_b32 s3, 0x3fe55555
	s_mov_b32 s2, 0x55555555
	v_frexp_mant_f64_e32 v[31:32], v[27:28]
	v_frexp_exp_i32_f64_e32 v35, v[27:28]
	v_add_f64 v[29:30], v[27:28], -1.0
	v_cmp_gt_f64_e64 s[0:1], s[2:3], v[31:32]
	s_mov_b32 s2, 0x55555780
	v_add_f64 v[33:34], v[29:30], -v[27:28]
	v_add_f64 v[29:30], v[23:24], -v[29:30]
	v_subbrev_co_u32_e64 v58, s[0:1], 0, v35, s[0:1]
	v_sub_u32_e32 v35, 0, v58
	v_ldexp_f64 v[27:28], v[27:28], v35
	v_add_f64 v[31:32], v[33:34], 1.0
	s_mov_b32 s0, 0xbf559e2b
	s_mov_b32 s1, 0x3fc3ab76
	v_add_f64 v[33:34], v[27:28], 1.0
	v_add_f64 v[29:30], v[29:30], v[31:32]
	v_add_f64 v[39:40], v[27:28], -1.0
	v_add_f64 v[31:32], v[33:34], -1.0
	v_ldexp_f64 v[29:30], v[29:30], v35
	v_add_f64 v[49:50], v[39:40], 1.0
	v_add_f64 v[31:32], v[27:28], -v[31:32]
	v_add_f64 v[27:28], v[27:28], -v[49:50]
	v_add_f64 v[31:32], v[29:30], v[31:32]
	v_add_f64 v[27:28], v[29:30], v[27:28]
	;; [unrolled: 1-line block ×4, first 2 shown]
	v_rcp_f64_e32 v[37:38], v[35:36]
	v_add_f64 v[33:34], v[35:36], -v[33:34]
	v_add_f64 v[39:40], v[49:50], -v[39:40]
	v_add_f64 v[31:32], v[31:32], -v[33:34]
	v_add_f64 v[27:28], v[27:28], -v[39:40]
	v_fma_f64 v[51:52], -v[35:36], v[37:38], 1.0
	v_fma_f64 v[37:38], v[51:52], v[37:38], v[37:38]
	v_fma_f64 v[29:30], -v[35:36], v[37:38], 1.0
	v_fma_f64 v[29:30], v[29:30], v[37:38], v[37:38]
	v_mul_f64 v[37:38], v[49:50], v[29:30]
	v_mul_f64 v[51:52], v[35:36], v[37:38]
	v_fma_f64 v[33:34], v[37:38], v[35:36], -v[51:52]
	v_fma_f64 v[33:34], v[37:38], v[31:32], v[33:34]
	v_add_f64 v[53:54], v[51:52], v[33:34]
	v_add_f64 v[55:56], v[49:50], -v[53:54]
	v_add_f64 v[39:40], v[53:54], -v[51:52]
	;; [unrolled: 1-line block ×5, first 2 shown]
	v_add_f64 v[27:28], v[27:28], v[49:50]
	v_add_f64 v[27:28], v[33:34], v[27:28]
	;; [unrolled: 1-line block ×3, first 2 shown]
	v_mul_f64 v[39:40], v[29:30], v[33:34]
	v_add_f64 v[53:54], v[55:56], -v[33:34]
	v_mul_f64 v[49:50], v[35:36], v[39:40]
	v_add_f64 v[27:28], v[27:28], v[53:54]
	v_fma_f64 v[35:36], v[39:40], v[35:36], -v[49:50]
	v_fma_f64 v[31:32], v[39:40], v[31:32], v[35:36]
	v_add_f64 v[35:36], v[49:50], v[31:32]
	v_add_f64 v[51:52], v[33:34], -v[35:36]
	v_add_f64 v[49:50], v[35:36], -v[49:50]
	;; [unrolled: 1-line block ×5, first 2 shown]
	v_mov_b32_e32 v35, 0x6b47b09a
	v_mov_b32_e32 v36, 0x3fc38538
	v_add_f64 v[27:28], v[27:28], v[33:34]
	v_add_f64 v[33:34], v[37:38], v[39:40]
	;; [unrolled: 1-line block ×3, first 2 shown]
	v_add_f64 v[31:32], v[33:34], -v[37:38]
	v_add_f64 v[27:28], v[51:52], v[27:28]
	v_add_f64 v[31:32], v[39:40], -v[31:32]
	v_mul_f64 v[27:28], v[29:30], v[27:28]
	v_add_f64 v[27:28], v[31:32], v[27:28]
	v_add_f64 v[29:30], v[33:34], v[27:28]
	v_mul_f64 v[31:32], v[29:30], v[29:30]
	v_fma_f64 v[35:36], v[31:32], s[0:1], v[35:36]
	s_mov_b32 s0, 0xd7f4df2e
	s_mov_b32 s1, 0x3fc7474d
	v_mul_f64 v[37:38], v[29:30], v[31:32]
	v_fma_f64 v[35:36], v[31:32], v[35:36], s[0:1]
	s_mov_b32 s0, 0x16291751
	s_mov_b32 s1, 0x3fcc71c0
	v_fma_f64 v[35:36], v[31:32], v[35:36], s[0:1]
	s_mov_b32 s0, 0x9b27acf1
	s_mov_b32 s1, 0x3fd24924
	;; [unrolled: 3-line block ×3, first 2 shown]
	v_fma_f64 v[35:36], v[31:32], v[35:36], s[0:1]
	v_cmp_nge_f64_e64 s[0:1], -1.0, v[23:24]
	v_fma_f64 v[31:32], v[31:32], v[35:36], s[2:3]
	v_ldexp_f64 v[35:36], v[29:30], 1
	v_add_f64 v[29:30], v[29:30], -v[33:34]
	s_mov_b32 s2, 0
	s_mov_b32 s3, 0x7ff00000
	v_cmp_neq_f64_e64 s[2:3], s[2:3], v[23:24]
	v_mul_f64 v[31:32], v[37:38], v[31:32]
	v_cvt_f64_i32_e32 v[37:38], v58
	v_add_f64 v[27:28], v[27:28], -v[29:30]
	v_mul_f64 v[39:40], v[37:38], s[10:11]
	s_and_b64 s[0:1], s[0:1], s[2:3]
	v_add_f64 v[33:34], v[35:36], v[31:32]
	v_ldexp_f64 v[27:28], v[27:28], 1
	v_add_f64 v[29:30], v[33:34], -v[35:36]
	v_fma_f64 v[35:36], v[37:38], s[10:11], -v[39:40]
	v_add_f64 v[29:30], v[31:32], -v[29:30]
	v_fma_f64 v[31:32], v[37:38], s[12:13], v[35:36]
	v_add_f64 v[27:28], v[27:28], v[29:30]
	v_add_f64 v[29:30], v[39:40], v[31:32]
	;; [unrolled: 1-line block ×3, first 2 shown]
	v_add_f64 v[39:40], v[29:30], -v[39:40]
	v_add_f64 v[37:38], v[29:30], v[35:36]
	v_add_f64 v[33:34], v[35:36], -v[33:34]
	v_add_f64 v[31:32], v[31:32], -v[39:40]
	;; [unrolled: 1-line block ×6, first 2 shown]
	v_add_f64 v[35:36], v[31:32], v[27:28]
	v_add_f64 v[29:30], v[29:30], -v[51:52]
	v_add_f64 v[29:30], v[33:34], v[29:30]
	v_add_f64 v[33:34], v[35:36], -v[31:32]
	;; [unrolled: 2-line block ×3, first 2 shown]
	v_add_f64 v[27:28], v[27:28], -v[33:34]
	v_add_f64 v[39:40], v[37:38], v[29:30]
	v_add_f64 v[31:32], v[31:32], -v[35:36]
	v_add_f64 v[33:34], v[39:40], -v[37:38]
	v_add_f64 v[27:28], v[27:28], v[31:32]
	v_add_f64 v[29:30], v[29:30], -v[33:34]
	v_add_f64 v[27:28], v[27:28], v[29:30]
	v_mov_b32_e32 v29, 0x7ff80000
	v_mov_b32_e32 v30, 0xfff00000
	v_add_f64 v[27:28], v[39:40], v[27:28]
	v_cndmask_b32_e64 v27, 0, v27, s[0:1]
	v_cmp_ngt_f64_e64 s[0:1], -1.0, v[23:24]
	v_cndmask_b32_e64 v28, v57, v28, s[2:3]
	v_cndmask_b32_e64 v28, v29, v28, s[0:1]
	v_cmp_neq_f64_e64 s[0:1], -1.0, v[23:24]
	v_cndmask_b32_e64 v28, v30, v28, s[0:1]
	v_add_f64 v[49:50], v[21:22], v[27:28]
.LBB5_182:
	s_or_b64 exec, exec, s[8:9]
	v_max_f64 v[27:28], v[19:20], v[19:20]
	v_max_f64 v[21:22], v[49:50], v[49:50]
	v_cmp_u_f64_e64 s[2:3], v[49:50], v[49:50]
	v_cmp_u_f64_e64 s[0:1], v[19:20], v[19:20]
	s_movk_i32 s16, 0x1f8
	v_min_f64 v[23:24], v[21:22], v[27:28]
	v_max_f64 v[21:22], v[21:22], v[27:28]
	v_cndmask_b32_e64 v23, v23, v49, s[2:3]
	v_cndmask_b32_e64 v24, v24, v50, s[2:3]
	;; [unrolled: 1-line block ×8, first 2 shown]
	v_cmp_neq_f64_e64 s[2:3], v[23:24], v[21:22]
	v_cmp_class_f64_e64 s[8:9], v[23:24], s16
	s_or_b64 s[2:3], s[2:3], s[8:9]
	s_and_saveexec_b64 s[10:11], s[2:3]
	s_cbranch_execz .LBB5_184
; %bb.183:
	v_add_f64 v[23:24], v[23:24], -v[21:22]
	s_mov_b32 s2, 0x652b82fe
	s_mov_b32 s3, 0x3ff71547
	;; [unrolled: 1-line block ×6, first 2 shown]
	v_mov_b32_e32 v33, 0xfca7ab0c
	v_mul_f64 v[29:30], v[23:24], s[2:3]
	s_mov_b32 s2, 0x6a5dcb37
	v_mov_b32_e32 v34, 0x3e928af3
	s_mov_b32 s3, 0x3e5ade15
	s_mov_b32 s8, 0
	;; [unrolled: 1-line block ×3, first 2 shown]
	v_cmp_ngt_f64_e64 s[8:9], s[8:9], v[23:24]
	v_mov_b32_e32 v59, 0x7ff00000
	v_rndne_f64_e32 v[29:30], v[29:30]
	v_fma_f64 v[31:32], v[29:30], s[12:13], v[23:24]
	s_mov_b32 s13, 0x3fe62e42
	v_fma_f64 v[31:32], v[29:30], s[14:15], v[31:32]
	v_cvt_i32_f64_e32 v29, v[29:30]
	s_mov_b32 s15, 0x3c7abc9e
	v_fma_f64 v[33:34], v[31:32], s[2:3], v[33:34]
	s_mov_b32 s2, 0x623fde64
	s_mov_b32 s3, 0x3ec71dee
	v_fma_f64 v[33:34], v[31:32], v[33:34], s[2:3]
	s_mov_b32 s2, 0x7c89e6b0
	;; [unrolled: 3-line block ×9, first 2 shown]
	s_mov_b32 s3, 0x40900000
	v_cmp_nlt_f64_e64 s[2:3], s[2:3], v[23:24]
	v_fma_f64 v[33:34], v[31:32], v[33:34], 1.0
	v_fma_f64 v[31:32], v[31:32], v[33:34], 1.0
	v_ldexp_f64 v[29:30], v[31:32], v29
	v_cndmask_b32_e64 v30, v59, v30, s[2:3]
	s_and_b64 s[2:3], s[8:9], s[2:3]
	v_cndmask_b32_e64 v24, 0, v30, s[8:9]
	v_cndmask_b32_e64 v23, 0, v29, s[2:3]
	v_add_f64 v[29:30], v[23:24], 1.0
	s_mov_b32 s9, 0x3fe55555
	s_mov_b32 s8, 0x55555555
	v_frexp_mant_f64_e32 v[33:34], v[29:30]
	v_frexp_exp_i32_f64_e32 v37, v[29:30]
	v_add_f64 v[31:32], v[29:30], -1.0
	v_cmp_gt_f64_e64 s[2:3], s[8:9], v[33:34]
	s_mov_b32 s8, 0x55555780
	v_add_f64 v[35:36], v[31:32], -v[29:30]
	v_add_f64 v[31:32], v[23:24], -v[31:32]
	v_subbrev_co_u32_e64 v60, s[2:3], 0, v37, s[2:3]
	v_sub_u32_e32 v37, 0, v60
	v_ldexp_f64 v[29:30], v[29:30], v37
	v_add_f64 v[33:34], v[35:36], 1.0
	s_mov_b32 s2, 0xbf559e2b
	s_mov_b32 s3, 0x3fc3ab76
	v_add_f64 v[35:36], v[29:30], 1.0
	v_add_f64 v[31:32], v[31:32], v[33:34]
	v_add_f64 v[49:50], v[29:30], -1.0
	v_add_f64 v[33:34], v[35:36], -1.0
	v_ldexp_f64 v[31:32], v[31:32], v37
	v_add_f64 v[51:52], v[49:50], 1.0
	v_add_f64 v[33:34], v[29:30], -v[33:34]
	v_add_f64 v[29:30], v[29:30], -v[51:52]
	v_add_f64 v[33:34], v[31:32], v[33:34]
	v_add_f64 v[29:30], v[31:32], v[29:30]
	;; [unrolled: 1-line block ×4, first 2 shown]
	v_rcp_f64_e32 v[39:40], v[37:38]
	v_add_f64 v[35:36], v[37:38], -v[35:36]
	v_add_f64 v[49:50], v[51:52], -v[49:50]
	;; [unrolled: 1-line block ×4, first 2 shown]
	v_fma_f64 v[53:54], -v[37:38], v[39:40], 1.0
	v_fma_f64 v[39:40], v[53:54], v[39:40], v[39:40]
	v_fma_f64 v[31:32], -v[37:38], v[39:40], 1.0
	v_fma_f64 v[31:32], v[31:32], v[39:40], v[39:40]
	v_mul_f64 v[39:40], v[51:52], v[31:32]
	v_mul_f64 v[53:54], v[37:38], v[39:40]
	v_fma_f64 v[35:36], v[39:40], v[37:38], -v[53:54]
	v_fma_f64 v[35:36], v[39:40], v[33:34], v[35:36]
	v_add_f64 v[55:56], v[53:54], v[35:36]
	v_add_f64 v[57:58], v[51:52], -v[55:56]
	v_add_f64 v[49:50], v[55:56], -v[53:54]
	;; [unrolled: 1-line block ×5, first 2 shown]
	v_add_f64 v[29:30], v[29:30], v[51:52]
	v_add_f64 v[29:30], v[35:36], v[29:30]
	;; [unrolled: 1-line block ×3, first 2 shown]
	v_mul_f64 v[49:50], v[31:32], v[35:36]
	v_add_f64 v[55:56], v[57:58], -v[35:36]
	v_mul_f64 v[51:52], v[37:38], v[49:50]
	v_add_f64 v[29:30], v[29:30], v[55:56]
	v_fma_f64 v[37:38], v[49:50], v[37:38], -v[51:52]
	v_fma_f64 v[33:34], v[49:50], v[33:34], v[37:38]
	v_add_f64 v[37:38], v[51:52], v[33:34]
	v_add_f64 v[53:54], v[35:36], -v[37:38]
	v_add_f64 v[51:52], v[37:38], -v[51:52]
	;; [unrolled: 1-line block ×5, first 2 shown]
	v_mov_b32_e32 v37, 0x6b47b09a
	v_mov_b32_e32 v38, 0x3fc38538
	v_add_f64 v[29:30], v[29:30], v[35:36]
	v_add_f64 v[35:36], v[39:40], v[49:50]
	;; [unrolled: 1-line block ×3, first 2 shown]
	v_add_f64 v[33:34], v[35:36], -v[39:40]
	v_add_f64 v[29:30], v[53:54], v[29:30]
	v_add_f64 v[33:34], v[49:50], -v[33:34]
	v_mul_f64 v[29:30], v[31:32], v[29:30]
	v_add_f64 v[29:30], v[33:34], v[29:30]
	v_add_f64 v[31:32], v[35:36], v[29:30]
	v_mul_f64 v[33:34], v[31:32], v[31:32]
	v_fma_f64 v[37:38], v[33:34], s[2:3], v[37:38]
	s_mov_b32 s2, 0xd7f4df2e
	s_mov_b32 s3, 0x3fc7474d
	v_mul_f64 v[39:40], v[31:32], v[33:34]
	v_fma_f64 v[37:38], v[33:34], v[37:38], s[2:3]
	s_mov_b32 s2, 0x16291751
	s_mov_b32 s3, 0x3fcc71c0
	v_fma_f64 v[37:38], v[33:34], v[37:38], s[2:3]
	s_mov_b32 s2, 0x9b27acf1
	s_mov_b32 s3, 0x3fd24924
	;; [unrolled: 3-line block ×3, first 2 shown]
	v_fma_f64 v[37:38], v[33:34], v[37:38], s[2:3]
	v_cmp_nge_f64_e64 s[2:3], -1.0, v[23:24]
	v_fma_f64 v[33:34], v[33:34], v[37:38], s[8:9]
	v_ldexp_f64 v[37:38], v[31:32], 1
	v_add_f64 v[31:32], v[31:32], -v[35:36]
	s_mov_b32 s8, 0
	s_mov_b32 s9, 0x7ff00000
	v_cmp_neq_f64_e64 s[8:9], s[8:9], v[23:24]
	v_mul_f64 v[33:34], v[39:40], v[33:34]
	v_cvt_f64_i32_e32 v[39:40], v60
	v_add_f64 v[29:30], v[29:30], -v[31:32]
	v_mul_f64 v[49:50], v[39:40], s[12:13]
	s_and_b64 s[2:3], s[2:3], s[8:9]
	v_add_f64 v[35:36], v[37:38], v[33:34]
	v_ldexp_f64 v[29:30], v[29:30], 1
	v_add_f64 v[31:32], v[35:36], -v[37:38]
	v_fma_f64 v[37:38], v[39:40], s[12:13], -v[49:50]
	v_add_f64 v[31:32], v[33:34], -v[31:32]
	v_fma_f64 v[33:34], v[39:40], s[14:15], v[37:38]
	v_add_f64 v[29:30], v[29:30], v[31:32]
	v_add_f64 v[31:32], v[49:50], v[33:34]
	;; [unrolled: 1-line block ×3, first 2 shown]
	v_add_f64 v[49:50], v[31:32], -v[49:50]
	v_add_f64 v[39:40], v[31:32], v[37:38]
	v_add_f64 v[35:36], v[37:38], -v[35:36]
	v_add_f64 v[33:34], v[33:34], -v[49:50]
	;; [unrolled: 1-line block ×6, first 2 shown]
	v_add_f64 v[37:38], v[33:34], v[29:30]
	v_add_f64 v[31:32], v[31:32], -v[53:54]
	v_add_f64 v[31:32], v[35:36], v[31:32]
	v_add_f64 v[35:36], v[37:38], -v[33:34]
	;; [unrolled: 2-line block ×3, first 2 shown]
	v_add_f64 v[29:30], v[29:30], -v[35:36]
	v_add_f64 v[49:50], v[39:40], v[31:32]
	v_add_f64 v[33:34], v[33:34], -v[37:38]
	v_add_f64 v[35:36], v[49:50], -v[39:40]
	v_add_f64 v[29:30], v[29:30], v[33:34]
	v_add_f64 v[31:32], v[31:32], -v[35:36]
	v_add_f64 v[29:30], v[29:30], v[31:32]
	v_mov_b32_e32 v31, 0x7ff80000
	v_mov_b32_e32 v32, 0xfff00000
	v_add_f64 v[29:30], v[49:50], v[29:30]
	v_cndmask_b32_e64 v29, 0, v29, s[2:3]
	v_cmp_ngt_f64_e64 s[2:3], -1.0, v[23:24]
	v_cndmask_b32_e64 v30, v59, v30, s[8:9]
	v_cndmask_b32_e64 v30, v31, v30, s[2:3]
	v_cmp_neq_f64_e64 s[2:3], -1.0, v[23:24]
	v_cndmask_b32_e64 v30, v32, v30, s[2:3]
	v_add_f64 v[49:50], v[21:22], v[29:30]
.LBB5_184:
	s_or_b64 exec, exec, s[10:11]
	v_max_f64 v[29:30], v[13:14], v[13:14]
	v_max_f64 v[21:22], v[49:50], v[49:50]
	v_cmp_u_f64_e64 s[2:3], v[49:50], v[49:50]
	v_cmp_u_f64_e64 s[10:11], v[13:14], v[13:14]
	v_min_f64 v[23:24], v[21:22], v[29:30]
	v_max_f64 v[21:22], v[21:22], v[29:30]
	v_cndmask_b32_e64 v23, v23, v49, s[2:3]
	v_cndmask_b32_e64 v24, v24, v50, s[2:3]
	;; [unrolled: 1-line block ×8, first 2 shown]
	v_cmp_neq_f64_e64 s[2:3], v[23:24], v[21:22]
	v_cmp_class_f64_e64 s[8:9], v[23:24], s16
	s_or_b64 s[2:3], s[2:3], s[8:9]
	s_and_saveexec_b64 s[12:13], s[2:3]
	s_cbranch_execz .LBB5_186
; %bb.185:
	v_add_f64 v[23:24], v[23:24], -v[21:22]
	s_mov_b32 s2, 0x652b82fe
	s_mov_b32 s3, 0x3ff71547
	;; [unrolled: 1-line block ×6, first 2 shown]
	v_mov_b32_e32 v35, 0xfca7ab0c
	v_mul_f64 v[31:32], v[23:24], s[2:3]
	s_mov_b32 s2, 0x6a5dcb37
	v_mov_b32_e32 v36, 0x3e928af3
	s_mov_b32 s3, 0x3e5ade15
	s_mov_b32 s8, 0
	;; [unrolled: 1-line block ×3, first 2 shown]
	v_cmp_ngt_f64_e64 s[8:9], s[8:9], v[23:24]
	v_mov_b32_e32 v61, 0x7ff00000
	v_rndne_f64_e32 v[31:32], v[31:32]
	v_fma_f64 v[33:34], v[31:32], s[14:15], v[23:24]
	s_mov_b32 s15, 0x3fe62e42
	v_fma_f64 v[33:34], v[31:32], s[16:17], v[33:34]
	v_cvt_i32_f64_e32 v31, v[31:32]
	s_mov_b32 s17, 0x3c7abc9e
	v_fma_f64 v[35:36], v[33:34], s[2:3], v[35:36]
	s_mov_b32 s2, 0x623fde64
	s_mov_b32 s3, 0x3ec71dee
	v_fma_f64 v[35:36], v[33:34], v[35:36], s[2:3]
	s_mov_b32 s2, 0x7c89e6b0
	;; [unrolled: 3-line block ×9, first 2 shown]
	s_mov_b32 s3, 0x40900000
	v_cmp_nlt_f64_e64 s[2:3], s[2:3], v[23:24]
	v_fma_f64 v[35:36], v[33:34], v[35:36], 1.0
	v_fma_f64 v[33:34], v[33:34], v[35:36], 1.0
	v_ldexp_f64 v[31:32], v[33:34], v31
	v_cndmask_b32_e64 v32, v61, v32, s[2:3]
	s_and_b64 s[2:3], s[8:9], s[2:3]
	v_cndmask_b32_e64 v24, 0, v32, s[8:9]
	v_cndmask_b32_e64 v23, 0, v31, s[2:3]
	v_add_f64 v[31:32], v[23:24], 1.0
	s_mov_b32 s9, 0x3fe55555
	s_mov_b32 s8, 0x55555555
	v_frexp_mant_f64_e32 v[35:36], v[31:32]
	v_frexp_exp_i32_f64_e32 v39, v[31:32]
	v_add_f64 v[33:34], v[31:32], -1.0
	v_cmp_gt_f64_e64 s[2:3], s[8:9], v[35:36]
	s_mov_b32 s8, 0x55555780
	v_add_f64 v[37:38], v[33:34], -v[31:32]
	v_add_f64 v[33:34], v[23:24], -v[33:34]
	v_subbrev_co_u32_e64 v62, s[2:3], 0, v39, s[2:3]
	v_sub_u32_e32 v39, 0, v62
	v_ldexp_f64 v[31:32], v[31:32], v39
	v_add_f64 v[35:36], v[37:38], 1.0
	s_mov_b32 s2, 0xbf559e2b
	s_mov_b32 s3, 0x3fc3ab76
	v_add_f64 v[37:38], v[31:32], 1.0
	v_add_f64 v[33:34], v[33:34], v[35:36]
	v_add_f64 v[51:52], v[31:32], -1.0
	v_add_f64 v[35:36], v[37:38], -1.0
	v_ldexp_f64 v[33:34], v[33:34], v39
	v_add_f64 v[53:54], v[51:52], 1.0
	v_add_f64 v[35:36], v[31:32], -v[35:36]
	v_add_f64 v[31:32], v[31:32], -v[53:54]
	v_add_f64 v[35:36], v[33:34], v[35:36]
	v_add_f64 v[31:32], v[33:34], v[31:32]
	v_add_f64 v[39:40], v[37:38], v[35:36]
	v_add_f64 v[53:54], v[51:52], v[31:32]
	v_rcp_f64_e32 v[49:50], v[39:40]
	v_add_f64 v[37:38], v[39:40], -v[37:38]
	v_add_f64 v[51:52], v[53:54], -v[51:52]
	;; [unrolled: 1-line block ×4, first 2 shown]
	v_fma_f64 v[55:56], -v[39:40], v[49:50], 1.0
	v_fma_f64 v[49:50], v[55:56], v[49:50], v[49:50]
	v_fma_f64 v[33:34], -v[39:40], v[49:50], 1.0
	v_fma_f64 v[33:34], v[33:34], v[49:50], v[49:50]
	v_mul_f64 v[49:50], v[53:54], v[33:34]
	v_mul_f64 v[55:56], v[39:40], v[49:50]
	v_fma_f64 v[37:38], v[49:50], v[39:40], -v[55:56]
	v_fma_f64 v[37:38], v[49:50], v[35:36], v[37:38]
	v_add_f64 v[57:58], v[55:56], v[37:38]
	v_add_f64 v[59:60], v[53:54], -v[57:58]
	v_add_f64 v[51:52], v[57:58], -v[55:56]
	;; [unrolled: 1-line block ×5, first 2 shown]
	v_add_f64 v[31:32], v[31:32], v[53:54]
	v_add_f64 v[31:32], v[37:38], v[31:32]
	v_add_f64 v[37:38], v[59:60], v[31:32]
	v_mul_f64 v[51:52], v[33:34], v[37:38]
	v_add_f64 v[57:58], v[59:60], -v[37:38]
	v_mul_f64 v[53:54], v[39:40], v[51:52]
	v_add_f64 v[31:32], v[31:32], v[57:58]
	v_fma_f64 v[39:40], v[51:52], v[39:40], -v[53:54]
	v_fma_f64 v[35:36], v[51:52], v[35:36], v[39:40]
	v_add_f64 v[39:40], v[53:54], v[35:36]
	v_add_f64 v[55:56], v[37:38], -v[39:40]
	v_add_f64 v[53:54], v[39:40], -v[53:54]
	;; [unrolled: 1-line block ×5, first 2 shown]
	v_mov_b32_e32 v39, 0x6b47b09a
	v_mov_b32_e32 v40, 0x3fc38538
	v_add_f64 v[31:32], v[31:32], v[37:38]
	v_add_f64 v[37:38], v[49:50], v[51:52]
	;; [unrolled: 1-line block ×3, first 2 shown]
	v_add_f64 v[35:36], v[37:38], -v[49:50]
	v_add_f64 v[31:32], v[55:56], v[31:32]
	v_add_f64 v[35:36], v[51:52], -v[35:36]
	v_mul_f64 v[31:32], v[33:34], v[31:32]
	v_add_f64 v[31:32], v[35:36], v[31:32]
	v_add_f64 v[33:34], v[37:38], v[31:32]
	v_mul_f64 v[35:36], v[33:34], v[33:34]
	v_fma_f64 v[39:40], v[35:36], s[2:3], v[39:40]
	s_mov_b32 s2, 0xd7f4df2e
	s_mov_b32 s3, 0x3fc7474d
	v_mul_f64 v[49:50], v[33:34], v[35:36]
	v_fma_f64 v[39:40], v[35:36], v[39:40], s[2:3]
	s_mov_b32 s2, 0x16291751
	s_mov_b32 s3, 0x3fcc71c0
	v_fma_f64 v[39:40], v[35:36], v[39:40], s[2:3]
	s_mov_b32 s2, 0x9b27acf1
	s_mov_b32 s3, 0x3fd24924
	;; [unrolled: 3-line block ×3, first 2 shown]
	v_fma_f64 v[39:40], v[35:36], v[39:40], s[2:3]
	v_cmp_nge_f64_e64 s[2:3], -1.0, v[23:24]
	v_fma_f64 v[35:36], v[35:36], v[39:40], s[8:9]
	v_ldexp_f64 v[39:40], v[33:34], 1
	v_add_f64 v[33:34], v[33:34], -v[37:38]
	s_mov_b32 s8, 0
	s_mov_b32 s9, 0x7ff00000
	v_cmp_neq_f64_e64 s[8:9], s[8:9], v[23:24]
	v_mul_f64 v[35:36], v[49:50], v[35:36]
	v_cvt_f64_i32_e32 v[49:50], v62
	v_add_f64 v[31:32], v[31:32], -v[33:34]
	v_mul_f64 v[51:52], v[49:50], s[14:15]
	s_and_b64 s[2:3], s[2:3], s[8:9]
	v_add_f64 v[37:38], v[39:40], v[35:36]
	v_ldexp_f64 v[31:32], v[31:32], 1
	v_add_f64 v[33:34], v[37:38], -v[39:40]
	v_fma_f64 v[39:40], v[49:50], s[14:15], -v[51:52]
	v_add_f64 v[33:34], v[35:36], -v[33:34]
	v_fma_f64 v[35:36], v[49:50], s[16:17], v[39:40]
	v_add_f64 v[31:32], v[31:32], v[33:34]
	v_add_f64 v[33:34], v[51:52], v[35:36]
	;; [unrolled: 1-line block ×3, first 2 shown]
	v_add_f64 v[51:52], v[33:34], -v[51:52]
	v_add_f64 v[49:50], v[33:34], v[39:40]
	v_add_f64 v[37:38], v[39:40], -v[37:38]
	v_add_f64 v[35:36], v[35:36], -v[51:52]
	;; [unrolled: 1-line block ×6, first 2 shown]
	v_add_f64 v[39:40], v[35:36], v[31:32]
	v_add_f64 v[33:34], v[33:34], -v[55:56]
	v_add_f64 v[33:34], v[37:38], v[33:34]
	v_add_f64 v[37:38], v[39:40], -v[35:36]
	;; [unrolled: 2-line block ×3, first 2 shown]
	v_add_f64 v[31:32], v[31:32], -v[37:38]
	v_add_f64 v[51:52], v[49:50], v[33:34]
	v_add_f64 v[35:36], v[35:36], -v[39:40]
	v_add_f64 v[37:38], v[51:52], -v[49:50]
	v_add_f64 v[31:32], v[31:32], v[35:36]
	v_add_f64 v[33:34], v[33:34], -v[37:38]
	v_add_f64 v[31:32], v[31:32], v[33:34]
	v_mov_b32_e32 v33, 0x7ff80000
	v_mov_b32_e32 v34, 0xfff00000
	v_add_f64 v[31:32], v[51:52], v[31:32]
	v_cndmask_b32_e64 v31, 0, v31, s[2:3]
	v_cmp_ngt_f64_e64 s[2:3], -1.0, v[23:24]
	v_cndmask_b32_e64 v32, v61, v32, s[8:9]
	v_cndmask_b32_e64 v32, v33, v32, s[2:3]
	v_cmp_neq_f64_e64 s[2:3], -1.0, v[23:24]
	v_cndmask_b32_e64 v32, v34, v32, s[2:3]
	v_add_f64 v[49:50], v[21:22], v[31:32]
.LBB5_186:
	s_or_b64 exec, exec, s[12:13]
	v_max_f64 v[31:32], v[15:16], v[15:16]
	v_max_f64 v[21:22], v[49:50], v[49:50]
	v_cmp_u_f64_e64 s[8:9], v[49:50], v[49:50]
	v_cmp_u_f64_e64 s[2:3], v[15:16], v[15:16]
	s_movk_i32 s24, 0x1f8
	v_min_f64 v[23:24], v[21:22], v[31:32]
	v_max_f64 v[21:22], v[21:22], v[31:32]
	v_cndmask_b32_e64 v23, v23, v49, s[8:9]
	v_cndmask_b32_e64 v24, v24, v50, s[8:9]
	;; [unrolled: 1-line block ×8, first 2 shown]
	v_cmp_neq_f64_e64 s[8:9], v[23:24], v[21:22]
	v_cmp_class_f64_e64 s[12:13], v[23:24], s24
	s_or_b64 s[8:9], s[8:9], s[12:13]
	s_and_saveexec_b64 s[14:15], s[8:9]
	s_cbranch_execz .LBB5_188
; %bb.187:
	v_add_f64 v[23:24], v[23:24], -v[21:22]
	s_mov_b32 s8, 0x652b82fe
	s_mov_b32 s9, 0x3ff71547
	s_mov_b32 s17, 0xbfe62e42
	s_mov_b32 s16, 0xfefa39ef
	s_mov_b32 s23, 0xbc7abc9e
	s_mov_b32 s22, 0x3b39803f
	v_mov_b32_e32 v37, 0xfca7ab0c
	v_mul_f64 v[33:34], v[23:24], s[8:9]
	s_mov_b32 s8, 0x6a5dcb37
	v_mov_b32_e32 v38, 0x3e928af3
	s_mov_b32 s9, 0x3e5ade15
	s_mov_b32 s12, 0
	;; [unrolled: 1-line block ×3, first 2 shown]
	v_cmp_ngt_f64_e64 s[12:13], s[12:13], v[23:24]
	v_mov_b32_e32 v63, 0x7ff00000
	v_rndne_f64_e32 v[33:34], v[33:34]
	v_fma_f64 v[35:36], v[33:34], s[16:17], v[23:24]
	s_mov_b32 s17, 0x3fe62e42
	v_fma_f64 v[35:36], v[33:34], s[22:23], v[35:36]
	v_cvt_i32_f64_e32 v33, v[33:34]
	s_mov_b32 s23, 0x3c7abc9e
	v_fma_f64 v[37:38], v[35:36], s[8:9], v[37:38]
	s_mov_b32 s8, 0x623fde64
	s_mov_b32 s9, 0x3ec71dee
	v_fma_f64 v[37:38], v[35:36], v[37:38], s[8:9]
	s_mov_b32 s8, 0x7c89e6b0
	;; [unrolled: 3-line block ×9, first 2 shown]
	s_mov_b32 s9, 0x40900000
	v_cmp_nlt_f64_e64 s[8:9], s[8:9], v[23:24]
	v_fma_f64 v[37:38], v[35:36], v[37:38], 1.0
	v_fma_f64 v[35:36], v[35:36], v[37:38], 1.0
	v_ldexp_f64 v[33:34], v[35:36], v33
	v_cndmask_b32_e64 v34, v63, v34, s[8:9]
	s_and_b64 s[8:9], s[12:13], s[8:9]
	v_cndmask_b32_e64 v24, 0, v34, s[12:13]
	v_cndmask_b32_e64 v23, 0, v33, s[8:9]
	v_add_f64 v[33:34], v[23:24], 1.0
	s_mov_b32 s13, 0x3fe55555
	s_mov_b32 s12, 0x55555555
	v_frexp_mant_f64_e32 v[37:38], v[33:34]
	v_frexp_exp_i32_f64_e32 v49, v[33:34]
	v_add_f64 v[35:36], v[33:34], -1.0
	v_cmp_gt_f64_e64 s[8:9], s[12:13], v[37:38]
	s_mov_b32 s12, 0x55555780
	v_add_f64 v[39:40], v[35:36], -v[33:34]
	v_add_f64 v[35:36], v[23:24], -v[35:36]
	v_subbrev_co_u32_e64 v64, s[8:9], 0, v49, s[8:9]
	v_sub_u32_e32 v49, 0, v64
	v_ldexp_f64 v[33:34], v[33:34], v49
	v_add_f64 v[37:38], v[39:40], 1.0
	s_mov_b32 s8, 0xbf559e2b
	s_mov_b32 s9, 0x3fc3ab76
	v_add_f64 v[39:40], v[33:34], 1.0
	v_add_f64 v[35:36], v[35:36], v[37:38]
	v_add_f64 v[53:54], v[33:34], -1.0
	v_add_f64 v[37:38], v[39:40], -1.0
	v_ldexp_f64 v[35:36], v[35:36], v49
	v_add_f64 v[55:56], v[53:54], 1.0
	v_add_f64 v[37:38], v[33:34], -v[37:38]
	v_add_f64 v[33:34], v[33:34], -v[55:56]
	v_add_f64 v[37:38], v[35:36], v[37:38]
	v_add_f64 v[33:34], v[35:36], v[33:34]
	;; [unrolled: 1-line block ×4, first 2 shown]
	v_rcp_f64_e32 v[51:52], v[49:50]
	v_add_f64 v[39:40], v[49:50], -v[39:40]
	v_add_f64 v[53:54], v[55:56], -v[53:54]
	;; [unrolled: 1-line block ×4, first 2 shown]
	v_fma_f64 v[57:58], -v[49:50], v[51:52], 1.0
	v_fma_f64 v[51:52], v[57:58], v[51:52], v[51:52]
	v_fma_f64 v[35:36], -v[49:50], v[51:52], 1.0
	v_fma_f64 v[35:36], v[35:36], v[51:52], v[51:52]
	v_mul_f64 v[51:52], v[55:56], v[35:36]
	v_mul_f64 v[57:58], v[49:50], v[51:52]
	v_fma_f64 v[39:40], v[51:52], v[49:50], -v[57:58]
	v_fma_f64 v[39:40], v[51:52], v[37:38], v[39:40]
	v_add_f64 v[59:60], v[57:58], v[39:40]
	v_add_f64 v[61:62], v[55:56], -v[59:60]
	v_add_f64 v[53:54], v[59:60], -v[57:58]
	;; [unrolled: 1-line block ×5, first 2 shown]
	v_add_f64 v[33:34], v[33:34], v[55:56]
	v_add_f64 v[33:34], v[39:40], v[33:34]
	;; [unrolled: 1-line block ×3, first 2 shown]
	v_mul_f64 v[53:54], v[35:36], v[39:40]
	v_add_f64 v[59:60], v[61:62], -v[39:40]
	v_mul_f64 v[55:56], v[49:50], v[53:54]
	v_add_f64 v[33:34], v[33:34], v[59:60]
	v_fma_f64 v[49:50], v[53:54], v[49:50], -v[55:56]
	v_fma_f64 v[37:38], v[53:54], v[37:38], v[49:50]
	v_add_f64 v[49:50], v[55:56], v[37:38]
	v_add_f64 v[57:58], v[39:40], -v[49:50]
	v_add_f64 v[55:56], v[49:50], -v[55:56]
	;; [unrolled: 1-line block ×5, first 2 shown]
	v_mov_b32_e32 v49, 0x6b47b09a
	v_mov_b32_e32 v50, 0x3fc38538
	v_add_f64 v[33:34], v[33:34], v[39:40]
	v_add_f64 v[39:40], v[51:52], v[53:54]
	;; [unrolled: 1-line block ×3, first 2 shown]
	v_add_f64 v[37:38], v[39:40], -v[51:52]
	v_add_f64 v[33:34], v[57:58], v[33:34]
	v_add_f64 v[37:38], v[53:54], -v[37:38]
	v_mul_f64 v[33:34], v[35:36], v[33:34]
	v_add_f64 v[33:34], v[37:38], v[33:34]
	v_add_f64 v[35:36], v[39:40], v[33:34]
	v_mul_f64 v[37:38], v[35:36], v[35:36]
	v_fma_f64 v[49:50], v[37:38], s[8:9], v[49:50]
	s_mov_b32 s8, 0xd7f4df2e
	s_mov_b32 s9, 0x3fc7474d
	v_mul_f64 v[51:52], v[35:36], v[37:38]
	v_fma_f64 v[49:50], v[37:38], v[49:50], s[8:9]
	s_mov_b32 s8, 0x16291751
	s_mov_b32 s9, 0x3fcc71c0
	v_fma_f64 v[49:50], v[37:38], v[49:50], s[8:9]
	s_mov_b32 s8, 0x9b27acf1
	s_mov_b32 s9, 0x3fd24924
	;; [unrolled: 3-line block ×3, first 2 shown]
	v_fma_f64 v[49:50], v[37:38], v[49:50], s[8:9]
	v_cmp_nge_f64_e64 s[8:9], -1.0, v[23:24]
	v_fma_f64 v[37:38], v[37:38], v[49:50], s[12:13]
	v_ldexp_f64 v[49:50], v[35:36], 1
	v_add_f64 v[35:36], v[35:36], -v[39:40]
	s_mov_b32 s12, 0
	s_mov_b32 s13, 0x7ff00000
	v_cmp_neq_f64_e64 s[12:13], s[12:13], v[23:24]
	v_mul_f64 v[37:38], v[51:52], v[37:38]
	v_cvt_f64_i32_e32 v[51:52], v64
	v_add_f64 v[33:34], v[33:34], -v[35:36]
	v_mul_f64 v[53:54], v[51:52], s[16:17]
	s_and_b64 s[8:9], s[8:9], s[12:13]
	v_add_f64 v[39:40], v[49:50], v[37:38]
	v_ldexp_f64 v[33:34], v[33:34], 1
	v_add_f64 v[35:36], v[39:40], -v[49:50]
	v_fma_f64 v[49:50], v[51:52], s[16:17], -v[53:54]
	v_add_f64 v[35:36], v[37:38], -v[35:36]
	v_fma_f64 v[37:38], v[51:52], s[22:23], v[49:50]
	v_add_f64 v[33:34], v[33:34], v[35:36]
	v_add_f64 v[35:36], v[53:54], v[37:38]
	;; [unrolled: 1-line block ×3, first 2 shown]
	v_add_f64 v[53:54], v[35:36], -v[53:54]
	v_add_f64 v[51:52], v[35:36], v[49:50]
	v_add_f64 v[39:40], v[49:50], -v[39:40]
	v_add_f64 v[37:38], v[37:38], -v[53:54]
	;; [unrolled: 1-line block ×6, first 2 shown]
	v_add_f64 v[49:50], v[37:38], v[33:34]
	v_add_f64 v[35:36], v[35:36], -v[57:58]
	v_add_f64 v[35:36], v[39:40], v[35:36]
	v_add_f64 v[39:40], v[49:50], -v[37:38]
	;; [unrolled: 2-line block ×3, first 2 shown]
	v_add_f64 v[33:34], v[33:34], -v[39:40]
	v_add_f64 v[53:54], v[51:52], v[35:36]
	v_add_f64 v[37:38], v[37:38], -v[49:50]
	v_add_f64 v[39:40], v[53:54], -v[51:52]
	v_add_f64 v[33:34], v[33:34], v[37:38]
	v_add_f64 v[35:36], v[35:36], -v[39:40]
	v_add_f64 v[33:34], v[33:34], v[35:36]
	v_mov_b32_e32 v35, 0x7ff80000
	v_mov_b32_e32 v36, 0xfff00000
	v_add_f64 v[33:34], v[53:54], v[33:34]
	v_cndmask_b32_e64 v33, 0, v33, s[8:9]
	v_cmp_ngt_f64_e64 s[8:9], -1.0, v[23:24]
	v_cndmask_b32_e64 v34, v63, v34, s[12:13]
	v_cndmask_b32_e64 v34, v35, v34, s[8:9]
	v_cmp_neq_f64_e64 s[8:9], -1.0, v[23:24]
	v_cndmask_b32_e64 v34, v36, v34, s[8:9]
	v_add_f64 v[49:50], v[21:22], v[33:34]
.LBB5_188:
	s_or_b64 exec, exec, s[14:15]
	v_max_f64 v[33:34], v[9:10], v[9:10]
	v_max_f64 v[21:22], v[49:50], v[49:50]
	v_cmp_u_f64_e64 s[8:9], v[49:50], v[49:50]
	v_cmp_u_f64_e64 s[14:15], v[9:10], v[9:10]
	v_min_f64 v[23:24], v[21:22], v[33:34]
	v_max_f64 v[21:22], v[21:22], v[33:34]
	v_cndmask_b32_e64 v23, v23, v49, s[8:9]
	v_cndmask_b32_e64 v24, v24, v50, s[8:9]
	;; [unrolled: 1-line block ×8, first 2 shown]
	v_cmp_neq_f64_e64 s[8:9], v[23:24], v[21:22]
	v_cmp_class_f64_e64 s[12:13], v[23:24], s24
	s_or_b64 s[8:9], s[8:9], s[12:13]
	s_and_saveexec_b64 s[16:17], s[8:9]
	s_cbranch_execz .LBB5_190
; %bb.189:
	v_add_f64 v[23:24], v[23:24], -v[21:22]
	s_mov_b32 s8, 0x652b82fe
	s_mov_b32 s9, 0x3ff71547
	s_mov_b32 s23, 0xbfe62e42
	s_mov_b32 s22, 0xfefa39ef
	s_mov_b32 s25, 0xbc7abc9e
	s_mov_b32 s24, 0x3b39803f
	v_mov_b32_e32 v39, 0xfca7ab0c
	v_mul_f64 v[35:36], v[23:24], s[8:9]
	s_mov_b32 s8, 0x6a5dcb37
	v_mov_b32_e32 v40, 0x3e928af3
	s_mov_b32 s9, 0x3e5ade15
	s_mov_b32 s12, 0
	;; [unrolled: 1-line block ×3, first 2 shown]
	v_cmp_ngt_f64_e64 s[12:13], s[12:13], v[23:24]
	v_mov_b32_e32 v67, 0x7ff00000
	v_rndne_f64_e32 v[35:36], v[35:36]
	v_fma_f64 v[37:38], v[35:36], s[22:23], v[23:24]
	s_mov_b32 s23, 0x3fe62e42
	v_fma_f64 v[37:38], v[35:36], s[24:25], v[37:38]
	v_cvt_i32_f64_e32 v35, v[35:36]
	s_mov_b32 s25, 0x3c7abc9e
	v_fma_f64 v[39:40], v[37:38], s[8:9], v[39:40]
	s_mov_b32 s8, 0x623fde64
	s_mov_b32 s9, 0x3ec71dee
	v_fma_f64 v[39:40], v[37:38], v[39:40], s[8:9]
	s_mov_b32 s8, 0x7c89e6b0
	;; [unrolled: 3-line block ×9, first 2 shown]
	s_mov_b32 s9, 0x40900000
	v_cmp_nlt_f64_e64 s[8:9], s[8:9], v[23:24]
	v_fma_f64 v[39:40], v[37:38], v[39:40], 1.0
	v_fma_f64 v[37:38], v[37:38], v[39:40], 1.0
	v_ldexp_f64 v[35:36], v[37:38], v35
	v_cndmask_b32_e64 v36, v67, v36, s[8:9]
	s_and_b64 s[8:9], s[12:13], s[8:9]
	v_cndmask_b32_e64 v24, 0, v36, s[12:13]
	v_cndmask_b32_e64 v23, 0, v35, s[8:9]
	v_add_f64 v[35:36], v[23:24], 1.0
	s_mov_b32 s13, 0x3fe55555
	s_mov_b32 s12, 0x55555555
	v_frexp_mant_f64_e32 v[39:40], v[35:36]
	v_frexp_exp_i32_f64_e32 v51, v[35:36]
	v_add_f64 v[37:38], v[35:36], -1.0
	v_cmp_gt_f64_e64 s[8:9], s[12:13], v[39:40]
	s_mov_b32 s12, 0x55555780
	v_add_f64 v[49:50], v[37:38], -v[35:36]
	v_add_f64 v[37:38], v[23:24], -v[37:38]
	v_subbrev_co_u32_e64 v68, s[8:9], 0, v51, s[8:9]
	v_sub_u32_e32 v51, 0, v68
	v_ldexp_f64 v[35:36], v[35:36], v51
	v_add_f64 v[39:40], v[49:50], 1.0
	s_mov_b32 s8, 0xbf559e2b
	s_mov_b32 s9, 0x3fc3ab76
	v_add_f64 v[49:50], v[35:36], 1.0
	v_add_f64 v[37:38], v[37:38], v[39:40]
	v_add_f64 v[55:56], v[35:36], -1.0
	v_add_f64 v[39:40], v[49:50], -1.0
	v_ldexp_f64 v[37:38], v[37:38], v51
	v_add_f64 v[57:58], v[55:56], 1.0
	v_add_f64 v[39:40], v[35:36], -v[39:40]
	v_add_f64 v[35:36], v[35:36], -v[57:58]
	v_add_f64 v[39:40], v[37:38], v[39:40]
	v_add_f64 v[35:36], v[37:38], v[35:36]
	;; [unrolled: 1-line block ×4, first 2 shown]
	v_rcp_f64_e32 v[53:54], v[51:52]
	v_add_f64 v[49:50], v[51:52], -v[49:50]
	v_add_f64 v[55:56], v[57:58], -v[55:56]
	;; [unrolled: 1-line block ×4, first 2 shown]
	v_fma_f64 v[59:60], -v[51:52], v[53:54], 1.0
	v_fma_f64 v[53:54], v[59:60], v[53:54], v[53:54]
	v_fma_f64 v[37:38], -v[51:52], v[53:54], 1.0
	v_fma_f64 v[37:38], v[37:38], v[53:54], v[53:54]
	v_mul_f64 v[53:54], v[57:58], v[37:38]
	v_mul_f64 v[59:60], v[51:52], v[53:54]
	v_fma_f64 v[49:50], v[53:54], v[51:52], -v[59:60]
	v_fma_f64 v[49:50], v[53:54], v[39:40], v[49:50]
	v_add_f64 v[61:62], v[59:60], v[49:50]
	v_add_f64 v[63:64], v[57:58], -v[61:62]
	v_add_f64 v[55:56], v[61:62], -v[59:60]
	;; [unrolled: 1-line block ×5, first 2 shown]
	v_add_f64 v[35:36], v[35:36], v[57:58]
	v_add_f64 v[35:36], v[49:50], v[35:36]
	v_add_f64 v[49:50], v[63:64], v[35:36]
	v_mul_f64 v[55:56], v[37:38], v[49:50]
	v_add_f64 v[61:62], v[63:64], -v[49:50]
	v_mul_f64 v[57:58], v[51:52], v[55:56]
	v_add_f64 v[35:36], v[35:36], v[61:62]
	v_fma_f64 v[51:52], v[55:56], v[51:52], -v[57:58]
	v_fma_f64 v[39:40], v[55:56], v[39:40], v[51:52]
	v_add_f64 v[51:52], v[57:58], v[39:40]
	v_add_f64 v[59:60], v[49:50], -v[51:52]
	v_add_f64 v[57:58], v[51:52], -v[57:58]
	;; [unrolled: 1-line block ×5, first 2 shown]
	v_mov_b32_e32 v51, 0x6b47b09a
	v_mov_b32_e32 v52, 0x3fc38538
	v_add_f64 v[35:36], v[35:36], v[49:50]
	v_add_f64 v[49:50], v[53:54], v[55:56]
	;; [unrolled: 1-line block ×3, first 2 shown]
	v_add_f64 v[39:40], v[49:50], -v[53:54]
	v_add_f64 v[35:36], v[59:60], v[35:36]
	v_add_f64 v[39:40], v[55:56], -v[39:40]
	v_mul_f64 v[35:36], v[37:38], v[35:36]
	v_add_f64 v[35:36], v[39:40], v[35:36]
	v_add_f64 v[37:38], v[49:50], v[35:36]
	v_mul_f64 v[39:40], v[37:38], v[37:38]
	v_fma_f64 v[51:52], v[39:40], s[8:9], v[51:52]
	s_mov_b32 s8, 0xd7f4df2e
	s_mov_b32 s9, 0x3fc7474d
	v_mul_f64 v[53:54], v[37:38], v[39:40]
	v_fma_f64 v[51:52], v[39:40], v[51:52], s[8:9]
	s_mov_b32 s8, 0x16291751
	s_mov_b32 s9, 0x3fcc71c0
	v_fma_f64 v[51:52], v[39:40], v[51:52], s[8:9]
	s_mov_b32 s8, 0x9b27acf1
	s_mov_b32 s9, 0x3fd24924
	;; [unrolled: 3-line block ×3, first 2 shown]
	v_fma_f64 v[51:52], v[39:40], v[51:52], s[8:9]
	v_cmp_nge_f64_e64 s[8:9], -1.0, v[23:24]
	v_fma_f64 v[39:40], v[39:40], v[51:52], s[12:13]
	v_ldexp_f64 v[51:52], v[37:38], 1
	v_add_f64 v[37:38], v[37:38], -v[49:50]
	s_mov_b32 s12, 0
	s_mov_b32 s13, 0x7ff00000
	v_cmp_neq_f64_e64 s[12:13], s[12:13], v[23:24]
	v_mul_f64 v[39:40], v[53:54], v[39:40]
	v_cvt_f64_i32_e32 v[53:54], v68
	v_add_f64 v[35:36], v[35:36], -v[37:38]
	v_mul_f64 v[55:56], v[53:54], s[22:23]
	s_and_b64 s[8:9], s[8:9], s[12:13]
	v_add_f64 v[49:50], v[51:52], v[39:40]
	v_ldexp_f64 v[35:36], v[35:36], 1
	v_add_f64 v[37:38], v[49:50], -v[51:52]
	v_fma_f64 v[51:52], v[53:54], s[22:23], -v[55:56]
	v_add_f64 v[37:38], v[39:40], -v[37:38]
	v_fma_f64 v[39:40], v[53:54], s[24:25], v[51:52]
	v_add_f64 v[35:36], v[35:36], v[37:38]
	v_add_f64 v[37:38], v[55:56], v[39:40]
	;; [unrolled: 1-line block ×3, first 2 shown]
	v_add_f64 v[55:56], v[37:38], -v[55:56]
	v_add_f64 v[53:54], v[37:38], v[51:52]
	v_add_f64 v[49:50], v[51:52], -v[49:50]
	v_add_f64 v[39:40], v[39:40], -v[55:56]
	;; [unrolled: 1-line block ×6, first 2 shown]
	v_add_f64 v[51:52], v[39:40], v[35:36]
	v_add_f64 v[37:38], v[37:38], -v[59:60]
	v_add_f64 v[37:38], v[49:50], v[37:38]
	v_add_f64 v[49:50], v[51:52], -v[39:40]
	;; [unrolled: 2-line block ×3, first 2 shown]
	v_add_f64 v[35:36], v[35:36], -v[49:50]
	v_add_f64 v[55:56], v[53:54], v[37:38]
	v_add_f64 v[39:40], v[39:40], -v[51:52]
	v_add_f64 v[49:50], v[55:56], -v[53:54]
	v_add_f64 v[35:36], v[35:36], v[39:40]
	v_add_f64 v[37:38], v[37:38], -v[49:50]
	v_add_f64 v[35:36], v[35:36], v[37:38]
	v_mov_b32_e32 v37, 0x7ff80000
	v_mov_b32_e32 v38, 0xfff00000
	v_add_f64 v[35:36], v[55:56], v[35:36]
	v_cndmask_b32_e64 v35, 0, v35, s[8:9]
	v_cmp_ngt_f64_e64 s[8:9], -1.0, v[23:24]
	v_cndmask_b32_e64 v36, v67, v36, s[12:13]
	v_cndmask_b32_e64 v36, v37, v36, s[8:9]
	v_cmp_neq_f64_e64 s[8:9], -1.0, v[23:24]
	v_cndmask_b32_e64 v36, v38, v36, s[8:9]
	v_add_f64 v[49:50], v[21:22], v[35:36]
.LBB5_190:
	s_or_b64 exec, exec, s[16:17]
	v_max_f64 v[35:36], v[11:12], v[11:12]
	v_max_f64 v[21:22], v[49:50], v[49:50]
	v_cmp_u_f64_e64 s[12:13], v[49:50], v[49:50]
	v_cmp_u_f64_e64 s[8:9], v[11:12], v[11:12]
	s_movk_i32 s28, 0x1f8
	v_min_f64 v[23:24], v[21:22], v[35:36]
	v_max_f64 v[21:22], v[21:22], v[35:36]
	v_cndmask_b32_e64 v23, v23, v49, s[12:13]
	v_cndmask_b32_e64 v24, v24, v50, s[12:13]
	;; [unrolled: 1-line block ×8, first 2 shown]
	v_cmp_neq_f64_e64 s[12:13], v[23:24], v[21:22]
	v_cmp_class_f64_e64 s[16:17], v[23:24], s28
	s_or_b64 s[12:13], s[12:13], s[16:17]
	s_and_saveexec_b64 s[22:23], s[12:13]
	s_cbranch_execz .LBB5_192
; %bb.191:
	v_add_f64 v[23:24], v[23:24], -v[21:22]
	s_mov_b32 s12, 0x652b82fe
	s_mov_b32 s13, 0x3ff71547
	;; [unrolled: 1-line block ×6, first 2 shown]
	v_mov_b32_e32 v49, 0xfca7ab0c
	v_mul_f64 v[37:38], v[23:24], s[12:13]
	s_mov_b32 s12, 0x6a5dcb37
	v_mov_b32_e32 v50, 0x3e928af3
	s_mov_b32 s13, 0x3e5ade15
	s_mov_b32 s16, 0
	;; [unrolled: 1-line block ×3, first 2 shown]
	v_cmp_ngt_f64_e64 s[16:17], s[16:17], v[23:24]
	v_mov_b32_e32 v69, 0x7ff00000
	v_rndne_f64_e32 v[37:38], v[37:38]
	v_fma_f64 v[39:40], v[37:38], s[24:25], v[23:24]
	s_mov_b32 s25, 0x3fe62e42
	v_fma_f64 v[39:40], v[37:38], s[26:27], v[39:40]
	v_cvt_i32_f64_e32 v37, v[37:38]
	s_mov_b32 s27, 0x3c7abc9e
	v_fma_f64 v[49:50], v[39:40], s[12:13], v[49:50]
	s_mov_b32 s12, 0x623fde64
	s_mov_b32 s13, 0x3ec71dee
	v_fma_f64 v[49:50], v[39:40], v[49:50], s[12:13]
	s_mov_b32 s12, 0x7c89e6b0
	;; [unrolled: 3-line block ×9, first 2 shown]
	s_mov_b32 s13, 0x40900000
	v_cmp_nlt_f64_e64 s[12:13], s[12:13], v[23:24]
	v_fma_f64 v[49:50], v[39:40], v[49:50], 1.0
	v_fma_f64 v[39:40], v[39:40], v[49:50], 1.0
	v_ldexp_f64 v[37:38], v[39:40], v37
	v_cndmask_b32_e64 v38, v69, v38, s[12:13]
	s_and_b64 s[12:13], s[16:17], s[12:13]
	v_cndmask_b32_e64 v24, 0, v38, s[16:17]
	v_cndmask_b32_e64 v23, 0, v37, s[12:13]
	v_add_f64 v[37:38], v[23:24], 1.0
	s_mov_b32 s17, 0x3fe55555
	s_mov_b32 s16, 0x55555555
	v_frexp_mant_f64_e32 v[49:50], v[37:38]
	v_frexp_exp_i32_f64_e32 v53, v[37:38]
	v_add_f64 v[39:40], v[37:38], -1.0
	v_cmp_gt_f64_e64 s[12:13], s[16:17], v[49:50]
	s_mov_b32 s16, 0x55555780
	v_add_f64 v[51:52], v[39:40], -v[37:38]
	v_add_f64 v[39:40], v[23:24], -v[39:40]
	v_subbrev_co_u32_e64 v70, s[12:13], 0, v53, s[12:13]
	v_sub_u32_e32 v53, 0, v70
	v_ldexp_f64 v[37:38], v[37:38], v53
	v_add_f64 v[49:50], v[51:52], 1.0
	s_mov_b32 s12, 0xbf559e2b
	s_mov_b32 s13, 0x3fc3ab76
	v_add_f64 v[51:52], v[37:38], 1.0
	v_add_f64 v[39:40], v[39:40], v[49:50]
	v_add_f64 v[57:58], v[37:38], -1.0
	v_add_f64 v[49:50], v[51:52], -1.0
	v_ldexp_f64 v[39:40], v[39:40], v53
	v_add_f64 v[59:60], v[57:58], 1.0
	v_add_f64 v[49:50], v[37:38], -v[49:50]
	v_add_f64 v[37:38], v[37:38], -v[59:60]
	v_add_f64 v[49:50], v[39:40], v[49:50]
	v_add_f64 v[37:38], v[39:40], v[37:38]
	;; [unrolled: 1-line block ×4, first 2 shown]
	v_rcp_f64_e32 v[55:56], v[53:54]
	v_add_f64 v[51:52], v[53:54], -v[51:52]
	v_add_f64 v[57:58], v[59:60], -v[57:58]
	;; [unrolled: 1-line block ×4, first 2 shown]
	v_fma_f64 v[61:62], -v[53:54], v[55:56], 1.0
	v_fma_f64 v[55:56], v[61:62], v[55:56], v[55:56]
	v_fma_f64 v[39:40], -v[53:54], v[55:56], 1.0
	v_fma_f64 v[39:40], v[39:40], v[55:56], v[55:56]
	v_mul_f64 v[55:56], v[59:60], v[39:40]
	v_mul_f64 v[61:62], v[53:54], v[55:56]
	v_fma_f64 v[51:52], v[55:56], v[53:54], -v[61:62]
	v_fma_f64 v[51:52], v[55:56], v[49:50], v[51:52]
	v_add_f64 v[63:64], v[61:62], v[51:52]
	v_add_f64 v[67:68], v[59:60], -v[63:64]
	v_add_f64 v[57:58], v[63:64], -v[61:62]
	;; [unrolled: 1-line block ×5, first 2 shown]
	v_add_f64 v[37:38], v[37:38], v[59:60]
	v_add_f64 v[37:38], v[51:52], v[37:38]
	;; [unrolled: 1-line block ×3, first 2 shown]
	v_mul_f64 v[57:58], v[39:40], v[51:52]
	v_add_f64 v[63:64], v[67:68], -v[51:52]
	v_mul_f64 v[59:60], v[53:54], v[57:58]
	v_add_f64 v[37:38], v[37:38], v[63:64]
	v_fma_f64 v[53:54], v[57:58], v[53:54], -v[59:60]
	v_fma_f64 v[49:50], v[57:58], v[49:50], v[53:54]
	v_add_f64 v[53:54], v[59:60], v[49:50]
	v_add_f64 v[61:62], v[51:52], -v[53:54]
	v_add_f64 v[59:60], v[53:54], -v[59:60]
	v_add_f64 v[51:52], v[51:52], -v[61:62]
	v_add_f64 v[49:50], v[59:60], -v[49:50]
	v_add_f64 v[51:52], v[51:52], -v[53:54]
	v_mov_b32_e32 v53, 0x6b47b09a
	v_mov_b32_e32 v54, 0x3fc38538
	v_add_f64 v[37:38], v[37:38], v[51:52]
	v_add_f64 v[51:52], v[55:56], v[57:58]
	;; [unrolled: 1-line block ×3, first 2 shown]
	v_add_f64 v[49:50], v[51:52], -v[55:56]
	v_add_f64 v[37:38], v[61:62], v[37:38]
	v_add_f64 v[49:50], v[57:58], -v[49:50]
	v_mul_f64 v[37:38], v[39:40], v[37:38]
	v_add_f64 v[37:38], v[49:50], v[37:38]
	v_add_f64 v[39:40], v[51:52], v[37:38]
	v_mul_f64 v[49:50], v[39:40], v[39:40]
	v_fma_f64 v[53:54], v[49:50], s[12:13], v[53:54]
	s_mov_b32 s12, 0xd7f4df2e
	s_mov_b32 s13, 0x3fc7474d
	v_mul_f64 v[55:56], v[39:40], v[49:50]
	v_fma_f64 v[53:54], v[49:50], v[53:54], s[12:13]
	s_mov_b32 s12, 0x16291751
	s_mov_b32 s13, 0x3fcc71c0
	v_fma_f64 v[53:54], v[49:50], v[53:54], s[12:13]
	s_mov_b32 s12, 0x9b27acf1
	s_mov_b32 s13, 0x3fd24924
	;; [unrolled: 3-line block ×3, first 2 shown]
	v_fma_f64 v[53:54], v[49:50], v[53:54], s[12:13]
	v_cmp_nge_f64_e64 s[12:13], -1.0, v[23:24]
	v_fma_f64 v[49:50], v[49:50], v[53:54], s[16:17]
	v_ldexp_f64 v[53:54], v[39:40], 1
	v_add_f64 v[39:40], v[39:40], -v[51:52]
	s_mov_b32 s16, 0
	s_mov_b32 s17, 0x7ff00000
	v_cmp_neq_f64_e64 s[16:17], s[16:17], v[23:24]
	v_mul_f64 v[49:50], v[55:56], v[49:50]
	v_cvt_f64_i32_e32 v[55:56], v70
	v_add_f64 v[37:38], v[37:38], -v[39:40]
	v_mul_f64 v[57:58], v[55:56], s[24:25]
	s_and_b64 s[12:13], s[12:13], s[16:17]
	v_add_f64 v[51:52], v[53:54], v[49:50]
	v_ldexp_f64 v[37:38], v[37:38], 1
	v_add_f64 v[39:40], v[51:52], -v[53:54]
	v_fma_f64 v[53:54], v[55:56], s[24:25], -v[57:58]
	v_add_f64 v[39:40], v[49:50], -v[39:40]
	v_fma_f64 v[49:50], v[55:56], s[26:27], v[53:54]
	v_add_f64 v[37:38], v[37:38], v[39:40]
	v_add_f64 v[39:40], v[57:58], v[49:50]
	;; [unrolled: 1-line block ×3, first 2 shown]
	v_add_f64 v[57:58], v[39:40], -v[57:58]
	v_add_f64 v[55:56], v[39:40], v[53:54]
	v_add_f64 v[51:52], v[53:54], -v[51:52]
	v_add_f64 v[49:50], v[49:50], -v[57:58]
	;; [unrolled: 1-line block ×6, first 2 shown]
	v_add_f64 v[53:54], v[49:50], v[37:38]
	v_add_f64 v[39:40], v[39:40], -v[61:62]
	v_add_f64 v[39:40], v[51:52], v[39:40]
	v_add_f64 v[51:52], v[53:54], -v[49:50]
	;; [unrolled: 2-line block ×3, first 2 shown]
	v_add_f64 v[37:38], v[37:38], -v[51:52]
	v_add_f64 v[57:58], v[55:56], v[39:40]
	v_add_f64 v[49:50], v[49:50], -v[53:54]
	v_add_f64 v[51:52], v[57:58], -v[55:56]
	v_add_f64 v[37:38], v[37:38], v[49:50]
	v_add_f64 v[39:40], v[39:40], -v[51:52]
	v_add_f64 v[37:38], v[37:38], v[39:40]
	v_mov_b32_e32 v39, 0x7ff80000
	v_mov_b32_e32 v40, 0xfff00000
	v_add_f64 v[37:38], v[57:58], v[37:38]
	v_cndmask_b32_e64 v37, 0, v37, s[12:13]
	v_cmp_ngt_f64_e64 s[12:13], -1.0, v[23:24]
	v_cndmask_b32_e64 v38, v69, v38, s[16:17]
	v_cndmask_b32_e64 v38, v39, v38, s[12:13]
	v_cmp_neq_f64_e64 s[12:13], -1.0, v[23:24]
	v_cndmask_b32_e64 v38, v40, v38, s[12:13]
	v_add_f64 v[49:50], v[21:22], v[37:38]
.LBB5_192:
	s_or_b64 exec, exec, s[22:23]
	v_max_f64 v[37:38], v[5:6], v[5:6]
	v_max_f64 v[21:22], v[49:50], v[49:50]
	v_cmp_u_f64_e64 s[12:13], v[49:50], v[49:50]
	v_cmp_u_f64_e64 s[16:17], v[5:6], v[5:6]
	v_min_f64 v[23:24], v[21:22], v[37:38]
	v_max_f64 v[21:22], v[21:22], v[37:38]
	v_cndmask_b32_e64 v23, v23, v49, s[12:13]
	v_cndmask_b32_e64 v24, v24, v50, s[12:13]
	;; [unrolled: 1-line block ×8, first 2 shown]
	v_cmp_neq_f64_e64 s[12:13], v[23:24], v[21:22]
	v_cmp_class_f64_e64 s[22:23], v[23:24], s28
	s_or_b64 s[12:13], s[12:13], s[22:23]
	s_and_saveexec_b64 s[24:25], s[12:13]
	s_cbranch_execz .LBB5_194
; %bb.193:
	v_add_f64 v[23:24], v[23:24], -v[21:22]
	s_mov_b32 s12, 0x652b82fe
	s_mov_b32 s13, 0x3ff71547
	;; [unrolled: 1-line block ×6, first 2 shown]
	v_mov_b32_e32 v51, 0xfca7ab0c
	v_mul_f64 v[39:40], v[23:24], s[12:13]
	s_mov_b32 s12, 0x6a5dcb37
	v_mov_b32_e32 v52, 0x3e928af3
	s_mov_b32 s13, 0x3e5ade15
	s_mov_b32 s22, 0
	;; [unrolled: 1-line block ×3, first 2 shown]
	v_cmp_ngt_f64_e64 s[22:23], s[22:23], v[23:24]
	v_mov_b32_e32 v71, 0x7ff00000
	v_rndne_f64_e32 v[39:40], v[39:40]
	v_fma_f64 v[49:50], v[39:40], s[26:27], v[23:24]
	s_mov_b32 s27, 0x3fe62e42
	v_fma_f64 v[49:50], v[39:40], s[28:29], v[49:50]
	v_cvt_i32_f64_e32 v39, v[39:40]
	s_mov_b32 s29, 0x3c7abc9e
	v_fma_f64 v[51:52], v[49:50], s[12:13], v[51:52]
	s_mov_b32 s12, 0x623fde64
	s_mov_b32 s13, 0x3ec71dee
	v_fma_f64 v[51:52], v[49:50], v[51:52], s[12:13]
	s_mov_b32 s12, 0x7c89e6b0
	;; [unrolled: 3-line block ×9, first 2 shown]
	s_mov_b32 s13, 0x40900000
	v_cmp_nlt_f64_e64 s[12:13], s[12:13], v[23:24]
	v_fma_f64 v[51:52], v[49:50], v[51:52], 1.0
	v_fma_f64 v[49:50], v[49:50], v[51:52], 1.0
	v_ldexp_f64 v[39:40], v[49:50], v39
	v_cndmask_b32_e64 v40, v71, v40, s[12:13]
	s_and_b64 s[12:13], s[22:23], s[12:13]
	v_cndmask_b32_e64 v24, 0, v40, s[22:23]
	v_cndmask_b32_e64 v23, 0, v39, s[12:13]
	v_add_f64 v[39:40], v[23:24], 1.0
	s_mov_b32 s23, 0x3fe55555
	s_mov_b32 s22, 0x55555555
	v_frexp_mant_f64_e32 v[51:52], v[39:40]
	v_frexp_exp_i32_f64_e32 v55, v[39:40]
	v_add_f64 v[49:50], v[39:40], -1.0
	v_cmp_gt_f64_e64 s[12:13], s[22:23], v[51:52]
	s_mov_b32 s22, 0x55555780
	v_add_f64 v[53:54], v[49:50], -v[39:40]
	v_add_f64 v[49:50], v[23:24], -v[49:50]
	v_subbrev_co_u32_e64 v72, s[12:13], 0, v55, s[12:13]
	v_sub_u32_e32 v55, 0, v72
	v_ldexp_f64 v[39:40], v[39:40], v55
	v_add_f64 v[51:52], v[53:54], 1.0
	s_mov_b32 s12, 0xbf559e2b
	s_mov_b32 s13, 0x3fc3ab76
	v_add_f64 v[53:54], v[39:40], 1.0
	v_add_f64 v[49:50], v[49:50], v[51:52]
	v_add_f64 v[59:60], v[39:40], -1.0
	v_add_f64 v[51:52], v[53:54], -1.0
	v_ldexp_f64 v[49:50], v[49:50], v55
	v_add_f64 v[61:62], v[59:60], 1.0
	v_add_f64 v[51:52], v[39:40], -v[51:52]
	v_add_f64 v[39:40], v[39:40], -v[61:62]
	v_add_f64 v[51:52], v[49:50], v[51:52]
	v_add_f64 v[39:40], v[49:50], v[39:40]
	;; [unrolled: 1-line block ×4, first 2 shown]
	v_rcp_f64_e32 v[57:58], v[55:56]
	v_add_f64 v[53:54], v[55:56], -v[53:54]
	v_add_f64 v[59:60], v[61:62], -v[59:60]
	;; [unrolled: 1-line block ×4, first 2 shown]
	v_fma_f64 v[63:64], -v[55:56], v[57:58], 1.0
	v_fma_f64 v[57:58], v[63:64], v[57:58], v[57:58]
	v_fma_f64 v[49:50], -v[55:56], v[57:58], 1.0
	v_fma_f64 v[49:50], v[49:50], v[57:58], v[57:58]
	v_mul_f64 v[57:58], v[61:62], v[49:50]
	v_mul_f64 v[63:64], v[55:56], v[57:58]
	v_fma_f64 v[53:54], v[57:58], v[55:56], -v[63:64]
	v_fma_f64 v[53:54], v[57:58], v[51:52], v[53:54]
	v_add_f64 v[67:68], v[63:64], v[53:54]
	v_add_f64 v[69:70], v[61:62], -v[67:68]
	v_add_f64 v[59:60], v[67:68], -v[63:64]
	;; [unrolled: 1-line block ×5, first 2 shown]
	v_add_f64 v[39:40], v[39:40], v[61:62]
	v_add_f64 v[39:40], v[53:54], v[39:40]
	;; [unrolled: 1-line block ×3, first 2 shown]
	v_mul_f64 v[59:60], v[49:50], v[53:54]
	v_add_f64 v[67:68], v[69:70], -v[53:54]
	v_mul_f64 v[61:62], v[55:56], v[59:60]
	v_add_f64 v[39:40], v[39:40], v[67:68]
	v_fma_f64 v[55:56], v[59:60], v[55:56], -v[61:62]
	v_fma_f64 v[51:52], v[59:60], v[51:52], v[55:56]
	v_add_f64 v[55:56], v[61:62], v[51:52]
	v_add_f64 v[63:64], v[53:54], -v[55:56]
	v_add_f64 v[61:62], v[55:56], -v[61:62]
	;; [unrolled: 1-line block ×5, first 2 shown]
	v_mov_b32_e32 v55, 0x6b47b09a
	v_mov_b32_e32 v56, 0x3fc38538
	v_add_f64 v[39:40], v[39:40], v[53:54]
	v_add_f64 v[53:54], v[57:58], v[59:60]
	;; [unrolled: 1-line block ×3, first 2 shown]
	v_add_f64 v[51:52], v[53:54], -v[57:58]
	v_add_f64 v[39:40], v[63:64], v[39:40]
	v_add_f64 v[51:52], v[59:60], -v[51:52]
	v_mul_f64 v[39:40], v[49:50], v[39:40]
	v_add_f64 v[39:40], v[51:52], v[39:40]
	v_add_f64 v[49:50], v[53:54], v[39:40]
	v_mul_f64 v[51:52], v[49:50], v[49:50]
	v_fma_f64 v[55:56], v[51:52], s[12:13], v[55:56]
	s_mov_b32 s12, 0xd7f4df2e
	s_mov_b32 s13, 0x3fc7474d
	v_mul_f64 v[57:58], v[49:50], v[51:52]
	v_fma_f64 v[55:56], v[51:52], v[55:56], s[12:13]
	s_mov_b32 s12, 0x16291751
	s_mov_b32 s13, 0x3fcc71c0
	v_fma_f64 v[55:56], v[51:52], v[55:56], s[12:13]
	s_mov_b32 s12, 0x9b27acf1
	s_mov_b32 s13, 0x3fd24924
	;; [unrolled: 3-line block ×3, first 2 shown]
	v_fma_f64 v[55:56], v[51:52], v[55:56], s[12:13]
	v_cmp_nge_f64_e64 s[12:13], -1.0, v[23:24]
	v_fma_f64 v[51:52], v[51:52], v[55:56], s[22:23]
	v_ldexp_f64 v[55:56], v[49:50], 1
	v_add_f64 v[49:50], v[49:50], -v[53:54]
	s_mov_b32 s22, 0
	s_mov_b32 s23, 0x7ff00000
	v_cmp_neq_f64_e64 s[22:23], s[22:23], v[23:24]
	v_mul_f64 v[51:52], v[57:58], v[51:52]
	v_cvt_f64_i32_e32 v[57:58], v72
	v_add_f64 v[39:40], v[39:40], -v[49:50]
	v_mul_f64 v[59:60], v[57:58], s[26:27]
	s_and_b64 s[12:13], s[12:13], s[22:23]
	v_add_f64 v[53:54], v[55:56], v[51:52]
	v_ldexp_f64 v[39:40], v[39:40], 1
	v_add_f64 v[49:50], v[53:54], -v[55:56]
	v_fma_f64 v[55:56], v[57:58], s[26:27], -v[59:60]
	v_add_f64 v[49:50], v[51:52], -v[49:50]
	v_fma_f64 v[51:52], v[57:58], s[28:29], v[55:56]
	v_add_f64 v[39:40], v[39:40], v[49:50]
	v_add_f64 v[49:50], v[59:60], v[51:52]
	;; [unrolled: 1-line block ×3, first 2 shown]
	v_add_f64 v[59:60], v[49:50], -v[59:60]
	v_add_f64 v[57:58], v[49:50], v[55:56]
	v_add_f64 v[53:54], v[55:56], -v[53:54]
	v_add_f64 v[51:52], v[51:52], -v[59:60]
	;; [unrolled: 1-line block ×6, first 2 shown]
	v_add_f64 v[55:56], v[51:52], v[39:40]
	v_add_f64 v[49:50], v[49:50], -v[63:64]
	v_add_f64 v[49:50], v[53:54], v[49:50]
	v_add_f64 v[53:54], v[55:56], -v[51:52]
	;; [unrolled: 2-line block ×3, first 2 shown]
	v_add_f64 v[39:40], v[39:40], -v[53:54]
	v_add_f64 v[59:60], v[57:58], v[49:50]
	v_add_f64 v[51:52], v[51:52], -v[55:56]
	v_add_f64 v[53:54], v[59:60], -v[57:58]
	v_add_f64 v[39:40], v[39:40], v[51:52]
	v_add_f64 v[49:50], v[49:50], -v[53:54]
	v_add_f64 v[39:40], v[39:40], v[49:50]
	v_mov_b32_e32 v49, 0x7ff80000
	v_mov_b32_e32 v50, 0xfff00000
	v_add_f64 v[39:40], v[59:60], v[39:40]
	v_cndmask_b32_e64 v39, 0, v39, s[12:13]
	v_cmp_ngt_f64_e64 s[12:13], -1.0, v[23:24]
	v_cndmask_b32_e64 v40, v71, v40, s[22:23]
	v_cndmask_b32_e64 v40, v49, v40, s[12:13]
	v_cmp_neq_f64_e64 s[12:13], -1.0, v[23:24]
	v_cndmask_b32_e64 v40, v50, v40, s[12:13]
	v_add_f64 v[49:50], v[21:22], v[39:40]
.LBB5_194:
	s_or_b64 exec, exec, s[24:25]
	v_max_f64 v[39:40], v[7:8], v[7:8]
	v_max_f64 v[21:22], v[49:50], v[49:50]
	v_cmp_u_f64_e64 s[22:23], v[49:50], v[49:50]
	v_cmp_u_f64_e64 s[12:13], v[7:8], v[7:8]
	s_movk_i32 s24, 0x1f8
	v_min_f64 v[23:24], v[21:22], v[39:40]
	v_max_f64 v[21:22], v[21:22], v[39:40]
	v_cndmask_b32_e64 v23, v23, v49, s[22:23]
	v_cndmask_b32_e64 v24, v24, v50, s[22:23]
	;; [unrolled: 1-line block ×8, first 2 shown]
	v_cmp_neq_f64_e64 s[22:23], v[23:24], v[21:22]
	v_cmp_class_f64_e64 s[24:25], v[23:24], s24
	s_or_b64 s[22:23], s[22:23], s[24:25]
	s_and_saveexec_b64 s[26:27], s[22:23]
	s_cbranch_execz .LBB5_196
; %bb.195:
	v_add_f64 v[23:24], v[23:24], -v[21:22]
	s_mov_b32 s22, 0x652b82fe
	s_mov_b32 s23, 0x3ff71547
	;; [unrolled: 1-line block ×6, first 2 shown]
	v_mov_b32_e32 v53, 0xfca7ab0c
	v_mul_f64 v[49:50], v[23:24], s[22:23]
	s_mov_b32 s22, 0x6a5dcb37
	v_mov_b32_e32 v54, 0x3e928af3
	s_mov_b32 s23, 0x3e5ade15
	s_mov_b32 s24, 0
	;; [unrolled: 1-line block ×3, first 2 shown]
	v_cmp_ngt_f64_e64 s[24:25], s[24:25], v[23:24]
	v_mov_b32_e32 v73, 0x7ff00000
	v_rndne_f64_e32 v[49:50], v[49:50]
	v_fma_f64 v[51:52], v[49:50], s[28:29], v[23:24]
	s_mov_b32 s29, 0x3fe62e42
	v_fma_f64 v[51:52], v[49:50], s[30:31], v[51:52]
	v_cvt_i32_f64_e32 v49, v[49:50]
	s_mov_b32 s31, 0x3c7abc9e
	v_fma_f64 v[53:54], v[51:52], s[22:23], v[53:54]
	s_mov_b32 s22, 0x623fde64
	s_mov_b32 s23, 0x3ec71dee
	v_fma_f64 v[53:54], v[51:52], v[53:54], s[22:23]
	s_mov_b32 s22, 0x7c89e6b0
	;; [unrolled: 3-line block ×9, first 2 shown]
	s_mov_b32 s23, 0x40900000
	v_cmp_nlt_f64_e64 s[22:23], s[22:23], v[23:24]
	v_fma_f64 v[53:54], v[51:52], v[53:54], 1.0
	v_fma_f64 v[51:52], v[51:52], v[53:54], 1.0
	v_ldexp_f64 v[49:50], v[51:52], v49
	v_cndmask_b32_e64 v50, v73, v50, s[22:23]
	s_and_b64 s[22:23], s[24:25], s[22:23]
	v_cndmask_b32_e64 v24, 0, v50, s[24:25]
	v_cndmask_b32_e64 v23, 0, v49, s[22:23]
	v_add_f64 v[49:50], v[23:24], 1.0
	s_mov_b32 s25, 0x3fe55555
	s_mov_b32 s24, 0x55555555
	v_frexp_mant_f64_e32 v[53:54], v[49:50]
	v_frexp_exp_i32_f64_e32 v57, v[49:50]
	v_add_f64 v[51:52], v[49:50], -1.0
	v_cmp_gt_f64_e64 s[22:23], s[24:25], v[53:54]
	s_mov_b32 s24, 0x55555780
	v_add_f64 v[55:56], v[51:52], -v[49:50]
	v_add_f64 v[51:52], v[23:24], -v[51:52]
	v_subbrev_co_u32_e64 v74, s[22:23], 0, v57, s[22:23]
	v_sub_u32_e32 v57, 0, v74
	v_ldexp_f64 v[49:50], v[49:50], v57
	v_add_f64 v[53:54], v[55:56], 1.0
	s_mov_b32 s22, 0xbf559e2b
	s_mov_b32 s23, 0x3fc3ab76
	v_add_f64 v[55:56], v[49:50], 1.0
	v_add_f64 v[51:52], v[51:52], v[53:54]
	v_add_f64 v[61:62], v[49:50], -1.0
	v_add_f64 v[53:54], v[55:56], -1.0
	v_ldexp_f64 v[51:52], v[51:52], v57
	v_add_f64 v[63:64], v[61:62], 1.0
	v_add_f64 v[53:54], v[49:50], -v[53:54]
	v_add_f64 v[49:50], v[49:50], -v[63:64]
	v_add_f64 v[53:54], v[51:52], v[53:54]
	v_add_f64 v[49:50], v[51:52], v[49:50]
	;; [unrolled: 1-line block ×4, first 2 shown]
	v_rcp_f64_e32 v[59:60], v[57:58]
	v_add_f64 v[55:56], v[57:58], -v[55:56]
	v_add_f64 v[61:62], v[63:64], -v[61:62]
	;; [unrolled: 1-line block ×4, first 2 shown]
	v_fma_f64 v[67:68], -v[57:58], v[59:60], 1.0
	v_fma_f64 v[59:60], v[67:68], v[59:60], v[59:60]
	v_fma_f64 v[51:52], -v[57:58], v[59:60], 1.0
	v_fma_f64 v[51:52], v[51:52], v[59:60], v[59:60]
	v_mul_f64 v[59:60], v[63:64], v[51:52]
	v_mul_f64 v[67:68], v[57:58], v[59:60]
	v_fma_f64 v[55:56], v[59:60], v[57:58], -v[67:68]
	v_fma_f64 v[55:56], v[59:60], v[53:54], v[55:56]
	v_add_f64 v[69:70], v[67:68], v[55:56]
	v_add_f64 v[71:72], v[63:64], -v[69:70]
	v_add_f64 v[61:62], v[69:70], -v[67:68]
	;; [unrolled: 1-line block ×5, first 2 shown]
	v_add_f64 v[49:50], v[49:50], v[63:64]
	v_add_f64 v[49:50], v[55:56], v[49:50]
	;; [unrolled: 1-line block ×3, first 2 shown]
	v_mul_f64 v[61:62], v[51:52], v[55:56]
	v_add_f64 v[69:70], v[71:72], -v[55:56]
	v_mul_f64 v[63:64], v[57:58], v[61:62]
	v_add_f64 v[49:50], v[49:50], v[69:70]
	v_fma_f64 v[57:58], v[61:62], v[57:58], -v[63:64]
	v_fma_f64 v[53:54], v[61:62], v[53:54], v[57:58]
	v_add_f64 v[57:58], v[63:64], v[53:54]
	v_add_f64 v[67:68], v[55:56], -v[57:58]
	v_add_f64 v[63:64], v[57:58], -v[63:64]
	;; [unrolled: 1-line block ×5, first 2 shown]
	v_mov_b32_e32 v57, 0x6b47b09a
	v_mov_b32_e32 v58, 0x3fc38538
	v_add_f64 v[49:50], v[49:50], v[55:56]
	v_add_f64 v[55:56], v[59:60], v[61:62]
	;; [unrolled: 1-line block ×3, first 2 shown]
	v_add_f64 v[53:54], v[55:56], -v[59:60]
	v_add_f64 v[49:50], v[67:68], v[49:50]
	v_add_f64 v[53:54], v[61:62], -v[53:54]
	v_mul_f64 v[49:50], v[51:52], v[49:50]
	v_add_f64 v[49:50], v[53:54], v[49:50]
	v_add_f64 v[51:52], v[55:56], v[49:50]
	v_mul_f64 v[53:54], v[51:52], v[51:52]
	v_fma_f64 v[57:58], v[53:54], s[22:23], v[57:58]
	s_mov_b32 s22, 0xd7f4df2e
	s_mov_b32 s23, 0x3fc7474d
	v_mul_f64 v[59:60], v[51:52], v[53:54]
	v_fma_f64 v[57:58], v[53:54], v[57:58], s[22:23]
	s_mov_b32 s22, 0x16291751
	s_mov_b32 s23, 0x3fcc71c0
	v_fma_f64 v[57:58], v[53:54], v[57:58], s[22:23]
	s_mov_b32 s22, 0x9b27acf1
	s_mov_b32 s23, 0x3fd24924
	;; [unrolled: 3-line block ×3, first 2 shown]
	v_fma_f64 v[57:58], v[53:54], v[57:58], s[22:23]
	v_cmp_nge_f64_e64 s[22:23], -1.0, v[23:24]
	v_fma_f64 v[53:54], v[53:54], v[57:58], s[24:25]
	v_ldexp_f64 v[57:58], v[51:52], 1
	v_add_f64 v[51:52], v[51:52], -v[55:56]
	s_mov_b32 s24, 0
	s_mov_b32 s25, 0x7ff00000
	v_cmp_neq_f64_e64 s[24:25], s[24:25], v[23:24]
	v_mul_f64 v[53:54], v[59:60], v[53:54]
	v_cvt_f64_i32_e32 v[59:60], v74
	v_add_f64 v[49:50], v[49:50], -v[51:52]
	v_mul_f64 v[61:62], v[59:60], s[28:29]
	s_and_b64 s[22:23], s[22:23], s[24:25]
	v_add_f64 v[55:56], v[57:58], v[53:54]
	v_ldexp_f64 v[49:50], v[49:50], 1
	v_add_f64 v[51:52], v[55:56], -v[57:58]
	v_fma_f64 v[57:58], v[59:60], s[28:29], -v[61:62]
	v_add_f64 v[51:52], v[53:54], -v[51:52]
	v_fma_f64 v[53:54], v[59:60], s[30:31], v[57:58]
	v_add_f64 v[49:50], v[49:50], v[51:52]
	v_add_f64 v[51:52], v[61:62], v[53:54]
	;; [unrolled: 1-line block ×3, first 2 shown]
	v_add_f64 v[61:62], v[51:52], -v[61:62]
	v_add_f64 v[59:60], v[51:52], v[57:58]
	v_add_f64 v[55:56], v[57:58], -v[55:56]
	v_add_f64 v[53:54], v[53:54], -v[61:62]
	;; [unrolled: 1-line block ×6, first 2 shown]
	v_add_f64 v[57:58], v[53:54], v[49:50]
	v_add_f64 v[51:52], v[51:52], -v[67:68]
	v_add_f64 v[51:52], v[55:56], v[51:52]
	v_add_f64 v[55:56], v[57:58], -v[53:54]
	;; [unrolled: 2-line block ×3, first 2 shown]
	v_add_f64 v[49:50], v[49:50], -v[55:56]
	v_add_f64 v[61:62], v[59:60], v[51:52]
	v_add_f64 v[53:54], v[53:54], -v[57:58]
	v_add_f64 v[55:56], v[61:62], -v[59:60]
	v_add_f64 v[49:50], v[49:50], v[53:54]
	v_add_f64 v[51:52], v[51:52], -v[55:56]
	v_add_f64 v[49:50], v[49:50], v[51:52]
	v_mov_b32_e32 v51, 0x7ff80000
	v_mov_b32_e32 v52, 0xfff00000
	v_add_f64 v[49:50], v[61:62], v[49:50]
	v_cndmask_b32_e64 v49, 0, v49, s[22:23]
	v_cmp_ngt_f64_e64 s[22:23], -1.0, v[23:24]
	v_cndmask_b32_e64 v50, v73, v50, s[24:25]
	v_cndmask_b32_e64 v50, v51, v50, s[22:23]
	v_cmp_neq_f64_e64 s[22:23], -1.0, v[23:24]
	v_cndmask_b32_e64 v50, v52, v50, s[22:23]
	v_add_f64 v[49:50], v[21:22], v[49:50]
.LBB5_196:
	s_or_b64 exec, exec, s[26:27]
	v_lshrrev_b32_e32 v21, 2, v0
	v_and_b32_e32 v21, 24, v21
	v_lshl_add_u32 v21, v0, 3, v21
	v_cmp_gt_u32_e64 s[22:23], 64, v0
	ds_write_b64 v21, v[49:50]
	s_waitcnt lgkmcnt(0)
	s_barrier
	s_and_saveexec_b64 s[28:29], s[22:23]
	s_cbranch_execz .LBB5_228
; %bb.197:
	v_lshrrev_b32_e32 v21, 1, v0
	v_and_b32_e32 v21, 56, v21
	v_lshlrev_b32_e32 v22, 4, v0
	v_add_u32_e32 v57, v21, v22
	ds_read2_b64 v[21:24], v57 offset1:1
	s_movk_i32 s26, 0x1f8
	s_waitcnt lgkmcnt(0)
	v_max_f64 v[53:54], v[23:24], v[23:24]
	v_max_f64 v[51:52], v[21:22], v[21:22]
	v_cmp_u_f64_e64 s[22:23], v[21:22], v[21:22]
	v_cmp_u_f64_e64 s[24:25], v[23:24], v[23:24]
	v_min_f64 v[55:56], v[51:52], v[53:54]
	v_max_f64 v[53:54], v[51:52], v[53:54]
	v_cndmask_b32_e64 v55, v55, v21, s[22:23]
	v_cndmask_b32_e64 v56, v56, v22, s[22:23]
	;; [unrolled: 1-line block ×8, first 2 shown]
	v_cmp_neq_f64_e64 s[24:25], v[55:56], v[53:54]
	v_cmp_class_f64_e64 s[26:27], v[55:56], s26
	v_mov_b32_e32 v24, v22
	v_mov_b32_e32 v23, v21
	s_or_b64 s[24:25], s[24:25], s[26:27]
	s_and_saveexec_b64 s[30:31], s[24:25]
	s_cbranch_execz .LBB5_199
; %bb.198:
	v_add_f64 v[23:24], v[55:56], -v[53:54]
	s_mov_b32 s24, 0x652b82fe
	s_mov_b32 s25, 0x3ff71547
	;; [unrolled: 1-line block ×6, first 2 shown]
	v_mov_b32_e32 v60, 0xfca7ab0c
	v_mul_f64 v[55:56], v[23:24], s[24:25]
	s_mov_b32 s24, 0x6a5dcb37
	v_mov_b32_e32 v61, 0x3e928af3
	s_mov_b32 s25, 0x3e5ade15
	s_mov_b32 s26, 0
	;; [unrolled: 1-line block ×3, first 2 shown]
	v_cmp_ngt_f64_e64 s[26:27], s[26:27], v[23:24]
	v_mov_b32_e32 v64, 0x7ff00000
	v_rndne_f64_e32 v[55:56], v[55:56]
	v_fma_f64 v[58:59], v[55:56], s[36:37], v[23:24]
	s_mov_b32 s37, 0x3fe62e42
	v_fma_f64 v[58:59], v[55:56], s[44:45], v[58:59]
	v_cvt_i32_f64_e32 v55, v[55:56]
	s_mov_b32 s45, 0x3c7abc9e
	v_fma_f64 v[60:61], v[58:59], s[24:25], v[60:61]
	s_mov_b32 s24, 0x623fde64
	s_mov_b32 s25, 0x3ec71dee
	v_fma_f64 v[60:61], v[58:59], v[60:61], s[24:25]
	s_mov_b32 s24, 0x7c89e6b0
	;; [unrolled: 3-line block ×9, first 2 shown]
	s_mov_b32 s25, 0x40900000
	v_cmp_nlt_f64_e64 s[24:25], s[24:25], v[23:24]
	v_fma_f64 v[60:61], v[58:59], v[60:61], 1.0
	v_fma_f64 v[58:59], v[58:59], v[60:61], 1.0
	v_ldexp_f64 v[55:56], v[58:59], v55
	v_cndmask_b32_e64 v56, v64, v56, s[24:25]
	s_and_b64 s[24:25], s[26:27], s[24:25]
	v_cndmask_b32_e64 v24, 0, v56, s[26:27]
	v_cndmask_b32_e64 v23, 0, v55, s[24:25]
	v_add_f64 v[55:56], v[23:24], 1.0
	s_mov_b32 s27, 0x3fe55555
	s_mov_b32 s26, 0x55555555
	v_frexp_mant_f64_e32 v[60:61], v[55:56]
	v_frexp_exp_i32_f64_e32 v67, v[55:56]
	v_add_f64 v[58:59], v[55:56], -1.0
	v_cmp_gt_f64_e64 s[24:25], s[26:27], v[60:61]
	s_mov_b32 s26, 0x55555780
	v_add_f64 v[62:63], v[58:59], -v[55:56]
	v_add_f64 v[58:59], v[23:24], -v[58:59]
	v_subbrev_co_u32_e64 v81, s[24:25], 0, v67, s[24:25]
	v_sub_u32_e32 v67, 0, v81
	v_ldexp_f64 v[55:56], v[55:56], v67
	v_add_f64 v[60:61], v[62:63], 1.0
	s_mov_b32 s24, 0xbf559e2b
	s_mov_b32 s25, 0x3fc3ab76
	v_add_f64 v[62:63], v[55:56], 1.0
	v_add_f64 v[58:59], v[58:59], v[60:61]
	v_add_f64 v[71:72], v[55:56], -1.0
	v_add_f64 v[60:61], v[62:63], -1.0
	v_ldexp_f64 v[58:59], v[58:59], v67
	v_add_f64 v[73:74], v[71:72], 1.0
	v_add_f64 v[60:61], v[55:56], -v[60:61]
	v_add_f64 v[55:56], v[55:56], -v[73:74]
	v_add_f64 v[60:61], v[58:59], v[60:61]
	v_add_f64 v[55:56], v[58:59], v[55:56]
	;; [unrolled: 1-line block ×4, first 2 shown]
	v_rcp_f64_e32 v[69:70], v[67:68]
	v_add_f64 v[62:63], v[67:68], -v[62:63]
	v_add_f64 v[71:72], v[73:74], -v[71:72]
	;; [unrolled: 1-line block ×4, first 2 shown]
	v_fma_f64 v[75:76], -v[67:68], v[69:70], 1.0
	v_fma_f64 v[69:70], v[75:76], v[69:70], v[69:70]
	v_fma_f64 v[58:59], -v[67:68], v[69:70], 1.0
	v_fma_f64 v[58:59], v[58:59], v[69:70], v[69:70]
	v_mul_f64 v[69:70], v[73:74], v[58:59]
	v_mul_f64 v[75:76], v[67:68], v[69:70]
	v_fma_f64 v[62:63], v[69:70], v[67:68], -v[75:76]
	v_fma_f64 v[62:63], v[69:70], v[60:61], v[62:63]
	v_add_f64 v[77:78], v[75:76], v[62:63]
	v_add_f64 v[79:80], v[73:74], -v[77:78]
	v_add_f64 v[71:72], v[77:78], -v[75:76]
	;; [unrolled: 1-line block ×5, first 2 shown]
	v_add_f64 v[55:56], v[55:56], v[73:74]
	v_add_f64 v[55:56], v[62:63], v[55:56]
	;; [unrolled: 1-line block ×3, first 2 shown]
	v_mul_f64 v[71:72], v[58:59], v[62:63]
	v_add_f64 v[77:78], v[79:80], -v[62:63]
	v_mul_f64 v[73:74], v[67:68], v[71:72]
	v_add_f64 v[55:56], v[55:56], v[77:78]
	v_fma_f64 v[67:68], v[71:72], v[67:68], -v[73:74]
	v_fma_f64 v[60:61], v[71:72], v[60:61], v[67:68]
	v_add_f64 v[67:68], v[73:74], v[60:61]
	v_add_f64 v[75:76], v[62:63], -v[67:68]
	v_add_f64 v[73:74], v[67:68], -v[73:74]
	;; [unrolled: 1-line block ×5, first 2 shown]
	v_mov_b32_e32 v67, 0x6b47b09a
	v_mov_b32_e32 v68, 0x3fc38538
	v_add_f64 v[55:56], v[55:56], v[62:63]
	v_add_f64 v[62:63], v[69:70], v[71:72]
	v_add_f64 v[55:56], v[60:61], v[55:56]
	v_add_f64 v[60:61], v[62:63], -v[69:70]
	v_add_f64 v[55:56], v[75:76], v[55:56]
	v_add_f64 v[60:61], v[71:72], -v[60:61]
	v_mul_f64 v[55:56], v[58:59], v[55:56]
	v_add_f64 v[55:56], v[60:61], v[55:56]
	v_add_f64 v[58:59], v[62:63], v[55:56]
	v_mul_f64 v[60:61], v[58:59], v[58:59]
	v_fma_f64 v[67:68], v[60:61], s[24:25], v[67:68]
	s_mov_b32 s24, 0xd7f4df2e
	s_mov_b32 s25, 0x3fc7474d
	v_mul_f64 v[69:70], v[58:59], v[60:61]
	v_fma_f64 v[67:68], v[60:61], v[67:68], s[24:25]
	s_mov_b32 s24, 0x16291751
	s_mov_b32 s25, 0x3fcc71c0
	v_fma_f64 v[67:68], v[60:61], v[67:68], s[24:25]
	s_mov_b32 s24, 0x9b27acf1
	s_mov_b32 s25, 0x3fd24924
	;; [unrolled: 3-line block ×3, first 2 shown]
	v_fma_f64 v[67:68], v[60:61], v[67:68], s[24:25]
	v_cmp_nge_f64_e64 s[24:25], -1.0, v[23:24]
	v_fma_f64 v[60:61], v[60:61], v[67:68], s[26:27]
	v_ldexp_f64 v[67:68], v[58:59], 1
	v_add_f64 v[58:59], v[58:59], -v[62:63]
	s_mov_b32 s26, 0
	s_mov_b32 s27, 0x7ff00000
	v_cmp_neq_f64_e64 s[26:27], s[26:27], v[23:24]
	v_mul_f64 v[60:61], v[69:70], v[60:61]
	v_cvt_f64_i32_e32 v[69:70], v81
	v_add_f64 v[55:56], v[55:56], -v[58:59]
	v_mul_f64 v[71:72], v[69:70], s[36:37]
	s_and_b64 s[24:25], s[24:25], s[26:27]
	v_add_f64 v[62:63], v[67:68], v[60:61]
	v_ldexp_f64 v[55:56], v[55:56], 1
	v_add_f64 v[58:59], v[62:63], -v[67:68]
	v_fma_f64 v[67:68], v[69:70], s[36:37], -v[71:72]
	v_add_f64 v[58:59], v[60:61], -v[58:59]
	v_fma_f64 v[60:61], v[69:70], s[44:45], v[67:68]
	v_add_f64 v[55:56], v[55:56], v[58:59]
	v_add_f64 v[58:59], v[71:72], v[60:61]
	;; [unrolled: 1-line block ×3, first 2 shown]
	v_add_f64 v[71:72], v[58:59], -v[71:72]
	v_add_f64 v[69:70], v[58:59], v[67:68]
	v_add_f64 v[62:63], v[67:68], -v[62:63]
	v_add_f64 v[60:61], v[60:61], -v[71:72]
	;; [unrolled: 1-line block ×6, first 2 shown]
	v_add_f64 v[67:68], v[60:61], v[55:56]
	v_add_f64 v[58:59], v[58:59], -v[75:76]
	v_add_f64 v[58:59], v[62:63], v[58:59]
	v_add_f64 v[62:63], v[67:68], -v[60:61]
	v_add_f64 v[58:59], v[67:68], v[58:59]
	v_add_f64 v[67:68], v[67:68], -v[62:63]
	v_add_f64 v[55:56], v[55:56], -v[62:63]
	v_add_f64 v[71:72], v[69:70], v[58:59]
	v_add_f64 v[60:61], v[60:61], -v[67:68]
	v_add_f64 v[62:63], v[71:72], -v[69:70]
	v_add_f64 v[55:56], v[55:56], v[60:61]
	v_add_f64 v[58:59], v[58:59], -v[62:63]
	v_add_f64 v[55:56], v[55:56], v[58:59]
	v_mov_b32_e32 v58, 0x7ff80000
	v_mov_b32_e32 v59, 0xfff00000
	v_add_f64 v[55:56], v[71:72], v[55:56]
	v_cndmask_b32_e64 v55, 0, v55, s[24:25]
	v_cmp_ngt_f64_e64 s[24:25], -1.0, v[23:24]
	v_cndmask_b32_e64 v56, v64, v56, s[26:27]
	v_cndmask_b32_e64 v56, v58, v56, s[24:25]
	v_cmp_neq_f64_e64 s[24:25], -1.0, v[23:24]
	v_cndmask_b32_e64 v56, v59, v56, s[24:25]
	v_add_f64 v[23:24], v[53:54], v[55:56]
.LBB5_199:
	s_or_b64 exec, exec, s[30:31]
	v_mbcnt_lo_u32_b32 v53, -1, 0
	v_mbcnt_hi_u32_b32 v58, -1, v53
	v_and_b32_e32 v59, 15, v58
	v_mov_b32_dpp v53, v23 row_shr:1 row_mask:0xf bank_mask:0xf
	v_mov_b32_dpp v54, v24 row_shr:1 row_mask:0xf bank_mask:0xf
	v_cmp_ne_u32_e64 s[24:25], 0, v59
	v_mov_b32_e32 v55, v23
	v_mov_b32_e32 v56, v24
	s_and_saveexec_b64 s[26:27], s[24:25]
	s_xor_b64 s[30:31], exec, s[26:27]
	s_cbranch_execz .LBB5_203
; %bb.200:
	v_max_f64 v[55:56], v[53:54], v[53:54]
	v_max_f64 v[60:61], v[23:24], v[23:24]
	v_cmp_u_f64_e64 s[24:25], v[53:54], v[53:54]
	v_cmp_u_f64_e64 s[26:27], v[23:24], v[23:24]
	s_movk_i32 s36, 0x1f8
	v_min_f64 v[62:63], v[55:56], v[60:61]
	v_max_f64 v[55:56], v[55:56], v[60:61]
	v_cndmask_b32_e64 v60, v63, v54, s[24:25]
	v_cndmask_b32_e64 v61, v62, v53, s[24:25]
	;; [unrolled: 1-line block ×8, first 2 shown]
	v_cmp_neq_f64_e64 s[24:25], v[55:56], v[23:24]
	v_cmp_class_f64_e64 s[26:27], v[55:56], s36
	s_or_b64 s[24:25], s[24:25], s[26:27]
	s_and_saveexec_b64 s[44:45], s[24:25]
	s_cbranch_execz .LBB5_202
; %bb.201:
	v_add_f64 v[53:54], v[55:56], -v[23:24]
	s_mov_b32 s24, 0x652b82fe
	s_mov_b32 s25, 0x3ff71547
	;; [unrolled: 1-line block ×6, first 2 shown]
	v_mov_b32_e32 v62, 0xfca7ab0c
	v_mul_f64 v[55:56], v[53:54], s[24:25]
	s_mov_b32 s24, 0x6a5dcb37
	v_mov_b32_e32 v63, 0x3e928af3
	s_mov_b32 s25, 0x3e5ade15
	s_mov_b32 s26, 0
	;; [unrolled: 1-line block ×3, first 2 shown]
	v_cmp_ngt_f64_e64 s[26:27], s[26:27], v[53:54]
	v_mov_b32_e32 v64, 0x7ff00000
	v_rndne_f64_e32 v[55:56], v[55:56]
	v_fma_f64 v[60:61], v[55:56], s[36:37], v[53:54]
	s_mov_b32 s37, 0x3fe62e42
	v_fma_f64 v[60:61], v[55:56], s[48:49], v[60:61]
	v_cvt_i32_f64_e32 v55, v[55:56]
	s_mov_b32 s49, 0x3c7abc9e
	v_fma_f64 v[62:63], v[60:61], s[24:25], v[62:63]
	s_mov_b32 s24, 0x623fde64
	s_mov_b32 s25, 0x3ec71dee
	v_fma_f64 v[62:63], v[60:61], v[62:63], s[24:25]
	s_mov_b32 s24, 0x7c89e6b0
	;; [unrolled: 3-line block ×9, first 2 shown]
	s_mov_b32 s25, 0x40900000
	v_cmp_nlt_f64_e64 s[24:25], s[24:25], v[53:54]
	v_fma_f64 v[62:63], v[60:61], v[62:63], 1.0
	v_fma_f64 v[60:61], v[60:61], v[62:63], 1.0
	v_ldexp_f64 v[55:56], v[60:61], v55
	v_cndmask_b32_e64 v56, v64, v56, s[24:25]
	s_and_b64 s[24:25], s[26:27], s[24:25]
	v_cndmask_b32_e64 v53, 0, v55, s[24:25]
	v_cndmask_b32_e64 v54, 0, v56, s[26:27]
	v_add_f64 v[55:56], v[53:54], 1.0
	s_mov_b32 s27, 0x3fe55555
	s_mov_b32 s26, 0x55555555
	v_add_f64 v[60:61], v[55:56], -1.0
	v_frexp_exp_i32_f64_e32 v67, v[55:56]
	v_add_f64 v[62:63], v[60:61], -v[55:56]
	v_add_f64 v[60:61], v[53:54], -v[60:61]
	v_add_f64 v[62:63], v[62:63], 1.0
	v_add_f64 v[60:61], v[60:61], v[62:63]
	v_frexp_mant_f64_e32 v[62:63], v[55:56]
	v_cmp_gt_f64_e64 s[24:25], s[26:27], v[62:63]
	s_mov_b32 s26, 0x55555780
	v_subbrev_co_u32_e64 v81, s[24:25], 0, v67, s[24:25]
	v_sub_u32_e32 v62, 0, v81
	v_ldexp_f64 v[55:56], v[55:56], v62
	v_ldexp_f64 v[60:61], v[60:61], v62
	s_mov_b32 s24, 0xbf559e2b
	s_mov_b32 s25, 0x3fc3ab76
	v_add_f64 v[62:63], v[55:56], -1.0
	v_add_f64 v[67:68], v[62:63], 1.0
	v_add_f64 v[67:68], v[55:56], -v[67:68]
	v_add_f64 v[67:68], v[60:61], v[67:68]
	v_add_f64 v[69:70], v[62:63], v[67:68]
	v_add_f64 v[62:63], v[69:70], -v[62:63]
	v_add_f64 v[62:63], v[67:68], -v[62:63]
	v_add_f64 v[67:68], v[55:56], 1.0
	v_add_f64 v[71:72], v[67:68], -1.0
	v_add_f64 v[55:56], v[55:56], -v[71:72]
	v_add_f64 v[55:56], v[60:61], v[55:56]
	v_add_f64 v[60:61], v[67:68], v[55:56]
	v_add_f64 v[67:68], v[60:61], -v[67:68]
	v_add_f64 v[55:56], v[55:56], -v[67:68]
	v_rcp_f64_e32 v[67:68], v[60:61]
	v_fma_f64 v[71:72], -v[60:61], v[67:68], 1.0
	v_fma_f64 v[67:68], v[71:72], v[67:68], v[67:68]
	v_fma_f64 v[71:72], -v[60:61], v[67:68], 1.0
	v_fma_f64 v[67:68], v[71:72], v[67:68], v[67:68]
	v_mul_f64 v[71:72], v[69:70], v[67:68]
	v_mul_f64 v[73:74], v[60:61], v[71:72]
	v_fma_f64 v[75:76], v[71:72], v[60:61], -v[73:74]
	v_fma_f64 v[75:76], v[71:72], v[55:56], v[75:76]
	v_add_f64 v[77:78], v[73:74], v[75:76]
	v_add_f64 v[79:80], v[69:70], -v[77:78]
	v_add_f64 v[73:74], v[77:78], -v[73:74]
	;; [unrolled: 1-line block ×4, first 2 shown]
	v_add_f64 v[62:63], v[62:63], v[69:70]
	v_add_f64 v[69:70], v[73:74], -v[75:76]
	v_add_f64 v[62:63], v[69:70], v[62:63]
	v_add_f64 v[69:70], v[79:80], v[62:63]
	v_add_f64 v[73:74], v[79:80], -v[69:70]
	v_add_f64 v[62:63], v[62:63], v[73:74]
	v_mul_f64 v[73:74], v[67:68], v[69:70]
	v_mul_f64 v[75:76], v[60:61], v[73:74]
	v_fma_f64 v[60:61], v[73:74], v[60:61], -v[75:76]
	v_fma_f64 v[55:56], v[73:74], v[55:56], v[60:61]
	v_add_f64 v[60:61], v[75:76], v[55:56]
	v_add_f64 v[77:78], v[69:70], -v[60:61]
	v_add_f64 v[75:76], v[60:61], -v[75:76]
	;; [unrolled: 1-line block ×5, first 2 shown]
	v_cvt_f64_i32_e32 v[69:70], v81
	v_add_f64 v[60:61], v[62:63], v[60:61]
	v_add_f64 v[55:56], v[55:56], v[60:61]
	;; [unrolled: 1-line block ×4, first 2 shown]
	v_add_f64 v[62:63], v[60:61], -v[71:72]
	v_mul_f64 v[71:72], v[69:70], s[36:37]
	v_mul_f64 v[55:56], v[67:68], v[55:56]
	v_add_f64 v[62:63], v[73:74], -v[62:63]
	v_mov_b32_e32 v67, 0x6b47b09a
	v_mov_b32_e32 v68, 0x3fc38538
	v_fma_f64 v[73:74], v[69:70], s[36:37], -v[71:72]
	v_add_f64 v[55:56], v[62:63], v[55:56]
	v_fma_f64 v[69:70], v[69:70], s[48:49], v[73:74]
	v_add_f64 v[62:63], v[60:61], v[55:56]
	v_add_f64 v[73:74], v[71:72], v[69:70]
	v_add_f64 v[60:61], v[62:63], -v[60:61]
	v_add_f64 v[71:72], v[73:74], -v[71:72]
	;; [unrolled: 1-line block ×3, first 2 shown]
	v_mul_f64 v[60:61], v[62:63], v[62:63]
	v_add_f64 v[69:70], v[69:70], -v[71:72]
	v_ldexp_f64 v[71:72], v[62:63], 1
	v_ldexp_f64 v[55:56], v[55:56], 1
	v_fma_f64 v[67:68], v[60:61], s[24:25], v[67:68]
	s_mov_b32 s24, 0xd7f4df2e
	s_mov_b32 s25, 0x3fc7474d
	v_fma_f64 v[67:68], v[60:61], v[67:68], s[24:25]
	s_mov_b32 s24, 0x16291751
	s_mov_b32 s25, 0x3fcc71c0
	;; [unrolled: 3-line block ×5, first 2 shown]
	v_cmp_neq_f64_e64 s[24:25], s[24:25], v[53:54]
	v_fma_f64 v[67:68], v[60:61], v[67:68], s[26:27]
	v_mul_f64 v[60:61], v[62:63], v[60:61]
	v_cmp_ngt_f64_e64 s[26:27], -1.0, v[53:54]
	v_mul_f64 v[60:61], v[60:61], v[67:68]
	v_add_f64 v[62:63], v[71:72], v[60:61]
	v_add_f64 v[67:68], v[62:63], -v[71:72]
	v_add_f64 v[60:61], v[60:61], -v[67:68]
	v_add_f64 v[55:56], v[55:56], v[60:61]
	v_add_f64 v[60:61], v[62:63], v[55:56]
	v_add_f64 v[62:63], v[60:61], -v[62:63]
	v_add_f64 v[55:56], v[55:56], -v[62:63]
	v_add_f64 v[62:63], v[73:74], v[60:61]
	v_add_f64 v[67:68], v[62:63], -v[73:74]
	v_add_f64 v[71:72], v[62:63], -v[67:68]
	;; [unrolled: 1-line block ×3, first 2 shown]
	v_add_f64 v[67:68], v[69:70], v[55:56]
	v_add_f64 v[71:72], v[73:74], -v[71:72]
	v_add_f64 v[60:61], v[60:61], v[71:72]
	v_add_f64 v[71:72], v[67:68], -v[69:70]
	;; [unrolled: 2-line block ×3, first 2 shown]
	v_add_f64 v[55:56], v[55:56], -v[71:72]
	v_add_f64 v[67:68], v[62:63], v[60:61]
	v_add_f64 v[69:70], v[69:70], -v[73:74]
	v_add_f64 v[62:63], v[67:68], -v[62:63]
	v_add_f64 v[55:56], v[55:56], v[69:70]
	v_add_f64 v[60:61], v[60:61], -v[62:63]
	v_add_f64 v[55:56], v[55:56], v[60:61]
	v_mov_b32_e32 v60, 0x7ff80000
	v_add_f64 v[55:56], v[67:68], v[55:56]
	v_cndmask_b32_e64 v56, v64, v56, s[24:25]
	v_cndmask_b32_e64 v56, v60, v56, s[26:27]
	v_cmp_nge_f64_e64 s[26:27], -1.0, v[53:54]
	s_and_b64 s[24:25], s[26:27], s[24:25]
	v_cndmask_b32_e64 v55, 0, v55, s[24:25]
	v_cmp_neq_f64_e64 s[24:25], -1.0, v[53:54]
	v_mov_b32_e32 v53, 0xfff00000
	v_cndmask_b32_e64 v56, v53, v56, s[24:25]
	v_add_f64 v[53:54], v[23:24], v[55:56]
.LBB5_202:
	s_or_b64 exec, exec, s[44:45]
	v_mov_b32_e32 v23, v53
	v_mov_b32_e32 v55, v53
	;; [unrolled: 1-line block ×4, first 2 shown]
.LBB5_203:
	s_or_b64 exec, exec, s[30:31]
	v_mov_b32_dpp v53, v55 row_shr:2 row_mask:0xf bank_mask:0xf
	v_mov_b32_dpp v54, v56 row_shr:2 row_mask:0xf bank_mask:0xf
	v_cmp_lt_u32_e64 s[24:25], 1, v59
	s_and_saveexec_b64 s[30:31], s[24:25]
	s_cbranch_execz .LBB5_207
; %bb.204:
	v_max_f64 v[55:56], v[53:54], v[53:54]
	v_max_f64 v[60:61], v[23:24], v[23:24]
	v_cmp_u_f64_e64 s[24:25], v[53:54], v[53:54]
	v_cmp_u_f64_e64 s[26:27], v[23:24], v[23:24]
	s_movk_i32 s36, 0x1f8
	v_min_f64 v[62:63], v[55:56], v[60:61]
	v_max_f64 v[55:56], v[55:56], v[60:61]
	v_cndmask_b32_e64 v60, v63, v54, s[24:25]
	v_cndmask_b32_e64 v61, v62, v53, s[24:25]
	;; [unrolled: 1-line block ×8, first 2 shown]
	v_cmp_neq_f64_e64 s[24:25], v[55:56], v[23:24]
	v_cmp_class_f64_e64 s[26:27], v[55:56], s36
	s_or_b64 s[24:25], s[24:25], s[26:27]
	s_and_saveexec_b64 s[44:45], s[24:25]
	s_cbranch_execz .LBB5_206
; %bb.205:
	v_add_f64 v[53:54], v[55:56], -v[23:24]
	s_mov_b32 s24, 0x652b82fe
	s_mov_b32 s25, 0x3ff71547
	;; [unrolled: 1-line block ×6, first 2 shown]
	v_mov_b32_e32 v62, 0xfca7ab0c
	v_mul_f64 v[55:56], v[53:54], s[24:25]
	s_mov_b32 s24, 0x6a5dcb37
	v_mov_b32_e32 v63, 0x3e928af3
	s_mov_b32 s25, 0x3e5ade15
	s_mov_b32 s26, 0
	;; [unrolled: 1-line block ×3, first 2 shown]
	v_cmp_ngt_f64_e64 s[26:27], s[26:27], v[53:54]
	v_mov_b32_e32 v64, 0x7ff00000
	v_rndne_f64_e32 v[55:56], v[55:56]
	v_fma_f64 v[60:61], v[55:56], s[36:37], v[53:54]
	s_mov_b32 s37, 0x3fe62e42
	v_fma_f64 v[60:61], v[55:56], s[48:49], v[60:61]
	v_cvt_i32_f64_e32 v55, v[55:56]
	s_mov_b32 s49, 0x3c7abc9e
	v_fma_f64 v[62:63], v[60:61], s[24:25], v[62:63]
	s_mov_b32 s24, 0x623fde64
	s_mov_b32 s25, 0x3ec71dee
	v_fma_f64 v[62:63], v[60:61], v[62:63], s[24:25]
	s_mov_b32 s24, 0x7c89e6b0
	;; [unrolled: 3-line block ×9, first 2 shown]
	s_mov_b32 s25, 0x40900000
	v_cmp_nlt_f64_e64 s[24:25], s[24:25], v[53:54]
	v_fma_f64 v[62:63], v[60:61], v[62:63], 1.0
	v_fma_f64 v[60:61], v[60:61], v[62:63], 1.0
	v_ldexp_f64 v[55:56], v[60:61], v55
	v_cndmask_b32_e64 v56, v64, v56, s[24:25]
	s_and_b64 s[24:25], s[26:27], s[24:25]
	v_cndmask_b32_e64 v53, 0, v55, s[24:25]
	v_cndmask_b32_e64 v54, 0, v56, s[26:27]
	v_add_f64 v[55:56], v[53:54], 1.0
	s_mov_b32 s27, 0x3fe55555
	s_mov_b32 s26, 0x55555555
	v_add_f64 v[60:61], v[55:56], -1.0
	v_frexp_exp_i32_f64_e32 v67, v[55:56]
	v_add_f64 v[62:63], v[60:61], -v[55:56]
	v_add_f64 v[60:61], v[53:54], -v[60:61]
	v_add_f64 v[62:63], v[62:63], 1.0
	v_add_f64 v[60:61], v[60:61], v[62:63]
	v_frexp_mant_f64_e32 v[62:63], v[55:56]
	v_cmp_gt_f64_e64 s[24:25], s[26:27], v[62:63]
	s_mov_b32 s26, 0x55555780
	v_subbrev_co_u32_e64 v81, s[24:25], 0, v67, s[24:25]
	v_sub_u32_e32 v62, 0, v81
	v_ldexp_f64 v[55:56], v[55:56], v62
	v_ldexp_f64 v[60:61], v[60:61], v62
	s_mov_b32 s24, 0xbf559e2b
	s_mov_b32 s25, 0x3fc3ab76
	v_add_f64 v[62:63], v[55:56], -1.0
	v_add_f64 v[67:68], v[62:63], 1.0
	v_add_f64 v[67:68], v[55:56], -v[67:68]
	v_add_f64 v[67:68], v[60:61], v[67:68]
	v_add_f64 v[69:70], v[62:63], v[67:68]
	v_add_f64 v[62:63], v[69:70], -v[62:63]
	v_add_f64 v[62:63], v[67:68], -v[62:63]
	v_add_f64 v[67:68], v[55:56], 1.0
	v_add_f64 v[71:72], v[67:68], -1.0
	v_add_f64 v[55:56], v[55:56], -v[71:72]
	v_add_f64 v[55:56], v[60:61], v[55:56]
	v_add_f64 v[60:61], v[67:68], v[55:56]
	v_add_f64 v[67:68], v[60:61], -v[67:68]
	v_add_f64 v[55:56], v[55:56], -v[67:68]
	v_rcp_f64_e32 v[67:68], v[60:61]
	v_fma_f64 v[71:72], -v[60:61], v[67:68], 1.0
	v_fma_f64 v[67:68], v[71:72], v[67:68], v[67:68]
	v_fma_f64 v[71:72], -v[60:61], v[67:68], 1.0
	v_fma_f64 v[67:68], v[71:72], v[67:68], v[67:68]
	v_mul_f64 v[71:72], v[69:70], v[67:68]
	v_mul_f64 v[73:74], v[60:61], v[71:72]
	v_fma_f64 v[75:76], v[71:72], v[60:61], -v[73:74]
	v_fma_f64 v[75:76], v[71:72], v[55:56], v[75:76]
	v_add_f64 v[77:78], v[73:74], v[75:76]
	v_add_f64 v[79:80], v[69:70], -v[77:78]
	v_add_f64 v[73:74], v[77:78], -v[73:74]
	;; [unrolled: 1-line block ×4, first 2 shown]
	v_add_f64 v[62:63], v[62:63], v[69:70]
	v_add_f64 v[69:70], v[73:74], -v[75:76]
	v_add_f64 v[62:63], v[69:70], v[62:63]
	v_add_f64 v[69:70], v[79:80], v[62:63]
	v_add_f64 v[73:74], v[79:80], -v[69:70]
	v_add_f64 v[62:63], v[62:63], v[73:74]
	v_mul_f64 v[73:74], v[67:68], v[69:70]
	v_mul_f64 v[75:76], v[60:61], v[73:74]
	v_fma_f64 v[60:61], v[73:74], v[60:61], -v[75:76]
	v_fma_f64 v[55:56], v[73:74], v[55:56], v[60:61]
	v_add_f64 v[60:61], v[75:76], v[55:56]
	v_add_f64 v[77:78], v[69:70], -v[60:61]
	v_add_f64 v[75:76], v[60:61], -v[75:76]
	;; [unrolled: 1-line block ×5, first 2 shown]
	v_cvt_f64_i32_e32 v[69:70], v81
	v_add_f64 v[60:61], v[62:63], v[60:61]
	v_add_f64 v[55:56], v[55:56], v[60:61]
	;; [unrolled: 1-line block ×4, first 2 shown]
	v_add_f64 v[62:63], v[60:61], -v[71:72]
	v_mul_f64 v[71:72], v[69:70], s[36:37]
	v_mul_f64 v[55:56], v[67:68], v[55:56]
	v_add_f64 v[62:63], v[73:74], -v[62:63]
	v_mov_b32_e32 v67, 0x6b47b09a
	v_mov_b32_e32 v68, 0x3fc38538
	v_fma_f64 v[73:74], v[69:70], s[36:37], -v[71:72]
	v_add_f64 v[55:56], v[62:63], v[55:56]
	v_fma_f64 v[69:70], v[69:70], s[48:49], v[73:74]
	v_add_f64 v[62:63], v[60:61], v[55:56]
	v_add_f64 v[73:74], v[71:72], v[69:70]
	v_add_f64 v[60:61], v[62:63], -v[60:61]
	v_add_f64 v[71:72], v[73:74], -v[71:72]
	;; [unrolled: 1-line block ×3, first 2 shown]
	v_mul_f64 v[60:61], v[62:63], v[62:63]
	v_add_f64 v[69:70], v[69:70], -v[71:72]
	v_ldexp_f64 v[71:72], v[62:63], 1
	v_ldexp_f64 v[55:56], v[55:56], 1
	v_fma_f64 v[67:68], v[60:61], s[24:25], v[67:68]
	s_mov_b32 s24, 0xd7f4df2e
	s_mov_b32 s25, 0x3fc7474d
	v_fma_f64 v[67:68], v[60:61], v[67:68], s[24:25]
	s_mov_b32 s24, 0x16291751
	s_mov_b32 s25, 0x3fcc71c0
	;; [unrolled: 3-line block ×5, first 2 shown]
	v_cmp_neq_f64_e64 s[24:25], s[24:25], v[53:54]
	v_fma_f64 v[67:68], v[60:61], v[67:68], s[26:27]
	v_mul_f64 v[60:61], v[62:63], v[60:61]
	v_cmp_ngt_f64_e64 s[26:27], -1.0, v[53:54]
	v_mul_f64 v[60:61], v[60:61], v[67:68]
	v_add_f64 v[62:63], v[71:72], v[60:61]
	v_add_f64 v[67:68], v[62:63], -v[71:72]
	v_add_f64 v[60:61], v[60:61], -v[67:68]
	v_add_f64 v[55:56], v[55:56], v[60:61]
	v_add_f64 v[60:61], v[62:63], v[55:56]
	v_add_f64 v[62:63], v[60:61], -v[62:63]
	v_add_f64 v[55:56], v[55:56], -v[62:63]
	v_add_f64 v[62:63], v[73:74], v[60:61]
	v_add_f64 v[67:68], v[62:63], -v[73:74]
	v_add_f64 v[71:72], v[62:63], -v[67:68]
	v_add_f64 v[60:61], v[60:61], -v[67:68]
	v_add_f64 v[67:68], v[69:70], v[55:56]
	v_add_f64 v[71:72], v[73:74], -v[71:72]
	v_add_f64 v[60:61], v[60:61], v[71:72]
	v_add_f64 v[71:72], v[67:68], -v[69:70]
	;; [unrolled: 2-line block ×3, first 2 shown]
	v_add_f64 v[55:56], v[55:56], -v[71:72]
	v_add_f64 v[67:68], v[62:63], v[60:61]
	v_add_f64 v[69:70], v[69:70], -v[73:74]
	v_add_f64 v[62:63], v[67:68], -v[62:63]
	v_add_f64 v[55:56], v[55:56], v[69:70]
	v_add_f64 v[60:61], v[60:61], -v[62:63]
	v_add_f64 v[55:56], v[55:56], v[60:61]
	v_mov_b32_e32 v60, 0x7ff80000
	v_add_f64 v[55:56], v[67:68], v[55:56]
	v_cndmask_b32_e64 v56, v64, v56, s[24:25]
	v_cndmask_b32_e64 v56, v60, v56, s[26:27]
	v_cmp_nge_f64_e64 s[26:27], -1.0, v[53:54]
	s_and_b64 s[24:25], s[26:27], s[24:25]
	v_cndmask_b32_e64 v55, 0, v55, s[24:25]
	v_cmp_neq_f64_e64 s[24:25], -1.0, v[53:54]
	v_mov_b32_e32 v53, 0xfff00000
	v_cndmask_b32_e64 v56, v53, v56, s[24:25]
	v_add_f64 v[53:54], v[23:24], v[55:56]
.LBB5_206:
	s_or_b64 exec, exec, s[44:45]
	v_mov_b32_e32 v23, v53
	v_mov_b32_e32 v24, v54
	;; [unrolled: 1-line block ×4, first 2 shown]
.LBB5_207:
	s_or_b64 exec, exec, s[30:31]
	v_mov_b32_dpp v53, v55 row_shr:4 row_mask:0xf bank_mask:0xf
	v_mov_b32_dpp v54, v56 row_shr:4 row_mask:0xf bank_mask:0xf
	v_cmp_lt_u32_e64 s[24:25], 3, v59
	s_and_saveexec_b64 s[30:31], s[24:25]
	s_cbranch_execz .LBB5_211
; %bb.208:
	v_max_f64 v[55:56], v[53:54], v[53:54]
	v_max_f64 v[60:61], v[23:24], v[23:24]
	v_cmp_u_f64_e64 s[24:25], v[53:54], v[53:54]
	v_cmp_u_f64_e64 s[26:27], v[23:24], v[23:24]
	s_movk_i32 s36, 0x1f8
	v_min_f64 v[62:63], v[55:56], v[60:61]
	v_max_f64 v[55:56], v[55:56], v[60:61]
	v_cndmask_b32_e64 v60, v63, v54, s[24:25]
	v_cndmask_b32_e64 v61, v62, v53, s[24:25]
	;; [unrolled: 1-line block ×8, first 2 shown]
	v_cmp_neq_f64_e64 s[24:25], v[55:56], v[23:24]
	v_cmp_class_f64_e64 s[26:27], v[55:56], s36
	s_or_b64 s[24:25], s[24:25], s[26:27]
	s_and_saveexec_b64 s[44:45], s[24:25]
	s_cbranch_execz .LBB5_210
; %bb.209:
	v_add_f64 v[53:54], v[55:56], -v[23:24]
	s_mov_b32 s24, 0x652b82fe
	s_mov_b32 s25, 0x3ff71547
	;; [unrolled: 1-line block ×6, first 2 shown]
	v_mov_b32_e32 v62, 0xfca7ab0c
	v_mul_f64 v[55:56], v[53:54], s[24:25]
	s_mov_b32 s24, 0x6a5dcb37
	v_mov_b32_e32 v63, 0x3e928af3
	s_mov_b32 s25, 0x3e5ade15
	s_mov_b32 s26, 0
	;; [unrolled: 1-line block ×3, first 2 shown]
	v_cmp_ngt_f64_e64 s[26:27], s[26:27], v[53:54]
	v_mov_b32_e32 v64, 0x7ff00000
	v_rndne_f64_e32 v[55:56], v[55:56]
	v_fma_f64 v[60:61], v[55:56], s[36:37], v[53:54]
	s_mov_b32 s37, 0x3fe62e42
	v_fma_f64 v[60:61], v[55:56], s[48:49], v[60:61]
	v_cvt_i32_f64_e32 v55, v[55:56]
	s_mov_b32 s49, 0x3c7abc9e
	v_fma_f64 v[62:63], v[60:61], s[24:25], v[62:63]
	s_mov_b32 s24, 0x623fde64
	s_mov_b32 s25, 0x3ec71dee
	v_fma_f64 v[62:63], v[60:61], v[62:63], s[24:25]
	s_mov_b32 s24, 0x7c89e6b0
	;; [unrolled: 3-line block ×9, first 2 shown]
	s_mov_b32 s25, 0x40900000
	v_cmp_nlt_f64_e64 s[24:25], s[24:25], v[53:54]
	v_fma_f64 v[62:63], v[60:61], v[62:63], 1.0
	v_fma_f64 v[60:61], v[60:61], v[62:63], 1.0
	v_ldexp_f64 v[55:56], v[60:61], v55
	v_cndmask_b32_e64 v56, v64, v56, s[24:25]
	s_and_b64 s[24:25], s[26:27], s[24:25]
	v_cndmask_b32_e64 v53, 0, v55, s[24:25]
	v_cndmask_b32_e64 v54, 0, v56, s[26:27]
	v_add_f64 v[55:56], v[53:54], 1.0
	s_mov_b32 s27, 0x3fe55555
	s_mov_b32 s26, 0x55555555
	v_add_f64 v[60:61], v[55:56], -1.0
	v_frexp_exp_i32_f64_e32 v67, v[55:56]
	v_add_f64 v[62:63], v[60:61], -v[55:56]
	v_add_f64 v[60:61], v[53:54], -v[60:61]
	v_add_f64 v[62:63], v[62:63], 1.0
	v_add_f64 v[60:61], v[60:61], v[62:63]
	v_frexp_mant_f64_e32 v[62:63], v[55:56]
	v_cmp_gt_f64_e64 s[24:25], s[26:27], v[62:63]
	s_mov_b32 s26, 0x55555780
	v_subbrev_co_u32_e64 v81, s[24:25], 0, v67, s[24:25]
	v_sub_u32_e32 v62, 0, v81
	v_ldexp_f64 v[55:56], v[55:56], v62
	v_ldexp_f64 v[60:61], v[60:61], v62
	s_mov_b32 s24, 0xbf559e2b
	s_mov_b32 s25, 0x3fc3ab76
	v_add_f64 v[62:63], v[55:56], -1.0
	v_add_f64 v[67:68], v[62:63], 1.0
	v_add_f64 v[67:68], v[55:56], -v[67:68]
	v_add_f64 v[67:68], v[60:61], v[67:68]
	v_add_f64 v[69:70], v[62:63], v[67:68]
	v_add_f64 v[62:63], v[69:70], -v[62:63]
	v_add_f64 v[62:63], v[67:68], -v[62:63]
	v_add_f64 v[67:68], v[55:56], 1.0
	v_add_f64 v[71:72], v[67:68], -1.0
	v_add_f64 v[55:56], v[55:56], -v[71:72]
	v_add_f64 v[55:56], v[60:61], v[55:56]
	v_add_f64 v[60:61], v[67:68], v[55:56]
	v_add_f64 v[67:68], v[60:61], -v[67:68]
	v_add_f64 v[55:56], v[55:56], -v[67:68]
	v_rcp_f64_e32 v[67:68], v[60:61]
	v_fma_f64 v[71:72], -v[60:61], v[67:68], 1.0
	v_fma_f64 v[67:68], v[71:72], v[67:68], v[67:68]
	v_fma_f64 v[71:72], -v[60:61], v[67:68], 1.0
	v_fma_f64 v[67:68], v[71:72], v[67:68], v[67:68]
	v_mul_f64 v[71:72], v[69:70], v[67:68]
	v_mul_f64 v[73:74], v[60:61], v[71:72]
	v_fma_f64 v[75:76], v[71:72], v[60:61], -v[73:74]
	v_fma_f64 v[75:76], v[71:72], v[55:56], v[75:76]
	v_add_f64 v[77:78], v[73:74], v[75:76]
	v_add_f64 v[79:80], v[69:70], -v[77:78]
	v_add_f64 v[73:74], v[77:78], -v[73:74]
	;; [unrolled: 1-line block ×4, first 2 shown]
	v_add_f64 v[62:63], v[62:63], v[69:70]
	v_add_f64 v[69:70], v[73:74], -v[75:76]
	v_add_f64 v[62:63], v[69:70], v[62:63]
	v_add_f64 v[69:70], v[79:80], v[62:63]
	v_add_f64 v[73:74], v[79:80], -v[69:70]
	v_add_f64 v[62:63], v[62:63], v[73:74]
	v_mul_f64 v[73:74], v[67:68], v[69:70]
	v_mul_f64 v[75:76], v[60:61], v[73:74]
	v_fma_f64 v[60:61], v[73:74], v[60:61], -v[75:76]
	v_fma_f64 v[55:56], v[73:74], v[55:56], v[60:61]
	v_add_f64 v[60:61], v[75:76], v[55:56]
	v_add_f64 v[77:78], v[69:70], -v[60:61]
	v_add_f64 v[75:76], v[60:61], -v[75:76]
	;; [unrolled: 1-line block ×5, first 2 shown]
	v_cvt_f64_i32_e32 v[69:70], v81
	v_add_f64 v[60:61], v[62:63], v[60:61]
	v_add_f64 v[55:56], v[55:56], v[60:61]
	;; [unrolled: 1-line block ×4, first 2 shown]
	v_add_f64 v[62:63], v[60:61], -v[71:72]
	v_mul_f64 v[71:72], v[69:70], s[36:37]
	v_mul_f64 v[55:56], v[67:68], v[55:56]
	v_add_f64 v[62:63], v[73:74], -v[62:63]
	v_mov_b32_e32 v67, 0x6b47b09a
	v_mov_b32_e32 v68, 0x3fc38538
	v_fma_f64 v[73:74], v[69:70], s[36:37], -v[71:72]
	v_add_f64 v[55:56], v[62:63], v[55:56]
	v_fma_f64 v[69:70], v[69:70], s[48:49], v[73:74]
	v_add_f64 v[62:63], v[60:61], v[55:56]
	v_add_f64 v[73:74], v[71:72], v[69:70]
	v_add_f64 v[60:61], v[62:63], -v[60:61]
	v_add_f64 v[71:72], v[73:74], -v[71:72]
	;; [unrolled: 1-line block ×3, first 2 shown]
	v_mul_f64 v[60:61], v[62:63], v[62:63]
	v_add_f64 v[69:70], v[69:70], -v[71:72]
	v_ldexp_f64 v[71:72], v[62:63], 1
	v_ldexp_f64 v[55:56], v[55:56], 1
	v_fma_f64 v[67:68], v[60:61], s[24:25], v[67:68]
	s_mov_b32 s24, 0xd7f4df2e
	s_mov_b32 s25, 0x3fc7474d
	v_fma_f64 v[67:68], v[60:61], v[67:68], s[24:25]
	s_mov_b32 s24, 0x16291751
	s_mov_b32 s25, 0x3fcc71c0
	;; [unrolled: 3-line block ×5, first 2 shown]
	v_cmp_neq_f64_e64 s[24:25], s[24:25], v[53:54]
	v_fma_f64 v[67:68], v[60:61], v[67:68], s[26:27]
	v_mul_f64 v[60:61], v[62:63], v[60:61]
	v_cmp_ngt_f64_e64 s[26:27], -1.0, v[53:54]
	v_mul_f64 v[60:61], v[60:61], v[67:68]
	v_add_f64 v[62:63], v[71:72], v[60:61]
	v_add_f64 v[67:68], v[62:63], -v[71:72]
	v_add_f64 v[60:61], v[60:61], -v[67:68]
	v_add_f64 v[55:56], v[55:56], v[60:61]
	v_add_f64 v[60:61], v[62:63], v[55:56]
	v_add_f64 v[62:63], v[60:61], -v[62:63]
	v_add_f64 v[55:56], v[55:56], -v[62:63]
	v_add_f64 v[62:63], v[73:74], v[60:61]
	v_add_f64 v[67:68], v[62:63], -v[73:74]
	v_add_f64 v[71:72], v[62:63], -v[67:68]
	;; [unrolled: 1-line block ×3, first 2 shown]
	v_add_f64 v[67:68], v[69:70], v[55:56]
	v_add_f64 v[71:72], v[73:74], -v[71:72]
	v_add_f64 v[60:61], v[60:61], v[71:72]
	v_add_f64 v[71:72], v[67:68], -v[69:70]
	;; [unrolled: 2-line block ×3, first 2 shown]
	v_add_f64 v[55:56], v[55:56], -v[71:72]
	v_add_f64 v[67:68], v[62:63], v[60:61]
	v_add_f64 v[69:70], v[69:70], -v[73:74]
	v_add_f64 v[62:63], v[67:68], -v[62:63]
	v_add_f64 v[55:56], v[55:56], v[69:70]
	v_add_f64 v[60:61], v[60:61], -v[62:63]
	v_add_f64 v[55:56], v[55:56], v[60:61]
	v_mov_b32_e32 v60, 0x7ff80000
	v_add_f64 v[55:56], v[67:68], v[55:56]
	v_cndmask_b32_e64 v56, v64, v56, s[24:25]
	v_cndmask_b32_e64 v56, v60, v56, s[26:27]
	v_cmp_nge_f64_e64 s[26:27], -1.0, v[53:54]
	s_and_b64 s[24:25], s[26:27], s[24:25]
	v_cndmask_b32_e64 v55, 0, v55, s[24:25]
	v_cmp_neq_f64_e64 s[24:25], -1.0, v[53:54]
	v_mov_b32_e32 v53, 0xfff00000
	v_cndmask_b32_e64 v56, v53, v56, s[24:25]
	v_add_f64 v[53:54], v[23:24], v[55:56]
.LBB5_210:
	s_or_b64 exec, exec, s[44:45]
	v_mov_b32_e32 v23, v53
	v_mov_b32_e32 v24, v54
	v_mov_b32_e32 v55, v53
	v_mov_b32_e32 v56, v54
.LBB5_211:
	s_or_b64 exec, exec, s[30:31]
	v_mov_b32_dpp v53, v55 row_shr:8 row_mask:0xf bank_mask:0xf
	v_mov_b32_dpp v54, v56 row_shr:8 row_mask:0xf bank_mask:0xf
	v_cmp_lt_u32_e64 s[24:25], 7, v59
	s_and_saveexec_b64 s[30:31], s[24:25]
	s_cbranch_execz .LBB5_215
; %bb.212:
	v_max_f64 v[55:56], v[53:54], v[53:54]
	v_max_f64 v[59:60], v[23:24], v[23:24]
	v_cmp_u_f64_e64 s[24:25], v[53:54], v[53:54]
	v_cmp_u_f64_e64 s[26:27], v[23:24], v[23:24]
	s_movk_i32 s36, 0x1f8
	v_min_f64 v[61:62], v[55:56], v[59:60]
	v_max_f64 v[55:56], v[55:56], v[59:60]
	v_cndmask_b32_e64 v59, v62, v54, s[24:25]
	v_cndmask_b32_e64 v60, v61, v53, s[24:25]
	;; [unrolled: 1-line block ×8, first 2 shown]
	v_cmp_neq_f64_e64 s[24:25], v[55:56], v[23:24]
	v_cmp_class_f64_e64 s[26:27], v[55:56], s36
	s_or_b64 s[24:25], s[24:25], s[26:27]
	s_and_saveexec_b64 s[44:45], s[24:25]
	s_cbranch_execz .LBB5_214
; %bb.213:
	v_add_f64 v[53:54], v[55:56], -v[23:24]
	s_mov_b32 s24, 0x652b82fe
	s_mov_b32 s25, 0x3ff71547
	s_mov_b32 s37, 0xbfe62e42
	s_mov_b32 s36, 0xfefa39ef
	s_mov_b32 s49, 0xbc7abc9e
	s_mov_b32 s48, 0x3b39803f
	v_mov_b32_e32 v61, 0xfca7ab0c
	v_mul_f64 v[55:56], v[53:54], s[24:25]
	s_mov_b32 s24, 0x6a5dcb37
	v_mov_b32_e32 v62, 0x3e928af3
	s_mov_b32 s25, 0x3e5ade15
	s_mov_b32 s26, 0
	;; [unrolled: 1-line block ×3, first 2 shown]
	v_cmp_ngt_f64_e64 s[26:27], s[26:27], v[53:54]
	v_mov_b32_e32 v79, 0x7ff00000
	v_rndne_f64_e32 v[55:56], v[55:56]
	v_fma_f64 v[59:60], v[55:56], s[36:37], v[53:54]
	s_mov_b32 s37, 0x3fe62e42
	v_fma_f64 v[59:60], v[55:56], s[48:49], v[59:60]
	v_cvt_i32_f64_e32 v55, v[55:56]
	s_mov_b32 s49, 0x3c7abc9e
	v_fma_f64 v[61:62], v[59:60], s[24:25], v[61:62]
	s_mov_b32 s24, 0x623fde64
	s_mov_b32 s25, 0x3ec71dee
	v_fma_f64 v[61:62], v[59:60], v[61:62], s[24:25]
	s_mov_b32 s24, 0x7c89e6b0
	;; [unrolled: 3-line block ×9, first 2 shown]
	s_mov_b32 s25, 0x40900000
	v_cmp_nlt_f64_e64 s[24:25], s[24:25], v[53:54]
	v_fma_f64 v[61:62], v[59:60], v[61:62], 1.0
	v_fma_f64 v[59:60], v[59:60], v[61:62], 1.0
	v_ldexp_f64 v[55:56], v[59:60], v55
	v_cndmask_b32_e64 v56, v79, v56, s[24:25]
	s_and_b64 s[24:25], s[26:27], s[24:25]
	v_cndmask_b32_e64 v53, 0, v55, s[24:25]
	v_cndmask_b32_e64 v54, 0, v56, s[26:27]
	v_add_f64 v[55:56], v[53:54], 1.0
	s_mov_b32 s27, 0x3fe55555
	s_mov_b32 s26, 0x55555555
	v_add_f64 v[59:60], v[55:56], -1.0
	v_frexp_exp_i32_f64_e32 v63, v[55:56]
	v_add_f64 v[61:62], v[59:60], -v[55:56]
	v_add_f64 v[59:60], v[53:54], -v[59:60]
	v_add_f64 v[61:62], v[61:62], 1.0
	v_add_f64 v[59:60], v[59:60], v[61:62]
	v_frexp_mant_f64_e32 v[61:62], v[55:56]
	v_cmp_gt_f64_e64 s[24:25], s[26:27], v[61:62]
	s_mov_b32 s26, 0x55555780
	v_subbrev_co_u32_e64 v80, s[24:25], 0, v63, s[24:25]
	v_sub_u32_e32 v61, 0, v80
	v_ldexp_f64 v[55:56], v[55:56], v61
	v_ldexp_f64 v[59:60], v[59:60], v61
	s_mov_b32 s24, 0xbf559e2b
	s_mov_b32 s25, 0x3fc3ab76
	v_add_f64 v[61:62], v[55:56], -1.0
	v_add_f64 v[63:64], v[61:62], 1.0
	v_add_f64 v[63:64], v[55:56], -v[63:64]
	v_add_f64 v[63:64], v[59:60], v[63:64]
	v_add_f64 v[67:68], v[61:62], v[63:64]
	v_add_f64 v[61:62], v[67:68], -v[61:62]
	v_add_f64 v[61:62], v[63:64], -v[61:62]
	v_add_f64 v[63:64], v[55:56], 1.0
	v_add_f64 v[69:70], v[63:64], -1.0
	v_add_f64 v[55:56], v[55:56], -v[69:70]
	v_add_f64 v[55:56], v[59:60], v[55:56]
	v_add_f64 v[59:60], v[63:64], v[55:56]
	v_add_f64 v[63:64], v[59:60], -v[63:64]
	v_add_f64 v[55:56], v[55:56], -v[63:64]
	v_rcp_f64_e32 v[63:64], v[59:60]
	v_fma_f64 v[69:70], -v[59:60], v[63:64], 1.0
	v_fma_f64 v[63:64], v[69:70], v[63:64], v[63:64]
	v_fma_f64 v[69:70], -v[59:60], v[63:64], 1.0
	v_fma_f64 v[63:64], v[69:70], v[63:64], v[63:64]
	v_mul_f64 v[69:70], v[67:68], v[63:64]
	v_mul_f64 v[71:72], v[59:60], v[69:70]
	v_fma_f64 v[73:74], v[69:70], v[59:60], -v[71:72]
	v_fma_f64 v[73:74], v[69:70], v[55:56], v[73:74]
	v_add_f64 v[75:76], v[71:72], v[73:74]
	v_add_f64 v[77:78], v[67:68], -v[75:76]
	v_add_f64 v[71:72], v[75:76], -v[71:72]
	;; [unrolled: 1-line block ×4, first 2 shown]
	v_add_f64 v[61:62], v[61:62], v[67:68]
	v_add_f64 v[67:68], v[71:72], -v[73:74]
	v_add_f64 v[61:62], v[67:68], v[61:62]
	v_add_f64 v[67:68], v[77:78], v[61:62]
	v_add_f64 v[71:72], v[77:78], -v[67:68]
	v_add_f64 v[61:62], v[61:62], v[71:72]
	v_mul_f64 v[71:72], v[63:64], v[67:68]
	v_mul_f64 v[73:74], v[59:60], v[71:72]
	v_fma_f64 v[59:60], v[71:72], v[59:60], -v[73:74]
	v_fma_f64 v[55:56], v[71:72], v[55:56], v[59:60]
	v_add_f64 v[59:60], v[73:74], v[55:56]
	v_add_f64 v[75:76], v[67:68], -v[59:60]
	v_add_f64 v[73:74], v[59:60], -v[73:74]
	v_add_f64 v[67:68], v[67:68], -v[75:76]
	v_add_f64 v[55:56], v[73:74], -v[55:56]
	v_add_f64 v[59:60], v[67:68], -v[59:60]
	v_cvt_f64_i32_e32 v[67:68], v80
	v_add_f64 v[59:60], v[61:62], v[59:60]
	v_add_f64 v[55:56], v[55:56], v[59:60]
	v_add_f64 v[59:60], v[69:70], v[71:72]
	v_add_f64 v[55:56], v[75:76], v[55:56]
	v_add_f64 v[61:62], v[59:60], -v[69:70]
	v_mul_f64 v[69:70], v[67:68], s[36:37]
	v_mul_f64 v[55:56], v[63:64], v[55:56]
	v_add_f64 v[61:62], v[71:72], -v[61:62]
	v_mov_b32_e32 v63, 0x6b47b09a
	v_mov_b32_e32 v64, 0x3fc38538
	v_fma_f64 v[71:72], v[67:68], s[36:37], -v[69:70]
	v_add_f64 v[55:56], v[61:62], v[55:56]
	v_fma_f64 v[67:68], v[67:68], s[48:49], v[71:72]
	v_add_f64 v[61:62], v[59:60], v[55:56]
	v_add_f64 v[71:72], v[69:70], v[67:68]
	v_add_f64 v[59:60], v[61:62], -v[59:60]
	v_add_f64 v[69:70], v[71:72], -v[69:70]
	;; [unrolled: 1-line block ×3, first 2 shown]
	v_mul_f64 v[59:60], v[61:62], v[61:62]
	v_add_f64 v[67:68], v[67:68], -v[69:70]
	v_ldexp_f64 v[69:70], v[61:62], 1
	v_ldexp_f64 v[55:56], v[55:56], 1
	v_fma_f64 v[63:64], v[59:60], s[24:25], v[63:64]
	s_mov_b32 s24, 0xd7f4df2e
	s_mov_b32 s25, 0x3fc7474d
	v_fma_f64 v[63:64], v[59:60], v[63:64], s[24:25]
	s_mov_b32 s24, 0x16291751
	s_mov_b32 s25, 0x3fcc71c0
	;; [unrolled: 3-line block ×5, first 2 shown]
	v_cmp_neq_f64_e64 s[24:25], s[24:25], v[53:54]
	v_fma_f64 v[63:64], v[59:60], v[63:64], s[26:27]
	v_mul_f64 v[59:60], v[61:62], v[59:60]
	v_cmp_ngt_f64_e64 s[26:27], -1.0, v[53:54]
	v_mul_f64 v[59:60], v[59:60], v[63:64]
	v_add_f64 v[61:62], v[69:70], v[59:60]
	v_add_f64 v[63:64], v[61:62], -v[69:70]
	v_add_f64 v[59:60], v[59:60], -v[63:64]
	v_add_f64 v[55:56], v[55:56], v[59:60]
	v_add_f64 v[59:60], v[61:62], v[55:56]
	v_add_f64 v[61:62], v[59:60], -v[61:62]
	v_add_f64 v[55:56], v[55:56], -v[61:62]
	v_add_f64 v[61:62], v[71:72], v[59:60]
	v_add_f64 v[63:64], v[61:62], -v[71:72]
	v_add_f64 v[69:70], v[61:62], -v[63:64]
	;; [unrolled: 1-line block ×3, first 2 shown]
	v_add_f64 v[63:64], v[67:68], v[55:56]
	v_add_f64 v[69:70], v[71:72], -v[69:70]
	v_add_f64 v[59:60], v[59:60], v[69:70]
	v_add_f64 v[69:70], v[63:64], -v[67:68]
	;; [unrolled: 2-line block ×3, first 2 shown]
	v_add_f64 v[55:56], v[55:56], -v[69:70]
	v_add_f64 v[63:64], v[61:62], v[59:60]
	v_add_f64 v[67:68], v[67:68], -v[71:72]
	v_add_f64 v[61:62], v[63:64], -v[61:62]
	v_add_f64 v[55:56], v[55:56], v[67:68]
	v_add_f64 v[59:60], v[59:60], -v[61:62]
	v_add_f64 v[55:56], v[55:56], v[59:60]
	v_mov_b32_e32 v59, 0x7ff80000
	v_add_f64 v[55:56], v[63:64], v[55:56]
	v_cndmask_b32_e64 v56, v79, v56, s[24:25]
	v_cndmask_b32_e64 v56, v59, v56, s[26:27]
	v_cmp_nge_f64_e64 s[26:27], -1.0, v[53:54]
	s_and_b64 s[24:25], s[26:27], s[24:25]
	v_cndmask_b32_e64 v55, 0, v55, s[24:25]
	v_cmp_neq_f64_e64 s[24:25], -1.0, v[53:54]
	v_mov_b32_e32 v53, 0xfff00000
	v_cndmask_b32_e64 v56, v53, v56, s[24:25]
	v_add_f64 v[53:54], v[23:24], v[55:56]
.LBB5_214:
	s_or_b64 exec, exec, s[44:45]
	v_mov_b32_e32 v23, v53
	v_mov_b32_e32 v24, v54
	;; [unrolled: 1-line block ×4, first 2 shown]
.LBB5_215:
	s_or_b64 exec, exec, s[30:31]
	v_and_b32_e32 v59, 16, v58
	v_mov_b32_dpp v53, v55 row_bcast:15 row_mask:0xf bank_mask:0xf
	v_mov_b32_dpp v54, v56 row_bcast:15 row_mask:0xf bank_mask:0xf
	v_cmp_ne_u32_e64 s[24:25], 0, v59
	s_and_saveexec_b64 s[30:31], s[24:25]
	s_cbranch_execz .LBB5_219
; %bb.216:
	v_max_f64 v[55:56], v[53:54], v[53:54]
	v_max_f64 v[59:60], v[23:24], v[23:24]
	v_cmp_u_f64_e64 s[24:25], v[53:54], v[53:54]
	v_cmp_u_f64_e64 s[26:27], v[23:24], v[23:24]
	s_movk_i32 s36, 0x1f8
	v_min_f64 v[61:62], v[55:56], v[59:60]
	v_max_f64 v[55:56], v[55:56], v[59:60]
	v_cndmask_b32_e64 v59, v62, v54, s[24:25]
	v_cndmask_b32_e64 v60, v61, v53, s[24:25]
	;; [unrolled: 1-line block ×8, first 2 shown]
	v_cmp_neq_f64_e64 s[24:25], v[55:56], v[23:24]
	v_cmp_class_f64_e64 s[26:27], v[55:56], s36
	s_or_b64 s[24:25], s[24:25], s[26:27]
	s_and_saveexec_b64 s[44:45], s[24:25]
	s_cbranch_execz .LBB5_218
; %bb.217:
	v_add_f64 v[53:54], v[55:56], -v[23:24]
	s_mov_b32 s24, 0x652b82fe
	s_mov_b32 s25, 0x3ff71547
	s_mov_b32 s37, 0xbfe62e42
	s_mov_b32 s36, 0xfefa39ef
	s_mov_b32 s49, 0xbc7abc9e
	s_mov_b32 s48, 0x3b39803f
	v_mov_b32_e32 v61, 0xfca7ab0c
	v_mul_f64 v[55:56], v[53:54], s[24:25]
	s_mov_b32 s24, 0x6a5dcb37
	v_mov_b32_e32 v62, 0x3e928af3
	s_mov_b32 s25, 0x3e5ade15
	s_mov_b32 s26, 0
	;; [unrolled: 1-line block ×3, first 2 shown]
	v_cmp_ngt_f64_e64 s[26:27], s[26:27], v[53:54]
	v_mov_b32_e32 v79, 0x7ff00000
	v_rndne_f64_e32 v[55:56], v[55:56]
	v_fma_f64 v[59:60], v[55:56], s[36:37], v[53:54]
	s_mov_b32 s37, 0x3fe62e42
	v_fma_f64 v[59:60], v[55:56], s[48:49], v[59:60]
	v_cvt_i32_f64_e32 v55, v[55:56]
	s_mov_b32 s49, 0x3c7abc9e
	v_fma_f64 v[61:62], v[59:60], s[24:25], v[61:62]
	s_mov_b32 s24, 0x623fde64
	s_mov_b32 s25, 0x3ec71dee
	v_fma_f64 v[61:62], v[59:60], v[61:62], s[24:25]
	s_mov_b32 s24, 0x7c89e6b0
	;; [unrolled: 3-line block ×9, first 2 shown]
	s_mov_b32 s25, 0x40900000
	v_cmp_nlt_f64_e64 s[24:25], s[24:25], v[53:54]
	v_fma_f64 v[61:62], v[59:60], v[61:62], 1.0
	v_fma_f64 v[59:60], v[59:60], v[61:62], 1.0
	v_ldexp_f64 v[55:56], v[59:60], v55
	v_cndmask_b32_e64 v56, v79, v56, s[24:25]
	s_and_b64 s[24:25], s[26:27], s[24:25]
	v_cndmask_b32_e64 v53, 0, v55, s[24:25]
	v_cndmask_b32_e64 v54, 0, v56, s[26:27]
	v_add_f64 v[55:56], v[53:54], 1.0
	s_mov_b32 s27, 0x3fe55555
	s_mov_b32 s26, 0x55555555
	v_add_f64 v[59:60], v[55:56], -1.0
	v_frexp_exp_i32_f64_e32 v63, v[55:56]
	v_add_f64 v[61:62], v[59:60], -v[55:56]
	v_add_f64 v[59:60], v[53:54], -v[59:60]
	v_add_f64 v[61:62], v[61:62], 1.0
	v_add_f64 v[59:60], v[59:60], v[61:62]
	v_frexp_mant_f64_e32 v[61:62], v[55:56]
	v_cmp_gt_f64_e64 s[24:25], s[26:27], v[61:62]
	s_mov_b32 s26, 0x55555780
	v_subbrev_co_u32_e64 v80, s[24:25], 0, v63, s[24:25]
	v_sub_u32_e32 v61, 0, v80
	v_ldexp_f64 v[55:56], v[55:56], v61
	v_ldexp_f64 v[59:60], v[59:60], v61
	s_mov_b32 s24, 0xbf559e2b
	s_mov_b32 s25, 0x3fc3ab76
	v_add_f64 v[61:62], v[55:56], -1.0
	v_add_f64 v[63:64], v[61:62], 1.0
	v_add_f64 v[63:64], v[55:56], -v[63:64]
	v_add_f64 v[63:64], v[59:60], v[63:64]
	v_add_f64 v[67:68], v[61:62], v[63:64]
	v_add_f64 v[61:62], v[67:68], -v[61:62]
	v_add_f64 v[61:62], v[63:64], -v[61:62]
	v_add_f64 v[63:64], v[55:56], 1.0
	v_add_f64 v[69:70], v[63:64], -1.0
	v_add_f64 v[55:56], v[55:56], -v[69:70]
	v_add_f64 v[55:56], v[59:60], v[55:56]
	v_add_f64 v[59:60], v[63:64], v[55:56]
	v_add_f64 v[63:64], v[59:60], -v[63:64]
	v_add_f64 v[55:56], v[55:56], -v[63:64]
	v_rcp_f64_e32 v[63:64], v[59:60]
	v_fma_f64 v[69:70], -v[59:60], v[63:64], 1.0
	v_fma_f64 v[63:64], v[69:70], v[63:64], v[63:64]
	v_fma_f64 v[69:70], -v[59:60], v[63:64], 1.0
	v_fma_f64 v[63:64], v[69:70], v[63:64], v[63:64]
	v_mul_f64 v[69:70], v[67:68], v[63:64]
	v_mul_f64 v[71:72], v[59:60], v[69:70]
	v_fma_f64 v[73:74], v[69:70], v[59:60], -v[71:72]
	v_fma_f64 v[73:74], v[69:70], v[55:56], v[73:74]
	v_add_f64 v[75:76], v[71:72], v[73:74]
	v_add_f64 v[77:78], v[67:68], -v[75:76]
	v_add_f64 v[71:72], v[75:76], -v[71:72]
	;; [unrolled: 1-line block ×4, first 2 shown]
	v_add_f64 v[61:62], v[61:62], v[67:68]
	v_add_f64 v[67:68], v[71:72], -v[73:74]
	v_add_f64 v[61:62], v[67:68], v[61:62]
	v_add_f64 v[67:68], v[77:78], v[61:62]
	v_add_f64 v[71:72], v[77:78], -v[67:68]
	v_add_f64 v[61:62], v[61:62], v[71:72]
	v_mul_f64 v[71:72], v[63:64], v[67:68]
	v_mul_f64 v[73:74], v[59:60], v[71:72]
	v_fma_f64 v[59:60], v[71:72], v[59:60], -v[73:74]
	v_fma_f64 v[55:56], v[71:72], v[55:56], v[59:60]
	v_add_f64 v[59:60], v[73:74], v[55:56]
	v_add_f64 v[75:76], v[67:68], -v[59:60]
	v_add_f64 v[73:74], v[59:60], -v[73:74]
	;; [unrolled: 1-line block ×5, first 2 shown]
	v_cvt_f64_i32_e32 v[67:68], v80
	v_add_f64 v[59:60], v[61:62], v[59:60]
	v_add_f64 v[55:56], v[55:56], v[59:60]
	;; [unrolled: 1-line block ×4, first 2 shown]
	v_add_f64 v[61:62], v[59:60], -v[69:70]
	v_mul_f64 v[69:70], v[67:68], s[36:37]
	v_mul_f64 v[55:56], v[63:64], v[55:56]
	v_add_f64 v[61:62], v[71:72], -v[61:62]
	v_mov_b32_e32 v63, 0x6b47b09a
	v_mov_b32_e32 v64, 0x3fc38538
	v_fma_f64 v[71:72], v[67:68], s[36:37], -v[69:70]
	v_add_f64 v[55:56], v[61:62], v[55:56]
	v_fma_f64 v[67:68], v[67:68], s[48:49], v[71:72]
	v_add_f64 v[61:62], v[59:60], v[55:56]
	v_add_f64 v[71:72], v[69:70], v[67:68]
	v_add_f64 v[59:60], v[61:62], -v[59:60]
	v_add_f64 v[69:70], v[71:72], -v[69:70]
	;; [unrolled: 1-line block ×3, first 2 shown]
	v_mul_f64 v[59:60], v[61:62], v[61:62]
	v_add_f64 v[67:68], v[67:68], -v[69:70]
	v_ldexp_f64 v[69:70], v[61:62], 1
	v_ldexp_f64 v[55:56], v[55:56], 1
	v_fma_f64 v[63:64], v[59:60], s[24:25], v[63:64]
	s_mov_b32 s24, 0xd7f4df2e
	s_mov_b32 s25, 0x3fc7474d
	v_fma_f64 v[63:64], v[59:60], v[63:64], s[24:25]
	s_mov_b32 s24, 0x16291751
	s_mov_b32 s25, 0x3fcc71c0
	;; [unrolled: 3-line block ×5, first 2 shown]
	v_cmp_neq_f64_e64 s[24:25], s[24:25], v[53:54]
	v_fma_f64 v[63:64], v[59:60], v[63:64], s[26:27]
	v_mul_f64 v[59:60], v[61:62], v[59:60]
	v_cmp_ngt_f64_e64 s[26:27], -1.0, v[53:54]
	v_mul_f64 v[59:60], v[59:60], v[63:64]
	v_add_f64 v[61:62], v[69:70], v[59:60]
	v_add_f64 v[63:64], v[61:62], -v[69:70]
	v_add_f64 v[59:60], v[59:60], -v[63:64]
	v_add_f64 v[55:56], v[55:56], v[59:60]
	v_add_f64 v[59:60], v[61:62], v[55:56]
	v_add_f64 v[61:62], v[59:60], -v[61:62]
	v_add_f64 v[55:56], v[55:56], -v[61:62]
	v_add_f64 v[61:62], v[71:72], v[59:60]
	v_add_f64 v[63:64], v[61:62], -v[71:72]
	v_add_f64 v[69:70], v[61:62], -v[63:64]
	;; [unrolled: 1-line block ×3, first 2 shown]
	v_add_f64 v[63:64], v[67:68], v[55:56]
	v_add_f64 v[69:70], v[71:72], -v[69:70]
	v_add_f64 v[59:60], v[59:60], v[69:70]
	v_add_f64 v[69:70], v[63:64], -v[67:68]
	;; [unrolled: 2-line block ×3, first 2 shown]
	v_add_f64 v[55:56], v[55:56], -v[69:70]
	v_add_f64 v[63:64], v[61:62], v[59:60]
	v_add_f64 v[67:68], v[67:68], -v[71:72]
	v_add_f64 v[61:62], v[63:64], -v[61:62]
	v_add_f64 v[55:56], v[55:56], v[67:68]
	v_add_f64 v[59:60], v[59:60], -v[61:62]
	v_add_f64 v[55:56], v[55:56], v[59:60]
	v_mov_b32_e32 v59, 0x7ff80000
	v_add_f64 v[55:56], v[63:64], v[55:56]
	v_cndmask_b32_e64 v56, v79, v56, s[24:25]
	v_cndmask_b32_e64 v56, v59, v56, s[26:27]
	v_cmp_nge_f64_e64 s[26:27], -1.0, v[53:54]
	s_and_b64 s[24:25], s[26:27], s[24:25]
	v_cndmask_b32_e64 v55, 0, v55, s[24:25]
	v_cmp_neq_f64_e64 s[24:25], -1.0, v[53:54]
	v_mov_b32_e32 v53, 0xfff00000
	v_cndmask_b32_e64 v56, v53, v56, s[24:25]
	v_add_f64 v[53:54], v[23:24], v[55:56]
.LBB5_218:
	s_or_b64 exec, exec, s[44:45]
	v_mov_b32_e32 v23, v53
	v_mov_b32_e32 v55, v53
	v_mov_b32_e32 v56, v54
	v_mov_b32_e32 v24, v54
.LBB5_219:
	s_or_b64 exec, exec, s[30:31]
	v_mov_b32_dpp v53, v55 row_bcast:31 row_mask:0xf bank_mask:0xf
	v_mov_b32_dpp v54, v56 row_bcast:31 row_mask:0xf bank_mask:0xf
	v_cmp_lt_u32_e64 s[24:25], 31, v58
	s_and_saveexec_b64 s[30:31], s[24:25]
	s_cbranch_execz .LBB5_223
; %bb.220:
	v_max_f64 v[55:56], v[53:54], v[53:54]
	v_max_f64 v[59:60], v[23:24], v[23:24]
	v_cmp_u_f64_e64 s[24:25], v[53:54], v[53:54]
	v_cmp_u_f64_e64 s[26:27], v[23:24], v[23:24]
	s_movk_i32 s36, 0x1f8
	v_min_f64 v[61:62], v[55:56], v[59:60]
	v_max_f64 v[55:56], v[55:56], v[59:60]
	v_cndmask_b32_e64 v59, v62, v54, s[24:25]
	v_cndmask_b32_e64 v60, v61, v53, s[24:25]
	;; [unrolled: 1-line block ×8, first 2 shown]
	v_cmp_neq_f64_e64 s[24:25], v[55:56], v[23:24]
	v_cmp_class_f64_e64 s[26:27], v[55:56], s36
	s_or_b64 s[24:25], s[24:25], s[26:27]
	s_and_saveexec_b64 s[44:45], s[24:25]
	s_cbranch_execz .LBB5_222
; %bb.221:
	v_add_f64 v[53:54], v[55:56], -v[23:24]
	s_mov_b32 s24, 0x652b82fe
	s_mov_b32 s25, 0x3ff71547
	;; [unrolled: 1-line block ×6, first 2 shown]
	v_mov_b32_e32 v61, 0xfca7ab0c
	v_mul_f64 v[55:56], v[53:54], s[24:25]
	s_mov_b32 s24, 0x6a5dcb37
	v_mov_b32_e32 v62, 0x3e928af3
	s_mov_b32 s25, 0x3e5ade15
	s_mov_b32 s26, 0
	;; [unrolled: 1-line block ×3, first 2 shown]
	v_cmp_ngt_f64_e64 s[26:27], s[26:27], v[53:54]
	v_mov_b32_e32 v79, 0x7ff00000
	v_rndne_f64_e32 v[55:56], v[55:56]
	v_fma_f64 v[59:60], v[55:56], s[36:37], v[53:54]
	s_mov_b32 s37, 0x3fe62e42
	v_fma_f64 v[59:60], v[55:56], s[48:49], v[59:60]
	v_cvt_i32_f64_e32 v55, v[55:56]
	s_mov_b32 s49, 0x3c7abc9e
	v_fma_f64 v[61:62], v[59:60], s[24:25], v[61:62]
	s_mov_b32 s24, 0x623fde64
	s_mov_b32 s25, 0x3ec71dee
	v_fma_f64 v[61:62], v[59:60], v[61:62], s[24:25]
	s_mov_b32 s24, 0x7c89e6b0
	;; [unrolled: 3-line block ×9, first 2 shown]
	s_mov_b32 s25, 0x40900000
	v_cmp_nlt_f64_e64 s[24:25], s[24:25], v[53:54]
	v_fma_f64 v[61:62], v[59:60], v[61:62], 1.0
	v_fma_f64 v[59:60], v[59:60], v[61:62], 1.0
	v_ldexp_f64 v[55:56], v[59:60], v55
	v_cndmask_b32_e64 v56, v79, v56, s[24:25]
	s_and_b64 s[24:25], s[26:27], s[24:25]
	v_cndmask_b32_e64 v53, 0, v55, s[24:25]
	v_cndmask_b32_e64 v54, 0, v56, s[26:27]
	v_add_f64 v[55:56], v[53:54], 1.0
	s_mov_b32 s27, 0x3fe55555
	s_mov_b32 s26, 0x55555555
	v_add_f64 v[59:60], v[55:56], -1.0
	v_frexp_exp_i32_f64_e32 v63, v[55:56]
	v_add_f64 v[61:62], v[59:60], -v[55:56]
	v_add_f64 v[59:60], v[53:54], -v[59:60]
	v_add_f64 v[61:62], v[61:62], 1.0
	v_add_f64 v[59:60], v[59:60], v[61:62]
	v_frexp_mant_f64_e32 v[61:62], v[55:56]
	v_cmp_gt_f64_e64 s[24:25], s[26:27], v[61:62]
	s_mov_b32 s26, 0x55555780
	v_subbrev_co_u32_e64 v80, s[24:25], 0, v63, s[24:25]
	v_sub_u32_e32 v61, 0, v80
	v_ldexp_f64 v[55:56], v[55:56], v61
	v_ldexp_f64 v[59:60], v[59:60], v61
	s_mov_b32 s24, 0xbf559e2b
	s_mov_b32 s25, 0x3fc3ab76
	v_add_f64 v[61:62], v[55:56], -1.0
	v_add_f64 v[63:64], v[61:62], 1.0
	v_add_f64 v[63:64], v[55:56], -v[63:64]
	v_add_f64 v[63:64], v[59:60], v[63:64]
	v_add_f64 v[67:68], v[61:62], v[63:64]
	v_add_f64 v[61:62], v[67:68], -v[61:62]
	v_add_f64 v[61:62], v[63:64], -v[61:62]
	v_add_f64 v[63:64], v[55:56], 1.0
	v_add_f64 v[69:70], v[63:64], -1.0
	v_add_f64 v[55:56], v[55:56], -v[69:70]
	v_add_f64 v[55:56], v[59:60], v[55:56]
	v_add_f64 v[59:60], v[63:64], v[55:56]
	v_add_f64 v[63:64], v[59:60], -v[63:64]
	v_add_f64 v[55:56], v[55:56], -v[63:64]
	v_rcp_f64_e32 v[63:64], v[59:60]
	v_fma_f64 v[69:70], -v[59:60], v[63:64], 1.0
	v_fma_f64 v[63:64], v[69:70], v[63:64], v[63:64]
	v_fma_f64 v[69:70], -v[59:60], v[63:64], 1.0
	v_fma_f64 v[63:64], v[69:70], v[63:64], v[63:64]
	v_mul_f64 v[69:70], v[67:68], v[63:64]
	v_mul_f64 v[71:72], v[59:60], v[69:70]
	v_fma_f64 v[73:74], v[69:70], v[59:60], -v[71:72]
	v_fma_f64 v[73:74], v[69:70], v[55:56], v[73:74]
	v_add_f64 v[75:76], v[71:72], v[73:74]
	v_add_f64 v[77:78], v[67:68], -v[75:76]
	v_add_f64 v[71:72], v[75:76], -v[71:72]
	v_add_f64 v[67:68], v[67:68], -v[77:78]
	v_add_f64 v[67:68], v[67:68], -v[75:76]
	v_add_f64 v[61:62], v[61:62], v[67:68]
	v_add_f64 v[67:68], v[71:72], -v[73:74]
	v_add_f64 v[61:62], v[67:68], v[61:62]
	v_add_f64 v[67:68], v[77:78], v[61:62]
	v_add_f64 v[71:72], v[77:78], -v[67:68]
	v_add_f64 v[61:62], v[61:62], v[71:72]
	v_mul_f64 v[71:72], v[63:64], v[67:68]
	v_mul_f64 v[73:74], v[59:60], v[71:72]
	v_fma_f64 v[59:60], v[71:72], v[59:60], -v[73:74]
	v_fma_f64 v[55:56], v[71:72], v[55:56], v[59:60]
	v_add_f64 v[59:60], v[73:74], v[55:56]
	v_add_f64 v[75:76], v[67:68], -v[59:60]
	v_add_f64 v[73:74], v[59:60], -v[73:74]
	;; [unrolled: 1-line block ×5, first 2 shown]
	v_cvt_f64_i32_e32 v[67:68], v80
	v_add_f64 v[59:60], v[61:62], v[59:60]
	v_add_f64 v[55:56], v[55:56], v[59:60]
	;; [unrolled: 1-line block ×4, first 2 shown]
	v_add_f64 v[61:62], v[59:60], -v[69:70]
	v_mul_f64 v[69:70], v[67:68], s[36:37]
	v_mul_f64 v[55:56], v[63:64], v[55:56]
	v_add_f64 v[61:62], v[71:72], -v[61:62]
	v_mov_b32_e32 v63, 0x6b47b09a
	v_mov_b32_e32 v64, 0x3fc38538
	v_fma_f64 v[71:72], v[67:68], s[36:37], -v[69:70]
	v_add_f64 v[55:56], v[61:62], v[55:56]
	v_fma_f64 v[67:68], v[67:68], s[48:49], v[71:72]
	v_add_f64 v[61:62], v[59:60], v[55:56]
	v_add_f64 v[71:72], v[69:70], v[67:68]
	v_add_f64 v[59:60], v[61:62], -v[59:60]
	v_add_f64 v[69:70], v[71:72], -v[69:70]
	;; [unrolled: 1-line block ×3, first 2 shown]
	v_mul_f64 v[59:60], v[61:62], v[61:62]
	v_add_f64 v[67:68], v[67:68], -v[69:70]
	v_ldexp_f64 v[69:70], v[61:62], 1
	v_ldexp_f64 v[55:56], v[55:56], 1
	v_fma_f64 v[63:64], v[59:60], s[24:25], v[63:64]
	s_mov_b32 s24, 0xd7f4df2e
	s_mov_b32 s25, 0x3fc7474d
	v_fma_f64 v[63:64], v[59:60], v[63:64], s[24:25]
	s_mov_b32 s24, 0x16291751
	s_mov_b32 s25, 0x3fcc71c0
	;; [unrolled: 3-line block ×5, first 2 shown]
	v_cmp_neq_f64_e64 s[24:25], s[24:25], v[53:54]
	v_fma_f64 v[63:64], v[59:60], v[63:64], s[26:27]
	v_mul_f64 v[59:60], v[61:62], v[59:60]
	v_cmp_ngt_f64_e64 s[26:27], -1.0, v[53:54]
	v_mul_f64 v[59:60], v[59:60], v[63:64]
	v_add_f64 v[61:62], v[69:70], v[59:60]
	v_add_f64 v[63:64], v[61:62], -v[69:70]
	v_add_f64 v[59:60], v[59:60], -v[63:64]
	v_add_f64 v[55:56], v[55:56], v[59:60]
	v_add_f64 v[59:60], v[61:62], v[55:56]
	v_add_f64 v[61:62], v[59:60], -v[61:62]
	v_add_f64 v[55:56], v[55:56], -v[61:62]
	v_add_f64 v[61:62], v[71:72], v[59:60]
	v_add_f64 v[63:64], v[61:62], -v[71:72]
	v_add_f64 v[69:70], v[61:62], -v[63:64]
	v_add_f64 v[59:60], v[59:60], -v[63:64]
	v_add_f64 v[63:64], v[67:68], v[55:56]
	v_add_f64 v[69:70], v[71:72], -v[69:70]
	v_add_f64 v[59:60], v[59:60], v[69:70]
	v_add_f64 v[69:70], v[63:64], -v[67:68]
	v_add_f64 v[59:60], v[63:64], v[59:60]
	v_add_f64 v[71:72], v[63:64], -v[69:70]
	v_add_f64 v[55:56], v[55:56], -v[69:70]
	v_add_f64 v[63:64], v[61:62], v[59:60]
	v_add_f64 v[67:68], v[67:68], -v[71:72]
	v_add_f64 v[61:62], v[63:64], -v[61:62]
	v_add_f64 v[55:56], v[55:56], v[67:68]
	v_add_f64 v[59:60], v[59:60], -v[61:62]
	v_add_f64 v[55:56], v[55:56], v[59:60]
	v_mov_b32_e32 v59, 0x7ff80000
	v_add_f64 v[55:56], v[63:64], v[55:56]
	v_cndmask_b32_e64 v56, v79, v56, s[24:25]
	v_cndmask_b32_e64 v56, v59, v56, s[26:27]
	v_cmp_nge_f64_e64 s[26:27], -1.0, v[53:54]
	s_and_b64 s[24:25], s[26:27], s[24:25]
	v_cndmask_b32_e64 v55, 0, v55, s[24:25]
	v_cmp_neq_f64_e64 s[24:25], -1.0, v[53:54]
	v_mov_b32_e32 v53, 0xfff00000
	v_cndmask_b32_e64 v56, v53, v56, s[24:25]
	v_add_f64 v[53:54], v[23:24], v[55:56]
.LBB5_222:
	s_or_b64 exec, exec, s[44:45]
	v_mov_b32_e32 v23, v53
	v_mov_b32_e32 v24, v54
.LBB5_223:
	s_or_b64 exec, exec, s[30:31]
	v_add_u32_e32 v53, -1, v58
	v_and_b32_e32 v54, 64, v58
	v_cmp_lt_i32_e64 s[24:25], v53, v54
	v_cndmask_b32_e64 v53, v53, v58, s[24:25]
	v_lshlrev_b32_e32 v53, 2, v53
	ds_bpermute_b32 v23, v53, v23
	ds_bpermute_b32 v24, v53, v24
	s_movk_i32 s44, 0x1f8
	s_waitcnt lgkmcnt(0)
	v_max_f64 v[53:54], v[23:24], v[23:24]
	v_cmp_u_f64_e64 s[24:25], v[23:24], v[23:24]
	v_min_f64 v[55:56], v[53:54], v[51:52]
	v_max_f64 v[51:52], v[53:54], v[51:52]
	v_cndmask_b32_e64 v53, v55, v23, s[24:25]
	v_cndmask_b32_e64 v54, v56, v24, s[24:25]
	;; [unrolled: 1-line block ×8, first 2 shown]
	v_cmp_neq_f64_e64 s[22:23], v[51:52], v[21:22]
	v_cmp_class_f64_e64 s[24:25], v[51:52], s44
	s_or_b64 s[22:23], s[22:23], s[24:25]
	s_and_saveexec_b64 s[26:27], s[22:23]
	s_cbranch_execz .LBB5_225
; %bb.224:
	v_add_f64 v[23:24], v[51:52], -v[21:22]
	s_mov_b32 s22, 0x652b82fe
	s_mov_b32 s23, 0x3ff71547
	;; [unrolled: 1-line block ×6, first 2 shown]
	v_mov_b32_e32 v55, 0xfca7ab0c
	v_mul_f64 v[51:52], v[23:24], s[22:23]
	s_mov_b32 s22, 0x6a5dcb37
	v_mov_b32_e32 v56, 0x3e928af3
	s_mov_b32 s23, 0x3e5ade15
	s_mov_b32 s24, 0
	;; [unrolled: 1-line block ×3, first 2 shown]
	v_cmp_ngt_f64_e64 s[24:25], s[24:25], v[23:24]
	v_mov_b32_e32 v64, 0x7ff00000
	v_rndne_f64_e32 v[51:52], v[51:52]
	v_fma_f64 v[53:54], v[51:52], s[30:31], v[23:24]
	s_mov_b32 s31, 0x3fe62e42
	v_fma_f64 v[53:54], v[51:52], s[36:37], v[53:54]
	v_cvt_i32_f64_e32 v51, v[51:52]
	s_mov_b32 s37, 0x3c7abc9e
	v_fma_f64 v[55:56], v[53:54], s[22:23], v[55:56]
	s_mov_b32 s22, 0x623fde64
	s_mov_b32 s23, 0x3ec71dee
	v_fma_f64 v[55:56], v[53:54], v[55:56], s[22:23]
	s_mov_b32 s22, 0x7c89e6b0
	;; [unrolled: 3-line block ×9, first 2 shown]
	s_mov_b32 s23, 0x40900000
	v_cmp_nlt_f64_e64 s[22:23], s[22:23], v[23:24]
	v_fma_f64 v[55:56], v[53:54], v[55:56], 1.0
	v_fma_f64 v[53:54], v[53:54], v[55:56], 1.0
	v_ldexp_f64 v[51:52], v[53:54], v51
	v_cndmask_b32_e64 v52, v64, v52, s[22:23]
	s_and_b64 s[22:23], s[24:25], s[22:23]
	v_cndmask_b32_e64 v24, 0, v52, s[24:25]
	v_cndmask_b32_e64 v23, 0, v51, s[22:23]
	v_add_f64 v[51:52], v[23:24], 1.0
	s_mov_b32 s25, 0x3fe55555
	s_mov_b32 s24, 0x55555555
	v_frexp_mant_f64_e32 v[55:56], v[51:52]
	v_frexp_exp_i32_f64_e32 v60, v[51:52]
	v_add_f64 v[53:54], v[51:52], -1.0
	v_cmp_gt_f64_e64 s[22:23], s[24:25], v[55:56]
	s_mov_b32 s24, 0x55555780
	v_add_f64 v[58:59], v[53:54], -v[51:52]
	v_add_f64 v[53:54], v[23:24], -v[53:54]
	v_subbrev_co_u32_e64 v77, s[22:23], 0, v60, s[22:23]
	v_sub_u32_e32 v60, 0, v77
	v_ldexp_f64 v[51:52], v[51:52], v60
	v_add_f64 v[55:56], v[58:59], 1.0
	s_mov_b32 s22, 0xbf559e2b
	s_mov_b32 s23, 0x3fc3ab76
	v_add_f64 v[58:59], v[51:52], 1.0
	v_add_f64 v[53:54], v[53:54], v[55:56]
	v_add_f64 v[67:68], v[51:52], -1.0
	v_add_f64 v[55:56], v[58:59], -1.0
	v_ldexp_f64 v[53:54], v[53:54], v60
	v_add_f64 v[69:70], v[67:68], 1.0
	v_add_f64 v[55:56], v[51:52], -v[55:56]
	v_add_f64 v[51:52], v[51:52], -v[69:70]
	v_add_f64 v[55:56], v[53:54], v[55:56]
	v_add_f64 v[51:52], v[53:54], v[51:52]
	;; [unrolled: 1-line block ×4, first 2 shown]
	v_rcp_f64_e32 v[62:63], v[60:61]
	v_add_f64 v[58:59], v[60:61], -v[58:59]
	v_add_f64 v[67:68], v[69:70], -v[67:68]
	v_add_f64 v[55:56], v[55:56], -v[58:59]
	v_add_f64 v[51:52], v[51:52], -v[67:68]
	v_fma_f64 v[71:72], -v[60:61], v[62:63], 1.0
	v_fma_f64 v[62:63], v[71:72], v[62:63], v[62:63]
	v_fma_f64 v[53:54], -v[60:61], v[62:63], 1.0
	v_fma_f64 v[53:54], v[53:54], v[62:63], v[62:63]
	v_mul_f64 v[62:63], v[69:70], v[53:54]
	v_mul_f64 v[71:72], v[60:61], v[62:63]
	v_fma_f64 v[58:59], v[62:63], v[60:61], -v[71:72]
	v_fma_f64 v[58:59], v[62:63], v[55:56], v[58:59]
	v_add_f64 v[73:74], v[71:72], v[58:59]
	v_add_f64 v[75:76], v[69:70], -v[73:74]
	v_add_f64 v[67:68], v[73:74], -v[71:72]
	;; [unrolled: 1-line block ×5, first 2 shown]
	v_add_f64 v[51:52], v[51:52], v[69:70]
	v_add_f64 v[51:52], v[58:59], v[51:52]
	;; [unrolled: 1-line block ×3, first 2 shown]
	v_mul_f64 v[67:68], v[53:54], v[58:59]
	v_add_f64 v[73:74], v[75:76], -v[58:59]
	v_mul_f64 v[69:70], v[60:61], v[67:68]
	v_add_f64 v[51:52], v[51:52], v[73:74]
	v_fma_f64 v[60:61], v[67:68], v[60:61], -v[69:70]
	v_fma_f64 v[55:56], v[67:68], v[55:56], v[60:61]
	v_add_f64 v[60:61], v[69:70], v[55:56]
	v_add_f64 v[71:72], v[58:59], -v[60:61]
	v_add_f64 v[69:70], v[60:61], -v[69:70]
	v_add_f64 v[58:59], v[58:59], -v[71:72]
	v_add_f64 v[55:56], v[69:70], -v[55:56]
	v_add_f64 v[58:59], v[58:59], -v[60:61]
	v_mov_b32_e32 v60, 0x6b47b09a
	v_mov_b32_e32 v61, 0x3fc38538
	v_add_f64 v[51:52], v[51:52], v[58:59]
	v_add_f64 v[58:59], v[62:63], v[67:68]
	;; [unrolled: 1-line block ×3, first 2 shown]
	v_add_f64 v[55:56], v[58:59], -v[62:63]
	v_add_f64 v[51:52], v[71:72], v[51:52]
	v_add_f64 v[55:56], v[67:68], -v[55:56]
	v_mul_f64 v[51:52], v[53:54], v[51:52]
	v_add_f64 v[51:52], v[55:56], v[51:52]
	v_add_f64 v[53:54], v[58:59], v[51:52]
	v_mul_f64 v[55:56], v[53:54], v[53:54]
	v_fma_f64 v[60:61], v[55:56], s[22:23], v[60:61]
	s_mov_b32 s22, 0xd7f4df2e
	s_mov_b32 s23, 0x3fc7474d
	v_mul_f64 v[62:63], v[53:54], v[55:56]
	v_fma_f64 v[60:61], v[55:56], v[60:61], s[22:23]
	s_mov_b32 s22, 0x16291751
	s_mov_b32 s23, 0x3fcc71c0
	v_fma_f64 v[60:61], v[55:56], v[60:61], s[22:23]
	s_mov_b32 s22, 0x9b27acf1
	s_mov_b32 s23, 0x3fd24924
	;; [unrolled: 3-line block ×3, first 2 shown]
	v_fma_f64 v[60:61], v[55:56], v[60:61], s[22:23]
	v_cmp_nge_f64_e64 s[22:23], -1.0, v[23:24]
	v_fma_f64 v[55:56], v[55:56], v[60:61], s[24:25]
	v_ldexp_f64 v[60:61], v[53:54], 1
	v_add_f64 v[53:54], v[53:54], -v[58:59]
	s_mov_b32 s24, 0
	s_mov_b32 s25, 0x7ff00000
	v_cmp_neq_f64_e64 s[24:25], s[24:25], v[23:24]
	v_mul_f64 v[55:56], v[62:63], v[55:56]
	v_cvt_f64_i32_e32 v[62:63], v77
	v_add_f64 v[51:52], v[51:52], -v[53:54]
	v_mul_f64 v[67:68], v[62:63], s[30:31]
	s_and_b64 s[22:23], s[22:23], s[24:25]
	v_add_f64 v[58:59], v[60:61], v[55:56]
	v_ldexp_f64 v[51:52], v[51:52], 1
	v_add_f64 v[53:54], v[58:59], -v[60:61]
	v_fma_f64 v[60:61], v[62:63], s[30:31], -v[67:68]
	v_add_f64 v[53:54], v[55:56], -v[53:54]
	v_fma_f64 v[55:56], v[62:63], s[36:37], v[60:61]
	v_add_f64 v[51:52], v[51:52], v[53:54]
	v_add_f64 v[53:54], v[67:68], v[55:56]
	;; [unrolled: 1-line block ×3, first 2 shown]
	v_add_f64 v[67:68], v[53:54], -v[67:68]
	v_add_f64 v[62:63], v[53:54], v[60:61]
	v_add_f64 v[58:59], v[60:61], -v[58:59]
	v_add_f64 v[55:56], v[55:56], -v[67:68]
	v_add_f64 v[69:70], v[62:63], -v[53:54]
	v_add_f64 v[51:52], v[51:52], -v[58:59]
	v_add_f64 v[71:72], v[62:63], -v[69:70]
	v_add_f64 v[58:59], v[60:61], -v[69:70]
	v_add_f64 v[60:61], v[55:56], v[51:52]
	v_add_f64 v[53:54], v[53:54], -v[71:72]
	v_add_f64 v[53:54], v[58:59], v[53:54]
	v_add_f64 v[58:59], v[60:61], -v[55:56]
	;; [unrolled: 2-line block ×3, first 2 shown]
	v_add_f64 v[51:52], v[51:52], -v[58:59]
	v_add_f64 v[67:68], v[62:63], v[53:54]
	v_add_f64 v[55:56], v[55:56], -v[60:61]
	v_add_f64 v[58:59], v[67:68], -v[62:63]
	v_add_f64 v[51:52], v[51:52], v[55:56]
	v_add_f64 v[53:54], v[53:54], -v[58:59]
	v_add_f64 v[51:52], v[51:52], v[53:54]
	v_mov_b32_e32 v53, 0x7ff80000
	v_mov_b32_e32 v54, 0xfff00000
	v_add_f64 v[51:52], v[67:68], v[51:52]
	v_cndmask_b32_e64 v51, 0, v51, s[22:23]
	v_cmp_ngt_f64_e64 s[22:23], -1.0, v[23:24]
	v_cndmask_b32_e64 v52, v64, v52, s[24:25]
	v_cndmask_b32_e64 v52, v53, v52, s[22:23]
	v_cmp_neq_f64_e64 s[22:23], -1.0, v[23:24]
	v_cndmask_b32_e64 v52, v54, v52, s[22:23]
	v_add_f64 v[23:24], v[21:22], v[51:52]
.LBB5_225:
	s_or_b64 exec, exec, s[26:27]
	v_cndmask_b32_e64 v24, v24, v50, s[20:21]
	v_cndmask_b32_e64 v23, v23, v49, s[20:21]
	; wave barrier
	ds_write_b64 v57, v[23:24]
	; wave barrier
	ds_read_b64 v[21:22], v57 offset:8
	v_max_f64 v[49:50], v[23:24], v[23:24]
	v_cmp_u_f64_e64 s[20:21], v[23:24], v[23:24]
	s_waitcnt lgkmcnt(0)
	v_max_f64 v[51:52], v[21:22], v[21:22]
	v_cmp_u_f64_e64 s[22:23], v[21:22], v[21:22]
	v_min_f64 v[53:54], v[49:50], v[51:52]
	v_max_f64 v[49:50], v[49:50], v[51:52]
	v_cndmask_b32_e64 v51, v53, v23, s[20:21]
	v_cndmask_b32_e64 v52, v54, v24, s[20:21]
	v_cndmask_b32_e64 v53, v49, v23, s[20:21]
	v_cndmask_b32_e64 v54, v50, v24, s[20:21]
	v_cndmask_b32_e64 v50, v52, v22, s[22:23]
	v_cndmask_b32_e64 v49, v51, v21, s[22:23]
	v_cndmask_b32_e64 v22, v54, v22, s[22:23]
	v_cndmask_b32_e64 v21, v53, v21, s[22:23]
	v_cmp_neq_f64_e64 s[20:21], v[49:50], v[21:22]
	v_cmp_class_f64_e64 s[22:23], v[49:50], s44
	s_or_b64 s[20:21], s[20:21], s[22:23]
	s_and_saveexec_b64 s[24:25], s[20:21]
	s_cbranch_execz .LBB5_227
; %bb.226:
	v_add_f64 v[23:24], v[49:50], -v[21:22]
	s_mov_b32 s20, 0x652b82fe
	s_mov_b32 s21, 0x3ff71547
	;; [unrolled: 1-line block ×6, first 2 shown]
	v_mov_b32_e32 v53, 0xfca7ab0c
	v_mul_f64 v[49:50], v[23:24], s[20:21]
	s_mov_b32 s20, 0x6a5dcb37
	v_mov_b32_e32 v54, 0x3e928af3
	s_mov_b32 s21, 0x3e5ade15
	s_mov_b32 s22, 0
	;; [unrolled: 1-line block ×3, first 2 shown]
	v_cmp_ngt_f64_e64 s[22:23], s[22:23], v[23:24]
	v_mov_b32_e32 v64, 0x7ff00000
	v_rndne_f64_e32 v[49:50], v[49:50]
	v_fma_f64 v[51:52], v[49:50], s[26:27], v[23:24]
	s_mov_b32 s27, 0x3fe62e42
	v_fma_f64 v[51:52], v[49:50], s[30:31], v[51:52]
	v_cvt_i32_f64_e32 v49, v[49:50]
	s_mov_b32 s31, 0x3c7abc9e
	v_fma_f64 v[53:54], v[51:52], s[20:21], v[53:54]
	s_mov_b32 s20, 0x623fde64
	s_mov_b32 s21, 0x3ec71dee
	v_fma_f64 v[53:54], v[51:52], v[53:54], s[20:21]
	s_mov_b32 s20, 0x7c89e6b0
	s_mov_b32 s21, 0x3efa0199
	v_fma_f64 v[53:54], v[51:52], v[53:54], s[20:21]
	s_mov_b32 s20, 0x14761f6e
	s_mov_b32 s21, 0x3f2a01a0
	v_fma_f64 v[53:54], v[51:52], v[53:54], s[20:21]
	s_mov_b32 s20, 0x1852b7b0
	s_mov_b32 s21, 0x3f56c16c
	v_fma_f64 v[53:54], v[51:52], v[53:54], s[20:21]
	s_mov_b32 s20, 0x11122322
	s_mov_b32 s21, 0x3f811111
	v_fma_f64 v[53:54], v[51:52], v[53:54], s[20:21]
	s_mov_b32 s20, 0x555502a1
	s_mov_b32 s21, 0x3fa55555
	v_fma_f64 v[53:54], v[51:52], v[53:54], s[20:21]
	s_mov_b32 s20, 0x55555511
	s_mov_b32 s21, 0x3fc55555
	v_fma_f64 v[53:54], v[51:52], v[53:54], s[20:21]
	s_mov_b32 s20, 11
	s_mov_b32 s21, 0x3fe00000
	v_fma_f64 v[53:54], v[51:52], v[53:54], s[20:21]
	s_mov_b32 s20, 0
	s_mov_b32 s21, 0x40900000
	v_cmp_nlt_f64_e64 s[20:21], s[20:21], v[23:24]
	v_fma_f64 v[53:54], v[51:52], v[53:54], 1.0
	v_fma_f64 v[51:52], v[51:52], v[53:54], 1.0
	v_ldexp_f64 v[49:50], v[51:52], v49
	v_cndmask_b32_e64 v50, v64, v50, s[20:21]
	s_and_b64 s[20:21], s[22:23], s[20:21]
	v_cndmask_b32_e64 v24, 0, v50, s[22:23]
	v_cndmask_b32_e64 v23, 0, v49, s[20:21]
	v_add_f64 v[49:50], v[23:24], 1.0
	s_mov_b32 s23, 0x3fe55555
	s_mov_b32 s22, 0x55555555
	v_frexp_mant_f64_e32 v[53:54], v[49:50]
	v_frexp_exp_i32_f64_e32 v58, v[49:50]
	v_add_f64 v[51:52], v[49:50], -1.0
	v_cmp_gt_f64_e64 s[20:21], s[22:23], v[53:54]
	s_mov_b32 s22, 0x55555780
	v_add_f64 v[55:56], v[51:52], -v[49:50]
	v_add_f64 v[51:52], v[23:24], -v[51:52]
	v_subbrev_co_u32_e64 v75, s[20:21], 0, v58, s[20:21]
	v_sub_u32_e32 v58, 0, v75
	v_ldexp_f64 v[49:50], v[49:50], v58
	v_add_f64 v[53:54], v[55:56], 1.0
	s_mov_b32 s20, 0xbf559e2b
	s_mov_b32 s21, 0x3fc3ab76
	v_add_f64 v[55:56], v[49:50], 1.0
	v_add_f64 v[51:52], v[51:52], v[53:54]
	v_add_f64 v[62:63], v[49:50], -1.0
	v_add_f64 v[53:54], v[55:56], -1.0
	v_ldexp_f64 v[51:52], v[51:52], v58
	v_add_f64 v[67:68], v[62:63], 1.0
	v_add_f64 v[53:54], v[49:50], -v[53:54]
	v_add_f64 v[49:50], v[49:50], -v[67:68]
	v_add_f64 v[53:54], v[51:52], v[53:54]
	v_add_f64 v[49:50], v[51:52], v[49:50]
	;; [unrolled: 1-line block ×4, first 2 shown]
	v_rcp_f64_e32 v[60:61], v[58:59]
	v_add_f64 v[55:56], v[58:59], -v[55:56]
	v_add_f64 v[62:63], v[67:68], -v[62:63]
	;; [unrolled: 1-line block ×4, first 2 shown]
	v_fma_f64 v[69:70], -v[58:59], v[60:61], 1.0
	v_fma_f64 v[60:61], v[69:70], v[60:61], v[60:61]
	v_fma_f64 v[51:52], -v[58:59], v[60:61], 1.0
	v_fma_f64 v[51:52], v[51:52], v[60:61], v[60:61]
	v_mul_f64 v[60:61], v[67:68], v[51:52]
	v_mul_f64 v[69:70], v[58:59], v[60:61]
	v_fma_f64 v[55:56], v[60:61], v[58:59], -v[69:70]
	v_fma_f64 v[55:56], v[60:61], v[53:54], v[55:56]
	v_add_f64 v[71:72], v[69:70], v[55:56]
	v_add_f64 v[73:74], v[67:68], -v[71:72]
	v_add_f64 v[62:63], v[71:72], -v[69:70]
	;; [unrolled: 1-line block ×5, first 2 shown]
	v_add_f64 v[49:50], v[49:50], v[67:68]
	v_add_f64 v[49:50], v[55:56], v[49:50]
	;; [unrolled: 1-line block ×3, first 2 shown]
	v_mul_f64 v[62:63], v[51:52], v[55:56]
	v_add_f64 v[71:72], v[73:74], -v[55:56]
	v_mul_f64 v[67:68], v[58:59], v[62:63]
	v_add_f64 v[49:50], v[49:50], v[71:72]
	v_fma_f64 v[58:59], v[62:63], v[58:59], -v[67:68]
	v_fma_f64 v[53:54], v[62:63], v[53:54], v[58:59]
	v_add_f64 v[58:59], v[67:68], v[53:54]
	v_add_f64 v[69:70], v[55:56], -v[58:59]
	v_add_f64 v[67:68], v[58:59], -v[67:68]
	;; [unrolled: 1-line block ×5, first 2 shown]
	v_mov_b32_e32 v58, 0x6b47b09a
	v_mov_b32_e32 v59, 0x3fc38538
	v_add_f64 v[49:50], v[49:50], v[55:56]
	v_add_f64 v[55:56], v[60:61], v[62:63]
	;; [unrolled: 1-line block ×3, first 2 shown]
	v_add_f64 v[53:54], v[55:56], -v[60:61]
	v_add_f64 v[49:50], v[69:70], v[49:50]
	v_add_f64 v[53:54], v[62:63], -v[53:54]
	v_mul_f64 v[49:50], v[51:52], v[49:50]
	v_add_f64 v[49:50], v[53:54], v[49:50]
	v_add_f64 v[51:52], v[55:56], v[49:50]
	v_mul_f64 v[53:54], v[51:52], v[51:52]
	v_fma_f64 v[58:59], v[53:54], s[20:21], v[58:59]
	s_mov_b32 s20, 0xd7f4df2e
	s_mov_b32 s21, 0x3fc7474d
	v_mul_f64 v[60:61], v[51:52], v[53:54]
	v_fma_f64 v[58:59], v[53:54], v[58:59], s[20:21]
	s_mov_b32 s20, 0x16291751
	s_mov_b32 s21, 0x3fcc71c0
	v_fma_f64 v[58:59], v[53:54], v[58:59], s[20:21]
	s_mov_b32 s20, 0x9b27acf1
	s_mov_b32 s21, 0x3fd24924
	;; [unrolled: 3-line block ×3, first 2 shown]
	v_fma_f64 v[58:59], v[53:54], v[58:59], s[20:21]
	v_cmp_nge_f64_e64 s[20:21], -1.0, v[23:24]
	v_fma_f64 v[53:54], v[53:54], v[58:59], s[22:23]
	v_ldexp_f64 v[58:59], v[51:52], 1
	v_add_f64 v[51:52], v[51:52], -v[55:56]
	s_mov_b32 s22, 0
	s_mov_b32 s23, 0x7ff00000
	v_cmp_neq_f64_e64 s[22:23], s[22:23], v[23:24]
	v_mul_f64 v[53:54], v[60:61], v[53:54]
	v_cvt_f64_i32_e32 v[60:61], v75
	v_add_f64 v[49:50], v[49:50], -v[51:52]
	v_mul_f64 v[62:63], v[60:61], s[26:27]
	s_and_b64 s[20:21], s[20:21], s[22:23]
	v_add_f64 v[55:56], v[58:59], v[53:54]
	v_ldexp_f64 v[49:50], v[49:50], 1
	v_add_f64 v[51:52], v[55:56], -v[58:59]
	v_fma_f64 v[58:59], v[60:61], s[26:27], -v[62:63]
	v_add_f64 v[51:52], v[53:54], -v[51:52]
	v_fma_f64 v[53:54], v[60:61], s[30:31], v[58:59]
	v_add_f64 v[49:50], v[49:50], v[51:52]
	v_add_f64 v[51:52], v[62:63], v[53:54]
	;; [unrolled: 1-line block ×3, first 2 shown]
	v_add_f64 v[62:63], v[51:52], -v[62:63]
	v_add_f64 v[60:61], v[51:52], v[58:59]
	v_add_f64 v[55:56], v[58:59], -v[55:56]
	v_add_f64 v[53:54], v[53:54], -v[62:63]
	;; [unrolled: 1-line block ×6, first 2 shown]
	v_add_f64 v[58:59], v[53:54], v[49:50]
	v_add_f64 v[51:52], v[51:52], -v[69:70]
	v_add_f64 v[51:52], v[55:56], v[51:52]
	v_add_f64 v[55:56], v[58:59], -v[53:54]
	v_add_f64 v[51:52], v[58:59], v[51:52]
	v_add_f64 v[58:59], v[58:59], -v[55:56]
	v_add_f64 v[49:50], v[49:50], -v[55:56]
	v_add_f64 v[62:63], v[60:61], v[51:52]
	v_add_f64 v[53:54], v[53:54], -v[58:59]
	v_add_f64 v[55:56], v[62:63], -v[60:61]
	v_add_f64 v[49:50], v[49:50], v[53:54]
	v_add_f64 v[51:52], v[51:52], -v[55:56]
	v_add_f64 v[49:50], v[49:50], v[51:52]
	v_mov_b32_e32 v51, 0x7ff80000
	v_mov_b32_e32 v52, 0xfff00000
	v_add_f64 v[49:50], v[62:63], v[49:50]
	v_cndmask_b32_e64 v49, 0, v49, s[20:21]
	v_cmp_ngt_f64_e64 s[20:21], -1.0, v[23:24]
	v_cndmask_b32_e64 v50, v64, v50, s[22:23]
	v_cndmask_b32_e64 v50, v51, v50, s[20:21]
	v_cmp_neq_f64_e64 s[20:21], -1.0, v[23:24]
	v_cndmask_b32_e64 v50, v52, v50, s[20:21]
	v_add_f64 v[23:24], v[21:22], v[49:50]
.LBB5_227:
	s_or_b64 exec, exec, s[24:25]
	ds_write_b64 v57, v[23:24] offset:8
.LBB5_228:
	s_or_b64 exec, exec, s[28:29]
	s_waitcnt lgkmcnt(0)
	s_barrier
	s_and_saveexec_b64 s[20:21], s[6:7]
	s_cbranch_execz .LBB5_232
; %bb.229:
	v_add_u32_e32 v21, -1, v0
	v_lshrrev_b32_e32 v22, 2, v21
	v_and_b32_e32 v22, 0x3ffffff8, v22
	v_lshl_add_u32 v21, v21, 3, v22
	ds_read_b64 v[21:22], v21
	s_movk_i32 s22, 0x1f8
	s_waitcnt lgkmcnt(0)
	v_max_f64 v[23:24], v[21:22], v[21:22]
	v_cmp_u_f64_e64 s[6:7], v[21:22], v[21:22]
	v_min_f64 v[43:44], v[23:24], v[45:46]
	v_max_f64 v[23:24], v[23:24], v[45:46]
	v_cndmask_b32_e64 v43, v43, v21, s[6:7]
	v_cndmask_b32_e64 v44, v44, v22, s[6:7]
	;; [unrolled: 1-line block ×8, first 2 shown]
	v_cmp_neq_f64_e64 s[6:7], v[23:24], v[1:2]
	v_cmp_class_f64_e64 s[18:19], v[23:24], s22
	s_or_b64 s[6:7], s[6:7], s[18:19]
	s_and_saveexec_b64 s[22:23], s[6:7]
	s_cbranch_execz .LBB5_231
; %bb.230:
	v_add_f64 v[21:22], v[23:24], -v[1:2]
	s_mov_b32 s6, 0x652b82fe
	s_mov_b32 s7, 0x3ff71547
	;; [unrolled: 1-line block ×6, first 2 shown]
	v_mov_b32_e32 v45, 0xfca7ab0c
	v_mul_f64 v[23:24], v[21:22], s[6:7]
	s_mov_b32 s6, 0x6a5dcb37
	v_mov_b32_e32 v46, 0x3e928af3
	s_mov_b32 s7, 0x3e5ade15
	s_mov_b32 s18, 0
	;; [unrolled: 1-line block ×3, first 2 shown]
	v_cmp_ngt_f64_e64 s[18:19], s[18:19], v[21:22]
	v_mov_b32_e32 v63, 0x7ff00000
	v_rndne_f64_e32 v[23:24], v[23:24]
	v_fma_f64 v[43:44], v[23:24], s[24:25], v[21:22]
	s_mov_b32 s25, 0x3fe62e42
	v_fma_f64 v[43:44], v[23:24], s[26:27], v[43:44]
	v_cvt_i32_f64_e32 v23, v[23:24]
	s_mov_b32 s27, 0x3c7abc9e
	v_fma_f64 v[45:46], v[43:44], s[6:7], v[45:46]
	s_mov_b32 s6, 0x623fde64
	s_mov_b32 s7, 0x3ec71dee
	v_fma_f64 v[45:46], v[43:44], v[45:46], s[6:7]
	s_mov_b32 s6, 0x7c89e6b0
	;; [unrolled: 3-line block ×9, first 2 shown]
	s_mov_b32 s7, 0x40900000
	v_cmp_nlt_f64_e64 s[6:7], s[6:7], v[21:22]
	v_fma_f64 v[45:46], v[43:44], v[45:46], 1.0
	v_fma_f64 v[43:44], v[43:44], v[45:46], 1.0
	v_ldexp_f64 v[23:24], v[43:44], v23
	v_cndmask_b32_e64 v24, v63, v24, s[6:7]
	s_and_b64 s[6:7], s[18:19], s[6:7]
	v_cndmask_b32_e64 v22, 0, v24, s[18:19]
	v_cndmask_b32_e64 v21, 0, v23, s[6:7]
	v_add_f64 v[23:24], v[21:22], 1.0
	s_mov_b32 s19, 0x3fe55555
	s_mov_b32 s18, 0x55555555
	v_frexp_mant_f64_e32 v[45:46], v[23:24]
	v_frexp_exp_i32_f64_e32 v49, v[23:24]
	v_add_f64 v[43:44], v[23:24], -1.0
	v_cmp_gt_f64_e64 s[6:7], s[18:19], v[45:46]
	s_mov_b32 s18, 0x55555780
	v_add_f64 v[47:48], v[43:44], -v[23:24]
	v_add_f64 v[43:44], v[21:22], -v[43:44]
	v_subbrev_co_u32_e64 v64, s[6:7], 0, v49, s[6:7]
	v_sub_u32_e32 v49, 0, v64
	v_ldexp_f64 v[23:24], v[23:24], v49
	v_add_f64 v[45:46], v[47:48], 1.0
	s_mov_b32 s6, 0xbf559e2b
	s_mov_b32 s7, 0x3fc3ab76
	v_add_f64 v[47:48], v[23:24], 1.0
	v_add_f64 v[43:44], v[43:44], v[45:46]
	v_add_f64 v[53:54], v[23:24], -1.0
	v_add_f64 v[45:46], v[47:48], -1.0
	v_ldexp_f64 v[43:44], v[43:44], v49
	v_add_f64 v[55:56], v[53:54], 1.0
	v_add_f64 v[45:46], v[23:24], -v[45:46]
	v_add_f64 v[23:24], v[23:24], -v[55:56]
	v_add_f64 v[45:46], v[43:44], v[45:46]
	v_add_f64 v[23:24], v[43:44], v[23:24]
	;; [unrolled: 1-line block ×4, first 2 shown]
	v_rcp_f64_e32 v[51:52], v[49:50]
	v_add_f64 v[47:48], v[49:50], -v[47:48]
	v_add_f64 v[53:54], v[55:56], -v[53:54]
	;; [unrolled: 1-line block ×4, first 2 shown]
	v_fma_f64 v[57:58], -v[49:50], v[51:52], 1.0
	v_fma_f64 v[51:52], v[57:58], v[51:52], v[51:52]
	v_fma_f64 v[43:44], -v[49:50], v[51:52], 1.0
	v_fma_f64 v[43:44], v[43:44], v[51:52], v[51:52]
	v_mul_f64 v[51:52], v[55:56], v[43:44]
	v_mul_f64 v[57:58], v[49:50], v[51:52]
	v_fma_f64 v[47:48], v[51:52], v[49:50], -v[57:58]
	v_fma_f64 v[47:48], v[51:52], v[45:46], v[47:48]
	v_add_f64 v[59:60], v[57:58], v[47:48]
	v_add_f64 v[61:62], v[55:56], -v[59:60]
	v_add_f64 v[53:54], v[59:60], -v[57:58]
	;; [unrolled: 1-line block ×5, first 2 shown]
	v_add_f64 v[23:24], v[23:24], v[55:56]
	v_add_f64 v[23:24], v[47:48], v[23:24]
	;; [unrolled: 1-line block ×3, first 2 shown]
	v_mul_f64 v[53:54], v[43:44], v[47:48]
	v_add_f64 v[59:60], v[61:62], -v[47:48]
	v_mul_f64 v[55:56], v[49:50], v[53:54]
	v_add_f64 v[23:24], v[23:24], v[59:60]
	v_fma_f64 v[49:50], v[53:54], v[49:50], -v[55:56]
	v_fma_f64 v[45:46], v[53:54], v[45:46], v[49:50]
	v_add_f64 v[49:50], v[55:56], v[45:46]
	v_add_f64 v[57:58], v[47:48], -v[49:50]
	v_add_f64 v[55:56], v[49:50], -v[55:56]
	;; [unrolled: 1-line block ×5, first 2 shown]
	v_mov_b32_e32 v49, 0x6b47b09a
	v_mov_b32_e32 v50, 0x3fc38538
	v_add_f64 v[23:24], v[23:24], v[47:48]
	v_add_f64 v[47:48], v[51:52], v[53:54]
	;; [unrolled: 1-line block ×3, first 2 shown]
	v_add_f64 v[45:46], v[47:48], -v[51:52]
	v_add_f64 v[23:24], v[57:58], v[23:24]
	v_add_f64 v[45:46], v[53:54], -v[45:46]
	v_mul_f64 v[23:24], v[43:44], v[23:24]
	v_add_f64 v[23:24], v[45:46], v[23:24]
	v_add_f64 v[43:44], v[47:48], v[23:24]
	v_mul_f64 v[45:46], v[43:44], v[43:44]
	v_fma_f64 v[49:50], v[45:46], s[6:7], v[49:50]
	s_mov_b32 s6, 0xd7f4df2e
	s_mov_b32 s7, 0x3fc7474d
	v_mul_f64 v[51:52], v[43:44], v[45:46]
	v_fma_f64 v[49:50], v[45:46], v[49:50], s[6:7]
	s_mov_b32 s6, 0x16291751
	s_mov_b32 s7, 0x3fcc71c0
	v_fma_f64 v[49:50], v[45:46], v[49:50], s[6:7]
	s_mov_b32 s6, 0x9b27acf1
	s_mov_b32 s7, 0x3fd24924
	;; [unrolled: 3-line block ×3, first 2 shown]
	v_fma_f64 v[49:50], v[45:46], v[49:50], s[6:7]
	v_cmp_nge_f64_e64 s[6:7], -1.0, v[21:22]
	v_fma_f64 v[45:46], v[45:46], v[49:50], s[18:19]
	v_ldexp_f64 v[49:50], v[43:44], 1
	v_add_f64 v[43:44], v[43:44], -v[47:48]
	s_mov_b32 s18, 0
	s_mov_b32 s19, 0x7ff00000
	v_cmp_neq_f64_e64 s[18:19], s[18:19], v[21:22]
	v_mul_f64 v[45:46], v[51:52], v[45:46]
	v_cvt_f64_i32_e32 v[51:52], v64
	v_add_f64 v[23:24], v[23:24], -v[43:44]
	v_mul_f64 v[53:54], v[51:52], s[24:25]
	s_and_b64 s[6:7], s[6:7], s[18:19]
	v_add_f64 v[47:48], v[49:50], v[45:46]
	v_ldexp_f64 v[23:24], v[23:24], 1
	v_add_f64 v[43:44], v[47:48], -v[49:50]
	v_fma_f64 v[49:50], v[51:52], s[24:25], -v[53:54]
	v_add_f64 v[43:44], v[45:46], -v[43:44]
	v_fma_f64 v[45:46], v[51:52], s[26:27], v[49:50]
	v_add_f64 v[23:24], v[23:24], v[43:44]
	v_add_f64 v[43:44], v[53:54], v[45:46]
	v_add_f64 v[49:50], v[47:48], v[23:24]
	v_add_f64 v[53:54], v[43:44], -v[53:54]
	v_add_f64 v[51:52], v[43:44], v[49:50]
	v_add_f64 v[47:48], v[49:50], -v[47:48]
	v_add_f64 v[45:46], v[45:46], -v[53:54]
	;; [unrolled: 1-line block ×6, first 2 shown]
	v_add_f64 v[49:50], v[45:46], v[23:24]
	v_add_f64 v[43:44], v[43:44], -v[57:58]
	v_add_f64 v[43:44], v[47:48], v[43:44]
	v_add_f64 v[47:48], v[49:50], -v[45:46]
	;; [unrolled: 2-line block ×3, first 2 shown]
	v_add_f64 v[23:24], v[23:24], -v[47:48]
	v_add_f64 v[53:54], v[51:52], v[43:44]
	v_add_f64 v[45:46], v[45:46], -v[49:50]
	v_add_f64 v[47:48], v[53:54], -v[51:52]
	v_add_f64 v[23:24], v[23:24], v[45:46]
	v_add_f64 v[43:44], v[43:44], -v[47:48]
	v_add_f64 v[23:24], v[23:24], v[43:44]
	v_mov_b32_e32 v43, 0x7ff80000
	v_mov_b32_e32 v44, 0xfff00000
	v_add_f64 v[23:24], v[53:54], v[23:24]
	v_cndmask_b32_e64 v23, 0, v23, s[6:7]
	v_cmp_ngt_f64_e64 s[6:7], -1.0, v[21:22]
	v_cndmask_b32_e64 v24, v63, v24, s[18:19]
	v_cndmask_b32_e64 v24, v43, v24, s[6:7]
	v_cmp_neq_f64_e64 s[6:7], -1.0, v[21:22]
	v_cndmask_b32_e64 v24, v44, v24, s[6:7]
	v_add_f64 v[21:22], v[1:2], v[23:24]
.LBB5_231:
	s_or_b64 exec, exec, s[22:23]
	v_max_f64 v[1:2], v[21:22], v[21:22]
	;;#ASMSTART
	;;#ASMEND
	v_min_f64 v[43:44], v[1:2], v[41:42]
	v_max_f64 v[47:48], v[1:2], v[41:42]
	v_mov_b32_e32 v1, v21
	v_mov_b32_e32 v2, v22
.LBB5_232:
	s_or_b64 exec, exec, s[20:21]
	v_cmp_u_f64_e64 s[6:7], v[1:2], v[1:2]
	s_movk_i32 s24, 0x1f8
	v_cndmask_b32_e64 v21, v43, v1, s[6:7]
	v_cndmask_b32_e64 v22, v44, v2, s[6:7]
	;; [unrolled: 1-line block ×4, first 2 shown]
	v_cndmask_b32_e32 v21, v21, v3, vcc
	v_cndmask_b32_e32 v22, v22, v4, vcc
	;; [unrolled: 1-line block ×4, first 2 shown]
	v_cmp_neq_f64_e32 vcc, v[21:22], v[3:4]
	v_cmp_class_f64_e64 s[6:7], v[21:22], s24
	v_mov_b32_e32 v24, v2
	v_mov_b32_e32 v23, v1
	s_or_b64 s[6:7], vcc, s[6:7]
	s_and_saveexec_b64 s[18:19], s[6:7]
	s_cbranch_execz .LBB5_234
; %bb.233:
	v_add_f64 v[21:22], v[21:22], -v[3:4]
	s_mov_b32 s6, 0x652b82fe
	s_mov_b32 s7, 0x3ff71547
	;; [unrolled: 1-line block ×6, first 2 shown]
	v_mov_b32_e32 v43, 0xfca7ab0c
	v_mul_f64 v[23:24], v[21:22], s[6:7]
	s_mov_b32 s6, 0x6a5dcb37
	v_mov_b32_e32 v44, 0x3e928af3
	s_mov_b32 s7, 0x3e5ade15
	s_mov_b32 s26, 0
	;; [unrolled: 1-line block ×3, first 2 shown]
	v_mov_b32_e32 v61, 0x7ff00000
	v_rndne_f64_e32 v[23:24], v[23:24]
	v_fma_f64 v[41:42], v[23:24], s[20:21], v[21:22]
	s_mov_b32 s21, 0x3fe62e42
	v_fma_f64 v[41:42], v[23:24], s[22:23], v[41:42]
	v_cvt_i32_f64_e32 v23, v[23:24]
	s_mov_b32 s23, 0x3c7abc9e
	v_fma_f64 v[43:44], v[41:42], s[6:7], v[43:44]
	s_mov_b32 s6, 0x623fde64
	s_mov_b32 s7, 0x3ec71dee
	v_fma_f64 v[43:44], v[41:42], v[43:44], s[6:7]
	s_mov_b32 s6, 0x7c89e6b0
	s_mov_b32 s7, 0x3efa0199
	v_fma_f64 v[43:44], v[41:42], v[43:44], s[6:7]
	s_mov_b32 s6, 0x14761f6e
	s_mov_b32 s7, 0x3f2a01a0
	v_fma_f64 v[43:44], v[41:42], v[43:44], s[6:7]
	s_mov_b32 s6, 0x1852b7b0
	s_mov_b32 s7, 0x3f56c16c
	v_fma_f64 v[43:44], v[41:42], v[43:44], s[6:7]
	s_mov_b32 s6, 0x11122322
	s_mov_b32 s7, 0x3f811111
	v_fma_f64 v[43:44], v[41:42], v[43:44], s[6:7]
	s_mov_b32 s6, 0x555502a1
	s_mov_b32 s7, 0x3fa55555
	v_fma_f64 v[43:44], v[41:42], v[43:44], s[6:7]
	s_mov_b32 s6, 0x55555511
	s_mov_b32 s7, 0x3fc55555
	v_fma_f64 v[43:44], v[41:42], v[43:44], s[6:7]
	s_mov_b32 s6, 11
	s_mov_b32 s7, 0x3fe00000
	v_fma_f64 v[43:44], v[41:42], v[43:44], s[6:7]
	s_mov_b32 s6, 0
	s_mov_b32 s7, 0x40900000
	v_cmp_nlt_f64_e32 vcc, s[6:7], v[21:22]
	v_cmp_ngt_f64_e64 s[6:7], s[26:27], v[21:22]
	s_mov_b32 s26, 0xbf559e2b
	s_mov_b32 s27, 0x3fc3ab76
	v_fma_f64 v[43:44], v[41:42], v[43:44], 1.0
	v_fma_f64 v[41:42], v[41:42], v[43:44], 1.0
	v_ldexp_f64 v[23:24], v[41:42], v23
	v_cndmask_b32_e32 v24, v61, v24, vcc
	s_and_b64 vcc, s[6:7], vcc
	v_cndmask_b32_e64 v22, 0, v24, s[6:7]
	v_cndmask_b32_e32 v21, 0, v23, vcc
	v_add_f64 v[23:24], v[21:22], 1.0
	s_mov_b32 s7, 0x3fe55555
	s_mov_b32 s6, 0x55555555
	v_frexp_mant_f64_e32 v[43:44], v[23:24]
	v_frexp_exp_i32_f64_e32 v47, v[23:24]
	v_add_f64 v[41:42], v[23:24], -1.0
	v_cmp_gt_f64_e32 vcc, s[6:7], v[43:44]
	s_mov_b32 s6, 0x55555780
	v_add_f64 v[45:46], v[41:42], -v[23:24]
	v_add_f64 v[41:42], v[21:22], -v[41:42]
	v_subbrev_co_u32_e32 v62, vcc, 0, v47, vcc
	v_sub_u32_e32 v47, 0, v62
	v_ldexp_f64 v[23:24], v[23:24], v47
	v_add_f64 v[43:44], v[45:46], 1.0
	v_cmp_nge_f64_e32 vcc, -1.0, v[21:22]
	v_add_f64 v[45:46], v[23:24], 1.0
	v_add_f64 v[41:42], v[41:42], v[43:44]
	v_add_f64 v[51:52], v[23:24], -1.0
	v_add_f64 v[43:44], v[45:46], -1.0
	v_ldexp_f64 v[41:42], v[41:42], v47
	v_add_f64 v[53:54], v[51:52], 1.0
	v_add_f64 v[43:44], v[23:24], -v[43:44]
	v_add_f64 v[23:24], v[23:24], -v[53:54]
	v_add_f64 v[43:44], v[41:42], v[43:44]
	v_add_f64 v[23:24], v[41:42], v[23:24]
	;; [unrolled: 1-line block ×4, first 2 shown]
	v_rcp_f64_e32 v[49:50], v[47:48]
	v_add_f64 v[45:46], v[47:48], -v[45:46]
	v_add_f64 v[51:52], v[53:54], -v[51:52]
	;; [unrolled: 1-line block ×4, first 2 shown]
	v_fma_f64 v[55:56], -v[47:48], v[49:50], 1.0
	v_fma_f64 v[49:50], v[55:56], v[49:50], v[49:50]
	v_fma_f64 v[41:42], -v[47:48], v[49:50], 1.0
	v_fma_f64 v[41:42], v[41:42], v[49:50], v[49:50]
	v_mul_f64 v[49:50], v[53:54], v[41:42]
	v_mul_f64 v[55:56], v[47:48], v[49:50]
	v_fma_f64 v[45:46], v[49:50], v[47:48], -v[55:56]
	v_fma_f64 v[45:46], v[49:50], v[43:44], v[45:46]
	v_add_f64 v[57:58], v[55:56], v[45:46]
	v_add_f64 v[59:60], v[53:54], -v[57:58]
	v_add_f64 v[51:52], v[57:58], -v[55:56]
	v_add_f64 v[53:54], v[53:54], -v[59:60]
	v_add_f64 v[45:46], v[51:52], -v[45:46]
	v_add_f64 v[53:54], v[53:54], -v[57:58]
	v_add_f64 v[23:24], v[23:24], v[53:54]
	v_add_f64 v[23:24], v[45:46], v[23:24]
	;; [unrolled: 1-line block ×3, first 2 shown]
	v_mul_f64 v[51:52], v[41:42], v[45:46]
	v_add_f64 v[57:58], v[59:60], -v[45:46]
	v_mul_f64 v[53:54], v[47:48], v[51:52]
	v_add_f64 v[23:24], v[23:24], v[57:58]
	v_fma_f64 v[47:48], v[51:52], v[47:48], -v[53:54]
	v_fma_f64 v[43:44], v[51:52], v[43:44], v[47:48]
	v_add_f64 v[47:48], v[53:54], v[43:44]
	v_add_f64 v[55:56], v[45:46], -v[47:48]
	v_add_f64 v[53:54], v[47:48], -v[53:54]
	;; [unrolled: 1-line block ×5, first 2 shown]
	v_mov_b32_e32 v47, 0x6b47b09a
	v_mov_b32_e32 v48, 0x3fc38538
	v_add_f64 v[23:24], v[23:24], v[45:46]
	v_add_f64 v[45:46], v[49:50], v[51:52]
	;; [unrolled: 1-line block ×3, first 2 shown]
	v_add_f64 v[43:44], v[45:46], -v[49:50]
	v_add_f64 v[23:24], v[55:56], v[23:24]
	v_add_f64 v[43:44], v[51:52], -v[43:44]
	v_mul_f64 v[23:24], v[41:42], v[23:24]
	v_add_f64 v[23:24], v[43:44], v[23:24]
	v_add_f64 v[41:42], v[45:46], v[23:24]
	v_mul_f64 v[43:44], v[41:42], v[41:42]
	v_fma_f64 v[47:48], v[43:44], s[26:27], v[47:48]
	s_mov_b32 s26, 0xd7f4df2e
	s_mov_b32 s27, 0x3fc7474d
	v_mul_f64 v[49:50], v[41:42], v[43:44]
	v_fma_f64 v[47:48], v[43:44], v[47:48], s[26:27]
	s_mov_b32 s26, 0x16291751
	s_mov_b32 s27, 0x3fcc71c0
	v_fma_f64 v[47:48], v[43:44], v[47:48], s[26:27]
	s_mov_b32 s26, 0x9b27acf1
	s_mov_b32 s27, 0x3fd24924
	;; [unrolled: 3-line block ×3, first 2 shown]
	v_fma_f64 v[47:48], v[43:44], v[47:48], s[26:27]
	v_fma_f64 v[43:44], v[43:44], v[47:48], s[6:7]
	v_ldexp_f64 v[47:48], v[41:42], 1
	v_add_f64 v[41:42], v[41:42], -v[45:46]
	s_mov_b32 s6, 0
	s_mov_b32 s7, 0x7ff00000
	v_cmp_neq_f64_e64 s[6:7], s[6:7], v[21:22]
	v_mul_f64 v[43:44], v[49:50], v[43:44]
	v_cvt_f64_i32_e32 v[49:50], v62
	v_add_f64 v[23:24], v[23:24], -v[41:42]
	v_mul_f64 v[51:52], v[49:50], s[20:21]
	s_and_b64 vcc, vcc, s[6:7]
	v_add_f64 v[45:46], v[47:48], v[43:44]
	v_ldexp_f64 v[23:24], v[23:24], 1
	v_add_f64 v[41:42], v[45:46], -v[47:48]
	v_fma_f64 v[47:48], v[49:50], s[20:21], -v[51:52]
	v_add_f64 v[41:42], v[43:44], -v[41:42]
	v_fma_f64 v[43:44], v[49:50], s[22:23], v[47:48]
	v_add_f64 v[23:24], v[23:24], v[41:42]
	v_add_f64 v[41:42], v[51:52], v[43:44]
	;; [unrolled: 1-line block ×3, first 2 shown]
	v_add_f64 v[51:52], v[41:42], -v[51:52]
	v_add_f64 v[49:50], v[41:42], v[47:48]
	v_add_f64 v[45:46], v[47:48], -v[45:46]
	v_add_f64 v[43:44], v[43:44], -v[51:52]
	;; [unrolled: 1-line block ×6, first 2 shown]
	v_add_f64 v[47:48], v[43:44], v[23:24]
	v_add_f64 v[41:42], v[41:42], -v[55:56]
	v_add_f64 v[41:42], v[45:46], v[41:42]
	v_add_f64 v[45:46], v[47:48], -v[43:44]
	;; [unrolled: 2-line block ×3, first 2 shown]
	v_add_f64 v[23:24], v[23:24], -v[45:46]
	v_add_f64 v[51:52], v[49:50], v[41:42]
	v_add_f64 v[43:44], v[43:44], -v[47:48]
	v_add_f64 v[45:46], v[51:52], -v[49:50]
	v_add_f64 v[23:24], v[23:24], v[43:44]
	v_add_f64 v[41:42], v[41:42], -v[45:46]
	v_add_f64 v[23:24], v[23:24], v[41:42]
	v_mov_b32_e32 v41, 0x7ff80000
	v_mov_b32_e32 v42, 0xfff00000
	v_add_f64 v[23:24], v[51:52], v[23:24]
	v_cndmask_b32_e32 v23, 0, v23, vcc
	v_cmp_ngt_f64_e32 vcc, -1.0, v[21:22]
	v_cndmask_b32_e64 v24, v61, v24, s[6:7]
	v_cndmask_b32_e32 v24, v41, v24, vcc
	v_cmp_neq_f64_e32 vcc, -1.0, v[21:22]
	v_cndmask_b32_e32 v24, v42, v24, vcc
	v_add_f64 v[23:24], v[3:4], v[23:24]
.LBB5_234:
	s_or_b64 exec, exec, s[18:19]
	v_max_f64 v[3:4], v[23:24], v[23:24]
	v_cmp_u_f64_e32 vcc, v[23:24], v[23:24]
	v_min_f64 v[21:22], v[3:4], v[25:26]
	v_max_f64 v[3:4], v[3:4], v[25:26]
	v_mov_b32_e32 v26, v24
	v_mov_b32_e32 v25, v23
	v_cndmask_b32_e32 v21, v21, v23, vcc
	v_cndmask_b32_e32 v22, v22, v24, vcc
	;; [unrolled: 1-line block ×4, first 2 shown]
	v_cndmask_b32_e64 v22, v22, v18, s[4:5]
	v_cndmask_b32_e64 v21, v21, v17, s[4:5]
	;; [unrolled: 1-line block ×4, first 2 shown]
	v_cmp_neq_f64_e32 vcc, v[21:22], v[3:4]
	v_cmp_class_f64_e64 s[4:5], v[21:22], s24
	s_or_b64 s[4:5], vcc, s[4:5]
	s_and_saveexec_b64 s[6:7], s[4:5]
	s_cbranch_execz .LBB5_236
; %bb.235:
	v_add_f64 v[17:18], v[21:22], -v[3:4]
	s_mov_b32 s4, 0x652b82fe
	s_mov_b32 s5, 0x3ff71547
	;; [unrolled: 1-line block ×6, first 2 shown]
	v_mov_b32_e32 v41, 0xfca7ab0c
	v_mul_f64 v[21:22], v[17:18], s[4:5]
	s_mov_b32 s4, 0x6a5dcb37
	v_mov_b32_e32 v42, 0x3e928af3
	s_mov_b32 s5, 0x3e5ade15
	s_mov_b32 s22, 0
	;; [unrolled: 1-line block ×3, first 2 shown]
	v_mov_b32_e32 v59, 0x7ff00000
	v_rndne_f64_e32 v[21:22], v[21:22]
	v_fma_f64 v[25:26], v[21:22], s[18:19], v[17:18]
	s_mov_b32 s19, 0x3fe62e42
	v_fma_f64 v[25:26], v[21:22], s[20:21], v[25:26]
	v_cvt_i32_f64_e32 v21, v[21:22]
	s_mov_b32 s21, 0x3c7abc9e
	v_fma_f64 v[41:42], v[25:26], s[4:5], v[41:42]
	s_mov_b32 s4, 0x623fde64
	s_mov_b32 s5, 0x3ec71dee
	v_fma_f64 v[41:42], v[25:26], v[41:42], s[4:5]
	s_mov_b32 s4, 0x7c89e6b0
	;; [unrolled: 3-line block ×9, first 2 shown]
	s_mov_b32 s5, 0x40900000
	v_cmp_nlt_f64_e32 vcc, s[4:5], v[17:18]
	v_cmp_ngt_f64_e64 s[4:5], s[22:23], v[17:18]
	s_mov_b32 s22, 0xbf559e2b
	s_mov_b32 s23, 0x3fc3ab76
	v_fma_f64 v[41:42], v[25:26], v[41:42], 1.0
	v_fma_f64 v[25:26], v[25:26], v[41:42], 1.0
	v_ldexp_f64 v[21:22], v[25:26], v21
	v_cndmask_b32_e32 v22, v59, v22, vcc
	s_and_b64 vcc, s[4:5], vcc
	v_cndmask_b32_e64 v18, 0, v22, s[4:5]
	v_cndmask_b32_e32 v17, 0, v21, vcc
	v_add_f64 v[21:22], v[17:18], 1.0
	s_mov_b32 s5, 0x3fe55555
	s_mov_b32 s4, 0x55555555
	v_frexp_mant_f64_e32 v[41:42], v[21:22]
	v_frexp_exp_i32_f64_e32 v45, v[21:22]
	v_add_f64 v[25:26], v[21:22], -1.0
	v_cmp_gt_f64_e32 vcc, s[4:5], v[41:42]
	s_mov_b32 s4, 0x55555780
	v_add_f64 v[43:44], v[25:26], -v[21:22]
	v_add_f64 v[25:26], v[17:18], -v[25:26]
	v_subbrev_co_u32_e32 v60, vcc, 0, v45, vcc
	v_sub_u32_e32 v45, 0, v60
	v_ldexp_f64 v[21:22], v[21:22], v45
	v_add_f64 v[41:42], v[43:44], 1.0
	v_cmp_nge_f64_e32 vcc, -1.0, v[17:18]
	v_add_f64 v[43:44], v[21:22], 1.0
	v_add_f64 v[25:26], v[25:26], v[41:42]
	v_add_f64 v[49:50], v[21:22], -1.0
	v_add_f64 v[41:42], v[43:44], -1.0
	v_ldexp_f64 v[25:26], v[25:26], v45
	v_add_f64 v[51:52], v[49:50], 1.0
	v_add_f64 v[41:42], v[21:22], -v[41:42]
	v_add_f64 v[21:22], v[21:22], -v[51:52]
	v_add_f64 v[41:42], v[25:26], v[41:42]
	v_add_f64 v[21:22], v[25:26], v[21:22]
	;; [unrolled: 1-line block ×4, first 2 shown]
	v_rcp_f64_e32 v[47:48], v[45:46]
	v_add_f64 v[43:44], v[45:46], -v[43:44]
	v_add_f64 v[49:50], v[51:52], -v[49:50]
	;; [unrolled: 1-line block ×4, first 2 shown]
	v_fma_f64 v[53:54], -v[45:46], v[47:48], 1.0
	v_fma_f64 v[47:48], v[53:54], v[47:48], v[47:48]
	v_fma_f64 v[25:26], -v[45:46], v[47:48], 1.0
	v_fma_f64 v[25:26], v[25:26], v[47:48], v[47:48]
	v_mul_f64 v[47:48], v[51:52], v[25:26]
	v_mul_f64 v[53:54], v[45:46], v[47:48]
	v_fma_f64 v[43:44], v[47:48], v[45:46], -v[53:54]
	v_fma_f64 v[43:44], v[47:48], v[41:42], v[43:44]
	v_add_f64 v[55:56], v[53:54], v[43:44]
	v_add_f64 v[57:58], v[51:52], -v[55:56]
	v_add_f64 v[49:50], v[55:56], -v[53:54]
	;; [unrolled: 1-line block ×5, first 2 shown]
	v_add_f64 v[21:22], v[21:22], v[51:52]
	v_add_f64 v[21:22], v[43:44], v[21:22]
	v_add_f64 v[43:44], v[57:58], v[21:22]
	v_mul_f64 v[49:50], v[25:26], v[43:44]
	v_add_f64 v[55:56], v[57:58], -v[43:44]
	v_mul_f64 v[51:52], v[45:46], v[49:50]
	v_add_f64 v[21:22], v[21:22], v[55:56]
	v_fma_f64 v[45:46], v[49:50], v[45:46], -v[51:52]
	v_fma_f64 v[41:42], v[49:50], v[41:42], v[45:46]
	v_add_f64 v[45:46], v[51:52], v[41:42]
	v_add_f64 v[53:54], v[43:44], -v[45:46]
	v_add_f64 v[51:52], v[45:46], -v[51:52]
	;; [unrolled: 1-line block ×5, first 2 shown]
	v_mov_b32_e32 v45, 0x6b47b09a
	v_mov_b32_e32 v46, 0x3fc38538
	v_add_f64 v[21:22], v[21:22], v[43:44]
	v_add_f64 v[43:44], v[47:48], v[49:50]
	;; [unrolled: 1-line block ×3, first 2 shown]
	v_add_f64 v[41:42], v[43:44], -v[47:48]
	v_add_f64 v[21:22], v[53:54], v[21:22]
	v_add_f64 v[41:42], v[49:50], -v[41:42]
	v_mul_f64 v[21:22], v[25:26], v[21:22]
	v_add_f64 v[21:22], v[41:42], v[21:22]
	v_add_f64 v[25:26], v[43:44], v[21:22]
	v_mul_f64 v[41:42], v[25:26], v[25:26]
	v_fma_f64 v[45:46], v[41:42], s[22:23], v[45:46]
	s_mov_b32 s22, 0xd7f4df2e
	s_mov_b32 s23, 0x3fc7474d
	v_mul_f64 v[47:48], v[25:26], v[41:42]
	v_fma_f64 v[45:46], v[41:42], v[45:46], s[22:23]
	s_mov_b32 s22, 0x16291751
	s_mov_b32 s23, 0x3fcc71c0
	v_fma_f64 v[45:46], v[41:42], v[45:46], s[22:23]
	s_mov_b32 s22, 0x9b27acf1
	s_mov_b32 s23, 0x3fd24924
	;; [unrolled: 3-line block ×3, first 2 shown]
	v_fma_f64 v[45:46], v[41:42], v[45:46], s[22:23]
	v_fma_f64 v[41:42], v[41:42], v[45:46], s[4:5]
	v_ldexp_f64 v[45:46], v[25:26], 1
	v_add_f64 v[25:26], v[25:26], -v[43:44]
	s_mov_b32 s4, 0
	s_mov_b32 s5, 0x7ff00000
	v_cmp_neq_f64_e64 s[4:5], s[4:5], v[17:18]
	v_mul_f64 v[41:42], v[47:48], v[41:42]
	v_cvt_f64_i32_e32 v[47:48], v60
	v_add_f64 v[21:22], v[21:22], -v[25:26]
	v_mul_f64 v[49:50], v[47:48], s[18:19]
	s_and_b64 vcc, vcc, s[4:5]
	v_add_f64 v[43:44], v[45:46], v[41:42]
	v_ldexp_f64 v[21:22], v[21:22], 1
	v_add_f64 v[25:26], v[43:44], -v[45:46]
	v_fma_f64 v[45:46], v[47:48], s[18:19], -v[49:50]
	v_add_f64 v[25:26], v[41:42], -v[25:26]
	v_fma_f64 v[41:42], v[47:48], s[20:21], v[45:46]
	v_add_f64 v[21:22], v[21:22], v[25:26]
	v_add_f64 v[25:26], v[49:50], v[41:42]
	;; [unrolled: 1-line block ×3, first 2 shown]
	v_add_f64 v[49:50], v[25:26], -v[49:50]
	v_add_f64 v[47:48], v[25:26], v[45:46]
	v_add_f64 v[43:44], v[45:46], -v[43:44]
	v_add_f64 v[41:42], v[41:42], -v[49:50]
	;; [unrolled: 1-line block ×6, first 2 shown]
	v_add_f64 v[45:46], v[41:42], v[21:22]
	v_add_f64 v[25:26], v[25:26], -v[53:54]
	v_add_f64 v[25:26], v[43:44], v[25:26]
	v_add_f64 v[43:44], v[45:46], -v[41:42]
	;; [unrolled: 2-line block ×3, first 2 shown]
	v_add_f64 v[21:22], v[21:22], -v[43:44]
	v_add_f64 v[49:50], v[47:48], v[25:26]
	v_add_f64 v[41:42], v[41:42], -v[45:46]
	v_add_f64 v[43:44], v[49:50], -v[47:48]
	v_add_f64 v[21:22], v[21:22], v[41:42]
	v_add_f64 v[25:26], v[25:26], -v[43:44]
	v_add_f64 v[21:22], v[21:22], v[25:26]
	v_mov_b32_e32 v25, 0x7ff80000
	v_mov_b32_e32 v26, 0xfff00000
	v_add_f64 v[21:22], v[49:50], v[21:22]
	v_cndmask_b32_e32 v21, 0, v21, vcc
	v_cmp_ngt_f64_e32 vcc, -1.0, v[17:18]
	v_cndmask_b32_e64 v22, v59, v22, s[4:5]
	v_cndmask_b32_e32 v22, v25, v22, vcc
	v_cmp_neq_f64_e32 vcc, -1.0, v[17:18]
	v_cndmask_b32_e32 v22, v26, v22, vcc
	v_add_f64 v[25:26], v[3:4], v[21:22]
.LBB5_236:
	s_or_b64 exec, exec, s[6:7]
	v_max_f64 v[3:4], v[25:26], v[25:26]
	v_cmp_u_f64_e32 vcc, v[25:26], v[25:26]
	s_movk_i32 s20, 0x1f8
	v_min_f64 v[17:18], v[3:4], v[27:28]
	v_max_f64 v[3:4], v[3:4], v[27:28]
	v_mov_b32_e32 v28, v26
	v_mov_b32_e32 v27, v25
	v_cndmask_b32_e32 v17, v17, v25, vcc
	v_cndmask_b32_e32 v18, v18, v26, vcc
	;; [unrolled: 1-line block ×4, first 2 shown]
	v_cndmask_b32_e64 v18, v18, v20, s[0:1]
	v_cndmask_b32_e64 v17, v17, v19, s[0:1]
	;; [unrolled: 1-line block ×4, first 2 shown]
	v_cmp_neq_f64_e32 vcc, v[17:18], v[3:4]
	v_cmp_class_f64_e64 s[0:1], v[17:18], s20
	s_or_b64 s[0:1], vcc, s[0:1]
	s_and_saveexec_b64 s[4:5], s[0:1]
	s_cbranch_execz .LBB5_238
; %bb.237:
	v_add_f64 v[17:18], v[17:18], -v[3:4]
	s_mov_b32 s0, 0x652b82fe
	s_mov_b32 s1, 0x3ff71547
	;; [unrolled: 1-line block ×6, first 2 shown]
	v_mov_b32_e32 v27, 0xfca7ab0c
	v_mul_f64 v[19:20], v[17:18], s[0:1]
	s_mov_b32 s0, 0x6a5dcb37
	v_mov_b32_e32 v28, 0x3e928af3
	s_mov_b32 s1, 0x3e5ade15
	s_mov_b32 s22, 0
	;; [unrolled: 1-line block ×3, first 2 shown]
	v_mov_b32_e32 v57, 0x7ff00000
	v_rndne_f64_e32 v[19:20], v[19:20]
	v_fma_f64 v[21:22], v[19:20], s[6:7], v[17:18]
	s_mov_b32 s7, 0x3fe62e42
	v_fma_f64 v[21:22], v[19:20], s[18:19], v[21:22]
	v_cvt_i32_f64_e32 v19, v[19:20]
	s_mov_b32 s19, 0x3c7abc9e
	v_fma_f64 v[27:28], v[21:22], s[0:1], v[27:28]
	s_mov_b32 s0, 0x623fde64
	s_mov_b32 s1, 0x3ec71dee
	v_fma_f64 v[27:28], v[21:22], v[27:28], s[0:1]
	s_mov_b32 s0, 0x7c89e6b0
	;; [unrolled: 3-line block ×9, first 2 shown]
	s_mov_b32 s1, 0x40900000
	v_cmp_nlt_f64_e32 vcc, s[0:1], v[17:18]
	v_cmp_ngt_f64_e64 s[0:1], s[22:23], v[17:18]
	s_mov_b32 s22, 0xbf559e2b
	s_mov_b32 s23, 0x3fc3ab76
	v_fma_f64 v[27:28], v[21:22], v[27:28], 1.0
	v_fma_f64 v[21:22], v[21:22], v[27:28], 1.0
	v_ldexp_f64 v[19:20], v[21:22], v19
	v_cndmask_b32_e32 v20, v57, v20, vcc
	s_and_b64 vcc, s[0:1], vcc
	v_cndmask_b32_e64 v18, 0, v20, s[0:1]
	v_cndmask_b32_e32 v17, 0, v19, vcc
	v_add_f64 v[19:20], v[17:18], 1.0
	s_mov_b32 s1, 0x3fe55555
	s_mov_b32 s0, 0x55555555
	v_frexp_mant_f64_e32 v[27:28], v[19:20]
	v_frexp_exp_i32_f64_e32 v43, v[19:20]
	v_add_f64 v[21:22], v[19:20], -1.0
	v_cmp_gt_f64_e32 vcc, s[0:1], v[27:28]
	s_mov_b32 s0, 0x55555780
	v_add_f64 v[41:42], v[21:22], -v[19:20]
	v_add_f64 v[21:22], v[17:18], -v[21:22]
	v_subbrev_co_u32_e32 v58, vcc, 0, v43, vcc
	v_sub_u32_e32 v43, 0, v58
	v_ldexp_f64 v[19:20], v[19:20], v43
	v_add_f64 v[27:28], v[41:42], 1.0
	v_cmp_nge_f64_e32 vcc, -1.0, v[17:18]
	v_add_f64 v[41:42], v[19:20], 1.0
	v_add_f64 v[21:22], v[21:22], v[27:28]
	v_add_f64 v[47:48], v[19:20], -1.0
	v_add_f64 v[27:28], v[41:42], -1.0
	v_ldexp_f64 v[21:22], v[21:22], v43
	v_add_f64 v[49:50], v[47:48], 1.0
	v_add_f64 v[27:28], v[19:20], -v[27:28]
	v_add_f64 v[19:20], v[19:20], -v[49:50]
	v_add_f64 v[27:28], v[21:22], v[27:28]
	v_add_f64 v[19:20], v[21:22], v[19:20]
	;; [unrolled: 1-line block ×4, first 2 shown]
	v_rcp_f64_e32 v[45:46], v[43:44]
	v_add_f64 v[41:42], v[43:44], -v[41:42]
	v_add_f64 v[47:48], v[49:50], -v[47:48]
	;; [unrolled: 1-line block ×4, first 2 shown]
	v_fma_f64 v[51:52], -v[43:44], v[45:46], 1.0
	v_fma_f64 v[45:46], v[51:52], v[45:46], v[45:46]
	v_fma_f64 v[21:22], -v[43:44], v[45:46], 1.0
	v_fma_f64 v[21:22], v[21:22], v[45:46], v[45:46]
	v_mul_f64 v[45:46], v[49:50], v[21:22]
	v_mul_f64 v[51:52], v[43:44], v[45:46]
	v_fma_f64 v[41:42], v[45:46], v[43:44], -v[51:52]
	v_fma_f64 v[41:42], v[45:46], v[27:28], v[41:42]
	v_add_f64 v[53:54], v[51:52], v[41:42]
	v_add_f64 v[55:56], v[49:50], -v[53:54]
	v_add_f64 v[47:48], v[53:54], -v[51:52]
	;; [unrolled: 1-line block ×5, first 2 shown]
	v_add_f64 v[19:20], v[19:20], v[49:50]
	v_add_f64 v[19:20], v[41:42], v[19:20]
	v_add_f64 v[41:42], v[55:56], v[19:20]
	v_mul_f64 v[47:48], v[21:22], v[41:42]
	v_add_f64 v[53:54], v[55:56], -v[41:42]
	v_mul_f64 v[49:50], v[43:44], v[47:48]
	v_add_f64 v[19:20], v[19:20], v[53:54]
	v_fma_f64 v[43:44], v[47:48], v[43:44], -v[49:50]
	v_fma_f64 v[27:28], v[47:48], v[27:28], v[43:44]
	v_add_f64 v[43:44], v[49:50], v[27:28]
	v_add_f64 v[51:52], v[41:42], -v[43:44]
	v_add_f64 v[49:50], v[43:44], -v[49:50]
	v_add_f64 v[41:42], v[41:42], -v[51:52]
	v_add_f64 v[27:28], v[49:50], -v[27:28]
	v_add_f64 v[41:42], v[41:42], -v[43:44]
	v_mov_b32_e32 v43, 0x6b47b09a
	v_mov_b32_e32 v44, 0x3fc38538
	v_add_f64 v[19:20], v[19:20], v[41:42]
	v_add_f64 v[41:42], v[45:46], v[47:48]
	;; [unrolled: 1-line block ×3, first 2 shown]
	v_add_f64 v[27:28], v[41:42], -v[45:46]
	v_add_f64 v[19:20], v[51:52], v[19:20]
	v_add_f64 v[27:28], v[47:48], -v[27:28]
	v_mul_f64 v[19:20], v[21:22], v[19:20]
	v_add_f64 v[19:20], v[27:28], v[19:20]
	v_add_f64 v[21:22], v[41:42], v[19:20]
	v_mul_f64 v[27:28], v[21:22], v[21:22]
	v_fma_f64 v[43:44], v[27:28], s[22:23], v[43:44]
	s_mov_b32 s22, 0xd7f4df2e
	s_mov_b32 s23, 0x3fc7474d
	v_mul_f64 v[45:46], v[21:22], v[27:28]
	v_fma_f64 v[43:44], v[27:28], v[43:44], s[22:23]
	s_mov_b32 s22, 0x16291751
	s_mov_b32 s23, 0x3fcc71c0
	v_fma_f64 v[43:44], v[27:28], v[43:44], s[22:23]
	s_mov_b32 s22, 0x9b27acf1
	s_mov_b32 s23, 0x3fd24924
	;; [unrolled: 3-line block ×3, first 2 shown]
	v_fma_f64 v[43:44], v[27:28], v[43:44], s[22:23]
	v_fma_f64 v[27:28], v[27:28], v[43:44], s[0:1]
	v_ldexp_f64 v[43:44], v[21:22], 1
	v_add_f64 v[21:22], v[21:22], -v[41:42]
	s_mov_b32 s0, 0
	s_mov_b32 s1, 0x7ff00000
	v_cmp_neq_f64_e64 s[0:1], s[0:1], v[17:18]
	v_mul_f64 v[27:28], v[45:46], v[27:28]
	v_cvt_f64_i32_e32 v[45:46], v58
	v_add_f64 v[19:20], v[19:20], -v[21:22]
	v_mul_f64 v[47:48], v[45:46], s[6:7]
	s_and_b64 vcc, vcc, s[0:1]
	v_add_f64 v[41:42], v[43:44], v[27:28]
	v_ldexp_f64 v[19:20], v[19:20], 1
	v_add_f64 v[21:22], v[41:42], -v[43:44]
	v_fma_f64 v[43:44], v[45:46], s[6:7], -v[47:48]
	v_add_f64 v[21:22], v[27:28], -v[21:22]
	v_fma_f64 v[27:28], v[45:46], s[18:19], v[43:44]
	v_add_f64 v[19:20], v[19:20], v[21:22]
	v_add_f64 v[21:22], v[47:48], v[27:28]
	;; [unrolled: 1-line block ×3, first 2 shown]
	v_add_f64 v[47:48], v[21:22], -v[47:48]
	v_add_f64 v[45:46], v[21:22], v[43:44]
	v_add_f64 v[41:42], v[43:44], -v[41:42]
	v_add_f64 v[27:28], v[27:28], -v[47:48]
	;; [unrolled: 1-line block ×6, first 2 shown]
	v_add_f64 v[43:44], v[27:28], v[19:20]
	v_add_f64 v[21:22], v[21:22], -v[51:52]
	v_add_f64 v[21:22], v[41:42], v[21:22]
	v_add_f64 v[41:42], v[43:44], -v[27:28]
	;; [unrolled: 2-line block ×3, first 2 shown]
	v_add_f64 v[19:20], v[19:20], -v[41:42]
	v_add_f64 v[47:48], v[45:46], v[21:22]
	v_add_f64 v[27:28], v[27:28], -v[43:44]
	v_add_f64 v[41:42], v[47:48], -v[45:46]
	v_add_f64 v[19:20], v[19:20], v[27:28]
	v_add_f64 v[21:22], v[21:22], -v[41:42]
	v_add_f64 v[19:20], v[19:20], v[21:22]
	v_mov_b32_e32 v21, 0x7ff80000
	v_mov_b32_e32 v22, 0xfff00000
	v_add_f64 v[19:20], v[47:48], v[19:20]
	v_cndmask_b32_e32 v19, 0, v19, vcc
	v_cmp_ngt_f64_e32 vcc, -1.0, v[17:18]
	v_cndmask_b32_e64 v20, v57, v20, s[0:1]
	v_cndmask_b32_e32 v20, v21, v20, vcc
	v_cmp_neq_f64_e32 vcc, -1.0, v[17:18]
	v_cndmask_b32_e32 v20, v22, v20, vcc
	v_add_f64 v[27:28], v[3:4], v[19:20]
.LBB5_238:
	s_or_b64 exec, exec, s[4:5]
	v_max_f64 v[3:4], v[27:28], v[27:28]
	v_cmp_u_f64_e32 vcc, v[27:28], v[27:28]
	v_min_f64 v[17:18], v[3:4], v[29:30]
	v_max_f64 v[3:4], v[3:4], v[29:30]
	v_mov_b32_e32 v30, v28
	v_mov_b32_e32 v29, v27
	v_cndmask_b32_e32 v17, v17, v27, vcc
	v_cndmask_b32_e32 v18, v18, v28, vcc
	;; [unrolled: 1-line block ×4, first 2 shown]
	v_cndmask_b32_e64 v18, v18, v14, s[10:11]
	v_cndmask_b32_e64 v17, v17, v13, s[10:11]
	;; [unrolled: 1-line block ×4, first 2 shown]
	v_cmp_neq_f64_e32 vcc, v[17:18], v[3:4]
	v_cmp_class_f64_e64 s[0:1], v[17:18], s20
	s_or_b64 s[0:1], vcc, s[0:1]
	s_and_saveexec_b64 s[4:5], s[0:1]
	s_cbranch_execz .LBB5_240
; %bb.239:
	v_add_f64 v[13:14], v[17:18], -v[3:4]
	s_mov_b32 s0, 0x652b82fe
	s_mov_b32 s1, 0x3ff71547
	;; [unrolled: 1-line block ×6, first 2 shown]
	v_mov_b32_e32 v21, 0xfca7ab0c
	v_mul_f64 v[17:18], v[13:14], s[0:1]
	s_mov_b32 s0, 0x6a5dcb37
	v_mov_b32_e32 v22, 0x3e928af3
	s_mov_b32 s1, 0x3e5ade15
	s_mov_b32 s18, 0
	;; [unrolled: 1-line block ×3, first 2 shown]
	v_mov_b32_e32 v55, 0x7ff00000
	v_rndne_f64_e32 v[17:18], v[17:18]
	v_fma_f64 v[19:20], v[17:18], s[6:7], v[13:14]
	s_mov_b32 s7, 0x3fe62e42
	v_fma_f64 v[19:20], v[17:18], s[10:11], v[19:20]
	v_cvt_i32_f64_e32 v17, v[17:18]
	s_mov_b32 s11, 0x3c7abc9e
	v_fma_f64 v[21:22], v[19:20], s[0:1], v[21:22]
	s_mov_b32 s0, 0x623fde64
	s_mov_b32 s1, 0x3ec71dee
	v_fma_f64 v[21:22], v[19:20], v[21:22], s[0:1]
	s_mov_b32 s0, 0x7c89e6b0
	;; [unrolled: 3-line block ×9, first 2 shown]
	s_mov_b32 s1, 0x40900000
	v_cmp_nlt_f64_e32 vcc, s[0:1], v[13:14]
	v_cmp_ngt_f64_e64 s[0:1], s[18:19], v[13:14]
	s_mov_b32 s18, 0xbf559e2b
	s_mov_b32 s19, 0x3fc3ab76
	v_fma_f64 v[21:22], v[19:20], v[21:22], 1.0
	v_fma_f64 v[19:20], v[19:20], v[21:22], 1.0
	v_ldexp_f64 v[17:18], v[19:20], v17
	v_cndmask_b32_e32 v18, v55, v18, vcc
	s_and_b64 vcc, s[0:1], vcc
	v_cndmask_b32_e64 v14, 0, v18, s[0:1]
	v_cndmask_b32_e32 v13, 0, v17, vcc
	v_add_f64 v[17:18], v[13:14], 1.0
	s_mov_b32 s1, 0x3fe55555
	s_mov_b32 s0, 0x55555555
	v_frexp_mant_f64_e32 v[21:22], v[17:18]
	v_frexp_exp_i32_f64_e32 v41, v[17:18]
	v_add_f64 v[19:20], v[17:18], -1.0
	v_cmp_gt_f64_e32 vcc, s[0:1], v[21:22]
	s_mov_b32 s0, 0x55555780
	v_add_f64 v[29:30], v[19:20], -v[17:18]
	v_add_f64 v[19:20], v[13:14], -v[19:20]
	v_subbrev_co_u32_e32 v56, vcc, 0, v41, vcc
	v_sub_u32_e32 v41, 0, v56
	v_ldexp_f64 v[17:18], v[17:18], v41
	v_add_f64 v[21:22], v[29:30], 1.0
	v_cmp_nge_f64_e32 vcc, -1.0, v[13:14]
	v_add_f64 v[29:30], v[17:18], 1.0
	v_add_f64 v[19:20], v[19:20], v[21:22]
	v_add_f64 v[45:46], v[17:18], -1.0
	v_add_f64 v[21:22], v[29:30], -1.0
	v_ldexp_f64 v[19:20], v[19:20], v41
	v_add_f64 v[47:48], v[45:46], 1.0
	v_add_f64 v[21:22], v[17:18], -v[21:22]
	v_add_f64 v[17:18], v[17:18], -v[47:48]
	v_add_f64 v[21:22], v[19:20], v[21:22]
	v_add_f64 v[17:18], v[19:20], v[17:18]
	;; [unrolled: 1-line block ×4, first 2 shown]
	v_rcp_f64_e32 v[43:44], v[41:42]
	v_add_f64 v[29:30], v[41:42], -v[29:30]
	v_add_f64 v[45:46], v[47:48], -v[45:46]
	;; [unrolled: 1-line block ×4, first 2 shown]
	v_fma_f64 v[49:50], -v[41:42], v[43:44], 1.0
	v_fma_f64 v[43:44], v[49:50], v[43:44], v[43:44]
	v_fma_f64 v[19:20], -v[41:42], v[43:44], 1.0
	v_fma_f64 v[19:20], v[19:20], v[43:44], v[43:44]
	v_mul_f64 v[43:44], v[47:48], v[19:20]
	v_mul_f64 v[49:50], v[41:42], v[43:44]
	v_fma_f64 v[29:30], v[43:44], v[41:42], -v[49:50]
	v_fma_f64 v[29:30], v[43:44], v[21:22], v[29:30]
	v_add_f64 v[51:52], v[49:50], v[29:30]
	v_add_f64 v[53:54], v[47:48], -v[51:52]
	v_add_f64 v[45:46], v[51:52], -v[49:50]
	;; [unrolled: 1-line block ×5, first 2 shown]
	v_add_f64 v[17:18], v[17:18], v[47:48]
	v_add_f64 v[17:18], v[29:30], v[17:18]
	v_add_f64 v[29:30], v[53:54], v[17:18]
	v_mul_f64 v[45:46], v[19:20], v[29:30]
	v_add_f64 v[51:52], v[53:54], -v[29:30]
	v_mul_f64 v[47:48], v[41:42], v[45:46]
	v_add_f64 v[17:18], v[17:18], v[51:52]
	v_fma_f64 v[41:42], v[45:46], v[41:42], -v[47:48]
	v_fma_f64 v[21:22], v[45:46], v[21:22], v[41:42]
	v_add_f64 v[41:42], v[47:48], v[21:22]
	v_add_f64 v[49:50], v[29:30], -v[41:42]
	v_add_f64 v[47:48], v[41:42], -v[47:48]
	;; [unrolled: 1-line block ×5, first 2 shown]
	v_mov_b32_e32 v41, 0x6b47b09a
	v_mov_b32_e32 v42, 0x3fc38538
	v_add_f64 v[17:18], v[17:18], v[29:30]
	v_add_f64 v[29:30], v[43:44], v[45:46]
	;; [unrolled: 1-line block ×3, first 2 shown]
	v_add_f64 v[21:22], v[29:30], -v[43:44]
	v_add_f64 v[17:18], v[49:50], v[17:18]
	v_add_f64 v[21:22], v[45:46], -v[21:22]
	v_mul_f64 v[17:18], v[19:20], v[17:18]
	v_add_f64 v[17:18], v[21:22], v[17:18]
	v_add_f64 v[19:20], v[29:30], v[17:18]
	v_mul_f64 v[21:22], v[19:20], v[19:20]
	v_fma_f64 v[41:42], v[21:22], s[18:19], v[41:42]
	s_mov_b32 s18, 0xd7f4df2e
	s_mov_b32 s19, 0x3fc7474d
	v_mul_f64 v[43:44], v[19:20], v[21:22]
	v_fma_f64 v[41:42], v[21:22], v[41:42], s[18:19]
	s_mov_b32 s18, 0x16291751
	s_mov_b32 s19, 0x3fcc71c0
	v_fma_f64 v[41:42], v[21:22], v[41:42], s[18:19]
	s_mov_b32 s18, 0x9b27acf1
	s_mov_b32 s19, 0x3fd24924
	;; [unrolled: 3-line block ×3, first 2 shown]
	v_fma_f64 v[41:42], v[21:22], v[41:42], s[18:19]
	v_fma_f64 v[21:22], v[21:22], v[41:42], s[0:1]
	v_ldexp_f64 v[41:42], v[19:20], 1
	v_add_f64 v[19:20], v[19:20], -v[29:30]
	s_mov_b32 s0, 0
	s_mov_b32 s1, 0x7ff00000
	v_cmp_neq_f64_e64 s[0:1], s[0:1], v[13:14]
	v_mul_f64 v[21:22], v[43:44], v[21:22]
	v_cvt_f64_i32_e32 v[43:44], v56
	v_add_f64 v[17:18], v[17:18], -v[19:20]
	v_mul_f64 v[45:46], v[43:44], s[6:7]
	s_and_b64 vcc, vcc, s[0:1]
	v_add_f64 v[29:30], v[41:42], v[21:22]
	v_ldexp_f64 v[17:18], v[17:18], 1
	v_add_f64 v[19:20], v[29:30], -v[41:42]
	v_fma_f64 v[41:42], v[43:44], s[6:7], -v[45:46]
	v_add_f64 v[19:20], v[21:22], -v[19:20]
	v_fma_f64 v[21:22], v[43:44], s[10:11], v[41:42]
	v_add_f64 v[17:18], v[17:18], v[19:20]
	v_add_f64 v[19:20], v[45:46], v[21:22]
	;; [unrolled: 1-line block ×3, first 2 shown]
	v_add_f64 v[45:46], v[19:20], -v[45:46]
	v_add_f64 v[43:44], v[19:20], v[41:42]
	v_add_f64 v[29:30], v[41:42], -v[29:30]
	v_add_f64 v[21:22], v[21:22], -v[45:46]
	;; [unrolled: 1-line block ×6, first 2 shown]
	v_add_f64 v[41:42], v[21:22], v[17:18]
	v_add_f64 v[19:20], v[19:20], -v[49:50]
	v_add_f64 v[19:20], v[29:30], v[19:20]
	v_add_f64 v[29:30], v[41:42], -v[21:22]
	;; [unrolled: 2-line block ×3, first 2 shown]
	v_add_f64 v[17:18], v[17:18], -v[29:30]
	v_add_f64 v[45:46], v[43:44], v[19:20]
	v_add_f64 v[21:22], v[21:22], -v[41:42]
	v_add_f64 v[29:30], v[45:46], -v[43:44]
	v_add_f64 v[17:18], v[17:18], v[21:22]
	v_add_f64 v[19:20], v[19:20], -v[29:30]
	v_add_f64 v[17:18], v[17:18], v[19:20]
	v_mov_b32_e32 v19, 0x7ff80000
	v_mov_b32_e32 v20, 0xfff00000
	v_add_f64 v[17:18], v[45:46], v[17:18]
	v_cndmask_b32_e32 v17, 0, v17, vcc
	v_cmp_ngt_f64_e32 vcc, -1.0, v[13:14]
	v_cndmask_b32_e64 v18, v55, v18, s[0:1]
	v_cndmask_b32_e32 v18, v19, v18, vcc
	v_cmp_neq_f64_e32 vcc, -1.0, v[13:14]
	v_cndmask_b32_e32 v18, v20, v18, vcc
	v_add_f64 v[29:30], v[3:4], v[17:18]
.LBB5_240:
	s_or_b64 exec, exec, s[4:5]
	v_max_f64 v[3:4], v[29:30], v[29:30]
	v_cmp_u_f64_e32 vcc, v[29:30], v[29:30]
	s_movk_i32 s10, 0x1f8
	v_min_f64 v[13:14], v[3:4], v[31:32]
	v_max_f64 v[3:4], v[3:4], v[31:32]
	v_mov_b32_e32 v32, v30
	v_mov_b32_e32 v31, v29
	v_cndmask_b32_e32 v13, v13, v29, vcc
	v_cndmask_b32_e32 v14, v14, v30, vcc
	;; [unrolled: 1-line block ×4, first 2 shown]
	v_cndmask_b32_e64 v14, v14, v16, s[2:3]
	v_cndmask_b32_e64 v13, v13, v15, s[2:3]
	;; [unrolled: 1-line block ×4, first 2 shown]
	v_cmp_neq_f64_e32 vcc, v[13:14], v[3:4]
	v_cmp_class_f64_e64 s[0:1], v[13:14], s10
	s_or_b64 s[0:1], vcc, s[0:1]
	s_and_saveexec_b64 s[2:3], s[0:1]
	s_cbranch_execz .LBB5_242
; %bb.241:
	v_add_f64 v[13:14], v[13:14], -v[3:4]
	s_mov_b32 s0, 0x652b82fe
	s_mov_b32 s1, 0x3ff71547
	;; [unrolled: 1-line block ×6, first 2 shown]
	v_mov_b32_e32 v19, 0xfca7ab0c
	v_mul_f64 v[15:16], v[13:14], s[0:1]
	s_mov_b32 s0, 0x6a5dcb37
	v_mov_b32_e32 v20, 0x3e928af3
	s_mov_b32 s1, 0x3e5ade15
	s_mov_b32 s18, 0
	;; [unrolled: 1-line block ×3, first 2 shown]
	v_mov_b32_e32 v53, 0x7ff00000
	v_rndne_f64_e32 v[15:16], v[15:16]
	v_fma_f64 v[17:18], v[15:16], s[4:5], v[13:14]
	s_mov_b32 s5, 0x3fe62e42
	v_fma_f64 v[17:18], v[15:16], s[6:7], v[17:18]
	v_cvt_i32_f64_e32 v15, v[15:16]
	s_mov_b32 s7, 0x3c7abc9e
	v_fma_f64 v[19:20], v[17:18], s[0:1], v[19:20]
	s_mov_b32 s0, 0x623fde64
	s_mov_b32 s1, 0x3ec71dee
	v_fma_f64 v[19:20], v[17:18], v[19:20], s[0:1]
	s_mov_b32 s0, 0x7c89e6b0
	;; [unrolled: 3-line block ×9, first 2 shown]
	s_mov_b32 s1, 0x40900000
	v_cmp_nlt_f64_e32 vcc, s[0:1], v[13:14]
	v_cmp_ngt_f64_e64 s[0:1], s[18:19], v[13:14]
	s_mov_b32 s18, 0xbf559e2b
	s_mov_b32 s19, 0x3fc3ab76
	v_fma_f64 v[19:20], v[17:18], v[19:20], 1.0
	v_fma_f64 v[17:18], v[17:18], v[19:20], 1.0
	v_ldexp_f64 v[15:16], v[17:18], v15
	v_cndmask_b32_e32 v16, v53, v16, vcc
	s_and_b64 vcc, s[0:1], vcc
	v_cndmask_b32_e64 v14, 0, v16, s[0:1]
	v_cndmask_b32_e32 v13, 0, v15, vcc
	v_add_f64 v[15:16], v[13:14], 1.0
	s_mov_b32 s1, 0x3fe55555
	s_mov_b32 s0, 0x55555555
	v_frexp_mant_f64_e32 v[19:20], v[15:16]
	v_frexp_exp_i32_f64_e32 v31, v[15:16]
	v_add_f64 v[17:18], v[15:16], -1.0
	v_cmp_gt_f64_e32 vcc, s[0:1], v[19:20]
	s_mov_b32 s0, 0x55555780
	v_add_f64 v[21:22], v[17:18], -v[15:16]
	v_add_f64 v[17:18], v[13:14], -v[17:18]
	v_subbrev_co_u32_e32 v54, vcc, 0, v31, vcc
	v_sub_u32_e32 v31, 0, v54
	v_ldexp_f64 v[15:16], v[15:16], v31
	v_add_f64 v[19:20], v[21:22], 1.0
	v_cmp_nge_f64_e32 vcc, -1.0, v[13:14]
	v_add_f64 v[21:22], v[15:16], 1.0
	v_add_f64 v[17:18], v[17:18], v[19:20]
	v_add_f64 v[43:44], v[15:16], -1.0
	v_add_f64 v[19:20], v[21:22], -1.0
	v_ldexp_f64 v[17:18], v[17:18], v31
	v_add_f64 v[45:46], v[43:44], 1.0
	v_add_f64 v[19:20], v[15:16], -v[19:20]
	v_add_f64 v[15:16], v[15:16], -v[45:46]
	v_add_f64 v[19:20], v[17:18], v[19:20]
	v_add_f64 v[15:16], v[17:18], v[15:16]
	;; [unrolled: 1-line block ×4, first 2 shown]
	v_rcp_f64_e32 v[41:42], v[31:32]
	v_add_f64 v[21:22], v[31:32], -v[21:22]
	v_add_f64 v[43:44], v[45:46], -v[43:44]
	;; [unrolled: 1-line block ×4, first 2 shown]
	v_fma_f64 v[47:48], -v[31:32], v[41:42], 1.0
	v_fma_f64 v[41:42], v[47:48], v[41:42], v[41:42]
	v_fma_f64 v[17:18], -v[31:32], v[41:42], 1.0
	v_fma_f64 v[17:18], v[17:18], v[41:42], v[41:42]
	v_mul_f64 v[41:42], v[45:46], v[17:18]
	v_mul_f64 v[47:48], v[31:32], v[41:42]
	v_fma_f64 v[21:22], v[41:42], v[31:32], -v[47:48]
	v_fma_f64 v[21:22], v[41:42], v[19:20], v[21:22]
	v_add_f64 v[49:50], v[47:48], v[21:22]
	v_add_f64 v[51:52], v[45:46], -v[49:50]
	v_add_f64 v[43:44], v[49:50], -v[47:48]
	;; [unrolled: 1-line block ×5, first 2 shown]
	v_add_f64 v[15:16], v[15:16], v[45:46]
	v_add_f64 v[15:16], v[21:22], v[15:16]
	;; [unrolled: 1-line block ×3, first 2 shown]
	v_mul_f64 v[43:44], v[17:18], v[21:22]
	v_add_f64 v[49:50], v[51:52], -v[21:22]
	v_mul_f64 v[45:46], v[31:32], v[43:44]
	v_add_f64 v[15:16], v[15:16], v[49:50]
	v_fma_f64 v[31:32], v[43:44], v[31:32], -v[45:46]
	v_fma_f64 v[19:20], v[43:44], v[19:20], v[31:32]
	v_add_f64 v[31:32], v[45:46], v[19:20]
	v_add_f64 v[47:48], v[21:22], -v[31:32]
	v_add_f64 v[45:46], v[31:32], -v[45:46]
	;; [unrolled: 1-line block ×5, first 2 shown]
	v_mov_b32_e32 v31, 0x6b47b09a
	v_mov_b32_e32 v32, 0x3fc38538
	v_add_f64 v[15:16], v[15:16], v[21:22]
	v_add_f64 v[21:22], v[41:42], v[43:44]
	;; [unrolled: 1-line block ×3, first 2 shown]
	v_add_f64 v[19:20], v[21:22], -v[41:42]
	v_add_f64 v[15:16], v[47:48], v[15:16]
	v_add_f64 v[19:20], v[43:44], -v[19:20]
	v_mul_f64 v[15:16], v[17:18], v[15:16]
	v_add_f64 v[15:16], v[19:20], v[15:16]
	v_add_f64 v[17:18], v[21:22], v[15:16]
	v_mul_f64 v[19:20], v[17:18], v[17:18]
	v_fma_f64 v[31:32], v[19:20], s[18:19], v[31:32]
	s_mov_b32 s18, 0xd7f4df2e
	s_mov_b32 s19, 0x3fc7474d
	v_mul_f64 v[41:42], v[17:18], v[19:20]
	v_fma_f64 v[31:32], v[19:20], v[31:32], s[18:19]
	s_mov_b32 s18, 0x16291751
	s_mov_b32 s19, 0x3fcc71c0
	v_fma_f64 v[31:32], v[19:20], v[31:32], s[18:19]
	s_mov_b32 s18, 0x9b27acf1
	s_mov_b32 s19, 0x3fd24924
	;; [unrolled: 3-line block ×3, first 2 shown]
	v_fma_f64 v[31:32], v[19:20], v[31:32], s[18:19]
	v_fma_f64 v[19:20], v[19:20], v[31:32], s[0:1]
	v_ldexp_f64 v[31:32], v[17:18], 1
	v_add_f64 v[17:18], v[17:18], -v[21:22]
	s_mov_b32 s0, 0
	s_mov_b32 s1, 0x7ff00000
	v_cmp_neq_f64_e64 s[0:1], s[0:1], v[13:14]
	v_mul_f64 v[19:20], v[41:42], v[19:20]
	v_cvt_f64_i32_e32 v[41:42], v54
	v_add_f64 v[15:16], v[15:16], -v[17:18]
	v_mul_f64 v[43:44], v[41:42], s[4:5]
	s_and_b64 vcc, vcc, s[0:1]
	v_add_f64 v[21:22], v[31:32], v[19:20]
	v_ldexp_f64 v[15:16], v[15:16], 1
	v_add_f64 v[17:18], v[21:22], -v[31:32]
	v_fma_f64 v[31:32], v[41:42], s[4:5], -v[43:44]
	v_add_f64 v[17:18], v[19:20], -v[17:18]
	v_fma_f64 v[19:20], v[41:42], s[6:7], v[31:32]
	v_add_f64 v[15:16], v[15:16], v[17:18]
	v_add_f64 v[17:18], v[43:44], v[19:20]
	;; [unrolled: 1-line block ×3, first 2 shown]
	v_add_f64 v[43:44], v[17:18], -v[43:44]
	v_add_f64 v[41:42], v[17:18], v[31:32]
	v_add_f64 v[21:22], v[31:32], -v[21:22]
	v_add_f64 v[19:20], v[19:20], -v[43:44]
	;; [unrolled: 1-line block ×6, first 2 shown]
	v_add_f64 v[31:32], v[19:20], v[15:16]
	v_add_f64 v[17:18], v[17:18], -v[47:48]
	v_add_f64 v[17:18], v[21:22], v[17:18]
	v_add_f64 v[21:22], v[31:32], -v[19:20]
	;; [unrolled: 2-line block ×3, first 2 shown]
	v_add_f64 v[15:16], v[15:16], -v[21:22]
	v_add_f64 v[43:44], v[41:42], v[17:18]
	v_add_f64 v[19:20], v[19:20], -v[31:32]
	v_add_f64 v[21:22], v[43:44], -v[41:42]
	v_add_f64 v[15:16], v[15:16], v[19:20]
	v_add_f64 v[17:18], v[17:18], -v[21:22]
	v_add_f64 v[15:16], v[15:16], v[17:18]
	v_mov_b32_e32 v17, 0x7ff80000
	v_mov_b32_e32 v18, 0xfff00000
	v_add_f64 v[15:16], v[43:44], v[15:16]
	v_cndmask_b32_e32 v15, 0, v15, vcc
	v_cmp_ngt_f64_e32 vcc, -1.0, v[13:14]
	v_cndmask_b32_e64 v16, v53, v16, s[0:1]
	v_cndmask_b32_e32 v16, v17, v16, vcc
	v_cmp_neq_f64_e32 vcc, -1.0, v[13:14]
	v_cndmask_b32_e32 v16, v18, v16, vcc
	v_add_f64 v[31:32], v[3:4], v[15:16]
.LBB5_242:
	s_or_b64 exec, exec, s[2:3]
	v_max_f64 v[3:4], v[31:32], v[31:32]
	v_cmp_u_f64_e32 vcc, v[31:32], v[31:32]
	v_min_f64 v[13:14], v[3:4], v[33:34]
	v_max_f64 v[3:4], v[3:4], v[33:34]
	v_mov_b32_e32 v34, v32
	v_mov_b32_e32 v33, v31
	v_cndmask_b32_e32 v13, v13, v31, vcc
	v_cndmask_b32_e32 v14, v14, v32, vcc
	;; [unrolled: 1-line block ×4, first 2 shown]
	v_cndmask_b32_e64 v14, v14, v10, s[14:15]
	v_cndmask_b32_e64 v13, v13, v9, s[14:15]
	v_cndmask_b32_e64 v4, v4, v10, s[14:15]
	v_cndmask_b32_e64 v3, v3, v9, s[14:15]
	v_cmp_neq_f64_e32 vcc, v[13:14], v[3:4]
	v_cmp_class_f64_e64 s[0:1], v[13:14], s10
	s_or_b64 s[0:1], vcc, s[0:1]
	s_and_saveexec_b64 s[2:3], s[0:1]
	s_cbranch_execz .LBB5_244
; %bb.243:
	v_add_f64 v[9:10], v[13:14], -v[3:4]
	s_mov_b32 s0, 0x652b82fe
	s_mov_b32 s1, 0x3ff71547
	;; [unrolled: 1-line block ×6, first 2 shown]
	v_mov_b32_e32 v17, 0xfca7ab0c
	v_mul_f64 v[13:14], v[9:10], s[0:1]
	s_mov_b32 s0, 0x6a5dcb37
	v_mov_b32_e32 v18, 0x3e928af3
	s_mov_b32 s1, 0x3e5ade15
	s_mov_b32 s10, 0
	;; [unrolled: 1-line block ×3, first 2 shown]
	v_mov_b32_e32 v51, 0x7ff00000
	v_rndne_f64_e32 v[13:14], v[13:14]
	v_fma_f64 v[15:16], v[13:14], s[4:5], v[9:10]
	s_mov_b32 s5, 0x3fe62e42
	v_fma_f64 v[15:16], v[13:14], s[6:7], v[15:16]
	v_cvt_i32_f64_e32 v13, v[13:14]
	s_mov_b32 s7, 0x3c7abc9e
	v_fma_f64 v[17:18], v[15:16], s[0:1], v[17:18]
	s_mov_b32 s0, 0x623fde64
	s_mov_b32 s1, 0x3ec71dee
	v_fma_f64 v[17:18], v[15:16], v[17:18], s[0:1]
	s_mov_b32 s0, 0x7c89e6b0
	;; [unrolled: 3-line block ×9, first 2 shown]
	s_mov_b32 s1, 0x40900000
	v_cmp_nlt_f64_e32 vcc, s[0:1], v[9:10]
	v_cmp_ngt_f64_e64 s[0:1], s[10:11], v[9:10]
	s_mov_b32 s10, 0xbf559e2b
	s_mov_b32 s11, 0x3fc3ab76
	v_fma_f64 v[17:18], v[15:16], v[17:18], 1.0
	v_fma_f64 v[15:16], v[15:16], v[17:18], 1.0
	v_ldexp_f64 v[13:14], v[15:16], v13
	v_cndmask_b32_e32 v14, v51, v14, vcc
	s_and_b64 vcc, s[0:1], vcc
	v_cndmask_b32_e64 v10, 0, v14, s[0:1]
	v_cndmask_b32_e32 v9, 0, v13, vcc
	v_add_f64 v[13:14], v[9:10], 1.0
	s_mov_b32 s1, 0x3fe55555
	s_mov_b32 s0, 0x55555555
	v_frexp_mant_f64_e32 v[17:18], v[13:14]
	v_frexp_exp_i32_f64_e32 v21, v[13:14]
	v_add_f64 v[15:16], v[13:14], -1.0
	v_cmp_gt_f64_e32 vcc, s[0:1], v[17:18]
	s_mov_b32 s0, 0x55555780
	v_add_f64 v[19:20], v[15:16], -v[13:14]
	v_add_f64 v[15:16], v[9:10], -v[15:16]
	v_subbrev_co_u32_e32 v52, vcc, 0, v21, vcc
	v_sub_u32_e32 v21, 0, v52
	v_ldexp_f64 v[13:14], v[13:14], v21
	v_add_f64 v[17:18], v[19:20], 1.0
	v_cmp_nge_f64_e32 vcc, -1.0, v[9:10]
	v_add_f64 v[19:20], v[13:14], 1.0
	v_add_f64 v[15:16], v[15:16], v[17:18]
	v_add_f64 v[41:42], v[13:14], -1.0
	v_add_f64 v[17:18], v[19:20], -1.0
	v_ldexp_f64 v[15:16], v[15:16], v21
	v_add_f64 v[43:44], v[41:42], 1.0
	v_add_f64 v[17:18], v[13:14], -v[17:18]
	v_add_f64 v[13:14], v[13:14], -v[43:44]
	v_add_f64 v[17:18], v[15:16], v[17:18]
	v_add_f64 v[13:14], v[15:16], v[13:14]
	;; [unrolled: 1-line block ×4, first 2 shown]
	v_rcp_f64_e32 v[33:34], v[21:22]
	v_add_f64 v[19:20], v[21:22], -v[19:20]
	v_add_f64 v[41:42], v[43:44], -v[41:42]
	;; [unrolled: 1-line block ×4, first 2 shown]
	v_fma_f64 v[45:46], -v[21:22], v[33:34], 1.0
	v_fma_f64 v[33:34], v[45:46], v[33:34], v[33:34]
	v_fma_f64 v[15:16], -v[21:22], v[33:34], 1.0
	v_fma_f64 v[15:16], v[15:16], v[33:34], v[33:34]
	v_mul_f64 v[33:34], v[43:44], v[15:16]
	v_mul_f64 v[45:46], v[21:22], v[33:34]
	v_fma_f64 v[19:20], v[33:34], v[21:22], -v[45:46]
	v_fma_f64 v[19:20], v[33:34], v[17:18], v[19:20]
	v_add_f64 v[47:48], v[45:46], v[19:20]
	v_add_f64 v[49:50], v[43:44], -v[47:48]
	v_add_f64 v[41:42], v[47:48], -v[45:46]
	;; [unrolled: 1-line block ×5, first 2 shown]
	v_add_f64 v[13:14], v[13:14], v[43:44]
	v_add_f64 v[13:14], v[19:20], v[13:14]
	;; [unrolled: 1-line block ×3, first 2 shown]
	v_mul_f64 v[41:42], v[15:16], v[19:20]
	v_add_f64 v[47:48], v[49:50], -v[19:20]
	v_mul_f64 v[43:44], v[21:22], v[41:42]
	v_add_f64 v[13:14], v[13:14], v[47:48]
	v_fma_f64 v[21:22], v[41:42], v[21:22], -v[43:44]
	v_fma_f64 v[17:18], v[41:42], v[17:18], v[21:22]
	v_add_f64 v[21:22], v[43:44], v[17:18]
	v_add_f64 v[45:46], v[19:20], -v[21:22]
	v_add_f64 v[43:44], v[21:22], -v[43:44]
	;; [unrolled: 1-line block ×5, first 2 shown]
	v_mov_b32_e32 v21, 0x6b47b09a
	v_mov_b32_e32 v22, 0x3fc38538
	v_add_f64 v[13:14], v[13:14], v[19:20]
	v_add_f64 v[19:20], v[33:34], v[41:42]
	;; [unrolled: 1-line block ×3, first 2 shown]
	v_add_f64 v[17:18], v[19:20], -v[33:34]
	v_add_f64 v[13:14], v[45:46], v[13:14]
	v_add_f64 v[17:18], v[41:42], -v[17:18]
	v_mul_f64 v[13:14], v[15:16], v[13:14]
	v_add_f64 v[13:14], v[17:18], v[13:14]
	v_add_f64 v[15:16], v[19:20], v[13:14]
	v_mul_f64 v[17:18], v[15:16], v[15:16]
	v_fma_f64 v[21:22], v[17:18], s[10:11], v[21:22]
	s_mov_b32 s10, 0xd7f4df2e
	s_mov_b32 s11, 0x3fc7474d
	v_mul_f64 v[33:34], v[15:16], v[17:18]
	v_fma_f64 v[21:22], v[17:18], v[21:22], s[10:11]
	s_mov_b32 s10, 0x16291751
	s_mov_b32 s11, 0x3fcc71c0
	v_fma_f64 v[21:22], v[17:18], v[21:22], s[10:11]
	s_mov_b32 s10, 0x9b27acf1
	s_mov_b32 s11, 0x3fd24924
	;; [unrolled: 3-line block ×3, first 2 shown]
	v_fma_f64 v[21:22], v[17:18], v[21:22], s[10:11]
	v_fma_f64 v[17:18], v[17:18], v[21:22], s[0:1]
	v_ldexp_f64 v[21:22], v[15:16], 1
	v_add_f64 v[15:16], v[15:16], -v[19:20]
	s_mov_b32 s0, 0
	s_mov_b32 s1, 0x7ff00000
	v_cmp_neq_f64_e64 s[0:1], s[0:1], v[9:10]
	v_mul_f64 v[17:18], v[33:34], v[17:18]
	v_cvt_f64_i32_e32 v[33:34], v52
	v_add_f64 v[13:14], v[13:14], -v[15:16]
	v_mul_f64 v[41:42], v[33:34], s[4:5]
	s_and_b64 vcc, vcc, s[0:1]
	v_add_f64 v[19:20], v[21:22], v[17:18]
	v_ldexp_f64 v[13:14], v[13:14], 1
	v_add_f64 v[15:16], v[19:20], -v[21:22]
	v_fma_f64 v[21:22], v[33:34], s[4:5], -v[41:42]
	v_add_f64 v[15:16], v[17:18], -v[15:16]
	v_fma_f64 v[17:18], v[33:34], s[6:7], v[21:22]
	v_add_f64 v[13:14], v[13:14], v[15:16]
	v_add_f64 v[15:16], v[41:42], v[17:18]
	;; [unrolled: 1-line block ×3, first 2 shown]
	v_add_f64 v[41:42], v[15:16], -v[41:42]
	v_add_f64 v[33:34], v[15:16], v[21:22]
	v_add_f64 v[19:20], v[21:22], -v[19:20]
	v_add_f64 v[17:18], v[17:18], -v[41:42]
	;; [unrolled: 1-line block ×6, first 2 shown]
	v_add_f64 v[21:22], v[17:18], v[13:14]
	v_add_f64 v[15:16], v[15:16], -v[45:46]
	v_add_f64 v[15:16], v[19:20], v[15:16]
	v_add_f64 v[19:20], v[21:22], -v[17:18]
	;; [unrolled: 2-line block ×3, first 2 shown]
	v_add_f64 v[13:14], v[13:14], -v[19:20]
	v_add_f64 v[41:42], v[33:34], v[15:16]
	v_add_f64 v[17:18], v[17:18], -v[21:22]
	v_add_f64 v[19:20], v[41:42], -v[33:34]
	v_add_f64 v[13:14], v[13:14], v[17:18]
	v_add_f64 v[15:16], v[15:16], -v[19:20]
	v_add_f64 v[13:14], v[13:14], v[15:16]
	v_mov_b32_e32 v15, 0x7ff80000
	v_mov_b32_e32 v16, 0xfff00000
	v_add_f64 v[13:14], v[41:42], v[13:14]
	v_cndmask_b32_e32 v13, 0, v13, vcc
	v_cmp_ngt_f64_e32 vcc, -1.0, v[9:10]
	v_cndmask_b32_e64 v14, v51, v14, s[0:1]
	v_cndmask_b32_e32 v14, v15, v14, vcc
	v_cmp_neq_f64_e32 vcc, -1.0, v[9:10]
	v_cndmask_b32_e32 v14, v16, v14, vcc
	v_add_f64 v[33:34], v[3:4], v[13:14]
.LBB5_244:
	s_or_b64 exec, exec, s[2:3]
	v_max_f64 v[3:4], v[33:34], v[33:34]
	v_cmp_u_f64_e32 vcc, v[33:34], v[33:34]
	s_movk_i32 s10, 0x1f8
	v_min_f64 v[9:10], v[3:4], v[35:36]
	v_max_f64 v[3:4], v[3:4], v[35:36]
	v_mov_b32_e32 v36, v34
	v_mov_b32_e32 v35, v33
	v_cndmask_b32_e32 v9, v9, v33, vcc
	v_cndmask_b32_e32 v10, v10, v34, vcc
	;; [unrolled: 1-line block ×4, first 2 shown]
	v_cndmask_b32_e64 v10, v10, v12, s[8:9]
	v_cndmask_b32_e64 v9, v9, v11, s[8:9]
	;; [unrolled: 1-line block ×4, first 2 shown]
	v_cmp_neq_f64_e32 vcc, v[9:10], v[3:4]
	v_cmp_class_f64_e64 s[0:1], v[9:10], s10
	s_or_b64 s[0:1], vcc, s[0:1]
	s_and_saveexec_b64 s[2:3], s[0:1]
	s_cbranch_execz .LBB5_246
; %bb.245:
	v_add_f64 v[9:10], v[9:10], -v[3:4]
	s_mov_b32 s0, 0x652b82fe
	s_mov_b32 s1, 0x3ff71547
	;; [unrolled: 1-line block ×6, first 2 shown]
	v_mov_b32_e32 v15, 0xfca7ab0c
	v_mul_f64 v[11:12], v[9:10], s[0:1]
	s_mov_b32 s0, 0x6a5dcb37
	v_mov_b32_e32 v16, 0x3e928af3
	s_mov_b32 s1, 0x3e5ade15
	s_mov_b32 s8, 0
	;; [unrolled: 1-line block ×3, first 2 shown]
	v_mov_b32_e32 v49, 0x7ff00000
	v_rndne_f64_e32 v[11:12], v[11:12]
	v_fma_f64 v[13:14], v[11:12], s[4:5], v[9:10]
	s_mov_b32 s5, 0x3fe62e42
	v_fma_f64 v[13:14], v[11:12], s[6:7], v[13:14]
	v_cvt_i32_f64_e32 v11, v[11:12]
	s_mov_b32 s7, 0x3c7abc9e
	v_fma_f64 v[15:16], v[13:14], s[0:1], v[15:16]
	s_mov_b32 s0, 0x623fde64
	s_mov_b32 s1, 0x3ec71dee
	v_fma_f64 v[15:16], v[13:14], v[15:16], s[0:1]
	s_mov_b32 s0, 0x7c89e6b0
	;; [unrolled: 3-line block ×9, first 2 shown]
	s_mov_b32 s1, 0x40900000
	v_cmp_nlt_f64_e32 vcc, s[0:1], v[9:10]
	v_cmp_ngt_f64_e64 s[0:1], s[8:9], v[9:10]
	s_mov_b32 s8, 0xbf559e2b
	s_mov_b32 s9, 0x3fc3ab76
	v_fma_f64 v[15:16], v[13:14], v[15:16], 1.0
	v_fma_f64 v[13:14], v[13:14], v[15:16], 1.0
	v_ldexp_f64 v[11:12], v[13:14], v11
	v_cndmask_b32_e32 v12, v49, v12, vcc
	s_and_b64 vcc, s[0:1], vcc
	v_cndmask_b32_e64 v10, 0, v12, s[0:1]
	v_cndmask_b32_e32 v9, 0, v11, vcc
	v_add_f64 v[11:12], v[9:10], 1.0
	s_mov_b32 s1, 0x3fe55555
	s_mov_b32 s0, 0x55555555
	v_frexp_mant_f64_e32 v[15:16], v[11:12]
	v_frexp_exp_i32_f64_e32 v19, v[11:12]
	v_add_f64 v[13:14], v[11:12], -1.0
	v_cmp_gt_f64_e32 vcc, s[0:1], v[15:16]
	s_mov_b32 s0, 0x55555780
	v_add_f64 v[17:18], v[13:14], -v[11:12]
	v_add_f64 v[13:14], v[9:10], -v[13:14]
	v_subbrev_co_u32_e32 v50, vcc, 0, v19, vcc
	v_sub_u32_e32 v19, 0, v50
	v_ldexp_f64 v[11:12], v[11:12], v19
	v_add_f64 v[15:16], v[17:18], 1.0
	v_cmp_nge_f64_e32 vcc, -1.0, v[9:10]
	v_add_f64 v[17:18], v[11:12], 1.0
	v_add_f64 v[13:14], v[13:14], v[15:16]
	v_add_f64 v[35:36], v[11:12], -1.0
	v_add_f64 v[15:16], v[17:18], -1.0
	v_ldexp_f64 v[13:14], v[13:14], v19
	v_add_f64 v[41:42], v[35:36], 1.0
	v_add_f64 v[15:16], v[11:12], -v[15:16]
	v_add_f64 v[11:12], v[11:12], -v[41:42]
	v_add_f64 v[15:16], v[13:14], v[15:16]
	v_add_f64 v[11:12], v[13:14], v[11:12]
	;; [unrolled: 1-line block ×4, first 2 shown]
	v_rcp_f64_e32 v[21:22], v[19:20]
	v_add_f64 v[17:18], v[19:20], -v[17:18]
	v_add_f64 v[35:36], v[41:42], -v[35:36]
	;; [unrolled: 1-line block ×4, first 2 shown]
	v_fma_f64 v[43:44], -v[19:20], v[21:22], 1.0
	v_fma_f64 v[21:22], v[43:44], v[21:22], v[21:22]
	v_fma_f64 v[13:14], -v[19:20], v[21:22], 1.0
	v_fma_f64 v[13:14], v[13:14], v[21:22], v[21:22]
	v_mul_f64 v[21:22], v[41:42], v[13:14]
	v_mul_f64 v[43:44], v[19:20], v[21:22]
	v_fma_f64 v[17:18], v[21:22], v[19:20], -v[43:44]
	v_fma_f64 v[17:18], v[21:22], v[15:16], v[17:18]
	v_add_f64 v[45:46], v[43:44], v[17:18]
	v_add_f64 v[47:48], v[41:42], -v[45:46]
	v_add_f64 v[35:36], v[45:46], -v[43:44]
	;; [unrolled: 1-line block ×5, first 2 shown]
	v_add_f64 v[11:12], v[11:12], v[41:42]
	v_add_f64 v[11:12], v[17:18], v[11:12]
	;; [unrolled: 1-line block ×3, first 2 shown]
	v_mul_f64 v[35:36], v[13:14], v[17:18]
	v_add_f64 v[45:46], v[47:48], -v[17:18]
	v_mul_f64 v[41:42], v[19:20], v[35:36]
	v_add_f64 v[11:12], v[11:12], v[45:46]
	v_fma_f64 v[19:20], v[35:36], v[19:20], -v[41:42]
	v_fma_f64 v[15:16], v[35:36], v[15:16], v[19:20]
	v_add_f64 v[19:20], v[41:42], v[15:16]
	v_add_f64 v[43:44], v[17:18], -v[19:20]
	v_add_f64 v[41:42], v[19:20], -v[41:42]
	;; [unrolled: 1-line block ×5, first 2 shown]
	v_mov_b32_e32 v19, 0x6b47b09a
	v_mov_b32_e32 v20, 0x3fc38538
	v_add_f64 v[11:12], v[11:12], v[17:18]
	v_add_f64 v[17:18], v[21:22], v[35:36]
	;; [unrolled: 1-line block ×3, first 2 shown]
	v_add_f64 v[15:16], v[17:18], -v[21:22]
	v_add_f64 v[11:12], v[43:44], v[11:12]
	v_add_f64 v[15:16], v[35:36], -v[15:16]
	v_mul_f64 v[11:12], v[13:14], v[11:12]
	v_add_f64 v[11:12], v[15:16], v[11:12]
	v_add_f64 v[13:14], v[17:18], v[11:12]
	v_mul_f64 v[15:16], v[13:14], v[13:14]
	v_fma_f64 v[19:20], v[15:16], s[8:9], v[19:20]
	s_mov_b32 s8, 0xd7f4df2e
	s_mov_b32 s9, 0x3fc7474d
	v_mul_f64 v[21:22], v[13:14], v[15:16]
	v_fma_f64 v[19:20], v[15:16], v[19:20], s[8:9]
	s_mov_b32 s8, 0x16291751
	s_mov_b32 s9, 0x3fcc71c0
	v_fma_f64 v[19:20], v[15:16], v[19:20], s[8:9]
	s_mov_b32 s8, 0x9b27acf1
	s_mov_b32 s9, 0x3fd24924
	;; [unrolled: 3-line block ×3, first 2 shown]
	v_fma_f64 v[19:20], v[15:16], v[19:20], s[8:9]
	v_fma_f64 v[15:16], v[15:16], v[19:20], s[0:1]
	v_ldexp_f64 v[19:20], v[13:14], 1
	v_add_f64 v[13:14], v[13:14], -v[17:18]
	s_mov_b32 s0, 0
	s_mov_b32 s1, 0x7ff00000
	v_cmp_neq_f64_e64 s[0:1], s[0:1], v[9:10]
	v_mul_f64 v[15:16], v[21:22], v[15:16]
	v_cvt_f64_i32_e32 v[21:22], v50
	v_add_f64 v[11:12], v[11:12], -v[13:14]
	v_mul_f64 v[35:36], v[21:22], s[4:5]
	s_and_b64 vcc, vcc, s[0:1]
	v_add_f64 v[17:18], v[19:20], v[15:16]
	v_ldexp_f64 v[11:12], v[11:12], 1
	v_add_f64 v[13:14], v[17:18], -v[19:20]
	v_fma_f64 v[19:20], v[21:22], s[4:5], -v[35:36]
	v_add_f64 v[13:14], v[15:16], -v[13:14]
	v_fma_f64 v[15:16], v[21:22], s[6:7], v[19:20]
	v_add_f64 v[11:12], v[11:12], v[13:14]
	v_add_f64 v[13:14], v[35:36], v[15:16]
	v_add_f64 v[19:20], v[17:18], v[11:12]
	v_add_f64 v[35:36], v[13:14], -v[35:36]
	v_add_f64 v[21:22], v[13:14], v[19:20]
	v_add_f64 v[17:18], v[19:20], -v[17:18]
	v_add_f64 v[15:16], v[15:16], -v[35:36]
	;; [unrolled: 1-line block ×6, first 2 shown]
	v_add_f64 v[19:20], v[15:16], v[11:12]
	v_add_f64 v[13:14], v[13:14], -v[43:44]
	v_add_f64 v[13:14], v[17:18], v[13:14]
	v_add_f64 v[17:18], v[19:20], -v[15:16]
	;; [unrolled: 2-line block ×3, first 2 shown]
	v_add_f64 v[11:12], v[11:12], -v[17:18]
	v_add_f64 v[35:36], v[21:22], v[13:14]
	v_add_f64 v[15:16], v[15:16], -v[19:20]
	v_add_f64 v[17:18], v[35:36], -v[21:22]
	v_add_f64 v[11:12], v[11:12], v[15:16]
	v_add_f64 v[13:14], v[13:14], -v[17:18]
	v_add_f64 v[11:12], v[11:12], v[13:14]
	v_mov_b32_e32 v13, 0x7ff80000
	v_mov_b32_e32 v14, 0xfff00000
	v_add_f64 v[11:12], v[35:36], v[11:12]
	v_cndmask_b32_e32 v11, 0, v11, vcc
	v_cmp_ngt_f64_e32 vcc, -1.0, v[9:10]
	v_cndmask_b32_e64 v12, v49, v12, s[0:1]
	v_cndmask_b32_e32 v12, v13, v12, vcc
	v_cmp_neq_f64_e32 vcc, -1.0, v[9:10]
	v_cndmask_b32_e32 v12, v14, v12, vcc
	v_add_f64 v[35:36], v[3:4], v[11:12]
.LBB5_246:
	s_or_b64 exec, exec, s[2:3]
	v_max_f64 v[3:4], v[35:36], v[35:36]
	v_cmp_u_f64_e32 vcc, v[35:36], v[35:36]
	v_min_f64 v[9:10], v[3:4], v[37:38]
	v_max_f64 v[3:4], v[3:4], v[37:38]
	v_mov_b32_e32 v38, v36
	v_mov_b32_e32 v37, v35
	v_cndmask_b32_e32 v9, v9, v35, vcc
	v_cndmask_b32_e32 v10, v10, v36, vcc
	;; [unrolled: 1-line block ×4, first 2 shown]
	v_cndmask_b32_e64 v10, v10, v6, s[16:17]
	v_cndmask_b32_e64 v9, v9, v5, s[16:17]
	;; [unrolled: 1-line block ×4, first 2 shown]
	v_cmp_neq_f64_e32 vcc, v[9:10], v[3:4]
	v_cmp_class_f64_e64 s[0:1], v[9:10], s10
	s_or_b64 s[0:1], vcc, s[0:1]
	s_and_saveexec_b64 s[2:3], s[0:1]
	s_cbranch_execz .LBB5_248
; %bb.247:
	v_add_f64 v[5:6], v[9:10], -v[3:4]
	s_mov_b32 s0, 0x652b82fe
	s_mov_b32 s1, 0x3ff71547
	;; [unrolled: 1-line block ×6, first 2 shown]
	v_mov_b32_e32 v13, 0xfca7ab0c
	v_mul_f64 v[9:10], v[5:6], s[0:1]
	s_mov_b32 s0, 0x6a5dcb37
	v_mov_b32_e32 v14, 0x3e928af3
	s_mov_b32 s1, 0x3e5ade15
	s_mov_b32 s8, 0
	;; [unrolled: 1-line block ×3, first 2 shown]
	v_mov_b32_e32 v47, 0x7ff00000
	v_rndne_f64_e32 v[9:10], v[9:10]
	v_fma_f64 v[11:12], v[9:10], s[4:5], v[5:6]
	s_mov_b32 s5, 0x3fe62e42
	v_fma_f64 v[11:12], v[9:10], s[6:7], v[11:12]
	v_cvt_i32_f64_e32 v9, v[9:10]
	s_mov_b32 s7, 0x3c7abc9e
	v_fma_f64 v[13:14], v[11:12], s[0:1], v[13:14]
	s_mov_b32 s0, 0x623fde64
	s_mov_b32 s1, 0x3ec71dee
	v_fma_f64 v[13:14], v[11:12], v[13:14], s[0:1]
	s_mov_b32 s0, 0x7c89e6b0
	;; [unrolled: 3-line block ×9, first 2 shown]
	s_mov_b32 s1, 0x40900000
	v_cmp_nlt_f64_e32 vcc, s[0:1], v[5:6]
	v_cmp_ngt_f64_e64 s[0:1], s[8:9], v[5:6]
	s_mov_b32 s8, 0xbf559e2b
	s_mov_b32 s9, 0x3fc3ab76
	v_fma_f64 v[13:14], v[11:12], v[13:14], 1.0
	v_fma_f64 v[11:12], v[11:12], v[13:14], 1.0
	v_ldexp_f64 v[9:10], v[11:12], v9
	v_cndmask_b32_e32 v10, v47, v10, vcc
	s_and_b64 vcc, s[0:1], vcc
	v_cndmask_b32_e64 v6, 0, v10, s[0:1]
	v_cndmask_b32_e32 v5, 0, v9, vcc
	v_add_f64 v[9:10], v[5:6], 1.0
	s_mov_b32 s1, 0x3fe55555
	s_mov_b32 s0, 0x55555555
	v_frexp_mant_f64_e32 v[13:14], v[9:10]
	v_frexp_exp_i32_f64_e32 v17, v[9:10]
	v_add_f64 v[11:12], v[9:10], -1.0
	v_cmp_gt_f64_e32 vcc, s[0:1], v[13:14]
	s_mov_b32 s0, 0x55555780
	v_add_f64 v[15:16], v[11:12], -v[9:10]
	v_add_f64 v[11:12], v[5:6], -v[11:12]
	v_subbrev_co_u32_e32 v48, vcc, 0, v17, vcc
	v_sub_u32_e32 v17, 0, v48
	v_ldexp_f64 v[9:10], v[9:10], v17
	v_add_f64 v[13:14], v[15:16], 1.0
	v_cmp_nge_f64_e32 vcc, -1.0, v[5:6]
	v_add_f64 v[15:16], v[9:10], 1.0
	v_add_f64 v[11:12], v[11:12], v[13:14]
	v_add_f64 v[21:22], v[9:10], -1.0
	v_add_f64 v[13:14], v[15:16], -1.0
	v_ldexp_f64 v[11:12], v[11:12], v17
	v_add_f64 v[37:38], v[21:22], 1.0
	v_add_f64 v[13:14], v[9:10], -v[13:14]
	v_add_f64 v[9:10], v[9:10], -v[37:38]
	v_add_f64 v[13:14], v[11:12], v[13:14]
	v_add_f64 v[9:10], v[11:12], v[9:10]
	;; [unrolled: 1-line block ×4, first 2 shown]
	v_rcp_f64_e32 v[19:20], v[17:18]
	v_add_f64 v[15:16], v[17:18], -v[15:16]
	v_add_f64 v[21:22], v[37:38], -v[21:22]
	;; [unrolled: 1-line block ×4, first 2 shown]
	v_fma_f64 v[41:42], -v[17:18], v[19:20], 1.0
	v_fma_f64 v[19:20], v[41:42], v[19:20], v[19:20]
	v_fma_f64 v[11:12], -v[17:18], v[19:20], 1.0
	v_fma_f64 v[11:12], v[11:12], v[19:20], v[19:20]
	v_mul_f64 v[19:20], v[37:38], v[11:12]
	v_mul_f64 v[41:42], v[17:18], v[19:20]
	v_fma_f64 v[15:16], v[19:20], v[17:18], -v[41:42]
	v_fma_f64 v[15:16], v[19:20], v[13:14], v[15:16]
	v_add_f64 v[43:44], v[41:42], v[15:16]
	v_add_f64 v[45:46], v[37:38], -v[43:44]
	v_add_f64 v[21:22], v[43:44], -v[41:42]
	;; [unrolled: 1-line block ×5, first 2 shown]
	v_add_f64 v[9:10], v[9:10], v[37:38]
	v_add_f64 v[9:10], v[15:16], v[9:10]
	v_add_f64 v[15:16], v[45:46], v[9:10]
	v_mul_f64 v[21:22], v[11:12], v[15:16]
	v_add_f64 v[43:44], v[45:46], -v[15:16]
	v_mul_f64 v[37:38], v[17:18], v[21:22]
	v_add_f64 v[9:10], v[9:10], v[43:44]
	v_fma_f64 v[17:18], v[21:22], v[17:18], -v[37:38]
	v_fma_f64 v[13:14], v[21:22], v[13:14], v[17:18]
	v_add_f64 v[17:18], v[37:38], v[13:14]
	v_add_f64 v[41:42], v[15:16], -v[17:18]
	v_add_f64 v[37:38], v[17:18], -v[37:38]
	;; [unrolled: 1-line block ×5, first 2 shown]
	v_mov_b32_e32 v17, 0x6b47b09a
	v_mov_b32_e32 v18, 0x3fc38538
	v_add_f64 v[9:10], v[9:10], v[15:16]
	v_add_f64 v[15:16], v[19:20], v[21:22]
	v_add_f64 v[9:10], v[13:14], v[9:10]
	v_add_f64 v[13:14], v[15:16], -v[19:20]
	v_add_f64 v[9:10], v[41:42], v[9:10]
	v_add_f64 v[13:14], v[21:22], -v[13:14]
	v_mul_f64 v[9:10], v[11:12], v[9:10]
	v_add_f64 v[9:10], v[13:14], v[9:10]
	v_add_f64 v[11:12], v[15:16], v[9:10]
	v_mul_f64 v[13:14], v[11:12], v[11:12]
	v_fma_f64 v[17:18], v[13:14], s[8:9], v[17:18]
	s_mov_b32 s8, 0xd7f4df2e
	s_mov_b32 s9, 0x3fc7474d
	v_mul_f64 v[19:20], v[11:12], v[13:14]
	v_fma_f64 v[17:18], v[13:14], v[17:18], s[8:9]
	s_mov_b32 s8, 0x16291751
	s_mov_b32 s9, 0x3fcc71c0
	v_fma_f64 v[17:18], v[13:14], v[17:18], s[8:9]
	s_mov_b32 s8, 0x9b27acf1
	s_mov_b32 s9, 0x3fd24924
	;; [unrolled: 3-line block ×3, first 2 shown]
	v_fma_f64 v[17:18], v[13:14], v[17:18], s[8:9]
	v_fma_f64 v[13:14], v[13:14], v[17:18], s[0:1]
	v_ldexp_f64 v[17:18], v[11:12], 1
	v_add_f64 v[11:12], v[11:12], -v[15:16]
	s_mov_b32 s0, 0
	s_mov_b32 s1, 0x7ff00000
	v_cmp_neq_f64_e64 s[0:1], s[0:1], v[5:6]
	v_mul_f64 v[13:14], v[19:20], v[13:14]
	v_cvt_f64_i32_e32 v[19:20], v48
	v_add_f64 v[9:10], v[9:10], -v[11:12]
	v_mul_f64 v[21:22], v[19:20], s[4:5]
	s_and_b64 vcc, vcc, s[0:1]
	v_add_f64 v[15:16], v[17:18], v[13:14]
	v_ldexp_f64 v[9:10], v[9:10], 1
	v_add_f64 v[11:12], v[15:16], -v[17:18]
	v_fma_f64 v[17:18], v[19:20], s[4:5], -v[21:22]
	v_add_f64 v[11:12], v[13:14], -v[11:12]
	v_fma_f64 v[13:14], v[19:20], s[6:7], v[17:18]
	v_add_f64 v[9:10], v[9:10], v[11:12]
	v_add_f64 v[11:12], v[21:22], v[13:14]
	;; [unrolled: 1-line block ×3, first 2 shown]
	v_add_f64 v[21:22], v[11:12], -v[21:22]
	v_add_f64 v[19:20], v[11:12], v[17:18]
	v_add_f64 v[15:16], v[17:18], -v[15:16]
	v_add_f64 v[13:14], v[13:14], -v[21:22]
	;; [unrolled: 1-line block ×6, first 2 shown]
	v_add_f64 v[17:18], v[13:14], v[9:10]
	v_add_f64 v[11:12], v[11:12], -v[41:42]
	v_add_f64 v[11:12], v[15:16], v[11:12]
	v_add_f64 v[15:16], v[17:18], -v[13:14]
	;; [unrolled: 2-line block ×3, first 2 shown]
	v_add_f64 v[9:10], v[9:10], -v[15:16]
	v_add_f64 v[21:22], v[19:20], v[11:12]
	v_add_f64 v[13:14], v[13:14], -v[17:18]
	v_add_f64 v[15:16], v[21:22], -v[19:20]
	v_add_f64 v[9:10], v[9:10], v[13:14]
	v_add_f64 v[11:12], v[11:12], -v[15:16]
	v_add_f64 v[9:10], v[9:10], v[11:12]
	v_mov_b32_e32 v11, 0x7ff80000
	v_mov_b32_e32 v12, 0xfff00000
	v_add_f64 v[9:10], v[21:22], v[9:10]
	v_cndmask_b32_e32 v9, 0, v9, vcc
	v_cmp_ngt_f64_e32 vcc, -1.0, v[5:6]
	v_cndmask_b32_e64 v10, v47, v10, s[0:1]
	v_cndmask_b32_e32 v10, v11, v10, vcc
	v_cmp_neq_f64_e32 vcc, -1.0, v[5:6]
	v_cndmask_b32_e32 v10, v12, v10, vcc
	v_add_f64 v[37:38], v[3:4], v[9:10]
.LBB5_248:
	s_or_b64 exec, exec, s[2:3]
	v_max_f64 v[3:4], v[37:38], v[37:38]
	v_cmp_u_f64_e32 vcc, v[37:38], v[37:38]
	s_movk_i32 s0, 0x1f8
	v_min_f64 v[5:6], v[3:4], v[39:40]
	v_max_f64 v[3:4], v[3:4], v[39:40]
	v_mov_b32_e32 v40, v38
	v_mov_b32_e32 v39, v37
	v_cndmask_b32_e32 v5, v5, v37, vcc
	v_cndmask_b32_e32 v6, v6, v38, vcc
	;; [unrolled: 1-line block ×4, first 2 shown]
	v_cndmask_b32_e64 v6, v6, v8, s[12:13]
	v_cndmask_b32_e64 v5, v5, v7, s[12:13]
	;; [unrolled: 1-line block ×4, first 2 shown]
	v_cmp_neq_f64_e32 vcc, v[5:6], v[3:4]
	v_cmp_class_f64_e64 s[0:1], v[5:6], s0
	s_or_b64 s[0:1], vcc, s[0:1]
	s_and_saveexec_b64 s[2:3], s[0:1]
	s_cbranch_execz .LBB5_250
; %bb.249:
	v_add_f64 v[5:6], v[5:6], -v[3:4]
	s_mov_b32 s0, 0x652b82fe
	s_mov_b32 s1, 0x3ff71547
	;; [unrolled: 1-line block ×6, first 2 shown]
	v_mov_b32_e32 v11, 0xfca7ab0c
	v_mul_f64 v[7:8], v[5:6], s[0:1]
	s_mov_b32 s0, 0x6a5dcb37
	v_mov_b32_e32 v12, 0x3e928af3
	s_mov_b32 s1, 0x3e5ade15
	s_mov_b32 s8, 0
	;; [unrolled: 1-line block ×3, first 2 shown]
	v_mov_b32_e32 v45, 0x7ff00000
	v_rndne_f64_e32 v[7:8], v[7:8]
	v_fma_f64 v[9:10], v[7:8], s[4:5], v[5:6]
	s_mov_b32 s5, 0x3fe62e42
	v_fma_f64 v[9:10], v[7:8], s[6:7], v[9:10]
	v_cvt_i32_f64_e32 v7, v[7:8]
	s_mov_b32 s7, 0x3c7abc9e
	v_fma_f64 v[11:12], v[9:10], s[0:1], v[11:12]
	s_mov_b32 s0, 0x623fde64
	s_mov_b32 s1, 0x3ec71dee
	v_fma_f64 v[11:12], v[9:10], v[11:12], s[0:1]
	s_mov_b32 s0, 0x7c89e6b0
	s_mov_b32 s1, 0x3efa0199
	v_fma_f64 v[11:12], v[9:10], v[11:12], s[0:1]
	s_mov_b32 s0, 0x14761f6e
	s_mov_b32 s1, 0x3f2a01a0
	v_fma_f64 v[11:12], v[9:10], v[11:12], s[0:1]
	s_mov_b32 s0, 0x1852b7b0
	s_mov_b32 s1, 0x3f56c16c
	v_fma_f64 v[11:12], v[9:10], v[11:12], s[0:1]
	s_mov_b32 s0, 0x11122322
	s_mov_b32 s1, 0x3f811111
	v_fma_f64 v[11:12], v[9:10], v[11:12], s[0:1]
	s_mov_b32 s0, 0x555502a1
	s_mov_b32 s1, 0x3fa55555
	v_fma_f64 v[11:12], v[9:10], v[11:12], s[0:1]
	s_mov_b32 s0, 0x55555511
	s_mov_b32 s1, 0x3fc55555
	v_fma_f64 v[11:12], v[9:10], v[11:12], s[0:1]
	s_mov_b32 s0, 11
	s_mov_b32 s1, 0x3fe00000
	v_fma_f64 v[11:12], v[9:10], v[11:12], s[0:1]
	s_mov_b32 s0, 0
	s_mov_b32 s1, 0x40900000
	v_cmp_nlt_f64_e32 vcc, s[0:1], v[5:6]
	v_cmp_ngt_f64_e64 s[0:1], s[8:9], v[5:6]
	s_mov_b32 s8, 0xbf559e2b
	s_mov_b32 s9, 0x3fc3ab76
	v_fma_f64 v[11:12], v[9:10], v[11:12], 1.0
	v_fma_f64 v[9:10], v[9:10], v[11:12], 1.0
	v_ldexp_f64 v[7:8], v[9:10], v7
	v_cndmask_b32_e32 v8, v45, v8, vcc
	s_and_b64 vcc, s[0:1], vcc
	v_cndmask_b32_e64 v6, 0, v8, s[0:1]
	v_cndmask_b32_e32 v5, 0, v7, vcc
	v_add_f64 v[7:8], v[5:6], 1.0
	s_mov_b32 s1, 0x3fe55555
	s_mov_b32 s0, 0x55555555
	v_frexp_mant_f64_e32 v[11:12], v[7:8]
	v_frexp_exp_i32_f64_e32 v15, v[7:8]
	v_add_f64 v[9:10], v[7:8], -1.0
	v_cmp_gt_f64_e32 vcc, s[0:1], v[11:12]
	s_mov_b32 s0, 0x55555780
	v_add_f64 v[13:14], v[9:10], -v[7:8]
	v_add_f64 v[9:10], v[5:6], -v[9:10]
	v_subbrev_co_u32_e32 v46, vcc, 0, v15, vcc
	v_sub_u32_e32 v15, 0, v46
	v_ldexp_f64 v[7:8], v[7:8], v15
	v_add_f64 v[11:12], v[13:14], 1.0
	v_cmp_nge_f64_e32 vcc, -1.0, v[5:6]
	v_add_f64 v[13:14], v[7:8], 1.0
	v_add_f64 v[9:10], v[9:10], v[11:12]
	v_add_f64 v[19:20], v[7:8], -1.0
	v_add_f64 v[11:12], v[13:14], -1.0
	v_ldexp_f64 v[9:10], v[9:10], v15
	v_add_f64 v[21:22], v[19:20], 1.0
	v_add_f64 v[11:12], v[7:8], -v[11:12]
	v_add_f64 v[7:8], v[7:8], -v[21:22]
	v_add_f64 v[11:12], v[9:10], v[11:12]
	v_add_f64 v[7:8], v[9:10], v[7:8]
	;; [unrolled: 1-line block ×4, first 2 shown]
	v_rcp_f64_e32 v[17:18], v[15:16]
	v_add_f64 v[13:14], v[15:16], -v[13:14]
	v_add_f64 v[19:20], v[21:22], -v[19:20]
	;; [unrolled: 1-line block ×4, first 2 shown]
	v_fma_f64 v[39:40], -v[15:16], v[17:18], 1.0
	v_fma_f64 v[17:18], v[39:40], v[17:18], v[17:18]
	v_fma_f64 v[9:10], -v[15:16], v[17:18], 1.0
	v_fma_f64 v[9:10], v[9:10], v[17:18], v[17:18]
	v_mul_f64 v[17:18], v[21:22], v[9:10]
	v_mul_f64 v[39:40], v[15:16], v[17:18]
	v_fma_f64 v[13:14], v[17:18], v[15:16], -v[39:40]
	v_fma_f64 v[13:14], v[17:18], v[11:12], v[13:14]
	v_add_f64 v[41:42], v[39:40], v[13:14]
	v_add_f64 v[43:44], v[21:22], -v[41:42]
	v_add_f64 v[19:20], v[41:42], -v[39:40]
	;; [unrolled: 1-line block ×5, first 2 shown]
	v_add_f64 v[7:8], v[7:8], v[21:22]
	v_add_f64 v[7:8], v[13:14], v[7:8]
	;; [unrolled: 1-line block ×3, first 2 shown]
	v_mul_f64 v[19:20], v[9:10], v[13:14]
	v_add_f64 v[41:42], v[43:44], -v[13:14]
	v_mul_f64 v[21:22], v[15:16], v[19:20]
	v_add_f64 v[7:8], v[7:8], v[41:42]
	v_fma_f64 v[15:16], v[19:20], v[15:16], -v[21:22]
	v_fma_f64 v[11:12], v[19:20], v[11:12], v[15:16]
	v_add_f64 v[15:16], v[21:22], v[11:12]
	v_add_f64 v[39:40], v[13:14], -v[15:16]
	v_add_f64 v[21:22], v[15:16], -v[21:22]
	;; [unrolled: 1-line block ×5, first 2 shown]
	v_mov_b32_e32 v15, 0x6b47b09a
	v_mov_b32_e32 v16, 0x3fc38538
	v_add_f64 v[7:8], v[7:8], v[13:14]
	v_add_f64 v[13:14], v[17:18], v[19:20]
	;; [unrolled: 1-line block ×3, first 2 shown]
	v_add_f64 v[11:12], v[13:14], -v[17:18]
	v_add_f64 v[7:8], v[39:40], v[7:8]
	v_add_f64 v[11:12], v[19:20], -v[11:12]
	v_mul_f64 v[7:8], v[9:10], v[7:8]
	v_add_f64 v[7:8], v[11:12], v[7:8]
	v_add_f64 v[9:10], v[13:14], v[7:8]
	v_mul_f64 v[11:12], v[9:10], v[9:10]
	v_fma_f64 v[15:16], v[11:12], s[8:9], v[15:16]
	s_mov_b32 s8, 0xd7f4df2e
	s_mov_b32 s9, 0x3fc7474d
	v_mul_f64 v[17:18], v[9:10], v[11:12]
	v_fma_f64 v[15:16], v[11:12], v[15:16], s[8:9]
	s_mov_b32 s8, 0x16291751
	s_mov_b32 s9, 0x3fcc71c0
	v_fma_f64 v[15:16], v[11:12], v[15:16], s[8:9]
	s_mov_b32 s8, 0x9b27acf1
	s_mov_b32 s9, 0x3fd24924
	;; [unrolled: 3-line block ×3, first 2 shown]
	v_fma_f64 v[15:16], v[11:12], v[15:16], s[8:9]
	v_fma_f64 v[11:12], v[11:12], v[15:16], s[0:1]
	v_ldexp_f64 v[15:16], v[9:10], 1
	v_add_f64 v[9:10], v[9:10], -v[13:14]
	s_mov_b32 s0, 0
	s_mov_b32 s1, 0x7ff00000
	v_cmp_neq_f64_e64 s[0:1], s[0:1], v[5:6]
	v_mul_f64 v[11:12], v[17:18], v[11:12]
	v_cvt_f64_i32_e32 v[17:18], v46
	v_add_f64 v[7:8], v[7:8], -v[9:10]
	v_mul_f64 v[19:20], v[17:18], s[4:5]
	s_and_b64 vcc, vcc, s[0:1]
	v_add_f64 v[13:14], v[15:16], v[11:12]
	v_ldexp_f64 v[7:8], v[7:8], 1
	v_add_f64 v[9:10], v[13:14], -v[15:16]
	v_fma_f64 v[15:16], v[17:18], s[4:5], -v[19:20]
	v_add_f64 v[9:10], v[11:12], -v[9:10]
	v_fma_f64 v[11:12], v[17:18], s[6:7], v[15:16]
	v_add_f64 v[7:8], v[7:8], v[9:10]
	v_add_f64 v[9:10], v[19:20], v[11:12]
	;; [unrolled: 1-line block ×3, first 2 shown]
	v_add_f64 v[19:20], v[9:10], -v[19:20]
	v_add_f64 v[17:18], v[9:10], v[15:16]
	v_add_f64 v[13:14], v[15:16], -v[13:14]
	v_add_f64 v[11:12], v[11:12], -v[19:20]
	;; [unrolled: 1-line block ×6, first 2 shown]
	v_add_f64 v[15:16], v[11:12], v[7:8]
	v_add_f64 v[9:10], v[9:10], -v[39:40]
	v_add_f64 v[9:10], v[13:14], v[9:10]
	v_add_f64 v[13:14], v[15:16], -v[11:12]
	;; [unrolled: 2-line block ×3, first 2 shown]
	v_add_f64 v[7:8], v[7:8], -v[13:14]
	v_add_f64 v[19:20], v[17:18], v[9:10]
	v_add_f64 v[11:12], v[11:12], -v[15:16]
	v_add_f64 v[13:14], v[19:20], -v[17:18]
	v_add_f64 v[7:8], v[7:8], v[11:12]
	v_add_f64 v[9:10], v[9:10], -v[13:14]
	v_add_f64 v[7:8], v[7:8], v[9:10]
	v_mov_b32_e32 v9, 0x7ff80000
	v_mov_b32_e32 v10, 0xfff00000
	v_add_f64 v[7:8], v[19:20], v[7:8]
	v_cndmask_b32_e32 v7, 0, v7, vcc
	v_cmp_ngt_f64_e32 vcc, -1.0, v[5:6]
	v_cndmask_b32_e64 v8, v45, v8, s[0:1]
	v_cndmask_b32_e32 v8, v9, v8, vcc
	v_cmp_neq_f64_e32 vcc, -1.0, v[5:6]
	v_cndmask_b32_e32 v8, v10, v8, vcc
	v_add_f64 v[39:40], v[3:4], v[7:8]
.LBB5_250:
	s_or_b64 exec, exec, s[2:3]
	s_movk_i32 s0, 0x7f
	v_cmp_eq_u32_e32 vcc, s0, v0
	s_and_saveexec_b64 s[0:1], vcc
	s_cbranch_execz .LBB5_252
; %bb.251:
	s_add_u32 s2, s42, 0x400
	s_addc_u32 s3, s43, 0
	v_mov_b32_e32 v8, s3
	v_mov_b32_e32 v5, 2
	;; [unrolled: 1-line block ×6, first 2 shown]
	;;#ASMSTART
	global_store_dwordx4 v[7:8], v[3:6] off	
s_waitcnt vmcnt(0)
	;;#ASMEND
.LBB5_252:
	s_or_b64 exec, exec, s[0:1]
	v_mov_b32_e32 v22, v2
	v_mov_b32_e32 v21, v1
.LBB5_253:
	s_add_u32 s0, s40, s34
	s_addc_u32 s1, s41, s35
	v_readlane_b32 s4, v102, 1
	s_add_u32 s0, s0, s38
	v_readlane_b32 s5, v102, 2
	s_addc_u32 s1, s1, s39
	s_mov_b64 s[2:3], -1
	s_and_b64 vcc, exec, s[4:5]
	s_waitcnt lgkmcnt(0)
	s_barrier
	s_cbranch_vccz .LBB5_255
; %bb.254:
	ds_write_b128 v66, v[21:24]
	ds_write_b128 v66, v[25:28] offset:16
	ds_write_b128 v66, v[29:32] offset:32
	;; [unrolled: 1-line block ×4, first 2 shown]
	s_waitcnt lgkmcnt(0)
	s_barrier
	ds_read2st64_b64 v[1:4], v65 offset1:2
	ds_read2st64_b64 v[5:8], v65 offset0:4 offset1:6
	ds_read2st64_b64 v[9:12], v65 offset0:8 offset1:10
	;; [unrolled: 1-line block ×4, first 2 shown]
	v_mov_b32_e32 v41, s1
	v_add_co_u32_e32 v42, vcc, s0, v65
	v_addc_co_u32_e32 v41, vcc, 0, v41, vcc
	s_movk_i32 s2, 0x1000
	s_waitcnt lgkmcnt(4)
	global_store_dwordx2 v65, v[1:2], s[0:1]
	global_store_dwordx2 v65, v[3:4], s[0:1] offset:1024
	s_waitcnt lgkmcnt(3)
	global_store_dwordx2 v65, v[5:6], s[0:1] offset:2048
	global_store_dwordx2 v65, v[7:8], s[0:1] offset:3072
	v_add_co_u32_e32 v1, vcc, s2, v42
	v_addc_co_u32_e32 v2, vcc, 0, v41, vcc
	s_waitcnt lgkmcnt(2)
	global_store_dwordx2 v[1:2], v[9:10], off
	global_store_dwordx2 v[1:2], v[11:12], off offset:1024
	s_waitcnt lgkmcnt(1)
	global_store_dwordx2 v[1:2], v[13:14], off offset:2048
	global_store_dwordx2 v[1:2], v[15:16], off offset:3072
	v_add_co_u32_e32 v1, vcc, 0x2000, v42
	v_addc_co_u32_e32 v2, vcc, 0, v41, vcc
	s_waitcnt lgkmcnt(0)
	global_store_dwordx2 v[1:2], v[17:18], off
	global_store_dwordx2 v[1:2], v[19:20], off offset:1024
	s_mov_b64 s[2:3], 0
.LBB5_255:
	s_andn2_b64 vcc, exec, s[2:3]
	s_cbranch_vccnz .LBB5_311
; %bb.256:
	ds_write_b128 v66, v[21:24]
	ds_write_b128 v66, v[25:28] offset:16
	ds_write_b128 v66, v[29:32] offset:32
	;; [unrolled: 1-line block ×4, first 2 shown]
	s_waitcnt vmcnt(0) lgkmcnt(0)
	s_barrier
	ds_read2st64_b64 v[2:5], v65 offset1:2
	ds_read2st64_b64 v[10:13], v65 offset0:4 offset1:6
	ds_read2st64_b64 v[6:9], v65 offset0:8 offset1:10
	;; [unrolled: 1-line block ×4, first 2 shown]
	v_mov_b32_e32 v23, s1
	v_add_co_u32_e32 v22, vcc, s0, v65
	v_addc_co_u32_e32 v23, vcc, 0, v23, vcc
	v_mov_b32_e32 v1, 0
	v_cmp_gt_u32_e32 vcc, s33, v0
	s_and_saveexec_b64 s[0:1], vcc
	s_cbranch_execz .LBB5_258
; %bb.257:
	s_waitcnt lgkmcnt(4)
	global_store_dwordx2 v[22:23], v[2:3], off
.LBB5_258:
	s_or_b64 exec, exec, s[0:1]
	v_or_b32_e32 v24, 0x80, v0
	v_cmp_gt_u32_e32 vcc, s33, v24
	s_and_saveexec_b64 s[0:1], vcc
	s_cbranch_execz .LBB5_260
; %bb.259:
	s_waitcnt lgkmcnt(4)
	global_store_dwordx2 v[22:23], v[4:5], off offset:1024
.LBB5_260:
	s_or_b64 exec, exec, s[0:1]
	v_or_b32_e32 v24, 0x100, v0
	v_cmp_gt_u32_e32 vcc, s33, v24
	s_and_saveexec_b64 s[0:1], vcc
	s_cbranch_execz .LBB5_262
; %bb.261:
	s_waitcnt lgkmcnt(3)
	global_store_dwordx2 v[22:23], v[10:11], off offset:2048
.LBB5_262:
	;; [unrolled: 9-line block ×3, first 2 shown]
	s_or_b64 exec, exec, s[0:1]
	v_or_b32_e32 v24, 0x200, v0
	v_cmp_gt_u32_e32 vcc, s33, v24
	s_and_saveexec_b64 s[0:1], vcc
	s_cbranch_execz .LBB5_266
; %bb.265:
	v_add_co_u32_e32 v24, vcc, 0x1000, v22
	v_addc_co_u32_e32 v25, vcc, 0, v23, vcc
	s_waitcnt lgkmcnt(2)
	global_store_dwordx2 v[24:25], v[6:7], off
.LBB5_266:
	s_or_b64 exec, exec, s[0:1]
	v_or_b32_e32 v24, 0x280, v0
	v_cmp_gt_u32_e32 vcc, s33, v24
	s_and_saveexec_b64 s[0:1], vcc
	s_cbranch_execz .LBB5_268
; %bb.267:
	v_add_co_u32_e32 v24, vcc, 0x1000, v22
	v_addc_co_u32_e32 v25, vcc, 0, v23, vcc
	s_waitcnt lgkmcnt(2)
	global_store_dwordx2 v[24:25], v[8:9], off offset:1024
.LBB5_268:
	s_or_b64 exec, exec, s[0:1]
	v_or_b32_e32 v24, 0x300, v0
	v_cmp_gt_u32_e32 vcc, s33, v24
	s_and_saveexec_b64 s[0:1], vcc
	s_cbranch_execz .LBB5_270
; %bb.269:
	v_add_co_u32_e32 v24, vcc, 0x1000, v22
	v_addc_co_u32_e32 v25, vcc, 0, v23, vcc
	s_waitcnt lgkmcnt(1)
	global_store_dwordx2 v[24:25], v[14:15], off offset:2048
.LBB5_270:
	;; [unrolled: 11-line block ×3, first 2 shown]
	s_or_b64 exec, exec, s[0:1]
	v_or_b32_e32 v24, 0x400, v0
	v_cmp_gt_u32_e32 vcc, s33, v24
	s_and_saveexec_b64 s[0:1], vcc
	s_cbranch_execz .LBB5_274
; %bb.273:
	v_add_co_u32_e32 v24, vcc, 0x2000, v22
	v_addc_co_u32_e32 v25, vcc, 0, v23, vcc
	s_waitcnt lgkmcnt(0)
	global_store_dwordx2 v[24:25], v[18:19], off
.LBB5_274:
	s_or_b64 exec, exec, s[0:1]
	v_or_b32_e32 v24, 0x480, v0
	v_cmp_gt_u32_e32 vcc, s33, v24
	s_and_saveexec_b64 s[0:1], vcc
	s_cbranch_execz .LBB5_276
; %bb.275:
	v_add_co_u32_e32 v22, vcc, 0x2000, v22
	v_addc_co_u32_e32 v23, vcc, 0, v23, vcc
	s_waitcnt lgkmcnt(0)
	global_store_dwordx2 v[22:23], v[20:21], off offset:1024
.LBB5_276:
	s_or_b64 exec, exec, s[0:1]
	v_cmp_lt_u64_e64 s[0:1], s[50:51], 2
	s_and_b64 vcc, exec, s[0:1]
	s_cbranch_vccnz .LBB5_311
; %bb.277:
	s_add_u32 s0, s33, -1
	v_readlane_b32 s1, v102, 0
	s_addc_u32 s1, s1, -1
	s_mul_i32 s5, s1, 0xcccccccd
	s_mul_hi_u32 s6, s0, 0xcccccccd
	s_mul_hi_u32 s4, s1, 0xcccccccd
	s_add_u32 s5, s5, s6
	s_mul_i32 s3, s0, 0xcccccccc
	s_addc_u32 s4, s4, 0
	s_mul_hi_u32 s2, s0, 0xcccccccc
	s_add_u32 s3, s3, s5
	s_addc_u32 s2, s2, 0
	s_add_u32 s2, s4, s2
	s_addc_u32 s3, 0, 0
	s_mul_i32 s5, s1, 0xcccccccc
	s_mul_hi_u32 s4, s1, 0xcccccccc
	s_add_u32 s2, s5, s2
	s_addc_u32 s3, s4, s3
	s_lshr_b64 s[2:3], s[2:3], 3
	v_cmp_eq_u64_e32 vcc, s[2:3], v[0:1]
	s_and_saveexec_b64 s[2:3], vcc
	s_cbranch_execz .LBB5_311
; %bb.278:
	v_mul_hi_u32_u24_e32 v1, 10, v0
	v_mul_u32_u24_e32 v0, 10, v0
	v_mov_b32_e32 v22, s1
	v_sub_co_u32_e32 v0, vcc, s0, v0
	v_subb_co_u32_e32 v1, vcc, v22, v1, vcc
	v_cmp_lt_i64_e32 vcc, 4, v[0:1]
	s_and_saveexec_b64 s[0:1], vcc
	s_xor_b64 s[0:1], exec, s[0:1]
	s_cbranch_execz .LBB5_296
; %bb.279:
	v_cmp_lt_i64_e32 vcc, 6, v[0:1]
	s_and_saveexec_b64 s[2:3], vcc
	s_xor_b64 s[2:3], exec, s[2:3]
	s_cbranch_execz .LBB5_289
; %bb.280:
	v_cmp_lt_i64_e32 vcc, 7, v[0:1]
	s_and_saveexec_b64 s[4:5], vcc
	s_xor_b64 s[4:5], exec, s[4:5]
	s_cbranch_execz .LBB5_286
; %bb.281:
	v_cmp_lt_i64_e32 vcc, 8, v[0:1]
	s_and_saveexec_b64 s[6:7], vcc
	s_xor_b64 s[6:7], exec, s[6:7]
	s_cbranch_execz .LBB5_283
; %bb.282:
	v_mov_b32_e32 v0, 0
	s_waitcnt lgkmcnt(0)
	global_store_dwordx2 v0, v[20:21], s[46:47]
                                        ; implicit-def: $vgpr18_vgpr19_vgpr20_vgpr21
.LBB5_283:
	s_andn2_saveexec_b64 s[6:7], s[6:7]
	s_cbranch_execz .LBB5_285
; %bb.284:
	v_mov_b32_e32 v0, 0
	s_waitcnt lgkmcnt(0)
	global_store_dwordx2 v0, v[18:19], s[46:47]
.LBB5_285:
	s_or_b64 exec, exec, s[6:7]
                                        ; implicit-def: $vgpr14_vgpr15_vgpr16_vgpr17
.LBB5_286:
	s_andn2_saveexec_b64 s[4:5], s[4:5]
	s_cbranch_execz .LBB5_288
; %bb.287:
	v_mov_b32_e32 v0, 0
	s_waitcnt lgkmcnt(1)
	global_store_dwordx2 v0, v[16:17], s[46:47]
.LBB5_288:
	s_or_b64 exec, exec, s[4:5]
                                        ; implicit-def: $vgpr6_vgpr7_vgpr8_vgpr9
                                        ; implicit-def: $vgpr0_vgpr1
                                        ; implicit-def: $vgpr14_vgpr15_vgpr16_vgpr17
.LBB5_289:
	s_andn2_saveexec_b64 s[2:3], s[2:3]
	s_cbranch_execz .LBB5_295
; %bb.290:
	v_cmp_lt_i64_e32 vcc, 5, v[0:1]
	s_and_saveexec_b64 s[4:5], vcc
	s_xor_b64 s[4:5], exec, s[4:5]
	s_cbranch_execz .LBB5_292
; %bb.291:
	v_mov_b32_e32 v0, 0
	s_waitcnt lgkmcnt(1)
	global_store_dwordx2 v0, v[14:15], s[46:47]
                                        ; implicit-def: $vgpr6_vgpr7_vgpr8_vgpr9
.LBB5_292:
	s_andn2_saveexec_b64 s[4:5], s[4:5]
	s_cbranch_execz .LBB5_294
; %bb.293:
	v_mov_b32_e32 v0, 0
	s_waitcnt lgkmcnt(2)
	global_store_dwordx2 v0, v[8:9], s[46:47]
.LBB5_294:
	s_or_b64 exec, exec, s[4:5]
.LBB5_295:
	s_or_b64 exec, exec, s[2:3]
                                        ; implicit-def: $vgpr0_vgpr1
                                        ; implicit-def: $vgpr10_vgpr11_vgpr12_vgpr13
                                        ; implicit-def: $vgpr2_vgpr3_vgpr4_vgpr5
                                        ; implicit-def: $vgpr6_vgpr7_vgpr8_vgpr9
.LBB5_296:
	s_andn2_saveexec_b64 s[0:1], s[0:1]
	s_cbranch_execz .LBB5_311
; %bb.297:
	v_cmp_lt_i64_e32 vcc, 2, v[0:1]
	s_and_saveexec_b64 s[0:1], vcc
	s_xor_b64 s[0:1], exec, s[0:1]
	s_cbranch_execz .LBB5_303
; %bb.298:
	v_cmp_lt_i64_e32 vcc, 3, v[0:1]
	s_and_saveexec_b64 s[2:3], vcc
	s_xor_b64 s[2:3], exec, s[2:3]
	s_cbranch_execz .LBB5_300
; %bb.299:
	v_mov_b32_e32 v0, 0
	s_waitcnt lgkmcnt(2)
	global_store_dwordx2 v0, v[6:7], s[46:47]
                                        ; implicit-def: $vgpr10_vgpr11_vgpr12_vgpr13
.LBB5_300:
	s_andn2_saveexec_b64 s[2:3], s[2:3]
	s_cbranch_execz .LBB5_302
; %bb.301:
	v_mov_b32_e32 v0, 0
	s_waitcnt lgkmcnt(3)
	global_store_dwordx2 v0, v[12:13], s[46:47]
.LBB5_302:
	s_or_b64 exec, exec, s[2:3]
                                        ; implicit-def: $vgpr0_vgpr1
                                        ; implicit-def: $vgpr10_vgpr11_vgpr12_vgpr13
                                        ; implicit-def: $vgpr2_vgpr3_vgpr4_vgpr5
.LBB5_303:
	s_andn2_saveexec_b64 s[0:1], s[0:1]
	s_cbranch_execz .LBB5_311
; %bb.304:
	v_cmp_lt_i64_e32 vcc, 1, v[0:1]
	s_and_saveexec_b64 s[0:1], vcc
	s_xor_b64 s[0:1], exec, s[0:1]
	s_cbranch_execz .LBB5_306
; %bb.305:
	v_mov_b32_e32 v0, 0
	s_waitcnt lgkmcnt(3)
	global_store_dwordx2 v0, v[10:11], s[46:47]
                                        ; implicit-def: $vgpr2_vgpr3_vgpr4_vgpr5
                                        ; implicit-def: $vgpr0_vgpr1
.LBB5_306:
	s_andn2_saveexec_b64 s[0:1], s[0:1]
	s_cbranch_execz .LBB5_311
; %bb.307:
	v_cmp_ne_u64_e32 vcc, 1, v[0:1]
	s_and_saveexec_b64 s[0:1], vcc
	s_xor_b64 s[0:1], exec, s[0:1]
	s_cbranch_execz .LBB5_309
; %bb.308:
	v_mov_b32_e32 v0, 0
	s_waitcnt lgkmcnt(4)
	global_store_dwordx2 v0, v[2:3], s[46:47]
                                        ; implicit-def: $vgpr2_vgpr3_vgpr4_vgpr5
.LBB5_309:
	s_andn2_saveexec_b64 s[0:1], s[0:1]
	s_cbranch_execz .LBB5_311
; %bb.310:
	v_mov_b32_e32 v0, 0
	s_waitcnt lgkmcnt(4)
	global_store_dwordx2 v0, v[4:5], s[46:47]
.LBB5_311:
	s_endpgm
	.section	.rodata,"a",@progbits
	.p2align	6, 0x0
	.amdhsa_kernel _ZN7rocprim17ROCPRIM_400000_NS6detail17trampoline_kernelINS0_14default_configENS1_20scan_config_selectorIdEEZZNS1_9scan_implILNS1_25lookback_scan_determinismE0ELb0ELb0ES3_PKdPddZZZN2at6native31launch_logcumsumexp_cuda_kernelERKNSB_10TensorBaseESF_lENKUlvE_clEvENKUlvE_clEvEUlddE_dEEDaPvRmT3_T4_T5_mT6_P12ihipStream_tbENKUlT_T0_E_clISt17integral_constantIbLb0EESW_EEDaSR_SS_EUlSR_E_NS1_11comp_targetILNS1_3genE2ELNS1_11target_archE906ELNS1_3gpuE6ELNS1_3repE0EEENS1_30default_config_static_selectorELNS0_4arch9wavefront6targetE1EEEvT1_
		.amdhsa_group_segment_fixed_size 10240
		.amdhsa_private_segment_fixed_size 0
		.amdhsa_kernarg_size 104
		.amdhsa_user_sgpr_count 6
		.amdhsa_user_sgpr_private_segment_buffer 1
		.amdhsa_user_sgpr_dispatch_ptr 0
		.amdhsa_user_sgpr_queue_ptr 0
		.amdhsa_user_sgpr_kernarg_segment_ptr 1
		.amdhsa_user_sgpr_dispatch_id 0
		.amdhsa_user_sgpr_flat_scratch_init 0
		.amdhsa_user_sgpr_private_segment_size 0
		.amdhsa_uses_dynamic_stack 0
		.amdhsa_system_sgpr_private_segment_wavefront_offset 0
		.amdhsa_system_sgpr_workgroup_id_x 1
		.amdhsa_system_sgpr_workgroup_id_y 0
		.amdhsa_system_sgpr_workgroup_id_z 0
		.amdhsa_system_sgpr_workgroup_info 0
		.amdhsa_system_vgpr_workitem_id 0
		.amdhsa_next_free_vgpr 103
		.amdhsa_next_free_sgpr 98
		.amdhsa_reserve_vcc 1
		.amdhsa_reserve_flat_scratch 0
		.amdhsa_float_round_mode_32 0
		.amdhsa_float_round_mode_16_64 0
		.amdhsa_float_denorm_mode_32 3
		.amdhsa_float_denorm_mode_16_64 3
		.amdhsa_dx10_clamp 1
		.amdhsa_ieee_mode 1
		.amdhsa_fp16_overflow 0
		.amdhsa_exception_fp_ieee_invalid_op 0
		.amdhsa_exception_fp_denorm_src 0
		.amdhsa_exception_fp_ieee_div_zero 0
		.amdhsa_exception_fp_ieee_overflow 0
		.amdhsa_exception_fp_ieee_underflow 0
		.amdhsa_exception_fp_ieee_inexact 0
		.amdhsa_exception_int_div_zero 0
	.end_amdhsa_kernel
	.section	.text._ZN7rocprim17ROCPRIM_400000_NS6detail17trampoline_kernelINS0_14default_configENS1_20scan_config_selectorIdEEZZNS1_9scan_implILNS1_25lookback_scan_determinismE0ELb0ELb0ES3_PKdPddZZZN2at6native31launch_logcumsumexp_cuda_kernelERKNSB_10TensorBaseESF_lENKUlvE_clEvENKUlvE_clEvEUlddE_dEEDaPvRmT3_T4_T5_mT6_P12ihipStream_tbENKUlT_T0_E_clISt17integral_constantIbLb0EESW_EEDaSR_SS_EUlSR_E_NS1_11comp_targetILNS1_3genE2ELNS1_11target_archE906ELNS1_3gpuE6ELNS1_3repE0EEENS1_30default_config_static_selectorELNS0_4arch9wavefront6targetE1EEEvT1_,"axG",@progbits,_ZN7rocprim17ROCPRIM_400000_NS6detail17trampoline_kernelINS0_14default_configENS1_20scan_config_selectorIdEEZZNS1_9scan_implILNS1_25lookback_scan_determinismE0ELb0ELb0ES3_PKdPddZZZN2at6native31launch_logcumsumexp_cuda_kernelERKNSB_10TensorBaseESF_lENKUlvE_clEvENKUlvE_clEvEUlddE_dEEDaPvRmT3_T4_T5_mT6_P12ihipStream_tbENKUlT_T0_E_clISt17integral_constantIbLb0EESW_EEDaSR_SS_EUlSR_E_NS1_11comp_targetILNS1_3genE2ELNS1_11target_archE906ELNS1_3gpuE6ELNS1_3repE0EEENS1_30default_config_static_selectorELNS0_4arch9wavefront6targetE1EEEvT1_,comdat
.Lfunc_end5:
	.size	_ZN7rocprim17ROCPRIM_400000_NS6detail17trampoline_kernelINS0_14default_configENS1_20scan_config_selectorIdEEZZNS1_9scan_implILNS1_25lookback_scan_determinismE0ELb0ELb0ES3_PKdPddZZZN2at6native31launch_logcumsumexp_cuda_kernelERKNSB_10TensorBaseESF_lENKUlvE_clEvENKUlvE_clEvEUlddE_dEEDaPvRmT3_T4_T5_mT6_P12ihipStream_tbENKUlT_T0_E_clISt17integral_constantIbLb0EESW_EEDaSR_SS_EUlSR_E_NS1_11comp_targetILNS1_3genE2ELNS1_11target_archE906ELNS1_3gpuE6ELNS1_3repE0EEENS1_30default_config_static_selectorELNS0_4arch9wavefront6targetE1EEEvT1_, .Lfunc_end5-_ZN7rocprim17ROCPRIM_400000_NS6detail17trampoline_kernelINS0_14default_configENS1_20scan_config_selectorIdEEZZNS1_9scan_implILNS1_25lookback_scan_determinismE0ELb0ELb0ES3_PKdPddZZZN2at6native31launch_logcumsumexp_cuda_kernelERKNSB_10TensorBaseESF_lENKUlvE_clEvENKUlvE_clEvEUlddE_dEEDaPvRmT3_T4_T5_mT6_P12ihipStream_tbENKUlT_T0_E_clISt17integral_constantIbLb0EESW_EEDaSR_SS_EUlSR_E_NS1_11comp_targetILNS1_3genE2ELNS1_11target_archE906ELNS1_3gpuE6ELNS1_3repE0EEENS1_30default_config_static_selectorELNS0_4arch9wavefront6targetE1EEEvT1_
                                        ; -- End function
	.set _ZN7rocprim17ROCPRIM_400000_NS6detail17trampoline_kernelINS0_14default_configENS1_20scan_config_selectorIdEEZZNS1_9scan_implILNS1_25lookback_scan_determinismE0ELb0ELb0ES3_PKdPddZZZN2at6native31launch_logcumsumexp_cuda_kernelERKNSB_10TensorBaseESF_lENKUlvE_clEvENKUlvE_clEvEUlddE_dEEDaPvRmT3_T4_T5_mT6_P12ihipStream_tbENKUlT_T0_E_clISt17integral_constantIbLb0EESW_EEDaSR_SS_EUlSR_E_NS1_11comp_targetILNS1_3genE2ELNS1_11target_archE906ELNS1_3gpuE6ELNS1_3repE0EEENS1_30default_config_static_selectorELNS0_4arch9wavefront6targetE1EEEvT1_.num_vgpr, 103
	.set _ZN7rocprim17ROCPRIM_400000_NS6detail17trampoline_kernelINS0_14default_configENS1_20scan_config_selectorIdEEZZNS1_9scan_implILNS1_25lookback_scan_determinismE0ELb0ELb0ES3_PKdPddZZZN2at6native31launch_logcumsumexp_cuda_kernelERKNSB_10TensorBaseESF_lENKUlvE_clEvENKUlvE_clEvEUlddE_dEEDaPvRmT3_T4_T5_mT6_P12ihipStream_tbENKUlT_T0_E_clISt17integral_constantIbLb0EESW_EEDaSR_SS_EUlSR_E_NS1_11comp_targetILNS1_3genE2ELNS1_11target_archE906ELNS1_3gpuE6ELNS1_3repE0EEENS1_30default_config_static_selectorELNS0_4arch9wavefront6targetE1EEEvT1_.num_agpr, 0
	.set _ZN7rocprim17ROCPRIM_400000_NS6detail17trampoline_kernelINS0_14default_configENS1_20scan_config_selectorIdEEZZNS1_9scan_implILNS1_25lookback_scan_determinismE0ELb0ELb0ES3_PKdPddZZZN2at6native31launch_logcumsumexp_cuda_kernelERKNSB_10TensorBaseESF_lENKUlvE_clEvENKUlvE_clEvEUlddE_dEEDaPvRmT3_T4_T5_mT6_P12ihipStream_tbENKUlT_T0_E_clISt17integral_constantIbLb0EESW_EEDaSR_SS_EUlSR_E_NS1_11comp_targetILNS1_3genE2ELNS1_11target_archE906ELNS1_3gpuE6ELNS1_3repE0EEENS1_30default_config_static_selectorELNS0_4arch9wavefront6targetE1EEEvT1_.numbered_sgpr, 96
	.set _ZN7rocprim17ROCPRIM_400000_NS6detail17trampoline_kernelINS0_14default_configENS1_20scan_config_selectorIdEEZZNS1_9scan_implILNS1_25lookback_scan_determinismE0ELb0ELb0ES3_PKdPddZZZN2at6native31launch_logcumsumexp_cuda_kernelERKNSB_10TensorBaseESF_lENKUlvE_clEvENKUlvE_clEvEUlddE_dEEDaPvRmT3_T4_T5_mT6_P12ihipStream_tbENKUlT_T0_E_clISt17integral_constantIbLb0EESW_EEDaSR_SS_EUlSR_E_NS1_11comp_targetILNS1_3genE2ELNS1_11target_archE906ELNS1_3gpuE6ELNS1_3repE0EEENS1_30default_config_static_selectorELNS0_4arch9wavefront6targetE1EEEvT1_.num_named_barrier, 0
	.set _ZN7rocprim17ROCPRIM_400000_NS6detail17trampoline_kernelINS0_14default_configENS1_20scan_config_selectorIdEEZZNS1_9scan_implILNS1_25lookback_scan_determinismE0ELb0ELb0ES3_PKdPddZZZN2at6native31launch_logcumsumexp_cuda_kernelERKNSB_10TensorBaseESF_lENKUlvE_clEvENKUlvE_clEvEUlddE_dEEDaPvRmT3_T4_T5_mT6_P12ihipStream_tbENKUlT_T0_E_clISt17integral_constantIbLb0EESW_EEDaSR_SS_EUlSR_E_NS1_11comp_targetILNS1_3genE2ELNS1_11target_archE906ELNS1_3gpuE6ELNS1_3repE0EEENS1_30default_config_static_selectorELNS0_4arch9wavefront6targetE1EEEvT1_.private_seg_size, 0
	.set _ZN7rocprim17ROCPRIM_400000_NS6detail17trampoline_kernelINS0_14default_configENS1_20scan_config_selectorIdEEZZNS1_9scan_implILNS1_25lookback_scan_determinismE0ELb0ELb0ES3_PKdPddZZZN2at6native31launch_logcumsumexp_cuda_kernelERKNSB_10TensorBaseESF_lENKUlvE_clEvENKUlvE_clEvEUlddE_dEEDaPvRmT3_T4_T5_mT6_P12ihipStream_tbENKUlT_T0_E_clISt17integral_constantIbLb0EESW_EEDaSR_SS_EUlSR_E_NS1_11comp_targetILNS1_3genE2ELNS1_11target_archE906ELNS1_3gpuE6ELNS1_3repE0EEENS1_30default_config_static_selectorELNS0_4arch9wavefront6targetE1EEEvT1_.uses_vcc, 1
	.set _ZN7rocprim17ROCPRIM_400000_NS6detail17trampoline_kernelINS0_14default_configENS1_20scan_config_selectorIdEEZZNS1_9scan_implILNS1_25lookback_scan_determinismE0ELb0ELb0ES3_PKdPddZZZN2at6native31launch_logcumsumexp_cuda_kernelERKNSB_10TensorBaseESF_lENKUlvE_clEvENKUlvE_clEvEUlddE_dEEDaPvRmT3_T4_T5_mT6_P12ihipStream_tbENKUlT_T0_E_clISt17integral_constantIbLb0EESW_EEDaSR_SS_EUlSR_E_NS1_11comp_targetILNS1_3genE2ELNS1_11target_archE906ELNS1_3gpuE6ELNS1_3repE0EEENS1_30default_config_static_selectorELNS0_4arch9wavefront6targetE1EEEvT1_.uses_flat_scratch, 0
	.set _ZN7rocprim17ROCPRIM_400000_NS6detail17trampoline_kernelINS0_14default_configENS1_20scan_config_selectorIdEEZZNS1_9scan_implILNS1_25lookback_scan_determinismE0ELb0ELb0ES3_PKdPddZZZN2at6native31launch_logcumsumexp_cuda_kernelERKNSB_10TensorBaseESF_lENKUlvE_clEvENKUlvE_clEvEUlddE_dEEDaPvRmT3_T4_T5_mT6_P12ihipStream_tbENKUlT_T0_E_clISt17integral_constantIbLb0EESW_EEDaSR_SS_EUlSR_E_NS1_11comp_targetILNS1_3genE2ELNS1_11target_archE906ELNS1_3gpuE6ELNS1_3repE0EEENS1_30default_config_static_selectorELNS0_4arch9wavefront6targetE1EEEvT1_.has_dyn_sized_stack, 0
	.set _ZN7rocprim17ROCPRIM_400000_NS6detail17trampoline_kernelINS0_14default_configENS1_20scan_config_selectorIdEEZZNS1_9scan_implILNS1_25lookback_scan_determinismE0ELb0ELb0ES3_PKdPddZZZN2at6native31launch_logcumsumexp_cuda_kernelERKNSB_10TensorBaseESF_lENKUlvE_clEvENKUlvE_clEvEUlddE_dEEDaPvRmT3_T4_T5_mT6_P12ihipStream_tbENKUlT_T0_E_clISt17integral_constantIbLb0EESW_EEDaSR_SS_EUlSR_E_NS1_11comp_targetILNS1_3genE2ELNS1_11target_archE906ELNS1_3gpuE6ELNS1_3repE0EEENS1_30default_config_static_selectorELNS0_4arch9wavefront6targetE1EEEvT1_.has_recursion, 0
	.set _ZN7rocprim17ROCPRIM_400000_NS6detail17trampoline_kernelINS0_14default_configENS1_20scan_config_selectorIdEEZZNS1_9scan_implILNS1_25lookback_scan_determinismE0ELb0ELb0ES3_PKdPddZZZN2at6native31launch_logcumsumexp_cuda_kernelERKNSB_10TensorBaseESF_lENKUlvE_clEvENKUlvE_clEvEUlddE_dEEDaPvRmT3_T4_T5_mT6_P12ihipStream_tbENKUlT_T0_E_clISt17integral_constantIbLb0EESW_EEDaSR_SS_EUlSR_E_NS1_11comp_targetILNS1_3genE2ELNS1_11target_archE906ELNS1_3gpuE6ELNS1_3repE0EEENS1_30default_config_static_selectorELNS0_4arch9wavefront6targetE1EEEvT1_.has_indirect_call, 0
	.section	.AMDGPU.csdata,"",@progbits
; Kernel info:
; codeLenInByte = 119808
; TotalNumSgprs: 100
; NumVgprs: 103
; ScratchSize: 0
; MemoryBound: 0
; FloatMode: 240
; IeeeMode: 1
; LDSByteSize: 10240 bytes/workgroup (compile time only)
; SGPRBlocks: 12
; VGPRBlocks: 25
; NumSGPRsForWavesPerEU: 102
; NumVGPRsForWavesPerEU: 103
; Occupancy: 2
; WaveLimiterHint : 1
; COMPUTE_PGM_RSRC2:SCRATCH_EN: 0
; COMPUTE_PGM_RSRC2:USER_SGPR: 6
; COMPUTE_PGM_RSRC2:TRAP_HANDLER: 0
; COMPUTE_PGM_RSRC2:TGID_X_EN: 1
; COMPUTE_PGM_RSRC2:TGID_Y_EN: 0
; COMPUTE_PGM_RSRC2:TGID_Z_EN: 0
; COMPUTE_PGM_RSRC2:TIDIG_COMP_CNT: 0
	.section	.text._ZN7rocprim17ROCPRIM_400000_NS6detail17trampoline_kernelINS0_14default_configENS1_20scan_config_selectorIdEEZZNS1_9scan_implILNS1_25lookback_scan_determinismE0ELb0ELb0ES3_PKdPddZZZN2at6native31launch_logcumsumexp_cuda_kernelERKNSB_10TensorBaseESF_lENKUlvE_clEvENKUlvE_clEvEUlddE_dEEDaPvRmT3_T4_T5_mT6_P12ihipStream_tbENKUlT_T0_E_clISt17integral_constantIbLb0EESW_EEDaSR_SS_EUlSR_E_NS1_11comp_targetILNS1_3genE10ELNS1_11target_archE1201ELNS1_3gpuE5ELNS1_3repE0EEENS1_30default_config_static_selectorELNS0_4arch9wavefront6targetE1EEEvT1_,"axG",@progbits,_ZN7rocprim17ROCPRIM_400000_NS6detail17trampoline_kernelINS0_14default_configENS1_20scan_config_selectorIdEEZZNS1_9scan_implILNS1_25lookback_scan_determinismE0ELb0ELb0ES3_PKdPddZZZN2at6native31launch_logcumsumexp_cuda_kernelERKNSB_10TensorBaseESF_lENKUlvE_clEvENKUlvE_clEvEUlddE_dEEDaPvRmT3_T4_T5_mT6_P12ihipStream_tbENKUlT_T0_E_clISt17integral_constantIbLb0EESW_EEDaSR_SS_EUlSR_E_NS1_11comp_targetILNS1_3genE10ELNS1_11target_archE1201ELNS1_3gpuE5ELNS1_3repE0EEENS1_30default_config_static_selectorELNS0_4arch9wavefront6targetE1EEEvT1_,comdat
	.globl	_ZN7rocprim17ROCPRIM_400000_NS6detail17trampoline_kernelINS0_14default_configENS1_20scan_config_selectorIdEEZZNS1_9scan_implILNS1_25lookback_scan_determinismE0ELb0ELb0ES3_PKdPddZZZN2at6native31launch_logcumsumexp_cuda_kernelERKNSB_10TensorBaseESF_lENKUlvE_clEvENKUlvE_clEvEUlddE_dEEDaPvRmT3_T4_T5_mT6_P12ihipStream_tbENKUlT_T0_E_clISt17integral_constantIbLb0EESW_EEDaSR_SS_EUlSR_E_NS1_11comp_targetILNS1_3genE10ELNS1_11target_archE1201ELNS1_3gpuE5ELNS1_3repE0EEENS1_30default_config_static_selectorELNS0_4arch9wavefront6targetE1EEEvT1_ ; -- Begin function _ZN7rocprim17ROCPRIM_400000_NS6detail17trampoline_kernelINS0_14default_configENS1_20scan_config_selectorIdEEZZNS1_9scan_implILNS1_25lookback_scan_determinismE0ELb0ELb0ES3_PKdPddZZZN2at6native31launch_logcumsumexp_cuda_kernelERKNSB_10TensorBaseESF_lENKUlvE_clEvENKUlvE_clEvEUlddE_dEEDaPvRmT3_T4_T5_mT6_P12ihipStream_tbENKUlT_T0_E_clISt17integral_constantIbLb0EESW_EEDaSR_SS_EUlSR_E_NS1_11comp_targetILNS1_3genE10ELNS1_11target_archE1201ELNS1_3gpuE5ELNS1_3repE0EEENS1_30default_config_static_selectorELNS0_4arch9wavefront6targetE1EEEvT1_
	.p2align	8
	.type	_ZN7rocprim17ROCPRIM_400000_NS6detail17trampoline_kernelINS0_14default_configENS1_20scan_config_selectorIdEEZZNS1_9scan_implILNS1_25lookback_scan_determinismE0ELb0ELb0ES3_PKdPddZZZN2at6native31launch_logcumsumexp_cuda_kernelERKNSB_10TensorBaseESF_lENKUlvE_clEvENKUlvE_clEvEUlddE_dEEDaPvRmT3_T4_T5_mT6_P12ihipStream_tbENKUlT_T0_E_clISt17integral_constantIbLb0EESW_EEDaSR_SS_EUlSR_E_NS1_11comp_targetILNS1_3genE10ELNS1_11target_archE1201ELNS1_3gpuE5ELNS1_3repE0EEENS1_30default_config_static_selectorELNS0_4arch9wavefront6targetE1EEEvT1_,@function
_ZN7rocprim17ROCPRIM_400000_NS6detail17trampoline_kernelINS0_14default_configENS1_20scan_config_selectorIdEEZZNS1_9scan_implILNS1_25lookback_scan_determinismE0ELb0ELb0ES3_PKdPddZZZN2at6native31launch_logcumsumexp_cuda_kernelERKNSB_10TensorBaseESF_lENKUlvE_clEvENKUlvE_clEvEUlddE_dEEDaPvRmT3_T4_T5_mT6_P12ihipStream_tbENKUlT_T0_E_clISt17integral_constantIbLb0EESW_EEDaSR_SS_EUlSR_E_NS1_11comp_targetILNS1_3genE10ELNS1_11target_archE1201ELNS1_3gpuE5ELNS1_3repE0EEENS1_30default_config_static_selectorELNS0_4arch9wavefront6targetE1EEEvT1_: ; @_ZN7rocprim17ROCPRIM_400000_NS6detail17trampoline_kernelINS0_14default_configENS1_20scan_config_selectorIdEEZZNS1_9scan_implILNS1_25lookback_scan_determinismE0ELb0ELb0ES3_PKdPddZZZN2at6native31launch_logcumsumexp_cuda_kernelERKNSB_10TensorBaseESF_lENKUlvE_clEvENKUlvE_clEvEUlddE_dEEDaPvRmT3_T4_T5_mT6_P12ihipStream_tbENKUlT_T0_E_clISt17integral_constantIbLb0EESW_EEDaSR_SS_EUlSR_E_NS1_11comp_targetILNS1_3genE10ELNS1_11target_archE1201ELNS1_3gpuE5ELNS1_3repE0EEENS1_30default_config_static_selectorELNS0_4arch9wavefront6targetE1EEEvT1_
; %bb.0:
	.section	.rodata,"a",@progbits
	.p2align	6, 0x0
	.amdhsa_kernel _ZN7rocprim17ROCPRIM_400000_NS6detail17trampoline_kernelINS0_14default_configENS1_20scan_config_selectorIdEEZZNS1_9scan_implILNS1_25lookback_scan_determinismE0ELb0ELb0ES3_PKdPddZZZN2at6native31launch_logcumsumexp_cuda_kernelERKNSB_10TensorBaseESF_lENKUlvE_clEvENKUlvE_clEvEUlddE_dEEDaPvRmT3_T4_T5_mT6_P12ihipStream_tbENKUlT_T0_E_clISt17integral_constantIbLb0EESW_EEDaSR_SS_EUlSR_E_NS1_11comp_targetILNS1_3genE10ELNS1_11target_archE1201ELNS1_3gpuE5ELNS1_3repE0EEENS1_30default_config_static_selectorELNS0_4arch9wavefront6targetE1EEEvT1_
		.amdhsa_group_segment_fixed_size 0
		.amdhsa_private_segment_fixed_size 0
		.amdhsa_kernarg_size 104
		.amdhsa_user_sgpr_count 6
		.amdhsa_user_sgpr_private_segment_buffer 1
		.amdhsa_user_sgpr_dispatch_ptr 0
		.amdhsa_user_sgpr_queue_ptr 0
		.amdhsa_user_sgpr_kernarg_segment_ptr 1
		.amdhsa_user_sgpr_dispatch_id 0
		.amdhsa_user_sgpr_flat_scratch_init 0
		.amdhsa_user_sgpr_private_segment_size 0
		.amdhsa_uses_dynamic_stack 0
		.amdhsa_system_sgpr_private_segment_wavefront_offset 0
		.amdhsa_system_sgpr_workgroup_id_x 1
		.amdhsa_system_sgpr_workgroup_id_y 0
		.amdhsa_system_sgpr_workgroup_id_z 0
		.amdhsa_system_sgpr_workgroup_info 0
		.amdhsa_system_vgpr_workitem_id 0
		.amdhsa_next_free_vgpr 1
		.amdhsa_next_free_sgpr 0
		.amdhsa_reserve_vcc 0
		.amdhsa_reserve_flat_scratch 0
		.amdhsa_float_round_mode_32 0
		.amdhsa_float_round_mode_16_64 0
		.amdhsa_float_denorm_mode_32 3
		.amdhsa_float_denorm_mode_16_64 3
		.amdhsa_dx10_clamp 1
		.amdhsa_ieee_mode 1
		.amdhsa_fp16_overflow 0
		.amdhsa_exception_fp_ieee_invalid_op 0
		.amdhsa_exception_fp_denorm_src 0
		.amdhsa_exception_fp_ieee_div_zero 0
		.amdhsa_exception_fp_ieee_overflow 0
		.amdhsa_exception_fp_ieee_underflow 0
		.amdhsa_exception_fp_ieee_inexact 0
		.amdhsa_exception_int_div_zero 0
	.end_amdhsa_kernel
	.section	.text._ZN7rocprim17ROCPRIM_400000_NS6detail17trampoline_kernelINS0_14default_configENS1_20scan_config_selectorIdEEZZNS1_9scan_implILNS1_25lookback_scan_determinismE0ELb0ELb0ES3_PKdPddZZZN2at6native31launch_logcumsumexp_cuda_kernelERKNSB_10TensorBaseESF_lENKUlvE_clEvENKUlvE_clEvEUlddE_dEEDaPvRmT3_T4_T5_mT6_P12ihipStream_tbENKUlT_T0_E_clISt17integral_constantIbLb0EESW_EEDaSR_SS_EUlSR_E_NS1_11comp_targetILNS1_3genE10ELNS1_11target_archE1201ELNS1_3gpuE5ELNS1_3repE0EEENS1_30default_config_static_selectorELNS0_4arch9wavefront6targetE1EEEvT1_,"axG",@progbits,_ZN7rocprim17ROCPRIM_400000_NS6detail17trampoline_kernelINS0_14default_configENS1_20scan_config_selectorIdEEZZNS1_9scan_implILNS1_25lookback_scan_determinismE0ELb0ELb0ES3_PKdPddZZZN2at6native31launch_logcumsumexp_cuda_kernelERKNSB_10TensorBaseESF_lENKUlvE_clEvENKUlvE_clEvEUlddE_dEEDaPvRmT3_T4_T5_mT6_P12ihipStream_tbENKUlT_T0_E_clISt17integral_constantIbLb0EESW_EEDaSR_SS_EUlSR_E_NS1_11comp_targetILNS1_3genE10ELNS1_11target_archE1201ELNS1_3gpuE5ELNS1_3repE0EEENS1_30default_config_static_selectorELNS0_4arch9wavefront6targetE1EEEvT1_,comdat
.Lfunc_end6:
	.size	_ZN7rocprim17ROCPRIM_400000_NS6detail17trampoline_kernelINS0_14default_configENS1_20scan_config_selectorIdEEZZNS1_9scan_implILNS1_25lookback_scan_determinismE0ELb0ELb0ES3_PKdPddZZZN2at6native31launch_logcumsumexp_cuda_kernelERKNSB_10TensorBaseESF_lENKUlvE_clEvENKUlvE_clEvEUlddE_dEEDaPvRmT3_T4_T5_mT6_P12ihipStream_tbENKUlT_T0_E_clISt17integral_constantIbLb0EESW_EEDaSR_SS_EUlSR_E_NS1_11comp_targetILNS1_3genE10ELNS1_11target_archE1201ELNS1_3gpuE5ELNS1_3repE0EEENS1_30default_config_static_selectorELNS0_4arch9wavefront6targetE1EEEvT1_, .Lfunc_end6-_ZN7rocprim17ROCPRIM_400000_NS6detail17trampoline_kernelINS0_14default_configENS1_20scan_config_selectorIdEEZZNS1_9scan_implILNS1_25lookback_scan_determinismE0ELb0ELb0ES3_PKdPddZZZN2at6native31launch_logcumsumexp_cuda_kernelERKNSB_10TensorBaseESF_lENKUlvE_clEvENKUlvE_clEvEUlddE_dEEDaPvRmT3_T4_T5_mT6_P12ihipStream_tbENKUlT_T0_E_clISt17integral_constantIbLb0EESW_EEDaSR_SS_EUlSR_E_NS1_11comp_targetILNS1_3genE10ELNS1_11target_archE1201ELNS1_3gpuE5ELNS1_3repE0EEENS1_30default_config_static_selectorELNS0_4arch9wavefront6targetE1EEEvT1_
                                        ; -- End function
	.set _ZN7rocprim17ROCPRIM_400000_NS6detail17trampoline_kernelINS0_14default_configENS1_20scan_config_selectorIdEEZZNS1_9scan_implILNS1_25lookback_scan_determinismE0ELb0ELb0ES3_PKdPddZZZN2at6native31launch_logcumsumexp_cuda_kernelERKNSB_10TensorBaseESF_lENKUlvE_clEvENKUlvE_clEvEUlddE_dEEDaPvRmT3_T4_T5_mT6_P12ihipStream_tbENKUlT_T0_E_clISt17integral_constantIbLb0EESW_EEDaSR_SS_EUlSR_E_NS1_11comp_targetILNS1_3genE10ELNS1_11target_archE1201ELNS1_3gpuE5ELNS1_3repE0EEENS1_30default_config_static_selectorELNS0_4arch9wavefront6targetE1EEEvT1_.num_vgpr, 0
	.set _ZN7rocprim17ROCPRIM_400000_NS6detail17trampoline_kernelINS0_14default_configENS1_20scan_config_selectorIdEEZZNS1_9scan_implILNS1_25lookback_scan_determinismE0ELb0ELb0ES3_PKdPddZZZN2at6native31launch_logcumsumexp_cuda_kernelERKNSB_10TensorBaseESF_lENKUlvE_clEvENKUlvE_clEvEUlddE_dEEDaPvRmT3_T4_T5_mT6_P12ihipStream_tbENKUlT_T0_E_clISt17integral_constantIbLb0EESW_EEDaSR_SS_EUlSR_E_NS1_11comp_targetILNS1_3genE10ELNS1_11target_archE1201ELNS1_3gpuE5ELNS1_3repE0EEENS1_30default_config_static_selectorELNS0_4arch9wavefront6targetE1EEEvT1_.num_agpr, 0
	.set _ZN7rocprim17ROCPRIM_400000_NS6detail17trampoline_kernelINS0_14default_configENS1_20scan_config_selectorIdEEZZNS1_9scan_implILNS1_25lookback_scan_determinismE0ELb0ELb0ES3_PKdPddZZZN2at6native31launch_logcumsumexp_cuda_kernelERKNSB_10TensorBaseESF_lENKUlvE_clEvENKUlvE_clEvEUlddE_dEEDaPvRmT3_T4_T5_mT6_P12ihipStream_tbENKUlT_T0_E_clISt17integral_constantIbLb0EESW_EEDaSR_SS_EUlSR_E_NS1_11comp_targetILNS1_3genE10ELNS1_11target_archE1201ELNS1_3gpuE5ELNS1_3repE0EEENS1_30default_config_static_selectorELNS0_4arch9wavefront6targetE1EEEvT1_.numbered_sgpr, 0
	.set _ZN7rocprim17ROCPRIM_400000_NS6detail17trampoline_kernelINS0_14default_configENS1_20scan_config_selectorIdEEZZNS1_9scan_implILNS1_25lookback_scan_determinismE0ELb0ELb0ES3_PKdPddZZZN2at6native31launch_logcumsumexp_cuda_kernelERKNSB_10TensorBaseESF_lENKUlvE_clEvENKUlvE_clEvEUlddE_dEEDaPvRmT3_T4_T5_mT6_P12ihipStream_tbENKUlT_T0_E_clISt17integral_constantIbLb0EESW_EEDaSR_SS_EUlSR_E_NS1_11comp_targetILNS1_3genE10ELNS1_11target_archE1201ELNS1_3gpuE5ELNS1_3repE0EEENS1_30default_config_static_selectorELNS0_4arch9wavefront6targetE1EEEvT1_.num_named_barrier, 0
	.set _ZN7rocprim17ROCPRIM_400000_NS6detail17trampoline_kernelINS0_14default_configENS1_20scan_config_selectorIdEEZZNS1_9scan_implILNS1_25lookback_scan_determinismE0ELb0ELb0ES3_PKdPddZZZN2at6native31launch_logcumsumexp_cuda_kernelERKNSB_10TensorBaseESF_lENKUlvE_clEvENKUlvE_clEvEUlddE_dEEDaPvRmT3_T4_T5_mT6_P12ihipStream_tbENKUlT_T0_E_clISt17integral_constantIbLb0EESW_EEDaSR_SS_EUlSR_E_NS1_11comp_targetILNS1_3genE10ELNS1_11target_archE1201ELNS1_3gpuE5ELNS1_3repE0EEENS1_30default_config_static_selectorELNS0_4arch9wavefront6targetE1EEEvT1_.private_seg_size, 0
	.set _ZN7rocprim17ROCPRIM_400000_NS6detail17trampoline_kernelINS0_14default_configENS1_20scan_config_selectorIdEEZZNS1_9scan_implILNS1_25lookback_scan_determinismE0ELb0ELb0ES3_PKdPddZZZN2at6native31launch_logcumsumexp_cuda_kernelERKNSB_10TensorBaseESF_lENKUlvE_clEvENKUlvE_clEvEUlddE_dEEDaPvRmT3_T4_T5_mT6_P12ihipStream_tbENKUlT_T0_E_clISt17integral_constantIbLb0EESW_EEDaSR_SS_EUlSR_E_NS1_11comp_targetILNS1_3genE10ELNS1_11target_archE1201ELNS1_3gpuE5ELNS1_3repE0EEENS1_30default_config_static_selectorELNS0_4arch9wavefront6targetE1EEEvT1_.uses_vcc, 0
	.set _ZN7rocprim17ROCPRIM_400000_NS6detail17trampoline_kernelINS0_14default_configENS1_20scan_config_selectorIdEEZZNS1_9scan_implILNS1_25lookback_scan_determinismE0ELb0ELb0ES3_PKdPddZZZN2at6native31launch_logcumsumexp_cuda_kernelERKNSB_10TensorBaseESF_lENKUlvE_clEvENKUlvE_clEvEUlddE_dEEDaPvRmT3_T4_T5_mT6_P12ihipStream_tbENKUlT_T0_E_clISt17integral_constantIbLb0EESW_EEDaSR_SS_EUlSR_E_NS1_11comp_targetILNS1_3genE10ELNS1_11target_archE1201ELNS1_3gpuE5ELNS1_3repE0EEENS1_30default_config_static_selectorELNS0_4arch9wavefront6targetE1EEEvT1_.uses_flat_scratch, 0
	.set _ZN7rocprim17ROCPRIM_400000_NS6detail17trampoline_kernelINS0_14default_configENS1_20scan_config_selectorIdEEZZNS1_9scan_implILNS1_25lookback_scan_determinismE0ELb0ELb0ES3_PKdPddZZZN2at6native31launch_logcumsumexp_cuda_kernelERKNSB_10TensorBaseESF_lENKUlvE_clEvENKUlvE_clEvEUlddE_dEEDaPvRmT3_T4_T5_mT6_P12ihipStream_tbENKUlT_T0_E_clISt17integral_constantIbLb0EESW_EEDaSR_SS_EUlSR_E_NS1_11comp_targetILNS1_3genE10ELNS1_11target_archE1201ELNS1_3gpuE5ELNS1_3repE0EEENS1_30default_config_static_selectorELNS0_4arch9wavefront6targetE1EEEvT1_.has_dyn_sized_stack, 0
	.set _ZN7rocprim17ROCPRIM_400000_NS6detail17trampoline_kernelINS0_14default_configENS1_20scan_config_selectorIdEEZZNS1_9scan_implILNS1_25lookback_scan_determinismE0ELb0ELb0ES3_PKdPddZZZN2at6native31launch_logcumsumexp_cuda_kernelERKNSB_10TensorBaseESF_lENKUlvE_clEvENKUlvE_clEvEUlddE_dEEDaPvRmT3_T4_T5_mT6_P12ihipStream_tbENKUlT_T0_E_clISt17integral_constantIbLb0EESW_EEDaSR_SS_EUlSR_E_NS1_11comp_targetILNS1_3genE10ELNS1_11target_archE1201ELNS1_3gpuE5ELNS1_3repE0EEENS1_30default_config_static_selectorELNS0_4arch9wavefront6targetE1EEEvT1_.has_recursion, 0
	.set _ZN7rocprim17ROCPRIM_400000_NS6detail17trampoline_kernelINS0_14default_configENS1_20scan_config_selectorIdEEZZNS1_9scan_implILNS1_25lookback_scan_determinismE0ELb0ELb0ES3_PKdPddZZZN2at6native31launch_logcumsumexp_cuda_kernelERKNSB_10TensorBaseESF_lENKUlvE_clEvENKUlvE_clEvEUlddE_dEEDaPvRmT3_T4_T5_mT6_P12ihipStream_tbENKUlT_T0_E_clISt17integral_constantIbLb0EESW_EEDaSR_SS_EUlSR_E_NS1_11comp_targetILNS1_3genE10ELNS1_11target_archE1201ELNS1_3gpuE5ELNS1_3repE0EEENS1_30default_config_static_selectorELNS0_4arch9wavefront6targetE1EEEvT1_.has_indirect_call, 0
	.section	.AMDGPU.csdata,"",@progbits
; Kernel info:
; codeLenInByte = 0
; TotalNumSgprs: 4
; NumVgprs: 0
; ScratchSize: 0
; MemoryBound: 0
; FloatMode: 240
; IeeeMode: 1
; LDSByteSize: 0 bytes/workgroup (compile time only)
; SGPRBlocks: 0
; VGPRBlocks: 0
; NumSGPRsForWavesPerEU: 4
; NumVGPRsForWavesPerEU: 1
; Occupancy: 10
; WaveLimiterHint : 0
; COMPUTE_PGM_RSRC2:SCRATCH_EN: 0
; COMPUTE_PGM_RSRC2:USER_SGPR: 6
; COMPUTE_PGM_RSRC2:TRAP_HANDLER: 0
; COMPUTE_PGM_RSRC2:TGID_X_EN: 1
; COMPUTE_PGM_RSRC2:TGID_Y_EN: 0
; COMPUTE_PGM_RSRC2:TGID_Z_EN: 0
; COMPUTE_PGM_RSRC2:TIDIG_COMP_CNT: 0
	.section	.text._ZN7rocprim17ROCPRIM_400000_NS6detail17trampoline_kernelINS0_14default_configENS1_20scan_config_selectorIdEEZZNS1_9scan_implILNS1_25lookback_scan_determinismE0ELb0ELb0ES3_PKdPddZZZN2at6native31launch_logcumsumexp_cuda_kernelERKNSB_10TensorBaseESF_lENKUlvE_clEvENKUlvE_clEvEUlddE_dEEDaPvRmT3_T4_T5_mT6_P12ihipStream_tbENKUlT_T0_E_clISt17integral_constantIbLb0EESW_EEDaSR_SS_EUlSR_E_NS1_11comp_targetILNS1_3genE10ELNS1_11target_archE1200ELNS1_3gpuE4ELNS1_3repE0EEENS1_30default_config_static_selectorELNS0_4arch9wavefront6targetE1EEEvT1_,"axG",@progbits,_ZN7rocprim17ROCPRIM_400000_NS6detail17trampoline_kernelINS0_14default_configENS1_20scan_config_selectorIdEEZZNS1_9scan_implILNS1_25lookback_scan_determinismE0ELb0ELb0ES3_PKdPddZZZN2at6native31launch_logcumsumexp_cuda_kernelERKNSB_10TensorBaseESF_lENKUlvE_clEvENKUlvE_clEvEUlddE_dEEDaPvRmT3_T4_T5_mT6_P12ihipStream_tbENKUlT_T0_E_clISt17integral_constantIbLb0EESW_EEDaSR_SS_EUlSR_E_NS1_11comp_targetILNS1_3genE10ELNS1_11target_archE1200ELNS1_3gpuE4ELNS1_3repE0EEENS1_30default_config_static_selectorELNS0_4arch9wavefront6targetE1EEEvT1_,comdat
	.globl	_ZN7rocprim17ROCPRIM_400000_NS6detail17trampoline_kernelINS0_14default_configENS1_20scan_config_selectorIdEEZZNS1_9scan_implILNS1_25lookback_scan_determinismE0ELb0ELb0ES3_PKdPddZZZN2at6native31launch_logcumsumexp_cuda_kernelERKNSB_10TensorBaseESF_lENKUlvE_clEvENKUlvE_clEvEUlddE_dEEDaPvRmT3_T4_T5_mT6_P12ihipStream_tbENKUlT_T0_E_clISt17integral_constantIbLb0EESW_EEDaSR_SS_EUlSR_E_NS1_11comp_targetILNS1_3genE10ELNS1_11target_archE1200ELNS1_3gpuE4ELNS1_3repE0EEENS1_30default_config_static_selectorELNS0_4arch9wavefront6targetE1EEEvT1_ ; -- Begin function _ZN7rocprim17ROCPRIM_400000_NS6detail17trampoline_kernelINS0_14default_configENS1_20scan_config_selectorIdEEZZNS1_9scan_implILNS1_25lookback_scan_determinismE0ELb0ELb0ES3_PKdPddZZZN2at6native31launch_logcumsumexp_cuda_kernelERKNSB_10TensorBaseESF_lENKUlvE_clEvENKUlvE_clEvEUlddE_dEEDaPvRmT3_T4_T5_mT6_P12ihipStream_tbENKUlT_T0_E_clISt17integral_constantIbLb0EESW_EEDaSR_SS_EUlSR_E_NS1_11comp_targetILNS1_3genE10ELNS1_11target_archE1200ELNS1_3gpuE4ELNS1_3repE0EEENS1_30default_config_static_selectorELNS0_4arch9wavefront6targetE1EEEvT1_
	.p2align	8
	.type	_ZN7rocprim17ROCPRIM_400000_NS6detail17trampoline_kernelINS0_14default_configENS1_20scan_config_selectorIdEEZZNS1_9scan_implILNS1_25lookback_scan_determinismE0ELb0ELb0ES3_PKdPddZZZN2at6native31launch_logcumsumexp_cuda_kernelERKNSB_10TensorBaseESF_lENKUlvE_clEvENKUlvE_clEvEUlddE_dEEDaPvRmT3_T4_T5_mT6_P12ihipStream_tbENKUlT_T0_E_clISt17integral_constantIbLb0EESW_EEDaSR_SS_EUlSR_E_NS1_11comp_targetILNS1_3genE10ELNS1_11target_archE1200ELNS1_3gpuE4ELNS1_3repE0EEENS1_30default_config_static_selectorELNS0_4arch9wavefront6targetE1EEEvT1_,@function
_ZN7rocprim17ROCPRIM_400000_NS6detail17trampoline_kernelINS0_14default_configENS1_20scan_config_selectorIdEEZZNS1_9scan_implILNS1_25lookback_scan_determinismE0ELb0ELb0ES3_PKdPddZZZN2at6native31launch_logcumsumexp_cuda_kernelERKNSB_10TensorBaseESF_lENKUlvE_clEvENKUlvE_clEvEUlddE_dEEDaPvRmT3_T4_T5_mT6_P12ihipStream_tbENKUlT_T0_E_clISt17integral_constantIbLb0EESW_EEDaSR_SS_EUlSR_E_NS1_11comp_targetILNS1_3genE10ELNS1_11target_archE1200ELNS1_3gpuE4ELNS1_3repE0EEENS1_30default_config_static_selectorELNS0_4arch9wavefront6targetE1EEEvT1_: ; @_ZN7rocprim17ROCPRIM_400000_NS6detail17trampoline_kernelINS0_14default_configENS1_20scan_config_selectorIdEEZZNS1_9scan_implILNS1_25lookback_scan_determinismE0ELb0ELb0ES3_PKdPddZZZN2at6native31launch_logcumsumexp_cuda_kernelERKNSB_10TensorBaseESF_lENKUlvE_clEvENKUlvE_clEvEUlddE_dEEDaPvRmT3_T4_T5_mT6_P12ihipStream_tbENKUlT_T0_E_clISt17integral_constantIbLb0EESW_EEDaSR_SS_EUlSR_E_NS1_11comp_targetILNS1_3genE10ELNS1_11target_archE1200ELNS1_3gpuE4ELNS1_3repE0EEENS1_30default_config_static_selectorELNS0_4arch9wavefront6targetE1EEEvT1_
; %bb.0:
	.section	.rodata,"a",@progbits
	.p2align	6, 0x0
	.amdhsa_kernel _ZN7rocprim17ROCPRIM_400000_NS6detail17trampoline_kernelINS0_14default_configENS1_20scan_config_selectorIdEEZZNS1_9scan_implILNS1_25lookback_scan_determinismE0ELb0ELb0ES3_PKdPddZZZN2at6native31launch_logcumsumexp_cuda_kernelERKNSB_10TensorBaseESF_lENKUlvE_clEvENKUlvE_clEvEUlddE_dEEDaPvRmT3_T4_T5_mT6_P12ihipStream_tbENKUlT_T0_E_clISt17integral_constantIbLb0EESW_EEDaSR_SS_EUlSR_E_NS1_11comp_targetILNS1_3genE10ELNS1_11target_archE1200ELNS1_3gpuE4ELNS1_3repE0EEENS1_30default_config_static_selectorELNS0_4arch9wavefront6targetE1EEEvT1_
		.amdhsa_group_segment_fixed_size 0
		.amdhsa_private_segment_fixed_size 0
		.amdhsa_kernarg_size 104
		.amdhsa_user_sgpr_count 6
		.amdhsa_user_sgpr_private_segment_buffer 1
		.amdhsa_user_sgpr_dispatch_ptr 0
		.amdhsa_user_sgpr_queue_ptr 0
		.amdhsa_user_sgpr_kernarg_segment_ptr 1
		.amdhsa_user_sgpr_dispatch_id 0
		.amdhsa_user_sgpr_flat_scratch_init 0
		.amdhsa_user_sgpr_private_segment_size 0
		.amdhsa_uses_dynamic_stack 0
		.amdhsa_system_sgpr_private_segment_wavefront_offset 0
		.amdhsa_system_sgpr_workgroup_id_x 1
		.amdhsa_system_sgpr_workgroup_id_y 0
		.amdhsa_system_sgpr_workgroup_id_z 0
		.amdhsa_system_sgpr_workgroup_info 0
		.amdhsa_system_vgpr_workitem_id 0
		.amdhsa_next_free_vgpr 1
		.amdhsa_next_free_sgpr 0
		.amdhsa_reserve_vcc 0
		.amdhsa_reserve_flat_scratch 0
		.amdhsa_float_round_mode_32 0
		.amdhsa_float_round_mode_16_64 0
		.amdhsa_float_denorm_mode_32 3
		.amdhsa_float_denorm_mode_16_64 3
		.amdhsa_dx10_clamp 1
		.amdhsa_ieee_mode 1
		.amdhsa_fp16_overflow 0
		.amdhsa_exception_fp_ieee_invalid_op 0
		.amdhsa_exception_fp_denorm_src 0
		.amdhsa_exception_fp_ieee_div_zero 0
		.amdhsa_exception_fp_ieee_overflow 0
		.amdhsa_exception_fp_ieee_underflow 0
		.amdhsa_exception_fp_ieee_inexact 0
		.amdhsa_exception_int_div_zero 0
	.end_amdhsa_kernel
	.section	.text._ZN7rocprim17ROCPRIM_400000_NS6detail17trampoline_kernelINS0_14default_configENS1_20scan_config_selectorIdEEZZNS1_9scan_implILNS1_25lookback_scan_determinismE0ELb0ELb0ES3_PKdPddZZZN2at6native31launch_logcumsumexp_cuda_kernelERKNSB_10TensorBaseESF_lENKUlvE_clEvENKUlvE_clEvEUlddE_dEEDaPvRmT3_T4_T5_mT6_P12ihipStream_tbENKUlT_T0_E_clISt17integral_constantIbLb0EESW_EEDaSR_SS_EUlSR_E_NS1_11comp_targetILNS1_3genE10ELNS1_11target_archE1200ELNS1_3gpuE4ELNS1_3repE0EEENS1_30default_config_static_selectorELNS0_4arch9wavefront6targetE1EEEvT1_,"axG",@progbits,_ZN7rocprim17ROCPRIM_400000_NS6detail17trampoline_kernelINS0_14default_configENS1_20scan_config_selectorIdEEZZNS1_9scan_implILNS1_25lookback_scan_determinismE0ELb0ELb0ES3_PKdPddZZZN2at6native31launch_logcumsumexp_cuda_kernelERKNSB_10TensorBaseESF_lENKUlvE_clEvENKUlvE_clEvEUlddE_dEEDaPvRmT3_T4_T5_mT6_P12ihipStream_tbENKUlT_T0_E_clISt17integral_constantIbLb0EESW_EEDaSR_SS_EUlSR_E_NS1_11comp_targetILNS1_3genE10ELNS1_11target_archE1200ELNS1_3gpuE4ELNS1_3repE0EEENS1_30default_config_static_selectorELNS0_4arch9wavefront6targetE1EEEvT1_,comdat
.Lfunc_end7:
	.size	_ZN7rocprim17ROCPRIM_400000_NS6detail17trampoline_kernelINS0_14default_configENS1_20scan_config_selectorIdEEZZNS1_9scan_implILNS1_25lookback_scan_determinismE0ELb0ELb0ES3_PKdPddZZZN2at6native31launch_logcumsumexp_cuda_kernelERKNSB_10TensorBaseESF_lENKUlvE_clEvENKUlvE_clEvEUlddE_dEEDaPvRmT3_T4_T5_mT6_P12ihipStream_tbENKUlT_T0_E_clISt17integral_constantIbLb0EESW_EEDaSR_SS_EUlSR_E_NS1_11comp_targetILNS1_3genE10ELNS1_11target_archE1200ELNS1_3gpuE4ELNS1_3repE0EEENS1_30default_config_static_selectorELNS0_4arch9wavefront6targetE1EEEvT1_, .Lfunc_end7-_ZN7rocprim17ROCPRIM_400000_NS6detail17trampoline_kernelINS0_14default_configENS1_20scan_config_selectorIdEEZZNS1_9scan_implILNS1_25lookback_scan_determinismE0ELb0ELb0ES3_PKdPddZZZN2at6native31launch_logcumsumexp_cuda_kernelERKNSB_10TensorBaseESF_lENKUlvE_clEvENKUlvE_clEvEUlddE_dEEDaPvRmT3_T4_T5_mT6_P12ihipStream_tbENKUlT_T0_E_clISt17integral_constantIbLb0EESW_EEDaSR_SS_EUlSR_E_NS1_11comp_targetILNS1_3genE10ELNS1_11target_archE1200ELNS1_3gpuE4ELNS1_3repE0EEENS1_30default_config_static_selectorELNS0_4arch9wavefront6targetE1EEEvT1_
                                        ; -- End function
	.set _ZN7rocprim17ROCPRIM_400000_NS6detail17trampoline_kernelINS0_14default_configENS1_20scan_config_selectorIdEEZZNS1_9scan_implILNS1_25lookback_scan_determinismE0ELb0ELb0ES3_PKdPddZZZN2at6native31launch_logcumsumexp_cuda_kernelERKNSB_10TensorBaseESF_lENKUlvE_clEvENKUlvE_clEvEUlddE_dEEDaPvRmT3_T4_T5_mT6_P12ihipStream_tbENKUlT_T0_E_clISt17integral_constantIbLb0EESW_EEDaSR_SS_EUlSR_E_NS1_11comp_targetILNS1_3genE10ELNS1_11target_archE1200ELNS1_3gpuE4ELNS1_3repE0EEENS1_30default_config_static_selectorELNS0_4arch9wavefront6targetE1EEEvT1_.num_vgpr, 0
	.set _ZN7rocprim17ROCPRIM_400000_NS6detail17trampoline_kernelINS0_14default_configENS1_20scan_config_selectorIdEEZZNS1_9scan_implILNS1_25lookback_scan_determinismE0ELb0ELb0ES3_PKdPddZZZN2at6native31launch_logcumsumexp_cuda_kernelERKNSB_10TensorBaseESF_lENKUlvE_clEvENKUlvE_clEvEUlddE_dEEDaPvRmT3_T4_T5_mT6_P12ihipStream_tbENKUlT_T0_E_clISt17integral_constantIbLb0EESW_EEDaSR_SS_EUlSR_E_NS1_11comp_targetILNS1_3genE10ELNS1_11target_archE1200ELNS1_3gpuE4ELNS1_3repE0EEENS1_30default_config_static_selectorELNS0_4arch9wavefront6targetE1EEEvT1_.num_agpr, 0
	.set _ZN7rocprim17ROCPRIM_400000_NS6detail17trampoline_kernelINS0_14default_configENS1_20scan_config_selectorIdEEZZNS1_9scan_implILNS1_25lookback_scan_determinismE0ELb0ELb0ES3_PKdPddZZZN2at6native31launch_logcumsumexp_cuda_kernelERKNSB_10TensorBaseESF_lENKUlvE_clEvENKUlvE_clEvEUlddE_dEEDaPvRmT3_T4_T5_mT6_P12ihipStream_tbENKUlT_T0_E_clISt17integral_constantIbLb0EESW_EEDaSR_SS_EUlSR_E_NS1_11comp_targetILNS1_3genE10ELNS1_11target_archE1200ELNS1_3gpuE4ELNS1_3repE0EEENS1_30default_config_static_selectorELNS0_4arch9wavefront6targetE1EEEvT1_.numbered_sgpr, 0
	.set _ZN7rocprim17ROCPRIM_400000_NS6detail17trampoline_kernelINS0_14default_configENS1_20scan_config_selectorIdEEZZNS1_9scan_implILNS1_25lookback_scan_determinismE0ELb0ELb0ES3_PKdPddZZZN2at6native31launch_logcumsumexp_cuda_kernelERKNSB_10TensorBaseESF_lENKUlvE_clEvENKUlvE_clEvEUlddE_dEEDaPvRmT3_T4_T5_mT6_P12ihipStream_tbENKUlT_T0_E_clISt17integral_constantIbLb0EESW_EEDaSR_SS_EUlSR_E_NS1_11comp_targetILNS1_3genE10ELNS1_11target_archE1200ELNS1_3gpuE4ELNS1_3repE0EEENS1_30default_config_static_selectorELNS0_4arch9wavefront6targetE1EEEvT1_.num_named_barrier, 0
	.set _ZN7rocprim17ROCPRIM_400000_NS6detail17trampoline_kernelINS0_14default_configENS1_20scan_config_selectorIdEEZZNS1_9scan_implILNS1_25lookback_scan_determinismE0ELb0ELb0ES3_PKdPddZZZN2at6native31launch_logcumsumexp_cuda_kernelERKNSB_10TensorBaseESF_lENKUlvE_clEvENKUlvE_clEvEUlddE_dEEDaPvRmT3_T4_T5_mT6_P12ihipStream_tbENKUlT_T0_E_clISt17integral_constantIbLb0EESW_EEDaSR_SS_EUlSR_E_NS1_11comp_targetILNS1_3genE10ELNS1_11target_archE1200ELNS1_3gpuE4ELNS1_3repE0EEENS1_30default_config_static_selectorELNS0_4arch9wavefront6targetE1EEEvT1_.private_seg_size, 0
	.set _ZN7rocprim17ROCPRIM_400000_NS6detail17trampoline_kernelINS0_14default_configENS1_20scan_config_selectorIdEEZZNS1_9scan_implILNS1_25lookback_scan_determinismE0ELb0ELb0ES3_PKdPddZZZN2at6native31launch_logcumsumexp_cuda_kernelERKNSB_10TensorBaseESF_lENKUlvE_clEvENKUlvE_clEvEUlddE_dEEDaPvRmT3_T4_T5_mT6_P12ihipStream_tbENKUlT_T0_E_clISt17integral_constantIbLb0EESW_EEDaSR_SS_EUlSR_E_NS1_11comp_targetILNS1_3genE10ELNS1_11target_archE1200ELNS1_3gpuE4ELNS1_3repE0EEENS1_30default_config_static_selectorELNS0_4arch9wavefront6targetE1EEEvT1_.uses_vcc, 0
	.set _ZN7rocprim17ROCPRIM_400000_NS6detail17trampoline_kernelINS0_14default_configENS1_20scan_config_selectorIdEEZZNS1_9scan_implILNS1_25lookback_scan_determinismE0ELb0ELb0ES3_PKdPddZZZN2at6native31launch_logcumsumexp_cuda_kernelERKNSB_10TensorBaseESF_lENKUlvE_clEvENKUlvE_clEvEUlddE_dEEDaPvRmT3_T4_T5_mT6_P12ihipStream_tbENKUlT_T0_E_clISt17integral_constantIbLb0EESW_EEDaSR_SS_EUlSR_E_NS1_11comp_targetILNS1_3genE10ELNS1_11target_archE1200ELNS1_3gpuE4ELNS1_3repE0EEENS1_30default_config_static_selectorELNS0_4arch9wavefront6targetE1EEEvT1_.uses_flat_scratch, 0
	.set _ZN7rocprim17ROCPRIM_400000_NS6detail17trampoline_kernelINS0_14default_configENS1_20scan_config_selectorIdEEZZNS1_9scan_implILNS1_25lookback_scan_determinismE0ELb0ELb0ES3_PKdPddZZZN2at6native31launch_logcumsumexp_cuda_kernelERKNSB_10TensorBaseESF_lENKUlvE_clEvENKUlvE_clEvEUlddE_dEEDaPvRmT3_T4_T5_mT6_P12ihipStream_tbENKUlT_T0_E_clISt17integral_constantIbLb0EESW_EEDaSR_SS_EUlSR_E_NS1_11comp_targetILNS1_3genE10ELNS1_11target_archE1200ELNS1_3gpuE4ELNS1_3repE0EEENS1_30default_config_static_selectorELNS0_4arch9wavefront6targetE1EEEvT1_.has_dyn_sized_stack, 0
	.set _ZN7rocprim17ROCPRIM_400000_NS6detail17trampoline_kernelINS0_14default_configENS1_20scan_config_selectorIdEEZZNS1_9scan_implILNS1_25lookback_scan_determinismE0ELb0ELb0ES3_PKdPddZZZN2at6native31launch_logcumsumexp_cuda_kernelERKNSB_10TensorBaseESF_lENKUlvE_clEvENKUlvE_clEvEUlddE_dEEDaPvRmT3_T4_T5_mT6_P12ihipStream_tbENKUlT_T0_E_clISt17integral_constantIbLb0EESW_EEDaSR_SS_EUlSR_E_NS1_11comp_targetILNS1_3genE10ELNS1_11target_archE1200ELNS1_3gpuE4ELNS1_3repE0EEENS1_30default_config_static_selectorELNS0_4arch9wavefront6targetE1EEEvT1_.has_recursion, 0
	.set _ZN7rocprim17ROCPRIM_400000_NS6detail17trampoline_kernelINS0_14default_configENS1_20scan_config_selectorIdEEZZNS1_9scan_implILNS1_25lookback_scan_determinismE0ELb0ELb0ES3_PKdPddZZZN2at6native31launch_logcumsumexp_cuda_kernelERKNSB_10TensorBaseESF_lENKUlvE_clEvENKUlvE_clEvEUlddE_dEEDaPvRmT3_T4_T5_mT6_P12ihipStream_tbENKUlT_T0_E_clISt17integral_constantIbLb0EESW_EEDaSR_SS_EUlSR_E_NS1_11comp_targetILNS1_3genE10ELNS1_11target_archE1200ELNS1_3gpuE4ELNS1_3repE0EEENS1_30default_config_static_selectorELNS0_4arch9wavefront6targetE1EEEvT1_.has_indirect_call, 0
	.section	.AMDGPU.csdata,"",@progbits
; Kernel info:
; codeLenInByte = 0
; TotalNumSgprs: 4
; NumVgprs: 0
; ScratchSize: 0
; MemoryBound: 0
; FloatMode: 240
; IeeeMode: 1
; LDSByteSize: 0 bytes/workgroup (compile time only)
; SGPRBlocks: 0
; VGPRBlocks: 0
; NumSGPRsForWavesPerEU: 4
; NumVGPRsForWavesPerEU: 1
; Occupancy: 10
; WaveLimiterHint : 0
; COMPUTE_PGM_RSRC2:SCRATCH_EN: 0
; COMPUTE_PGM_RSRC2:USER_SGPR: 6
; COMPUTE_PGM_RSRC2:TRAP_HANDLER: 0
; COMPUTE_PGM_RSRC2:TGID_X_EN: 1
; COMPUTE_PGM_RSRC2:TGID_Y_EN: 0
; COMPUTE_PGM_RSRC2:TGID_Z_EN: 0
; COMPUTE_PGM_RSRC2:TIDIG_COMP_CNT: 0
	.section	.text._ZN7rocprim17ROCPRIM_400000_NS6detail17trampoline_kernelINS0_14default_configENS1_20scan_config_selectorIdEEZZNS1_9scan_implILNS1_25lookback_scan_determinismE0ELb0ELb0ES3_PKdPddZZZN2at6native31launch_logcumsumexp_cuda_kernelERKNSB_10TensorBaseESF_lENKUlvE_clEvENKUlvE_clEvEUlddE_dEEDaPvRmT3_T4_T5_mT6_P12ihipStream_tbENKUlT_T0_E_clISt17integral_constantIbLb0EESW_EEDaSR_SS_EUlSR_E_NS1_11comp_targetILNS1_3genE9ELNS1_11target_archE1100ELNS1_3gpuE3ELNS1_3repE0EEENS1_30default_config_static_selectorELNS0_4arch9wavefront6targetE1EEEvT1_,"axG",@progbits,_ZN7rocprim17ROCPRIM_400000_NS6detail17trampoline_kernelINS0_14default_configENS1_20scan_config_selectorIdEEZZNS1_9scan_implILNS1_25lookback_scan_determinismE0ELb0ELb0ES3_PKdPddZZZN2at6native31launch_logcumsumexp_cuda_kernelERKNSB_10TensorBaseESF_lENKUlvE_clEvENKUlvE_clEvEUlddE_dEEDaPvRmT3_T4_T5_mT6_P12ihipStream_tbENKUlT_T0_E_clISt17integral_constantIbLb0EESW_EEDaSR_SS_EUlSR_E_NS1_11comp_targetILNS1_3genE9ELNS1_11target_archE1100ELNS1_3gpuE3ELNS1_3repE0EEENS1_30default_config_static_selectorELNS0_4arch9wavefront6targetE1EEEvT1_,comdat
	.globl	_ZN7rocprim17ROCPRIM_400000_NS6detail17trampoline_kernelINS0_14default_configENS1_20scan_config_selectorIdEEZZNS1_9scan_implILNS1_25lookback_scan_determinismE0ELb0ELb0ES3_PKdPddZZZN2at6native31launch_logcumsumexp_cuda_kernelERKNSB_10TensorBaseESF_lENKUlvE_clEvENKUlvE_clEvEUlddE_dEEDaPvRmT3_T4_T5_mT6_P12ihipStream_tbENKUlT_T0_E_clISt17integral_constantIbLb0EESW_EEDaSR_SS_EUlSR_E_NS1_11comp_targetILNS1_3genE9ELNS1_11target_archE1100ELNS1_3gpuE3ELNS1_3repE0EEENS1_30default_config_static_selectorELNS0_4arch9wavefront6targetE1EEEvT1_ ; -- Begin function _ZN7rocprim17ROCPRIM_400000_NS6detail17trampoline_kernelINS0_14default_configENS1_20scan_config_selectorIdEEZZNS1_9scan_implILNS1_25lookback_scan_determinismE0ELb0ELb0ES3_PKdPddZZZN2at6native31launch_logcumsumexp_cuda_kernelERKNSB_10TensorBaseESF_lENKUlvE_clEvENKUlvE_clEvEUlddE_dEEDaPvRmT3_T4_T5_mT6_P12ihipStream_tbENKUlT_T0_E_clISt17integral_constantIbLb0EESW_EEDaSR_SS_EUlSR_E_NS1_11comp_targetILNS1_3genE9ELNS1_11target_archE1100ELNS1_3gpuE3ELNS1_3repE0EEENS1_30default_config_static_selectorELNS0_4arch9wavefront6targetE1EEEvT1_
	.p2align	8
	.type	_ZN7rocprim17ROCPRIM_400000_NS6detail17trampoline_kernelINS0_14default_configENS1_20scan_config_selectorIdEEZZNS1_9scan_implILNS1_25lookback_scan_determinismE0ELb0ELb0ES3_PKdPddZZZN2at6native31launch_logcumsumexp_cuda_kernelERKNSB_10TensorBaseESF_lENKUlvE_clEvENKUlvE_clEvEUlddE_dEEDaPvRmT3_T4_T5_mT6_P12ihipStream_tbENKUlT_T0_E_clISt17integral_constantIbLb0EESW_EEDaSR_SS_EUlSR_E_NS1_11comp_targetILNS1_3genE9ELNS1_11target_archE1100ELNS1_3gpuE3ELNS1_3repE0EEENS1_30default_config_static_selectorELNS0_4arch9wavefront6targetE1EEEvT1_,@function
_ZN7rocprim17ROCPRIM_400000_NS6detail17trampoline_kernelINS0_14default_configENS1_20scan_config_selectorIdEEZZNS1_9scan_implILNS1_25lookback_scan_determinismE0ELb0ELb0ES3_PKdPddZZZN2at6native31launch_logcumsumexp_cuda_kernelERKNSB_10TensorBaseESF_lENKUlvE_clEvENKUlvE_clEvEUlddE_dEEDaPvRmT3_T4_T5_mT6_P12ihipStream_tbENKUlT_T0_E_clISt17integral_constantIbLb0EESW_EEDaSR_SS_EUlSR_E_NS1_11comp_targetILNS1_3genE9ELNS1_11target_archE1100ELNS1_3gpuE3ELNS1_3repE0EEENS1_30default_config_static_selectorELNS0_4arch9wavefront6targetE1EEEvT1_: ; @_ZN7rocprim17ROCPRIM_400000_NS6detail17trampoline_kernelINS0_14default_configENS1_20scan_config_selectorIdEEZZNS1_9scan_implILNS1_25lookback_scan_determinismE0ELb0ELb0ES3_PKdPddZZZN2at6native31launch_logcumsumexp_cuda_kernelERKNSB_10TensorBaseESF_lENKUlvE_clEvENKUlvE_clEvEUlddE_dEEDaPvRmT3_T4_T5_mT6_P12ihipStream_tbENKUlT_T0_E_clISt17integral_constantIbLb0EESW_EEDaSR_SS_EUlSR_E_NS1_11comp_targetILNS1_3genE9ELNS1_11target_archE1100ELNS1_3gpuE3ELNS1_3repE0EEENS1_30default_config_static_selectorELNS0_4arch9wavefront6targetE1EEEvT1_
; %bb.0:
	.section	.rodata,"a",@progbits
	.p2align	6, 0x0
	.amdhsa_kernel _ZN7rocprim17ROCPRIM_400000_NS6detail17trampoline_kernelINS0_14default_configENS1_20scan_config_selectorIdEEZZNS1_9scan_implILNS1_25lookback_scan_determinismE0ELb0ELb0ES3_PKdPddZZZN2at6native31launch_logcumsumexp_cuda_kernelERKNSB_10TensorBaseESF_lENKUlvE_clEvENKUlvE_clEvEUlddE_dEEDaPvRmT3_T4_T5_mT6_P12ihipStream_tbENKUlT_T0_E_clISt17integral_constantIbLb0EESW_EEDaSR_SS_EUlSR_E_NS1_11comp_targetILNS1_3genE9ELNS1_11target_archE1100ELNS1_3gpuE3ELNS1_3repE0EEENS1_30default_config_static_selectorELNS0_4arch9wavefront6targetE1EEEvT1_
		.amdhsa_group_segment_fixed_size 0
		.amdhsa_private_segment_fixed_size 0
		.amdhsa_kernarg_size 104
		.amdhsa_user_sgpr_count 6
		.amdhsa_user_sgpr_private_segment_buffer 1
		.amdhsa_user_sgpr_dispatch_ptr 0
		.amdhsa_user_sgpr_queue_ptr 0
		.amdhsa_user_sgpr_kernarg_segment_ptr 1
		.amdhsa_user_sgpr_dispatch_id 0
		.amdhsa_user_sgpr_flat_scratch_init 0
		.amdhsa_user_sgpr_private_segment_size 0
		.amdhsa_uses_dynamic_stack 0
		.amdhsa_system_sgpr_private_segment_wavefront_offset 0
		.amdhsa_system_sgpr_workgroup_id_x 1
		.amdhsa_system_sgpr_workgroup_id_y 0
		.amdhsa_system_sgpr_workgroup_id_z 0
		.amdhsa_system_sgpr_workgroup_info 0
		.amdhsa_system_vgpr_workitem_id 0
		.amdhsa_next_free_vgpr 1
		.amdhsa_next_free_sgpr 0
		.amdhsa_reserve_vcc 0
		.amdhsa_reserve_flat_scratch 0
		.amdhsa_float_round_mode_32 0
		.amdhsa_float_round_mode_16_64 0
		.amdhsa_float_denorm_mode_32 3
		.amdhsa_float_denorm_mode_16_64 3
		.amdhsa_dx10_clamp 1
		.amdhsa_ieee_mode 1
		.amdhsa_fp16_overflow 0
		.amdhsa_exception_fp_ieee_invalid_op 0
		.amdhsa_exception_fp_denorm_src 0
		.amdhsa_exception_fp_ieee_div_zero 0
		.amdhsa_exception_fp_ieee_overflow 0
		.amdhsa_exception_fp_ieee_underflow 0
		.amdhsa_exception_fp_ieee_inexact 0
		.amdhsa_exception_int_div_zero 0
	.end_amdhsa_kernel
	.section	.text._ZN7rocprim17ROCPRIM_400000_NS6detail17trampoline_kernelINS0_14default_configENS1_20scan_config_selectorIdEEZZNS1_9scan_implILNS1_25lookback_scan_determinismE0ELb0ELb0ES3_PKdPddZZZN2at6native31launch_logcumsumexp_cuda_kernelERKNSB_10TensorBaseESF_lENKUlvE_clEvENKUlvE_clEvEUlddE_dEEDaPvRmT3_T4_T5_mT6_P12ihipStream_tbENKUlT_T0_E_clISt17integral_constantIbLb0EESW_EEDaSR_SS_EUlSR_E_NS1_11comp_targetILNS1_3genE9ELNS1_11target_archE1100ELNS1_3gpuE3ELNS1_3repE0EEENS1_30default_config_static_selectorELNS0_4arch9wavefront6targetE1EEEvT1_,"axG",@progbits,_ZN7rocprim17ROCPRIM_400000_NS6detail17trampoline_kernelINS0_14default_configENS1_20scan_config_selectorIdEEZZNS1_9scan_implILNS1_25lookback_scan_determinismE0ELb0ELb0ES3_PKdPddZZZN2at6native31launch_logcumsumexp_cuda_kernelERKNSB_10TensorBaseESF_lENKUlvE_clEvENKUlvE_clEvEUlddE_dEEDaPvRmT3_T4_T5_mT6_P12ihipStream_tbENKUlT_T0_E_clISt17integral_constantIbLb0EESW_EEDaSR_SS_EUlSR_E_NS1_11comp_targetILNS1_3genE9ELNS1_11target_archE1100ELNS1_3gpuE3ELNS1_3repE0EEENS1_30default_config_static_selectorELNS0_4arch9wavefront6targetE1EEEvT1_,comdat
.Lfunc_end8:
	.size	_ZN7rocprim17ROCPRIM_400000_NS6detail17trampoline_kernelINS0_14default_configENS1_20scan_config_selectorIdEEZZNS1_9scan_implILNS1_25lookback_scan_determinismE0ELb0ELb0ES3_PKdPddZZZN2at6native31launch_logcumsumexp_cuda_kernelERKNSB_10TensorBaseESF_lENKUlvE_clEvENKUlvE_clEvEUlddE_dEEDaPvRmT3_T4_T5_mT6_P12ihipStream_tbENKUlT_T0_E_clISt17integral_constantIbLb0EESW_EEDaSR_SS_EUlSR_E_NS1_11comp_targetILNS1_3genE9ELNS1_11target_archE1100ELNS1_3gpuE3ELNS1_3repE0EEENS1_30default_config_static_selectorELNS0_4arch9wavefront6targetE1EEEvT1_, .Lfunc_end8-_ZN7rocprim17ROCPRIM_400000_NS6detail17trampoline_kernelINS0_14default_configENS1_20scan_config_selectorIdEEZZNS1_9scan_implILNS1_25lookback_scan_determinismE0ELb0ELb0ES3_PKdPddZZZN2at6native31launch_logcumsumexp_cuda_kernelERKNSB_10TensorBaseESF_lENKUlvE_clEvENKUlvE_clEvEUlddE_dEEDaPvRmT3_T4_T5_mT6_P12ihipStream_tbENKUlT_T0_E_clISt17integral_constantIbLb0EESW_EEDaSR_SS_EUlSR_E_NS1_11comp_targetILNS1_3genE9ELNS1_11target_archE1100ELNS1_3gpuE3ELNS1_3repE0EEENS1_30default_config_static_selectorELNS0_4arch9wavefront6targetE1EEEvT1_
                                        ; -- End function
	.set _ZN7rocprim17ROCPRIM_400000_NS6detail17trampoline_kernelINS0_14default_configENS1_20scan_config_selectorIdEEZZNS1_9scan_implILNS1_25lookback_scan_determinismE0ELb0ELb0ES3_PKdPddZZZN2at6native31launch_logcumsumexp_cuda_kernelERKNSB_10TensorBaseESF_lENKUlvE_clEvENKUlvE_clEvEUlddE_dEEDaPvRmT3_T4_T5_mT6_P12ihipStream_tbENKUlT_T0_E_clISt17integral_constantIbLb0EESW_EEDaSR_SS_EUlSR_E_NS1_11comp_targetILNS1_3genE9ELNS1_11target_archE1100ELNS1_3gpuE3ELNS1_3repE0EEENS1_30default_config_static_selectorELNS0_4arch9wavefront6targetE1EEEvT1_.num_vgpr, 0
	.set _ZN7rocprim17ROCPRIM_400000_NS6detail17trampoline_kernelINS0_14default_configENS1_20scan_config_selectorIdEEZZNS1_9scan_implILNS1_25lookback_scan_determinismE0ELb0ELb0ES3_PKdPddZZZN2at6native31launch_logcumsumexp_cuda_kernelERKNSB_10TensorBaseESF_lENKUlvE_clEvENKUlvE_clEvEUlddE_dEEDaPvRmT3_T4_T5_mT6_P12ihipStream_tbENKUlT_T0_E_clISt17integral_constantIbLb0EESW_EEDaSR_SS_EUlSR_E_NS1_11comp_targetILNS1_3genE9ELNS1_11target_archE1100ELNS1_3gpuE3ELNS1_3repE0EEENS1_30default_config_static_selectorELNS0_4arch9wavefront6targetE1EEEvT1_.num_agpr, 0
	.set _ZN7rocprim17ROCPRIM_400000_NS6detail17trampoline_kernelINS0_14default_configENS1_20scan_config_selectorIdEEZZNS1_9scan_implILNS1_25lookback_scan_determinismE0ELb0ELb0ES3_PKdPddZZZN2at6native31launch_logcumsumexp_cuda_kernelERKNSB_10TensorBaseESF_lENKUlvE_clEvENKUlvE_clEvEUlddE_dEEDaPvRmT3_T4_T5_mT6_P12ihipStream_tbENKUlT_T0_E_clISt17integral_constantIbLb0EESW_EEDaSR_SS_EUlSR_E_NS1_11comp_targetILNS1_3genE9ELNS1_11target_archE1100ELNS1_3gpuE3ELNS1_3repE0EEENS1_30default_config_static_selectorELNS0_4arch9wavefront6targetE1EEEvT1_.numbered_sgpr, 0
	.set _ZN7rocprim17ROCPRIM_400000_NS6detail17trampoline_kernelINS0_14default_configENS1_20scan_config_selectorIdEEZZNS1_9scan_implILNS1_25lookback_scan_determinismE0ELb0ELb0ES3_PKdPddZZZN2at6native31launch_logcumsumexp_cuda_kernelERKNSB_10TensorBaseESF_lENKUlvE_clEvENKUlvE_clEvEUlddE_dEEDaPvRmT3_T4_T5_mT6_P12ihipStream_tbENKUlT_T0_E_clISt17integral_constantIbLb0EESW_EEDaSR_SS_EUlSR_E_NS1_11comp_targetILNS1_3genE9ELNS1_11target_archE1100ELNS1_3gpuE3ELNS1_3repE0EEENS1_30default_config_static_selectorELNS0_4arch9wavefront6targetE1EEEvT1_.num_named_barrier, 0
	.set _ZN7rocprim17ROCPRIM_400000_NS6detail17trampoline_kernelINS0_14default_configENS1_20scan_config_selectorIdEEZZNS1_9scan_implILNS1_25lookback_scan_determinismE0ELb0ELb0ES3_PKdPddZZZN2at6native31launch_logcumsumexp_cuda_kernelERKNSB_10TensorBaseESF_lENKUlvE_clEvENKUlvE_clEvEUlddE_dEEDaPvRmT3_T4_T5_mT6_P12ihipStream_tbENKUlT_T0_E_clISt17integral_constantIbLb0EESW_EEDaSR_SS_EUlSR_E_NS1_11comp_targetILNS1_3genE9ELNS1_11target_archE1100ELNS1_3gpuE3ELNS1_3repE0EEENS1_30default_config_static_selectorELNS0_4arch9wavefront6targetE1EEEvT1_.private_seg_size, 0
	.set _ZN7rocprim17ROCPRIM_400000_NS6detail17trampoline_kernelINS0_14default_configENS1_20scan_config_selectorIdEEZZNS1_9scan_implILNS1_25lookback_scan_determinismE0ELb0ELb0ES3_PKdPddZZZN2at6native31launch_logcumsumexp_cuda_kernelERKNSB_10TensorBaseESF_lENKUlvE_clEvENKUlvE_clEvEUlddE_dEEDaPvRmT3_T4_T5_mT6_P12ihipStream_tbENKUlT_T0_E_clISt17integral_constantIbLb0EESW_EEDaSR_SS_EUlSR_E_NS1_11comp_targetILNS1_3genE9ELNS1_11target_archE1100ELNS1_3gpuE3ELNS1_3repE0EEENS1_30default_config_static_selectorELNS0_4arch9wavefront6targetE1EEEvT1_.uses_vcc, 0
	.set _ZN7rocprim17ROCPRIM_400000_NS6detail17trampoline_kernelINS0_14default_configENS1_20scan_config_selectorIdEEZZNS1_9scan_implILNS1_25lookback_scan_determinismE0ELb0ELb0ES3_PKdPddZZZN2at6native31launch_logcumsumexp_cuda_kernelERKNSB_10TensorBaseESF_lENKUlvE_clEvENKUlvE_clEvEUlddE_dEEDaPvRmT3_T4_T5_mT6_P12ihipStream_tbENKUlT_T0_E_clISt17integral_constantIbLb0EESW_EEDaSR_SS_EUlSR_E_NS1_11comp_targetILNS1_3genE9ELNS1_11target_archE1100ELNS1_3gpuE3ELNS1_3repE0EEENS1_30default_config_static_selectorELNS0_4arch9wavefront6targetE1EEEvT1_.uses_flat_scratch, 0
	.set _ZN7rocprim17ROCPRIM_400000_NS6detail17trampoline_kernelINS0_14default_configENS1_20scan_config_selectorIdEEZZNS1_9scan_implILNS1_25lookback_scan_determinismE0ELb0ELb0ES3_PKdPddZZZN2at6native31launch_logcumsumexp_cuda_kernelERKNSB_10TensorBaseESF_lENKUlvE_clEvENKUlvE_clEvEUlddE_dEEDaPvRmT3_T4_T5_mT6_P12ihipStream_tbENKUlT_T0_E_clISt17integral_constantIbLb0EESW_EEDaSR_SS_EUlSR_E_NS1_11comp_targetILNS1_3genE9ELNS1_11target_archE1100ELNS1_3gpuE3ELNS1_3repE0EEENS1_30default_config_static_selectorELNS0_4arch9wavefront6targetE1EEEvT1_.has_dyn_sized_stack, 0
	.set _ZN7rocprim17ROCPRIM_400000_NS6detail17trampoline_kernelINS0_14default_configENS1_20scan_config_selectorIdEEZZNS1_9scan_implILNS1_25lookback_scan_determinismE0ELb0ELb0ES3_PKdPddZZZN2at6native31launch_logcumsumexp_cuda_kernelERKNSB_10TensorBaseESF_lENKUlvE_clEvENKUlvE_clEvEUlddE_dEEDaPvRmT3_T4_T5_mT6_P12ihipStream_tbENKUlT_T0_E_clISt17integral_constantIbLb0EESW_EEDaSR_SS_EUlSR_E_NS1_11comp_targetILNS1_3genE9ELNS1_11target_archE1100ELNS1_3gpuE3ELNS1_3repE0EEENS1_30default_config_static_selectorELNS0_4arch9wavefront6targetE1EEEvT1_.has_recursion, 0
	.set _ZN7rocprim17ROCPRIM_400000_NS6detail17trampoline_kernelINS0_14default_configENS1_20scan_config_selectorIdEEZZNS1_9scan_implILNS1_25lookback_scan_determinismE0ELb0ELb0ES3_PKdPddZZZN2at6native31launch_logcumsumexp_cuda_kernelERKNSB_10TensorBaseESF_lENKUlvE_clEvENKUlvE_clEvEUlddE_dEEDaPvRmT3_T4_T5_mT6_P12ihipStream_tbENKUlT_T0_E_clISt17integral_constantIbLb0EESW_EEDaSR_SS_EUlSR_E_NS1_11comp_targetILNS1_3genE9ELNS1_11target_archE1100ELNS1_3gpuE3ELNS1_3repE0EEENS1_30default_config_static_selectorELNS0_4arch9wavefront6targetE1EEEvT1_.has_indirect_call, 0
	.section	.AMDGPU.csdata,"",@progbits
; Kernel info:
; codeLenInByte = 0
; TotalNumSgprs: 4
; NumVgprs: 0
; ScratchSize: 0
; MemoryBound: 0
; FloatMode: 240
; IeeeMode: 1
; LDSByteSize: 0 bytes/workgroup (compile time only)
; SGPRBlocks: 0
; VGPRBlocks: 0
; NumSGPRsForWavesPerEU: 4
; NumVGPRsForWavesPerEU: 1
; Occupancy: 10
; WaveLimiterHint : 0
; COMPUTE_PGM_RSRC2:SCRATCH_EN: 0
; COMPUTE_PGM_RSRC2:USER_SGPR: 6
; COMPUTE_PGM_RSRC2:TRAP_HANDLER: 0
; COMPUTE_PGM_RSRC2:TGID_X_EN: 1
; COMPUTE_PGM_RSRC2:TGID_Y_EN: 0
; COMPUTE_PGM_RSRC2:TGID_Z_EN: 0
; COMPUTE_PGM_RSRC2:TIDIG_COMP_CNT: 0
	.section	.text._ZN7rocprim17ROCPRIM_400000_NS6detail17trampoline_kernelINS0_14default_configENS1_20scan_config_selectorIdEEZZNS1_9scan_implILNS1_25lookback_scan_determinismE0ELb0ELb0ES3_PKdPddZZZN2at6native31launch_logcumsumexp_cuda_kernelERKNSB_10TensorBaseESF_lENKUlvE_clEvENKUlvE_clEvEUlddE_dEEDaPvRmT3_T4_T5_mT6_P12ihipStream_tbENKUlT_T0_E_clISt17integral_constantIbLb0EESW_EEDaSR_SS_EUlSR_E_NS1_11comp_targetILNS1_3genE8ELNS1_11target_archE1030ELNS1_3gpuE2ELNS1_3repE0EEENS1_30default_config_static_selectorELNS0_4arch9wavefront6targetE1EEEvT1_,"axG",@progbits,_ZN7rocprim17ROCPRIM_400000_NS6detail17trampoline_kernelINS0_14default_configENS1_20scan_config_selectorIdEEZZNS1_9scan_implILNS1_25lookback_scan_determinismE0ELb0ELb0ES3_PKdPddZZZN2at6native31launch_logcumsumexp_cuda_kernelERKNSB_10TensorBaseESF_lENKUlvE_clEvENKUlvE_clEvEUlddE_dEEDaPvRmT3_T4_T5_mT6_P12ihipStream_tbENKUlT_T0_E_clISt17integral_constantIbLb0EESW_EEDaSR_SS_EUlSR_E_NS1_11comp_targetILNS1_3genE8ELNS1_11target_archE1030ELNS1_3gpuE2ELNS1_3repE0EEENS1_30default_config_static_selectorELNS0_4arch9wavefront6targetE1EEEvT1_,comdat
	.globl	_ZN7rocprim17ROCPRIM_400000_NS6detail17trampoline_kernelINS0_14default_configENS1_20scan_config_selectorIdEEZZNS1_9scan_implILNS1_25lookback_scan_determinismE0ELb0ELb0ES3_PKdPddZZZN2at6native31launch_logcumsumexp_cuda_kernelERKNSB_10TensorBaseESF_lENKUlvE_clEvENKUlvE_clEvEUlddE_dEEDaPvRmT3_T4_T5_mT6_P12ihipStream_tbENKUlT_T0_E_clISt17integral_constantIbLb0EESW_EEDaSR_SS_EUlSR_E_NS1_11comp_targetILNS1_3genE8ELNS1_11target_archE1030ELNS1_3gpuE2ELNS1_3repE0EEENS1_30default_config_static_selectorELNS0_4arch9wavefront6targetE1EEEvT1_ ; -- Begin function _ZN7rocprim17ROCPRIM_400000_NS6detail17trampoline_kernelINS0_14default_configENS1_20scan_config_selectorIdEEZZNS1_9scan_implILNS1_25lookback_scan_determinismE0ELb0ELb0ES3_PKdPddZZZN2at6native31launch_logcumsumexp_cuda_kernelERKNSB_10TensorBaseESF_lENKUlvE_clEvENKUlvE_clEvEUlddE_dEEDaPvRmT3_T4_T5_mT6_P12ihipStream_tbENKUlT_T0_E_clISt17integral_constantIbLb0EESW_EEDaSR_SS_EUlSR_E_NS1_11comp_targetILNS1_3genE8ELNS1_11target_archE1030ELNS1_3gpuE2ELNS1_3repE0EEENS1_30default_config_static_selectorELNS0_4arch9wavefront6targetE1EEEvT1_
	.p2align	8
	.type	_ZN7rocprim17ROCPRIM_400000_NS6detail17trampoline_kernelINS0_14default_configENS1_20scan_config_selectorIdEEZZNS1_9scan_implILNS1_25lookback_scan_determinismE0ELb0ELb0ES3_PKdPddZZZN2at6native31launch_logcumsumexp_cuda_kernelERKNSB_10TensorBaseESF_lENKUlvE_clEvENKUlvE_clEvEUlddE_dEEDaPvRmT3_T4_T5_mT6_P12ihipStream_tbENKUlT_T0_E_clISt17integral_constantIbLb0EESW_EEDaSR_SS_EUlSR_E_NS1_11comp_targetILNS1_3genE8ELNS1_11target_archE1030ELNS1_3gpuE2ELNS1_3repE0EEENS1_30default_config_static_selectorELNS0_4arch9wavefront6targetE1EEEvT1_,@function
_ZN7rocprim17ROCPRIM_400000_NS6detail17trampoline_kernelINS0_14default_configENS1_20scan_config_selectorIdEEZZNS1_9scan_implILNS1_25lookback_scan_determinismE0ELb0ELb0ES3_PKdPddZZZN2at6native31launch_logcumsumexp_cuda_kernelERKNSB_10TensorBaseESF_lENKUlvE_clEvENKUlvE_clEvEUlddE_dEEDaPvRmT3_T4_T5_mT6_P12ihipStream_tbENKUlT_T0_E_clISt17integral_constantIbLb0EESW_EEDaSR_SS_EUlSR_E_NS1_11comp_targetILNS1_3genE8ELNS1_11target_archE1030ELNS1_3gpuE2ELNS1_3repE0EEENS1_30default_config_static_selectorELNS0_4arch9wavefront6targetE1EEEvT1_: ; @_ZN7rocprim17ROCPRIM_400000_NS6detail17trampoline_kernelINS0_14default_configENS1_20scan_config_selectorIdEEZZNS1_9scan_implILNS1_25lookback_scan_determinismE0ELb0ELb0ES3_PKdPddZZZN2at6native31launch_logcumsumexp_cuda_kernelERKNSB_10TensorBaseESF_lENKUlvE_clEvENKUlvE_clEvEUlddE_dEEDaPvRmT3_T4_T5_mT6_P12ihipStream_tbENKUlT_T0_E_clISt17integral_constantIbLb0EESW_EEDaSR_SS_EUlSR_E_NS1_11comp_targetILNS1_3genE8ELNS1_11target_archE1030ELNS1_3gpuE2ELNS1_3repE0EEENS1_30default_config_static_selectorELNS0_4arch9wavefront6targetE1EEEvT1_
; %bb.0:
	.section	.rodata,"a",@progbits
	.p2align	6, 0x0
	.amdhsa_kernel _ZN7rocprim17ROCPRIM_400000_NS6detail17trampoline_kernelINS0_14default_configENS1_20scan_config_selectorIdEEZZNS1_9scan_implILNS1_25lookback_scan_determinismE0ELb0ELb0ES3_PKdPddZZZN2at6native31launch_logcumsumexp_cuda_kernelERKNSB_10TensorBaseESF_lENKUlvE_clEvENKUlvE_clEvEUlddE_dEEDaPvRmT3_T4_T5_mT6_P12ihipStream_tbENKUlT_T0_E_clISt17integral_constantIbLb0EESW_EEDaSR_SS_EUlSR_E_NS1_11comp_targetILNS1_3genE8ELNS1_11target_archE1030ELNS1_3gpuE2ELNS1_3repE0EEENS1_30default_config_static_selectorELNS0_4arch9wavefront6targetE1EEEvT1_
		.amdhsa_group_segment_fixed_size 0
		.amdhsa_private_segment_fixed_size 0
		.amdhsa_kernarg_size 104
		.amdhsa_user_sgpr_count 6
		.amdhsa_user_sgpr_private_segment_buffer 1
		.amdhsa_user_sgpr_dispatch_ptr 0
		.amdhsa_user_sgpr_queue_ptr 0
		.amdhsa_user_sgpr_kernarg_segment_ptr 1
		.amdhsa_user_sgpr_dispatch_id 0
		.amdhsa_user_sgpr_flat_scratch_init 0
		.amdhsa_user_sgpr_private_segment_size 0
		.amdhsa_uses_dynamic_stack 0
		.amdhsa_system_sgpr_private_segment_wavefront_offset 0
		.amdhsa_system_sgpr_workgroup_id_x 1
		.amdhsa_system_sgpr_workgroup_id_y 0
		.amdhsa_system_sgpr_workgroup_id_z 0
		.amdhsa_system_sgpr_workgroup_info 0
		.amdhsa_system_vgpr_workitem_id 0
		.amdhsa_next_free_vgpr 1
		.amdhsa_next_free_sgpr 0
		.amdhsa_reserve_vcc 0
		.amdhsa_reserve_flat_scratch 0
		.amdhsa_float_round_mode_32 0
		.amdhsa_float_round_mode_16_64 0
		.amdhsa_float_denorm_mode_32 3
		.amdhsa_float_denorm_mode_16_64 3
		.amdhsa_dx10_clamp 1
		.amdhsa_ieee_mode 1
		.amdhsa_fp16_overflow 0
		.amdhsa_exception_fp_ieee_invalid_op 0
		.amdhsa_exception_fp_denorm_src 0
		.amdhsa_exception_fp_ieee_div_zero 0
		.amdhsa_exception_fp_ieee_overflow 0
		.amdhsa_exception_fp_ieee_underflow 0
		.amdhsa_exception_fp_ieee_inexact 0
		.amdhsa_exception_int_div_zero 0
	.end_amdhsa_kernel
	.section	.text._ZN7rocprim17ROCPRIM_400000_NS6detail17trampoline_kernelINS0_14default_configENS1_20scan_config_selectorIdEEZZNS1_9scan_implILNS1_25lookback_scan_determinismE0ELb0ELb0ES3_PKdPddZZZN2at6native31launch_logcumsumexp_cuda_kernelERKNSB_10TensorBaseESF_lENKUlvE_clEvENKUlvE_clEvEUlddE_dEEDaPvRmT3_T4_T5_mT6_P12ihipStream_tbENKUlT_T0_E_clISt17integral_constantIbLb0EESW_EEDaSR_SS_EUlSR_E_NS1_11comp_targetILNS1_3genE8ELNS1_11target_archE1030ELNS1_3gpuE2ELNS1_3repE0EEENS1_30default_config_static_selectorELNS0_4arch9wavefront6targetE1EEEvT1_,"axG",@progbits,_ZN7rocprim17ROCPRIM_400000_NS6detail17trampoline_kernelINS0_14default_configENS1_20scan_config_selectorIdEEZZNS1_9scan_implILNS1_25lookback_scan_determinismE0ELb0ELb0ES3_PKdPddZZZN2at6native31launch_logcumsumexp_cuda_kernelERKNSB_10TensorBaseESF_lENKUlvE_clEvENKUlvE_clEvEUlddE_dEEDaPvRmT3_T4_T5_mT6_P12ihipStream_tbENKUlT_T0_E_clISt17integral_constantIbLb0EESW_EEDaSR_SS_EUlSR_E_NS1_11comp_targetILNS1_3genE8ELNS1_11target_archE1030ELNS1_3gpuE2ELNS1_3repE0EEENS1_30default_config_static_selectorELNS0_4arch9wavefront6targetE1EEEvT1_,comdat
.Lfunc_end9:
	.size	_ZN7rocprim17ROCPRIM_400000_NS6detail17trampoline_kernelINS0_14default_configENS1_20scan_config_selectorIdEEZZNS1_9scan_implILNS1_25lookback_scan_determinismE0ELb0ELb0ES3_PKdPddZZZN2at6native31launch_logcumsumexp_cuda_kernelERKNSB_10TensorBaseESF_lENKUlvE_clEvENKUlvE_clEvEUlddE_dEEDaPvRmT3_T4_T5_mT6_P12ihipStream_tbENKUlT_T0_E_clISt17integral_constantIbLb0EESW_EEDaSR_SS_EUlSR_E_NS1_11comp_targetILNS1_3genE8ELNS1_11target_archE1030ELNS1_3gpuE2ELNS1_3repE0EEENS1_30default_config_static_selectorELNS0_4arch9wavefront6targetE1EEEvT1_, .Lfunc_end9-_ZN7rocprim17ROCPRIM_400000_NS6detail17trampoline_kernelINS0_14default_configENS1_20scan_config_selectorIdEEZZNS1_9scan_implILNS1_25lookback_scan_determinismE0ELb0ELb0ES3_PKdPddZZZN2at6native31launch_logcumsumexp_cuda_kernelERKNSB_10TensorBaseESF_lENKUlvE_clEvENKUlvE_clEvEUlddE_dEEDaPvRmT3_T4_T5_mT6_P12ihipStream_tbENKUlT_T0_E_clISt17integral_constantIbLb0EESW_EEDaSR_SS_EUlSR_E_NS1_11comp_targetILNS1_3genE8ELNS1_11target_archE1030ELNS1_3gpuE2ELNS1_3repE0EEENS1_30default_config_static_selectorELNS0_4arch9wavefront6targetE1EEEvT1_
                                        ; -- End function
	.set _ZN7rocprim17ROCPRIM_400000_NS6detail17trampoline_kernelINS0_14default_configENS1_20scan_config_selectorIdEEZZNS1_9scan_implILNS1_25lookback_scan_determinismE0ELb0ELb0ES3_PKdPddZZZN2at6native31launch_logcumsumexp_cuda_kernelERKNSB_10TensorBaseESF_lENKUlvE_clEvENKUlvE_clEvEUlddE_dEEDaPvRmT3_T4_T5_mT6_P12ihipStream_tbENKUlT_T0_E_clISt17integral_constantIbLb0EESW_EEDaSR_SS_EUlSR_E_NS1_11comp_targetILNS1_3genE8ELNS1_11target_archE1030ELNS1_3gpuE2ELNS1_3repE0EEENS1_30default_config_static_selectorELNS0_4arch9wavefront6targetE1EEEvT1_.num_vgpr, 0
	.set _ZN7rocprim17ROCPRIM_400000_NS6detail17trampoline_kernelINS0_14default_configENS1_20scan_config_selectorIdEEZZNS1_9scan_implILNS1_25lookback_scan_determinismE0ELb0ELb0ES3_PKdPddZZZN2at6native31launch_logcumsumexp_cuda_kernelERKNSB_10TensorBaseESF_lENKUlvE_clEvENKUlvE_clEvEUlddE_dEEDaPvRmT3_T4_T5_mT6_P12ihipStream_tbENKUlT_T0_E_clISt17integral_constantIbLb0EESW_EEDaSR_SS_EUlSR_E_NS1_11comp_targetILNS1_3genE8ELNS1_11target_archE1030ELNS1_3gpuE2ELNS1_3repE0EEENS1_30default_config_static_selectorELNS0_4arch9wavefront6targetE1EEEvT1_.num_agpr, 0
	.set _ZN7rocprim17ROCPRIM_400000_NS6detail17trampoline_kernelINS0_14default_configENS1_20scan_config_selectorIdEEZZNS1_9scan_implILNS1_25lookback_scan_determinismE0ELb0ELb0ES3_PKdPddZZZN2at6native31launch_logcumsumexp_cuda_kernelERKNSB_10TensorBaseESF_lENKUlvE_clEvENKUlvE_clEvEUlddE_dEEDaPvRmT3_T4_T5_mT6_P12ihipStream_tbENKUlT_T0_E_clISt17integral_constantIbLb0EESW_EEDaSR_SS_EUlSR_E_NS1_11comp_targetILNS1_3genE8ELNS1_11target_archE1030ELNS1_3gpuE2ELNS1_3repE0EEENS1_30default_config_static_selectorELNS0_4arch9wavefront6targetE1EEEvT1_.numbered_sgpr, 0
	.set _ZN7rocprim17ROCPRIM_400000_NS6detail17trampoline_kernelINS0_14default_configENS1_20scan_config_selectorIdEEZZNS1_9scan_implILNS1_25lookback_scan_determinismE0ELb0ELb0ES3_PKdPddZZZN2at6native31launch_logcumsumexp_cuda_kernelERKNSB_10TensorBaseESF_lENKUlvE_clEvENKUlvE_clEvEUlddE_dEEDaPvRmT3_T4_T5_mT6_P12ihipStream_tbENKUlT_T0_E_clISt17integral_constantIbLb0EESW_EEDaSR_SS_EUlSR_E_NS1_11comp_targetILNS1_3genE8ELNS1_11target_archE1030ELNS1_3gpuE2ELNS1_3repE0EEENS1_30default_config_static_selectorELNS0_4arch9wavefront6targetE1EEEvT1_.num_named_barrier, 0
	.set _ZN7rocprim17ROCPRIM_400000_NS6detail17trampoline_kernelINS0_14default_configENS1_20scan_config_selectorIdEEZZNS1_9scan_implILNS1_25lookback_scan_determinismE0ELb0ELb0ES3_PKdPddZZZN2at6native31launch_logcumsumexp_cuda_kernelERKNSB_10TensorBaseESF_lENKUlvE_clEvENKUlvE_clEvEUlddE_dEEDaPvRmT3_T4_T5_mT6_P12ihipStream_tbENKUlT_T0_E_clISt17integral_constantIbLb0EESW_EEDaSR_SS_EUlSR_E_NS1_11comp_targetILNS1_3genE8ELNS1_11target_archE1030ELNS1_3gpuE2ELNS1_3repE0EEENS1_30default_config_static_selectorELNS0_4arch9wavefront6targetE1EEEvT1_.private_seg_size, 0
	.set _ZN7rocprim17ROCPRIM_400000_NS6detail17trampoline_kernelINS0_14default_configENS1_20scan_config_selectorIdEEZZNS1_9scan_implILNS1_25lookback_scan_determinismE0ELb0ELb0ES3_PKdPddZZZN2at6native31launch_logcumsumexp_cuda_kernelERKNSB_10TensorBaseESF_lENKUlvE_clEvENKUlvE_clEvEUlddE_dEEDaPvRmT3_T4_T5_mT6_P12ihipStream_tbENKUlT_T0_E_clISt17integral_constantIbLb0EESW_EEDaSR_SS_EUlSR_E_NS1_11comp_targetILNS1_3genE8ELNS1_11target_archE1030ELNS1_3gpuE2ELNS1_3repE0EEENS1_30default_config_static_selectorELNS0_4arch9wavefront6targetE1EEEvT1_.uses_vcc, 0
	.set _ZN7rocprim17ROCPRIM_400000_NS6detail17trampoline_kernelINS0_14default_configENS1_20scan_config_selectorIdEEZZNS1_9scan_implILNS1_25lookback_scan_determinismE0ELb0ELb0ES3_PKdPddZZZN2at6native31launch_logcumsumexp_cuda_kernelERKNSB_10TensorBaseESF_lENKUlvE_clEvENKUlvE_clEvEUlddE_dEEDaPvRmT3_T4_T5_mT6_P12ihipStream_tbENKUlT_T0_E_clISt17integral_constantIbLb0EESW_EEDaSR_SS_EUlSR_E_NS1_11comp_targetILNS1_3genE8ELNS1_11target_archE1030ELNS1_3gpuE2ELNS1_3repE0EEENS1_30default_config_static_selectorELNS0_4arch9wavefront6targetE1EEEvT1_.uses_flat_scratch, 0
	.set _ZN7rocprim17ROCPRIM_400000_NS6detail17trampoline_kernelINS0_14default_configENS1_20scan_config_selectorIdEEZZNS1_9scan_implILNS1_25lookback_scan_determinismE0ELb0ELb0ES3_PKdPddZZZN2at6native31launch_logcumsumexp_cuda_kernelERKNSB_10TensorBaseESF_lENKUlvE_clEvENKUlvE_clEvEUlddE_dEEDaPvRmT3_T4_T5_mT6_P12ihipStream_tbENKUlT_T0_E_clISt17integral_constantIbLb0EESW_EEDaSR_SS_EUlSR_E_NS1_11comp_targetILNS1_3genE8ELNS1_11target_archE1030ELNS1_3gpuE2ELNS1_3repE0EEENS1_30default_config_static_selectorELNS0_4arch9wavefront6targetE1EEEvT1_.has_dyn_sized_stack, 0
	.set _ZN7rocprim17ROCPRIM_400000_NS6detail17trampoline_kernelINS0_14default_configENS1_20scan_config_selectorIdEEZZNS1_9scan_implILNS1_25lookback_scan_determinismE0ELb0ELb0ES3_PKdPddZZZN2at6native31launch_logcumsumexp_cuda_kernelERKNSB_10TensorBaseESF_lENKUlvE_clEvENKUlvE_clEvEUlddE_dEEDaPvRmT3_T4_T5_mT6_P12ihipStream_tbENKUlT_T0_E_clISt17integral_constantIbLb0EESW_EEDaSR_SS_EUlSR_E_NS1_11comp_targetILNS1_3genE8ELNS1_11target_archE1030ELNS1_3gpuE2ELNS1_3repE0EEENS1_30default_config_static_selectorELNS0_4arch9wavefront6targetE1EEEvT1_.has_recursion, 0
	.set _ZN7rocprim17ROCPRIM_400000_NS6detail17trampoline_kernelINS0_14default_configENS1_20scan_config_selectorIdEEZZNS1_9scan_implILNS1_25lookback_scan_determinismE0ELb0ELb0ES3_PKdPddZZZN2at6native31launch_logcumsumexp_cuda_kernelERKNSB_10TensorBaseESF_lENKUlvE_clEvENKUlvE_clEvEUlddE_dEEDaPvRmT3_T4_T5_mT6_P12ihipStream_tbENKUlT_T0_E_clISt17integral_constantIbLb0EESW_EEDaSR_SS_EUlSR_E_NS1_11comp_targetILNS1_3genE8ELNS1_11target_archE1030ELNS1_3gpuE2ELNS1_3repE0EEENS1_30default_config_static_selectorELNS0_4arch9wavefront6targetE1EEEvT1_.has_indirect_call, 0
	.section	.AMDGPU.csdata,"",@progbits
; Kernel info:
; codeLenInByte = 0
; TotalNumSgprs: 4
; NumVgprs: 0
; ScratchSize: 0
; MemoryBound: 0
; FloatMode: 240
; IeeeMode: 1
; LDSByteSize: 0 bytes/workgroup (compile time only)
; SGPRBlocks: 0
; VGPRBlocks: 0
; NumSGPRsForWavesPerEU: 4
; NumVGPRsForWavesPerEU: 1
; Occupancy: 10
; WaveLimiterHint : 0
; COMPUTE_PGM_RSRC2:SCRATCH_EN: 0
; COMPUTE_PGM_RSRC2:USER_SGPR: 6
; COMPUTE_PGM_RSRC2:TRAP_HANDLER: 0
; COMPUTE_PGM_RSRC2:TGID_X_EN: 1
; COMPUTE_PGM_RSRC2:TGID_Y_EN: 0
; COMPUTE_PGM_RSRC2:TGID_Z_EN: 0
; COMPUTE_PGM_RSRC2:TIDIG_COMP_CNT: 0
	.section	.text._ZN7rocprim17ROCPRIM_400000_NS6detail17trampoline_kernelINS0_14default_configENS1_25transform_config_selectorIdLb1EEEZNS1_14transform_implILb1ES3_S5_PdS7_NS0_8identityIdEEEE10hipError_tT2_T3_mT4_P12ihipStream_tbEUlT_E_NS1_11comp_targetILNS1_3genE0ELNS1_11target_archE4294967295ELNS1_3gpuE0ELNS1_3repE0EEENS1_30default_config_static_selectorELNS0_4arch9wavefront6targetE1EEEvT1_,"axG",@progbits,_ZN7rocprim17ROCPRIM_400000_NS6detail17trampoline_kernelINS0_14default_configENS1_25transform_config_selectorIdLb1EEEZNS1_14transform_implILb1ES3_S5_PdS7_NS0_8identityIdEEEE10hipError_tT2_T3_mT4_P12ihipStream_tbEUlT_E_NS1_11comp_targetILNS1_3genE0ELNS1_11target_archE4294967295ELNS1_3gpuE0ELNS1_3repE0EEENS1_30default_config_static_selectorELNS0_4arch9wavefront6targetE1EEEvT1_,comdat
	.protected	_ZN7rocprim17ROCPRIM_400000_NS6detail17trampoline_kernelINS0_14default_configENS1_25transform_config_selectorIdLb1EEEZNS1_14transform_implILb1ES3_S5_PdS7_NS0_8identityIdEEEE10hipError_tT2_T3_mT4_P12ihipStream_tbEUlT_E_NS1_11comp_targetILNS1_3genE0ELNS1_11target_archE4294967295ELNS1_3gpuE0ELNS1_3repE0EEENS1_30default_config_static_selectorELNS0_4arch9wavefront6targetE1EEEvT1_ ; -- Begin function _ZN7rocprim17ROCPRIM_400000_NS6detail17trampoline_kernelINS0_14default_configENS1_25transform_config_selectorIdLb1EEEZNS1_14transform_implILb1ES3_S5_PdS7_NS0_8identityIdEEEE10hipError_tT2_T3_mT4_P12ihipStream_tbEUlT_E_NS1_11comp_targetILNS1_3genE0ELNS1_11target_archE4294967295ELNS1_3gpuE0ELNS1_3repE0EEENS1_30default_config_static_selectorELNS0_4arch9wavefront6targetE1EEEvT1_
	.globl	_ZN7rocprim17ROCPRIM_400000_NS6detail17trampoline_kernelINS0_14default_configENS1_25transform_config_selectorIdLb1EEEZNS1_14transform_implILb1ES3_S5_PdS7_NS0_8identityIdEEEE10hipError_tT2_T3_mT4_P12ihipStream_tbEUlT_E_NS1_11comp_targetILNS1_3genE0ELNS1_11target_archE4294967295ELNS1_3gpuE0ELNS1_3repE0EEENS1_30default_config_static_selectorELNS0_4arch9wavefront6targetE1EEEvT1_
	.p2align	8
	.type	_ZN7rocprim17ROCPRIM_400000_NS6detail17trampoline_kernelINS0_14default_configENS1_25transform_config_selectorIdLb1EEEZNS1_14transform_implILb1ES3_S5_PdS7_NS0_8identityIdEEEE10hipError_tT2_T3_mT4_P12ihipStream_tbEUlT_E_NS1_11comp_targetILNS1_3genE0ELNS1_11target_archE4294967295ELNS1_3gpuE0ELNS1_3repE0EEENS1_30default_config_static_selectorELNS0_4arch9wavefront6targetE1EEEvT1_,@function
_ZN7rocprim17ROCPRIM_400000_NS6detail17trampoline_kernelINS0_14default_configENS1_25transform_config_selectorIdLb1EEEZNS1_14transform_implILb1ES3_S5_PdS7_NS0_8identityIdEEEE10hipError_tT2_T3_mT4_P12ihipStream_tbEUlT_E_NS1_11comp_targetILNS1_3genE0ELNS1_11target_archE4294967295ELNS1_3gpuE0ELNS1_3repE0EEENS1_30default_config_static_selectorELNS0_4arch9wavefront6targetE1EEEvT1_: ; @_ZN7rocprim17ROCPRIM_400000_NS6detail17trampoline_kernelINS0_14default_configENS1_25transform_config_selectorIdLb1EEEZNS1_14transform_implILb1ES3_S5_PdS7_NS0_8identityIdEEEE10hipError_tT2_T3_mT4_P12ihipStream_tbEUlT_E_NS1_11comp_targetILNS1_3genE0ELNS1_11target_archE4294967295ELNS1_3gpuE0ELNS1_3repE0EEENS1_30default_config_static_selectorELNS0_4arch9wavefront6targetE1EEEvT1_
; %bb.0:
	.section	.rodata,"a",@progbits
	.p2align	6, 0x0
	.amdhsa_kernel _ZN7rocprim17ROCPRIM_400000_NS6detail17trampoline_kernelINS0_14default_configENS1_25transform_config_selectorIdLb1EEEZNS1_14transform_implILb1ES3_S5_PdS7_NS0_8identityIdEEEE10hipError_tT2_T3_mT4_P12ihipStream_tbEUlT_E_NS1_11comp_targetILNS1_3genE0ELNS1_11target_archE4294967295ELNS1_3gpuE0ELNS1_3repE0EEENS1_30default_config_static_selectorELNS0_4arch9wavefront6targetE1EEEvT1_
		.amdhsa_group_segment_fixed_size 0
		.amdhsa_private_segment_fixed_size 0
		.amdhsa_kernarg_size 40
		.amdhsa_user_sgpr_count 6
		.amdhsa_user_sgpr_private_segment_buffer 1
		.amdhsa_user_sgpr_dispatch_ptr 0
		.amdhsa_user_sgpr_queue_ptr 0
		.amdhsa_user_sgpr_kernarg_segment_ptr 1
		.amdhsa_user_sgpr_dispatch_id 0
		.amdhsa_user_sgpr_flat_scratch_init 0
		.amdhsa_user_sgpr_private_segment_size 0
		.amdhsa_uses_dynamic_stack 0
		.amdhsa_system_sgpr_private_segment_wavefront_offset 0
		.amdhsa_system_sgpr_workgroup_id_x 1
		.amdhsa_system_sgpr_workgroup_id_y 0
		.amdhsa_system_sgpr_workgroup_id_z 0
		.amdhsa_system_sgpr_workgroup_info 0
		.amdhsa_system_vgpr_workitem_id 0
		.amdhsa_next_free_vgpr 1
		.amdhsa_next_free_sgpr 0
		.amdhsa_reserve_vcc 0
		.amdhsa_reserve_flat_scratch 0
		.amdhsa_float_round_mode_32 0
		.amdhsa_float_round_mode_16_64 0
		.amdhsa_float_denorm_mode_32 3
		.amdhsa_float_denorm_mode_16_64 3
		.amdhsa_dx10_clamp 1
		.amdhsa_ieee_mode 1
		.amdhsa_fp16_overflow 0
		.amdhsa_exception_fp_ieee_invalid_op 0
		.amdhsa_exception_fp_denorm_src 0
		.amdhsa_exception_fp_ieee_div_zero 0
		.amdhsa_exception_fp_ieee_overflow 0
		.amdhsa_exception_fp_ieee_underflow 0
		.amdhsa_exception_fp_ieee_inexact 0
		.amdhsa_exception_int_div_zero 0
	.end_amdhsa_kernel
	.section	.text._ZN7rocprim17ROCPRIM_400000_NS6detail17trampoline_kernelINS0_14default_configENS1_25transform_config_selectorIdLb1EEEZNS1_14transform_implILb1ES3_S5_PdS7_NS0_8identityIdEEEE10hipError_tT2_T3_mT4_P12ihipStream_tbEUlT_E_NS1_11comp_targetILNS1_3genE0ELNS1_11target_archE4294967295ELNS1_3gpuE0ELNS1_3repE0EEENS1_30default_config_static_selectorELNS0_4arch9wavefront6targetE1EEEvT1_,"axG",@progbits,_ZN7rocprim17ROCPRIM_400000_NS6detail17trampoline_kernelINS0_14default_configENS1_25transform_config_selectorIdLb1EEEZNS1_14transform_implILb1ES3_S5_PdS7_NS0_8identityIdEEEE10hipError_tT2_T3_mT4_P12ihipStream_tbEUlT_E_NS1_11comp_targetILNS1_3genE0ELNS1_11target_archE4294967295ELNS1_3gpuE0ELNS1_3repE0EEENS1_30default_config_static_selectorELNS0_4arch9wavefront6targetE1EEEvT1_,comdat
.Lfunc_end10:
	.size	_ZN7rocprim17ROCPRIM_400000_NS6detail17trampoline_kernelINS0_14default_configENS1_25transform_config_selectorIdLb1EEEZNS1_14transform_implILb1ES3_S5_PdS7_NS0_8identityIdEEEE10hipError_tT2_T3_mT4_P12ihipStream_tbEUlT_E_NS1_11comp_targetILNS1_3genE0ELNS1_11target_archE4294967295ELNS1_3gpuE0ELNS1_3repE0EEENS1_30default_config_static_selectorELNS0_4arch9wavefront6targetE1EEEvT1_, .Lfunc_end10-_ZN7rocprim17ROCPRIM_400000_NS6detail17trampoline_kernelINS0_14default_configENS1_25transform_config_selectorIdLb1EEEZNS1_14transform_implILb1ES3_S5_PdS7_NS0_8identityIdEEEE10hipError_tT2_T3_mT4_P12ihipStream_tbEUlT_E_NS1_11comp_targetILNS1_3genE0ELNS1_11target_archE4294967295ELNS1_3gpuE0ELNS1_3repE0EEENS1_30default_config_static_selectorELNS0_4arch9wavefront6targetE1EEEvT1_
                                        ; -- End function
	.set _ZN7rocprim17ROCPRIM_400000_NS6detail17trampoline_kernelINS0_14default_configENS1_25transform_config_selectorIdLb1EEEZNS1_14transform_implILb1ES3_S5_PdS7_NS0_8identityIdEEEE10hipError_tT2_T3_mT4_P12ihipStream_tbEUlT_E_NS1_11comp_targetILNS1_3genE0ELNS1_11target_archE4294967295ELNS1_3gpuE0ELNS1_3repE0EEENS1_30default_config_static_selectorELNS0_4arch9wavefront6targetE1EEEvT1_.num_vgpr, 0
	.set _ZN7rocprim17ROCPRIM_400000_NS6detail17trampoline_kernelINS0_14default_configENS1_25transform_config_selectorIdLb1EEEZNS1_14transform_implILb1ES3_S5_PdS7_NS0_8identityIdEEEE10hipError_tT2_T3_mT4_P12ihipStream_tbEUlT_E_NS1_11comp_targetILNS1_3genE0ELNS1_11target_archE4294967295ELNS1_3gpuE0ELNS1_3repE0EEENS1_30default_config_static_selectorELNS0_4arch9wavefront6targetE1EEEvT1_.num_agpr, 0
	.set _ZN7rocprim17ROCPRIM_400000_NS6detail17trampoline_kernelINS0_14default_configENS1_25transform_config_selectorIdLb1EEEZNS1_14transform_implILb1ES3_S5_PdS7_NS0_8identityIdEEEE10hipError_tT2_T3_mT4_P12ihipStream_tbEUlT_E_NS1_11comp_targetILNS1_3genE0ELNS1_11target_archE4294967295ELNS1_3gpuE0ELNS1_3repE0EEENS1_30default_config_static_selectorELNS0_4arch9wavefront6targetE1EEEvT1_.numbered_sgpr, 0
	.set _ZN7rocprim17ROCPRIM_400000_NS6detail17trampoline_kernelINS0_14default_configENS1_25transform_config_selectorIdLb1EEEZNS1_14transform_implILb1ES3_S5_PdS7_NS0_8identityIdEEEE10hipError_tT2_T3_mT4_P12ihipStream_tbEUlT_E_NS1_11comp_targetILNS1_3genE0ELNS1_11target_archE4294967295ELNS1_3gpuE0ELNS1_3repE0EEENS1_30default_config_static_selectorELNS0_4arch9wavefront6targetE1EEEvT1_.num_named_barrier, 0
	.set _ZN7rocprim17ROCPRIM_400000_NS6detail17trampoline_kernelINS0_14default_configENS1_25transform_config_selectorIdLb1EEEZNS1_14transform_implILb1ES3_S5_PdS7_NS0_8identityIdEEEE10hipError_tT2_T3_mT4_P12ihipStream_tbEUlT_E_NS1_11comp_targetILNS1_3genE0ELNS1_11target_archE4294967295ELNS1_3gpuE0ELNS1_3repE0EEENS1_30default_config_static_selectorELNS0_4arch9wavefront6targetE1EEEvT1_.private_seg_size, 0
	.set _ZN7rocprim17ROCPRIM_400000_NS6detail17trampoline_kernelINS0_14default_configENS1_25transform_config_selectorIdLb1EEEZNS1_14transform_implILb1ES3_S5_PdS7_NS0_8identityIdEEEE10hipError_tT2_T3_mT4_P12ihipStream_tbEUlT_E_NS1_11comp_targetILNS1_3genE0ELNS1_11target_archE4294967295ELNS1_3gpuE0ELNS1_3repE0EEENS1_30default_config_static_selectorELNS0_4arch9wavefront6targetE1EEEvT1_.uses_vcc, 0
	.set _ZN7rocprim17ROCPRIM_400000_NS6detail17trampoline_kernelINS0_14default_configENS1_25transform_config_selectorIdLb1EEEZNS1_14transform_implILb1ES3_S5_PdS7_NS0_8identityIdEEEE10hipError_tT2_T3_mT4_P12ihipStream_tbEUlT_E_NS1_11comp_targetILNS1_3genE0ELNS1_11target_archE4294967295ELNS1_3gpuE0ELNS1_3repE0EEENS1_30default_config_static_selectorELNS0_4arch9wavefront6targetE1EEEvT1_.uses_flat_scratch, 0
	.set _ZN7rocprim17ROCPRIM_400000_NS6detail17trampoline_kernelINS0_14default_configENS1_25transform_config_selectorIdLb1EEEZNS1_14transform_implILb1ES3_S5_PdS7_NS0_8identityIdEEEE10hipError_tT2_T3_mT4_P12ihipStream_tbEUlT_E_NS1_11comp_targetILNS1_3genE0ELNS1_11target_archE4294967295ELNS1_3gpuE0ELNS1_3repE0EEENS1_30default_config_static_selectorELNS0_4arch9wavefront6targetE1EEEvT1_.has_dyn_sized_stack, 0
	.set _ZN7rocprim17ROCPRIM_400000_NS6detail17trampoline_kernelINS0_14default_configENS1_25transform_config_selectorIdLb1EEEZNS1_14transform_implILb1ES3_S5_PdS7_NS0_8identityIdEEEE10hipError_tT2_T3_mT4_P12ihipStream_tbEUlT_E_NS1_11comp_targetILNS1_3genE0ELNS1_11target_archE4294967295ELNS1_3gpuE0ELNS1_3repE0EEENS1_30default_config_static_selectorELNS0_4arch9wavefront6targetE1EEEvT1_.has_recursion, 0
	.set _ZN7rocprim17ROCPRIM_400000_NS6detail17trampoline_kernelINS0_14default_configENS1_25transform_config_selectorIdLb1EEEZNS1_14transform_implILb1ES3_S5_PdS7_NS0_8identityIdEEEE10hipError_tT2_T3_mT4_P12ihipStream_tbEUlT_E_NS1_11comp_targetILNS1_3genE0ELNS1_11target_archE4294967295ELNS1_3gpuE0ELNS1_3repE0EEENS1_30default_config_static_selectorELNS0_4arch9wavefront6targetE1EEEvT1_.has_indirect_call, 0
	.section	.AMDGPU.csdata,"",@progbits
; Kernel info:
; codeLenInByte = 0
; TotalNumSgprs: 4
; NumVgprs: 0
; ScratchSize: 0
; MemoryBound: 0
; FloatMode: 240
; IeeeMode: 1
; LDSByteSize: 0 bytes/workgroup (compile time only)
; SGPRBlocks: 0
; VGPRBlocks: 0
; NumSGPRsForWavesPerEU: 4
; NumVGPRsForWavesPerEU: 1
; Occupancy: 10
; WaveLimiterHint : 0
; COMPUTE_PGM_RSRC2:SCRATCH_EN: 0
; COMPUTE_PGM_RSRC2:USER_SGPR: 6
; COMPUTE_PGM_RSRC2:TRAP_HANDLER: 0
; COMPUTE_PGM_RSRC2:TGID_X_EN: 1
; COMPUTE_PGM_RSRC2:TGID_Y_EN: 0
; COMPUTE_PGM_RSRC2:TGID_Z_EN: 0
; COMPUTE_PGM_RSRC2:TIDIG_COMP_CNT: 0
	.section	.text._ZN7rocprim17ROCPRIM_400000_NS6detail17trampoline_kernelINS0_14default_configENS1_25transform_config_selectorIdLb1EEEZNS1_14transform_implILb1ES3_S5_PdS7_NS0_8identityIdEEEE10hipError_tT2_T3_mT4_P12ihipStream_tbEUlT_E_NS1_11comp_targetILNS1_3genE10ELNS1_11target_archE1201ELNS1_3gpuE5ELNS1_3repE0EEENS1_30default_config_static_selectorELNS0_4arch9wavefront6targetE1EEEvT1_,"axG",@progbits,_ZN7rocprim17ROCPRIM_400000_NS6detail17trampoline_kernelINS0_14default_configENS1_25transform_config_selectorIdLb1EEEZNS1_14transform_implILb1ES3_S5_PdS7_NS0_8identityIdEEEE10hipError_tT2_T3_mT4_P12ihipStream_tbEUlT_E_NS1_11comp_targetILNS1_3genE10ELNS1_11target_archE1201ELNS1_3gpuE5ELNS1_3repE0EEENS1_30default_config_static_selectorELNS0_4arch9wavefront6targetE1EEEvT1_,comdat
	.protected	_ZN7rocprim17ROCPRIM_400000_NS6detail17trampoline_kernelINS0_14default_configENS1_25transform_config_selectorIdLb1EEEZNS1_14transform_implILb1ES3_S5_PdS7_NS0_8identityIdEEEE10hipError_tT2_T3_mT4_P12ihipStream_tbEUlT_E_NS1_11comp_targetILNS1_3genE10ELNS1_11target_archE1201ELNS1_3gpuE5ELNS1_3repE0EEENS1_30default_config_static_selectorELNS0_4arch9wavefront6targetE1EEEvT1_ ; -- Begin function _ZN7rocprim17ROCPRIM_400000_NS6detail17trampoline_kernelINS0_14default_configENS1_25transform_config_selectorIdLb1EEEZNS1_14transform_implILb1ES3_S5_PdS7_NS0_8identityIdEEEE10hipError_tT2_T3_mT4_P12ihipStream_tbEUlT_E_NS1_11comp_targetILNS1_3genE10ELNS1_11target_archE1201ELNS1_3gpuE5ELNS1_3repE0EEENS1_30default_config_static_selectorELNS0_4arch9wavefront6targetE1EEEvT1_
	.globl	_ZN7rocprim17ROCPRIM_400000_NS6detail17trampoline_kernelINS0_14default_configENS1_25transform_config_selectorIdLb1EEEZNS1_14transform_implILb1ES3_S5_PdS7_NS0_8identityIdEEEE10hipError_tT2_T3_mT4_P12ihipStream_tbEUlT_E_NS1_11comp_targetILNS1_3genE10ELNS1_11target_archE1201ELNS1_3gpuE5ELNS1_3repE0EEENS1_30default_config_static_selectorELNS0_4arch9wavefront6targetE1EEEvT1_
	.p2align	8
	.type	_ZN7rocprim17ROCPRIM_400000_NS6detail17trampoline_kernelINS0_14default_configENS1_25transform_config_selectorIdLb1EEEZNS1_14transform_implILb1ES3_S5_PdS7_NS0_8identityIdEEEE10hipError_tT2_T3_mT4_P12ihipStream_tbEUlT_E_NS1_11comp_targetILNS1_3genE10ELNS1_11target_archE1201ELNS1_3gpuE5ELNS1_3repE0EEENS1_30default_config_static_selectorELNS0_4arch9wavefront6targetE1EEEvT1_,@function
_ZN7rocprim17ROCPRIM_400000_NS6detail17trampoline_kernelINS0_14default_configENS1_25transform_config_selectorIdLb1EEEZNS1_14transform_implILb1ES3_S5_PdS7_NS0_8identityIdEEEE10hipError_tT2_T3_mT4_P12ihipStream_tbEUlT_E_NS1_11comp_targetILNS1_3genE10ELNS1_11target_archE1201ELNS1_3gpuE5ELNS1_3repE0EEENS1_30default_config_static_selectorELNS0_4arch9wavefront6targetE1EEEvT1_: ; @_ZN7rocprim17ROCPRIM_400000_NS6detail17trampoline_kernelINS0_14default_configENS1_25transform_config_selectorIdLb1EEEZNS1_14transform_implILb1ES3_S5_PdS7_NS0_8identityIdEEEE10hipError_tT2_T3_mT4_P12ihipStream_tbEUlT_E_NS1_11comp_targetILNS1_3genE10ELNS1_11target_archE1201ELNS1_3gpuE5ELNS1_3repE0EEENS1_30default_config_static_selectorELNS0_4arch9wavefront6targetE1EEEvT1_
; %bb.0:
	.section	.rodata,"a",@progbits
	.p2align	6, 0x0
	.amdhsa_kernel _ZN7rocprim17ROCPRIM_400000_NS6detail17trampoline_kernelINS0_14default_configENS1_25transform_config_selectorIdLb1EEEZNS1_14transform_implILb1ES3_S5_PdS7_NS0_8identityIdEEEE10hipError_tT2_T3_mT4_P12ihipStream_tbEUlT_E_NS1_11comp_targetILNS1_3genE10ELNS1_11target_archE1201ELNS1_3gpuE5ELNS1_3repE0EEENS1_30default_config_static_selectorELNS0_4arch9wavefront6targetE1EEEvT1_
		.amdhsa_group_segment_fixed_size 0
		.amdhsa_private_segment_fixed_size 0
		.amdhsa_kernarg_size 40
		.amdhsa_user_sgpr_count 6
		.amdhsa_user_sgpr_private_segment_buffer 1
		.amdhsa_user_sgpr_dispatch_ptr 0
		.amdhsa_user_sgpr_queue_ptr 0
		.amdhsa_user_sgpr_kernarg_segment_ptr 1
		.amdhsa_user_sgpr_dispatch_id 0
		.amdhsa_user_sgpr_flat_scratch_init 0
		.amdhsa_user_sgpr_private_segment_size 0
		.amdhsa_uses_dynamic_stack 0
		.amdhsa_system_sgpr_private_segment_wavefront_offset 0
		.amdhsa_system_sgpr_workgroup_id_x 1
		.amdhsa_system_sgpr_workgroup_id_y 0
		.amdhsa_system_sgpr_workgroup_id_z 0
		.amdhsa_system_sgpr_workgroup_info 0
		.amdhsa_system_vgpr_workitem_id 0
		.amdhsa_next_free_vgpr 1
		.amdhsa_next_free_sgpr 0
		.amdhsa_reserve_vcc 0
		.amdhsa_reserve_flat_scratch 0
		.amdhsa_float_round_mode_32 0
		.amdhsa_float_round_mode_16_64 0
		.amdhsa_float_denorm_mode_32 3
		.amdhsa_float_denorm_mode_16_64 3
		.amdhsa_dx10_clamp 1
		.amdhsa_ieee_mode 1
		.amdhsa_fp16_overflow 0
		.amdhsa_exception_fp_ieee_invalid_op 0
		.amdhsa_exception_fp_denorm_src 0
		.amdhsa_exception_fp_ieee_div_zero 0
		.amdhsa_exception_fp_ieee_overflow 0
		.amdhsa_exception_fp_ieee_underflow 0
		.amdhsa_exception_fp_ieee_inexact 0
		.amdhsa_exception_int_div_zero 0
	.end_amdhsa_kernel
	.section	.text._ZN7rocprim17ROCPRIM_400000_NS6detail17trampoline_kernelINS0_14default_configENS1_25transform_config_selectorIdLb1EEEZNS1_14transform_implILb1ES3_S5_PdS7_NS0_8identityIdEEEE10hipError_tT2_T3_mT4_P12ihipStream_tbEUlT_E_NS1_11comp_targetILNS1_3genE10ELNS1_11target_archE1201ELNS1_3gpuE5ELNS1_3repE0EEENS1_30default_config_static_selectorELNS0_4arch9wavefront6targetE1EEEvT1_,"axG",@progbits,_ZN7rocprim17ROCPRIM_400000_NS6detail17trampoline_kernelINS0_14default_configENS1_25transform_config_selectorIdLb1EEEZNS1_14transform_implILb1ES3_S5_PdS7_NS0_8identityIdEEEE10hipError_tT2_T3_mT4_P12ihipStream_tbEUlT_E_NS1_11comp_targetILNS1_3genE10ELNS1_11target_archE1201ELNS1_3gpuE5ELNS1_3repE0EEENS1_30default_config_static_selectorELNS0_4arch9wavefront6targetE1EEEvT1_,comdat
.Lfunc_end11:
	.size	_ZN7rocprim17ROCPRIM_400000_NS6detail17trampoline_kernelINS0_14default_configENS1_25transform_config_selectorIdLb1EEEZNS1_14transform_implILb1ES3_S5_PdS7_NS0_8identityIdEEEE10hipError_tT2_T3_mT4_P12ihipStream_tbEUlT_E_NS1_11comp_targetILNS1_3genE10ELNS1_11target_archE1201ELNS1_3gpuE5ELNS1_3repE0EEENS1_30default_config_static_selectorELNS0_4arch9wavefront6targetE1EEEvT1_, .Lfunc_end11-_ZN7rocprim17ROCPRIM_400000_NS6detail17trampoline_kernelINS0_14default_configENS1_25transform_config_selectorIdLb1EEEZNS1_14transform_implILb1ES3_S5_PdS7_NS0_8identityIdEEEE10hipError_tT2_T3_mT4_P12ihipStream_tbEUlT_E_NS1_11comp_targetILNS1_3genE10ELNS1_11target_archE1201ELNS1_3gpuE5ELNS1_3repE0EEENS1_30default_config_static_selectorELNS0_4arch9wavefront6targetE1EEEvT1_
                                        ; -- End function
	.set _ZN7rocprim17ROCPRIM_400000_NS6detail17trampoline_kernelINS0_14default_configENS1_25transform_config_selectorIdLb1EEEZNS1_14transform_implILb1ES3_S5_PdS7_NS0_8identityIdEEEE10hipError_tT2_T3_mT4_P12ihipStream_tbEUlT_E_NS1_11comp_targetILNS1_3genE10ELNS1_11target_archE1201ELNS1_3gpuE5ELNS1_3repE0EEENS1_30default_config_static_selectorELNS0_4arch9wavefront6targetE1EEEvT1_.num_vgpr, 0
	.set _ZN7rocprim17ROCPRIM_400000_NS6detail17trampoline_kernelINS0_14default_configENS1_25transform_config_selectorIdLb1EEEZNS1_14transform_implILb1ES3_S5_PdS7_NS0_8identityIdEEEE10hipError_tT2_T3_mT4_P12ihipStream_tbEUlT_E_NS1_11comp_targetILNS1_3genE10ELNS1_11target_archE1201ELNS1_3gpuE5ELNS1_3repE0EEENS1_30default_config_static_selectorELNS0_4arch9wavefront6targetE1EEEvT1_.num_agpr, 0
	.set _ZN7rocprim17ROCPRIM_400000_NS6detail17trampoline_kernelINS0_14default_configENS1_25transform_config_selectorIdLb1EEEZNS1_14transform_implILb1ES3_S5_PdS7_NS0_8identityIdEEEE10hipError_tT2_T3_mT4_P12ihipStream_tbEUlT_E_NS1_11comp_targetILNS1_3genE10ELNS1_11target_archE1201ELNS1_3gpuE5ELNS1_3repE0EEENS1_30default_config_static_selectorELNS0_4arch9wavefront6targetE1EEEvT1_.numbered_sgpr, 0
	.set _ZN7rocprim17ROCPRIM_400000_NS6detail17trampoline_kernelINS0_14default_configENS1_25transform_config_selectorIdLb1EEEZNS1_14transform_implILb1ES3_S5_PdS7_NS0_8identityIdEEEE10hipError_tT2_T3_mT4_P12ihipStream_tbEUlT_E_NS1_11comp_targetILNS1_3genE10ELNS1_11target_archE1201ELNS1_3gpuE5ELNS1_3repE0EEENS1_30default_config_static_selectorELNS0_4arch9wavefront6targetE1EEEvT1_.num_named_barrier, 0
	.set _ZN7rocprim17ROCPRIM_400000_NS6detail17trampoline_kernelINS0_14default_configENS1_25transform_config_selectorIdLb1EEEZNS1_14transform_implILb1ES3_S5_PdS7_NS0_8identityIdEEEE10hipError_tT2_T3_mT4_P12ihipStream_tbEUlT_E_NS1_11comp_targetILNS1_3genE10ELNS1_11target_archE1201ELNS1_3gpuE5ELNS1_3repE0EEENS1_30default_config_static_selectorELNS0_4arch9wavefront6targetE1EEEvT1_.private_seg_size, 0
	.set _ZN7rocprim17ROCPRIM_400000_NS6detail17trampoline_kernelINS0_14default_configENS1_25transform_config_selectorIdLb1EEEZNS1_14transform_implILb1ES3_S5_PdS7_NS0_8identityIdEEEE10hipError_tT2_T3_mT4_P12ihipStream_tbEUlT_E_NS1_11comp_targetILNS1_3genE10ELNS1_11target_archE1201ELNS1_3gpuE5ELNS1_3repE0EEENS1_30default_config_static_selectorELNS0_4arch9wavefront6targetE1EEEvT1_.uses_vcc, 0
	.set _ZN7rocprim17ROCPRIM_400000_NS6detail17trampoline_kernelINS0_14default_configENS1_25transform_config_selectorIdLb1EEEZNS1_14transform_implILb1ES3_S5_PdS7_NS0_8identityIdEEEE10hipError_tT2_T3_mT4_P12ihipStream_tbEUlT_E_NS1_11comp_targetILNS1_3genE10ELNS1_11target_archE1201ELNS1_3gpuE5ELNS1_3repE0EEENS1_30default_config_static_selectorELNS0_4arch9wavefront6targetE1EEEvT1_.uses_flat_scratch, 0
	.set _ZN7rocprim17ROCPRIM_400000_NS6detail17trampoline_kernelINS0_14default_configENS1_25transform_config_selectorIdLb1EEEZNS1_14transform_implILb1ES3_S5_PdS7_NS0_8identityIdEEEE10hipError_tT2_T3_mT4_P12ihipStream_tbEUlT_E_NS1_11comp_targetILNS1_3genE10ELNS1_11target_archE1201ELNS1_3gpuE5ELNS1_3repE0EEENS1_30default_config_static_selectorELNS0_4arch9wavefront6targetE1EEEvT1_.has_dyn_sized_stack, 0
	.set _ZN7rocprim17ROCPRIM_400000_NS6detail17trampoline_kernelINS0_14default_configENS1_25transform_config_selectorIdLb1EEEZNS1_14transform_implILb1ES3_S5_PdS7_NS0_8identityIdEEEE10hipError_tT2_T3_mT4_P12ihipStream_tbEUlT_E_NS1_11comp_targetILNS1_3genE10ELNS1_11target_archE1201ELNS1_3gpuE5ELNS1_3repE0EEENS1_30default_config_static_selectorELNS0_4arch9wavefront6targetE1EEEvT1_.has_recursion, 0
	.set _ZN7rocprim17ROCPRIM_400000_NS6detail17trampoline_kernelINS0_14default_configENS1_25transform_config_selectorIdLb1EEEZNS1_14transform_implILb1ES3_S5_PdS7_NS0_8identityIdEEEE10hipError_tT2_T3_mT4_P12ihipStream_tbEUlT_E_NS1_11comp_targetILNS1_3genE10ELNS1_11target_archE1201ELNS1_3gpuE5ELNS1_3repE0EEENS1_30default_config_static_selectorELNS0_4arch9wavefront6targetE1EEEvT1_.has_indirect_call, 0
	.section	.AMDGPU.csdata,"",@progbits
; Kernel info:
; codeLenInByte = 0
; TotalNumSgprs: 4
; NumVgprs: 0
; ScratchSize: 0
; MemoryBound: 0
; FloatMode: 240
; IeeeMode: 1
; LDSByteSize: 0 bytes/workgroup (compile time only)
; SGPRBlocks: 0
; VGPRBlocks: 0
; NumSGPRsForWavesPerEU: 4
; NumVGPRsForWavesPerEU: 1
; Occupancy: 10
; WaveLimiterHint : 0
; COMPUTE_PGM_RSRC2:SCRATCH_EN: 0
; COMPUTE_PGM_RSRC2:USER_SGPR: 6
; COMPUTE_PGM_RSRC2:TRAP_HANDLER: 0
; COMPUTE_PGM_RSRC2:TGID_X_EN: 1
; COMPUTE_PGM_RSRC2:TGID_Y_EN: 0
; COMPUTE_PGM_RSRC2:TGID_Z_EN: 0
; COMPUTE_PGM_RSRC2:TIDIG_COMP_CNT: 0
	.section	.text._ZN7rocprim17ROCPRIM_400000_NS6detail17trampoline_kernelINS0_14default_configENS1_25transform_config_selectorIdLb1EEEZNS1_14transform_implILb1ES3_S5_PdS7_NS0_8identityIdEEEE10hipError_tT2_T3_mT4_P12ihipStream_tbEUlT_E_NS1_11comp_targetILNS1_3genE5ELNS1_11target_archE942ELNS1_3gpuE9ELNS1_3repE0EEENS1_30default_config_static_selectorELNS0_4arch9wavefront6targetE1EEEvT1_,"axG",@progbits,_ZN7rocprim17ROCPRIM_400000_NS6detail17trampoline_kernelINS0_14default_configENS1_25transform_config_selectorIdLb1EEEZNS1_14transform_implILb1ES3_S5_PdS7_NS0_8identityIdEEEE10hipError_tT2_T3_mT4_P12ihipStream_tbEUlT_E_NS1_11comp_targetILNS1_3genE5ELNS1_11target_archE942ELNS1_3gpuE9ELNS1_3repE0EEENS1_30default_config_static_selectorELNS0_4arch9wavefront6targetE1EEEvT1_,comdat
	.protected	_ZN7rocprim17ROCPRIM_400000_NS6detail17trampoline_kernelINS0_14default_configENS1_25transform_config_selectorIdLb1EEEZNS1_14transform_implILb1ES3_S5_PdS7_NS0_8identityIdEEEE10hipError_tT2_T3_mT4_P12ihipStream_tbEUlT_E_NS1_11comp_targetILNS1_3genE5ELNS1_11target_archE942ELNS1_3gpuE9ELNS1_3repE0EEENS1_30default_config_static_selectorELNS0_4arch9wavefront6targetE1EEEvT1_ ; -- Begin function _ZN7rocprim17ROCPRIM_400000_NS6detail17trampoline_kernelINS0_14default_configENS1_25transform_config_selectorIdLb1EEEZNS1_14transform_implILb1ES3_S5_PdS7_NS0_8identityIdEEEE10hipError_tT2_T3_mT4_P12ihipStream_tbEUlT_E_NS1_11comp_targetILNS1_3genE5ELNS1_11target_archE942ELNS1_3gpuE9ELNS1_3repE0EEENS1_30default_config_static_selectorELNS0_4arch9wavefront6targetE1EEEvT1_
	.globl	_ZN7rocprim17ROCPRIM_400000_NS6detail17trampoline_kernelINS0_14default_configENS1_25transform_config_selectorIdLb1EEEZNS1_14transform_implILb1ES3_S5_PdS7_NS0_8identityIdEEEE10hipError_tT2_T3_mT4_P12ihipStream_tbEUlT_E_NS1_11comp_targetILNS1_3genE5ELNS1_11target_archE942ELNS1_3gpuE9ELNS1_3repE0EEENS1_30default_config_static_selectorELNS0_4arch9wavefront6targetE1EEEvT1_
	.p2align	8
	.type	_ZN7rocprim17ROCPRIM_400000_NS6detail17trampoline_kernelINS0_14default_configENS1_25transform_config_selectorIdLb1EEEZNS1_14transform_implILb1ES3_S5_PdS7_NS0_8identityIdEEEE10hipError_tT2_T3_mT4_P12ihipStream_tbEUlT_E_NS1_11comp_targetILNS1_3genE5ELNS1_11target_archE942ELNS1_3gpuE9ELNS1_3repE0EEENS1_30default_config_static_selectorELNS0_4arch9wavefront6targetE1EEEvT1_,@function
_ZN7rocprim17ROCPRIM_400000_NS6detail17trampoline_kernelINS0_14default_configENS1_25transform_config_selectorIdLb1EEEZNS1_14transform_implILb1ES3_S5_PdS7_NS0_8identityIdEEEE10hipError_tT2_T3_mT4_P12ihipStream_tbEUlT_E_NS1_11comp_targetILNS1_3genE5ELNS1_11target_archE942ELNS1_3gpuE9ELNS1_3repE0EEENS1_30default_config_static_selectorELNS0_4arch9wavefront6targetE1EEEvT1_: ; @_ZN7rocprim17ROCPRIM_400000_NS6detail17trampoline_kernelINS0_14default_configENS1_25transform_config_selectorIdLb1EEEZNS1_14transform_implILb1ES3_S5_PdS7_NS0_8identityIdEEEE10hipError_tT2_T3_mT4_P12ihipStream_tbEUlT_E_NS1_11comp_targetILNS1_3genE5ELNS1_11target_archE942ELNS1_3gpuE9ELNS1_3repE0EEENS1_30default_config_static_selectorELNS0_4arch9wavefront6targetE1EEEvT1_
; %bb.0:
	.section	.rodata,"a",@progbits
	.p2align	6, 0x0
	.amdhsa_kernel _ZN7rocprim17ROCPRIM_400000_NS6detail17trampoline_kernelINS0_14default_configENS1_25transform_config_selectorIdLb1EEEZNS1_14transform_implILb1ES3_S5_PdS7_NS0_8identityIdEEEE10hipError_tT2_T3_mT4_P12ihipStream_tbEUlT_E_NS1_11comp_targetILNS1_3genE5ELNS1_11target_archE942ELNS1_3gpuE9ELNS1_3repE0EEENS1_30default_config_static_selectorELNS0_4arch9wavefront6targetE1EEEvT1_
		.amdhsa_group_segment_fixed_size 0
		.amdhsa_private_segment_fixed_size 0
		.amdhsa_kernarg_size 40
		.amdhsa_user_sgpr_count 6
		.amdhsa_user_sgpr_private_segment_buffer 1
		.amdhsa_user_sgpr_dispatch_ptr 0
		.amdhsa_user_sgpr_queue_ptr 0
		.amdhsa_user_sgpr_kernarg_segment_ptr 1
		.amdhsa_user_sgpr_dispatch_id 0
		.amdhsa_user_sgpr_flat_scratch_init 0
		.amdhsa_user_sgpr_private_segment_size 0
		.amdhsa_uses_dynamic_stack 0
		.amdhsa_system_sgpr_private_segment_wavefront_offset 0
		.amdhsa_system_sgpr_workgroup_id_x 1
		.amdhsa_system_sgpr_workgroup_id_y 0
		.amdhsa_system_sgpr_workgroup_id_z 0
		.amdhsa_system_sgpr_workgroup_info 0
		.amdhsa_system_vgpr_workitem_id 0
		.amdhsa_next_free_vgpr 1
		.amdhsa_next_free_sgpr 0
		.amdhsa_reserve_vcc 0
		.amdhsa_reserve_flat_scratch 0
		.amdhsa_float_round_mode_32 0
		.amdhsa_float_round_mode_16_64 0
		.amdhsa_float_denorm_mode_32 3
		.amdhsa_float_denorm_mode_16_64 3
		.amdhsa_dx10_clamp 1
		.amdhsa_ieee_mode 1
		.amdhsa_fp16_overflow 0
		.amdhsa_exception_fp_ieee_invalid_op 0
		.amdhsa_exception_fp_denorm_src 0
		.amdhsa_exception_fp_ieee_div_zero 0
		.amdhsa_exception_fp_ieee_overflow 0
		.amdhsa_exception_fp_ieee_underflow 0
		.amdhsa_exception_fp_ieee_inexact 0
		.amdhsa_exception_int_div_zero 0
	.end_amdhsa_kernel
	.section	.text._ZN7rocprim17ROCPRIM_400000_NS6detail17trampoline_kernelINS0_14default_configENS1_25transform_config_selectorIdLb1EEEZNS1_14transform_implILb1ES3_S5_PdS7_NS0_8identityIdEEEE10hipError_tT2_T3_mT4_P12ihipStream_tbEUlT_E_NS1_11comp_targetILNS1_3genE5ELNS1_11target_archE942ELNS1_3gpuE9ELNS1_3repE0EEENS1_30default_config_static_selectorELNS0_4arch9wavefront6targetE1EEEvT1_,"axG",@progbits,_ZN7rocprim17ROCPRIM_400000_NS6detail17trampoline_kernelINS0_14default_configENS1_25transform_config_selectorIdLb1EEEZNS1_14transform_implILb1ES3_S5_PdS7_NS0_8identityIdEEEE10hipError_tT2_T3_mT4_P12ihipStream_tbEUlT_E_NS1_11comp_targetILNS1_3genE5ELNS1_11target_archE942ELNS1_3gpuE9ELNS1_3repE0EEENS1_30default_config_static_selectorELNS0_4arch9wavefront6targetE1EEEvT1_,comdat
.Lfunc_end12:
	.size	_ZN7rocprim17ROCPRIM_400000_NS6detail17trampoline_kernelINS0_14default_configENS1_25transform_config_selectorIdLb1EEEZNS1_14transform_implILb1ES3_S5_PdS7_NS0_8identityIdEEEE10hipError_tT2_T3_mT4_P12ihipStream_tbEUlT_E_NS1_11comp_targetILNS1_3genE5ELNS1_11target_archE942ELNS1_3gpuE9ELNS1_3repE0EEENS1_30default_config_static_selectorELNS0_4arch9wavefront6targetE1EEEvT1_, .Lfunc_end12-_ZN7rocprim17ROCPRIM_400000_NS6detail17trampoline_kernelINS0_14default_configENS1_25transform_config_selectorIdLb1EEEZNS1_14transform_implILb1ES3_S5_PdS7_NS0_8identityIdEEEE10hipError_tT2_T3_mT4_P12ihipStream_tbEUlT_E_NS1_11comp_targetILNS1_3genE5ELNS1_11target_archE942ELNS1_3gpuE9ELNS1_3repE0EEENS1_30default_config_static_selectorELNS0_4arch9wavefront6targetE1EEEvT1_
                                        ; -- End function
	.set _ZN7rocprim17ROCPRIM_400000_NS6detail17trampoline_kernelINS0_14default_configENS1_25transform_config_selectorIdLb1EEEZNS1_14transform_implILb1ES3_S5_PdS7_NS0_8identityIdEEEE10hipError_tT2_T3_mT4_P12ihipStream_tbEUlT_E_NS1_11comp_targetILNS1_3genE5ELNS1_11target_archE942ELNS1_3gpuE9ELNS1_3repE0EEENS1_30default_config_static_selectorELNS0_4arch9wavefront6targetE1EEEvT1_.num_vgpr, 0
	.set _ZN7rocprim17ROCPRIM_400000_NS6detail17trampoline_kernelINS0_14default_configENS1_25transform_config_selectorIdLb1EEEZNS1_14transform_implILb1ES3_S5_PdS7_NS0_8identityIdEEEE10hipError_tT2_T3_mT4_P12ihipStream_tbEUlT_E_NS1_11comp_targetILNS1_3genE5ELNS1_11target_archE942ELNS1_3gpuE9ELNS1_3repE0EEENS1_30default_config_static_selectorELNS0_4arch9wavefront6targetE1EEEvT1_.num_agpr, 0
	.set _ZN7rocprim17ROCPRIM_400000_NS6detail17trampoline_kernelINS0_14default_configENS1_25transform_config_selectorIdLb1EEEZNS1_14transform_implILb1ES3_S5_PdS7_NS0_8identityIdEEEE10hipError_tT2_T3_mT4_P12ihipStream_tbEUlT_E_NS1_11comp_targetILNS1_3genE5ELNS1_11target_archE942ELNS1_3gpuE9ELNS1_3repE0EEENS1_30default_config_static_selectorELNS0_4arch9wavefront6targetE1EEEvT1_.numbered_sgpr, 0
	.set _ZN7rocprim17ROCPRIM_400000_NS6detail17trampoline_kernelINS0_14default_configENS1_25transform_config_selectorIdLb1EEEZNS1_14transform_implILb1ES3_S5_PdS7_NS0_8identityIdEEEE10hipError_tT2_T3_mT4_P12ihipStream_tbEUlT_E_NS1_11comp_targetILNS1_3genE5ELNS1_11target_archE942ELNS1_3gpuE9ELNS1_3repE0EEENS1_30default_config_static_selectorELNS0_4arch9wavefront6targetE1EEEvT1_.num_named_barrier, 0
	.set _ZN7rocprim17ROCPRIM_400000_NS6detail17trampoline_kernelINS0_14default_configENS1_25transform_config_selectorIdLb1EEEZNS1_14transform_implILb1ES3_S5_PdS7_NS0_8identityIdEEEE10hipError_tT2_T3_mT4_P12ihipStream_tbEUlT_E_NS1_11comp_targetILNS1_3genE5ELNS1_11target_archE942ELNS1_3gpuE9ELNS1_3repE0EEENS1_30default_config_static_selectorELNS0_4arch9wavefront6targetE1EEEvT1_.private_seg_size, 0
	.set _ZN7rocprim17ROCPRIM_400000_NS6detail17trampoline_kernelINS0_14default_configENS1_25transform_config_selectorIdLb1EEEZNS1_14transform_implILb1ES3_S5_PdS7_NS0_8identityIdEEEE10hipError_tT2_T3_mT4_P12ihipStream_tbEUlT_E_NS1_11comp_targetILNS1_3genE5ELNS1_11target_archE942ELNS1_3gpuE9ELNS1_3repE0EEENS1_30default_config_static_selectorELNS0_4arch9wavefront6targetE1EEEvT1_.uses_vcc, 0
	.set _ZN7rocprim17ROCPRIM_400000_NS6detail17trampoline_kernelINS0_14default_configENS1_25transform_config_selectorIdLb1EEEZNS1_14transform_implILb1ES3_S5_PdS7_NS0_8identityIdEEEE10hipError_tT2_T3_mT4_P12ihipStream_tbEUlT_E_NS1_11comp_targetILNS1_3genE5ELNS1_11target_archE942ELNS1_3gpuE9ELNS1_3repE0EEENS1_30default_config_static_selectorELNS0_4arch9wavefront6targetE1EEEvT1_.uses_flat_scratch, 0
	.set _ZN7rocprim17ROCPRIM_400000_NS6detail17trampoline_kernelINS0_14default_configENS1_25transform_config_selectorIdLb1EEEZNS1_14transform_implILb1ES3_S5_PdS7_NS0_8identityIdEEEE10hipError_tT2_T3_mT4_P12ihipStream_tbEUlT_E_NS1_11comp_targetILNS1_3genE5ELNS1_11target_archE942ELNS1_3gpuE9ELNS1_3repE0EEENS1_30default_config_static_selectorELNS0_4arch9wavefront6targetE1EEEvT1_.has_dyn_sized_stack, 0
	.set _ZN7rocprim17ROCPRIM_400000_NS6detail17trampoline_kernelINS0_14default_configENS1_25transform_config_selectorIdLb1EEEZNS1_14transform_implILb1ES3_S5_PdS7_NS0_8identityIdEEEE10hipError_tT2_T3_mT4_P12ihipStream_tbEUlT_E_NS1_11comp_targetILNS1_3genE5ELNS1_11target_archE942ELNS1_3gpuE9ELNS1_3repE0EEENS1_30default_config_static_selectorELNS0_4arch9wavefront6targetE1EEEvT1_.has_recursion, 0
	.set _ZN7rocprim17ROCPRIM_400000_NS6detail17trampoline_kernelINS0_14default_configENS1_25transform_config_selectorIdLb1EEEZNS1_14transform_implILb1ES3_S5_PdS7_NS0_8identityIdEEEE10hipError_tT2_T3_mT4_P12ihipStream_tbEUlT_E_NS1_11comp_targetILNS1_3genE5ELNS1_11target_archE942ELNS1_3gpuE9ELNS1_3repE0EEENS1_30default_config_static_selectorELNS0_4arch9wavefront6targetE1EEEvT1_.has_indirect_call, 0
	.section	.AMDGPU.csdata,"",@progbits
; Kernel info:
; codeLenInByte = 0
; TotalNumSgprs: 4
; NumVgprs: 0
; ScratchSize: 0
; MemoryBound: 0
; FloatMode: 240
; IeeeMode: 1
; LDSByteSize: 0 bytes/workgroup (compile time only)
; SGPRBlocks: 0
; VGPRBlocks: 0
; NumSGPRsForWavesPerEU: 4
; NumVGPRsForWavesPerEU: 1
; Occupancy: 10
; WaveLimiterHint : 0
; COMPUTE_PGM_RSRC2:SCRATCH_EN: 0
; COMPUTE_PGM_RSRC2:USER_SGPR: 6
; COMPUTE_PGM_RSRC2:TRAP_HANDLER: 0
; COMPUTE_PGM_RSRC2:TGID_X_EN: 1
; COMPUTE_PGM_RSRC2:TGID_Y_EN: 0
; COMPUTE_PGM_RSRC2:TGID_Z_EN: 0
; COMPUTE_PGM_RSRC2:TIDIG_COMP_CNT: 0
	.section	.text._ZN7rocprim17ROCPRIM_400000_NS6detail17trampoline_kernelINS0_14default_configENS1_25transform_config_selectorIdLb1EEEZNS1_14transform_implILb1ES3_S5_PdS7_NS0_8identityIdEEEE10hipError_tT2_T3_mT4_P12ihipStream_tbEUlT_E_NS1_11comp_targetILNS1_3genE4ELNS1_11target_archE910ELNS1_3gpuE8ELNS1_3repE0EEENS1_30default_config_static_selectorELNS0_4arch9wavefront6targetE1EEEvT1_,"axG",@progbits,_ZN7rocprim17ROCPRIM_400000_NS6detail17trampoline_kernelINS0_14default_configENS1_25transform_config_selectorIdLb1EEEZNS1_14transform_implILb1ES3_S5_PdS7_NS0_8identityIdEEEE10hipError_tT2_T3_mT4_P12ihipStream_tbEUlT_E_NS1_11comp_targetILNS1_3genE4ELNS1_11target_archE910ELNS1_3gpuE8ELNS1_3repE0EEENS1_30default_config_static_selectorELNS0_4arch9wavefront6targetE1EEEvT1_,comdat
	.protected	_ZN7rocprim17ROCPRIM_400000_NS6detail17trampoline_kernelINS0_14default_configENS1_25transform_config_selectorIdLb1EEEZNS1_14transform_implILb1ES3_S5_PdS7_NS0_8identityIdEEEE10hipError_tT2_T3_mT4_P12ihipStream_tbEUlT_E_NS1_11comp_targetILNS1_3genE4ELNS1_11target_archE910ELNS1_3gpuE8ELNS1_3repE0EEENS1_30default_config_static_selectorELNS0_4arch9wavefront6targetE1EEEvT1_ ; -- Begin function _ZN7rocprim17ROCPRIM_400000_NS6detail17trampoline_kernelINS0_14default_configENS1_25transform_config_selectorIdLb1EEEZNS1_14transform_implILb1ES3_S5_PdS7_NS0_8identityIdEEEE10hipError_tT2_T3_mT4_P12ihipStream_tbEUlT_E_NS1_11comp_targetILNS1_3genE4ELNS1_11target_archE910ELNS1_3gpuE8ELNS1_3repE0EEENS1_30default_config_static_selectorELNS0_4arch9wavefront6targetE1EEEvT1_
	.globl	_ZN7rocprim17ROCPRIM_400000_NS6detail17trampoline_kernelINS0_14default_configENS1_25transform_config_selectorIdLb1EEEZNS1_14transform_implILb1ES3_S5_PdS7_NS0_8identityIdEEEE10hipError_tT2_T3_mT4_P12ihipStream_tbEUlT_E_NS1_11comp_targetILNS1_3genE4ELNS1_11target_archE910ELNS1_3gpuE8ELNS1_3repE0EEENS1_30default_config_static_selectorELNS0_4arch9wavefront6targetE1EEEvT1_
	.p2align	8
	.type	_ZN7rocprim17ROCPRIM_400000_NS6detail17trampoline_kernelINS0_14default_configENS1_25transform_config_selectorIdLb1EEEZNS1_14transform_implILb1ES3_S5_PdS7_NS0_8identityIdEEEE10hipError_tT2_T3_mT4_P12ihipStream_tbEUlT_E_NS1_11comp_targetILNS1_3genE4ELNS1_11target_archE910ELNS1_3gpuE8ELNS1_3repE0EEENS1_30default_config_static_selectorELNS0_4arch9wavefront6targetE1EEEvT1_,@function
_ZN7rocprim17ROCPRIM_400000_NS6detail17trampoline_kernelINS0_14default_configENS1_25transform_config_selectorIdLb1EEEZNS1_14transform_implILb1ES3_S5_PdS7_NS0_8identityIdEEEE10hipError_tT2_T3_mT4_P12ihipStream_tbEUlT_E_NS1_11comp_targetILNS1_3genE4ELNS1_11target_archE910ELNS1_3gpuE8ELNS1_3repE0EEENS1_30default_config_static_selectorELNS0_4arch9wavefront6targetE1EEEvT1_: ; @_ZN7rocprim17ROCPRIM_400000_NS6detail17trampoline_kernelINS0_14default_configENS1_25transform_config_selectorIdLb1EEEZNS1_14transform_implILb1ES3_S5_PdS7_NS0_8identityIdEEEE10hipError_tT2_T3_mT4_P12ihipStream_tbEUlT_E_NS1_11comp_targetILNS1_3genE4ELNS1_11target_archE910ELNS1_3gpuE8ELNS1_3repE0EEENS1_30default_config_static_selectorELNS0_4arch9wavefront6targetE1EEEvT1_
; %bb.0:
	.section	.rodata,"a",@progbits
	.p2align	6, 0x0
	.amdhsa_kernel _ZN7rocprim17ROCPRIM_400000_NS6detail17trampoline_kernelINS0_14default_configENS1_25transform_config_selectorIdLb1EEEZNS1_14transform_implILb1ES3_S5_PdS7_NS0_8identityIdEEEE10hipError_tT2_T3_mT4_P12ihipStream_tbEUlT_E_NS1_11comp_targetILNS1_3genE4ELNS1_11target_archE910ELNS1_3gpuE8ELNS1_3repE0EEENS1_30default_config_static_selectorELNS0_4arch9wavefront6targetE1EEEvT1_
		.amdhsa_group_segment_fixed_size 0
		.amdhsa_private_segment_fixed_size 0
		.amdhsa_kernarg_size 40
		.amdhsa_user_sgpr_count 6
		.amdhsa_user_sgpr_private_segment_buffer 1
		.amdhsa_user_sgpr_dispatch_ptr 0
		.amdhsa_user_sgpr_queue_ptr 0
		.amdhsa_user_sgpr_kernarg_segment_ptr 1
		.amdhsa_user_sgpr_dispatch_id 0
		.amdhsa_user_sgpr_flat_scratch_init 0
		.amdhsa_user_sgpr_private_segment_size 0
		.amdhsa_uses_dynamic_stack 0
		.amdhsa_system_sgpr_private_segment_wavefront_offset 0
		.amdhsa_system_sgpr_workgroup_id_x 1
		.amdhsa_system_sgpr_workgroup_id_y 0
		.amdhsa_system_sgpr_workgroup_id_z 0
		.amdhsa_system_sgpr_workgroup_info 0
		.amdhsa_system_vgpr_workitem_id 0
		.amdhsa_next_free_vgpr 1
		.amdhsa_next_free_sgpr 0
		.amdhsa_reserve_vcc 0
		.amdhsa_reserve_flat_scratch 0
		.amdhsa_float_round_mode_32 0
		.amdhsa_float_round_mode_16_64 0
		.amdhsa_float_denorm_mode_32 3
		.amdhsa_float_denorm_mode_16_64 3
		.amdhsa_dx10_clamp 1
		.amdhsa_ieee_mode 1
		.amdhsa_fp16_overflow 0
		.amdhsa_exception_fp_ieee_invalid_op 0
		.amdhsa_exception_fp_denorm_src 0
		.amdhsa_exception_fp_ieee_div_zero 0
		.amdhsa_exception_fp_ieee_overflow 0
		.amdhsa_exception_fp_ieee_underflow 0
		.amdhsa_exception_fp_ieee_inexact 0
		.amdhsa_exception_int_div_zero 0
	.end_amdhsa_kernel
	.section	.text._ZN7rocprim17ROCPRIM_400000_NS6detail17trampoline_kernelINS0_14default_configENS1_25transform_config_selectorIdLb1EEEZNS1_14transform_implILb1ES3_S5_PdS7_NS0_8identityIdEEEE10hipError_tT2_T3_mT4_P12ihipStream_tbEUlT_E_NS1_11comp_targetILNS1_3genE4ELNS1_11target_archE910ELNS1_3gpuE8ELNS1_3repE0EEENS1_30default_config_static_selectorELNS0_4arch9wavefront6targetE1EEEvT1_,"axG",@progbits,_ZN7rocprim17ROCPRIM_400000_NS6detail17trampoline_kernelINS0_14default_configENS1_25transform_config_selectorIdLb1EEEZNS1_14transform_implILb1ES3_S5_PdS7_NS0_8identityIdEEEE10hipError_tT2_T3_mT4_P12ihipStream_tbEUlT_E_NS1_11comp_targetILNS1_3genE4ELNS1_11target_archE910ELNS1_3gpuE8ELNS1_3repE0EEENS1_30default_config_static_selectorELNS0_4arch9wavefront6targetE1EEEvT1_,comdat
.Lfunc_end13:
	.size	_ZN7rocprim17ROCPRIM_400000_NS6detail17trampoline_kernelINS0_14default_configENS1_25transform_config_selectorIdLb1EEEZNS1_14transform_implILb1ES3_S5_PdS7_NS0_8identityIdEEEE10hipError_tT2_T3_mT4_P12ihipStream_tbEUlT_E_NS1_11comp_targetILNS1_3genE4ELNS1_11target_archE910ELNS1_3gpuE8ELNS1_3repE0EEENS1_30default_config_static_selectorELNS0_4arch9wavefront6targetE1EEEvT1_, .Lfunc_end13-_ZN7rocprim17ROCPRIM_400000_NS6detail17trampoline_kernelINS0_14default_configENS1_25transform_config_selectorIdLb1EEEZNS1_14transform_implILb1ES3_S5_PdS7_NS0_8identityIdEEEE10hipError_tT2_T3_mT4_P12ihipStream_tbEUlT_E_NS1_11comp_targetILNS1_3genE4ELNS1_11target_archE910ELNS1_3gpuE8ELNS1_3repE0EEENS1_30default_config_static_selectorELNS0_4arch9wavefront6targetE1EEEvT1_
                                        ; -- End function
	.set _ZN7rocprim17ROCPRIM_400000_NS6detail17trampoline_kernelINS0_14default_configENS1_25transform_config_selectorIdLb1EEEZNS1_14transform_implILb1ES3_S5_PdS7_NS0_8identityIdEEEE10hipError_tT2_T3_mT4_P12ihipStream_tbEUlT_E_NS1_11comp_targetILNS1_3genE4ELNS1_11target_archE910ELNS1_3gpuE8ELNS1_3repE0EEENS1_30default_config_static_selectorELNS0_4arch9wavefront6targetE1EEEvT1_.num_vgpr, 0
	.set _ZN7rocprim17ROCPRIM_400000_NS6detail17trampoline_kernelINS0_14default_configENS1_25transform_config_selectorIdLb1EEEZNS1_14transform_implILb1ES3_S5_PdS7_NS0_8identityIdEEEE10hipError_tT2_T3_mT4_P12ihipStream_tbEUlT_E_NS1_11comp_targetILNS1_3genE4ELNS1_11target_archE910ELNS1_3gpuE8ELNS1_3repE0EEENS1_30default_config_static_selectorELNS0_4arch9wavefront6targetE1EEEvT1_.num_agpr, 0
	.set _ZN7rocprim17ROCPRIM_400000_NS6detail17trampoline_kernelINS0_14default_configENS1_25transform_config_selectorIdLb1EEEZNS1_14transform_implILb1ES3_S5_PdS7_NS0_8identityIdEEEE10hipError_tT2_T3_mT4_P12ihipStream_tbEUlT_E_NS1_11comp_targetILNS1_3genE4ELNS1_11target_archE910ELNS1_3gpuE8ELNS1_3repE0EEENS1_30default_config_static_selectorELNS0_4arch9wavefront6targetE1EEEvT1_.numbered_sgpr, 0
	.set _ZN7rocprim17ROCPRIM_400000_NS6detail17trampoline_kernelINS0_14default_configENS1_25transform_config_selectorIdLb1EEEZNS1_14transform_implILb1ES3_S5_PdS7_NS0_8identityIdEEEE10hipError_tT2_T3_mT4_P12ihipStream_tbEUlT_E_NS1_11comp_targetILNS1_3genE4ELNS1_11target_archE910ELNS1_3gpuE8ELNS1_3repE0EEENS1_30default_config_static_selectorELNS0_4arch9wavefront6targetE1EEEvT1_.num_named_barrier, 0
	.set _ZN7rocprim17ROCPRIM_400000_NS6detail17trampoline_kernelINS0_14default_configENS1_25transform_config_selectorIdLb1EEEZNS1_14transform_implILb1ES3_S5_PdS7_NS0_8identityIdEEEE10hipError_tT2_T3_mT4_P12ihipStream_tbEUlT_E_NS1_11comp_targetILNS1_3genE4ELNS1_11target_archE910ELNS1_3gpuE8ELNS1_3repE0EEENS1_30default_config_static_selectorELNS0_4arch9wavefront6targetE1EEEvT1_.private_seg_size, 0
	.set _ZN7rocprim17ROCPRIM_400000_NS6detail17trampoline_kernelINS0_14default_configENS1_25transform_config_selectorIdLb1EEEZNS1_14transform_implILb1ES3_S5_PdS7_NS0_8identityIdEEEE10hipError_tT2_T3_mT4_P12ihipStream_tbEUlT_E_NS1_11comp_targetILNS1_3genE4ELNS1_11target_archE910ELNS1_3gpuE8ELNS1_3repE0EEENS1_30default_config_static_selectorELNS0_4arch9wavefront6targetE1EEEvT1_.uses_vcc, 0
	.set _ZN7rocprim17ROCPRIM_400000_NS6detail17trampoline_kernelINS0_14default_configENS1_25transform_config_selectorIdLb1EEEZNS1_14transform_implILb1ES3_S5_PdS7_NS0_8identityIdEEEE10hipError_tT2_T3_mT4_P12ihipStream_tbEUlT_E_NS1_11comp_targetILNS1_3genE4ELNS1_11target_archE910ELNS1_3gpuE8ELNS1_3repE0EEENS1_30default_config_static_selectorELNS0_4arch9wavefront6targetE1EEEvT1_.uses_flat_scratch, 0
	.set _ZN7rocprim17ROCPRIM_400000_NS6detail17trampoline_kernelINS0_14default_configENS1_25transform_config_selectorIdLb1EEEZNS1_14transform_implILb1ES3_S5_PdS7_NS0_8identityIdEEEE10hipError_tT2_T3_mT4_P12ihipStream_tbEUlT_E_NS1_11comp_targetILNS1_3genE4ELNS1_11target_archE910ELNS1_3gpuE8ELNS1_3repE0EEENS1_30default_config_static_selectorELNS0_4arch9wavefront6targetE1EEEvT1_.has_dyn_sized_stack, 0
	.set _ZN7rocprim17ROCPRIM_400000_NS6detail17trampoline_kernelINS0_14default_configENS1_25transform_config_selectorIdLb1EEEZNS1_14transform_implILb1ES3_S5_PdS7_NS0_8identityIdEEEE10hipError_tT2_T3_mT4_P12ihipStream_tbEUlT_E_NS1_11comp_targetILNS1_3genE4ELNS1_11target_archE910ELNS1_3gpuE8ELNS1_3repE0EEENS1_30default_config_static_selectorELNS0_4arch9wavefront6targetE1EEEvT1_.has_recursion, 0
	.set _ZN7rocprim17ROCPRIM_400000_NS6detail17trampoline_kernelINS0_14default_configENS1_25transform_config_selectorIdLb1EEEZNS1_14transform_implILb1ES3_S5_PdS7_NS0_8identityIdEEEE10hipError_tT2_T3_mT4_P12ihipStream_tbEUlT_E_NS1_11comp_targetILNS1_3genE4ELNS1_11target_archE910ELNS1_3gpuE8ELNS1_3repE0EEENS1_30default_config_static_selectorELNS0_4arch9wavefront6targetE1EEEvT1_.has_indirect_call, 0
	.section	.AMDGPU.csdata,"",@progbits
; Kernel info:
; codeLenInByte = 0
; TotalNumSgprs: 4
; NumVgprs: 0
; ScratchSize: 0
; MemoryBound: 0
; FloatMode: 240
; IeeeMode: 1
; LDSByteSize: 0 bytes/workgroup (compile time only)
; SGPRBlocks: 0
; VGPRBlocks: 0
; NumSGPRsForWavesPerEU: 4
; NumVGPRsForWavesPerEU: 1
; Occupancy: 10
; WaveLimiterHint : 0
; COMPUTE_PGM_RSRC2:SCRATCH_EN: 0
; COMPUTE_PGM_RSRC2:USER_SGPR: 6
; COMPUTE_PGM_RSRC2:TRAP_HANDLER: 0
; COMPUTE_PGM_RSRC2:TGID_X_EN: 1
; COMPUTE_PGM_RSRC2:TGID_Y_EN: 0
; COMPUTE_PGM_RSRC2:TGID_Z_EN: 0
; COMPUTE_PGM_RSRC2:TIDIG_COMP_CNT: 0
	.section	.text._ZN7rocprim17ROCPRIM_400000_NS6detail17trampoline_kernelINS0_14default_configENS1_25transform_config_selectorIdLb1EEEZNS1_14transform_implILb1ES3_S5_PdS7_NS0_8identityIdEEEE10hipError_tT2_T3_mT4_P12ihipStream_tbEUlT_E_NS1_11comp_targetILNS1_3genE3ELNS1_11target_archE908ELNS1_3gpuE7ELNS1_3repE0EEENS1_30default_config_static_selectorELNS0_4arch9wavefront6targetE1EEEvT1_,"axG",@progbits,_ZN7rocprim17ROCPRIM_400000_NS6detail17trampoline_kernelINS0_14default_configENS1_25transform_config_selectorIdLb1EEEZNS1_14transform_implILb1ES3_S5_PdS7_NS0_8identityIdEEEE10hipError_tT2_T3_mT4_P12ihipStream_tbEUlT_E_NS1_11comp_targetILNS1_3genE3ELNS1_11target_archE908ELNS1_3gpuE7ELNS1_3repE0EEENS1_30default_config_static_selectorELNS0_4arch9wavefront6targetE1EEEvT1_,comdat
	.protected	_ZN7rocprim17ROCPRIM_400000_NS6detail17trampoline_kernelINS0_14default_configENS1_25transform_config_selectorIdLb1EEEZNS1_14transform_implILb1ES3_S5_PdS7_NS0_8identityIdEEEE10hipError_tT2_T3_mT4_P12ihipStream_tbEUlT_E_NS1_11comp_targetILNS1_3genE3ELNS1_11target_archE908ELNS1_3gpuE7ELNS1_3repE0EEENS1_30default_config_static_selectorELNS0_4arch9wavefront6targetE1EEEvT1_ ; -- Begin function _ZN7rocprim17ROCPRIM_400000_NS6detail17trampoline_kernelINS0_14default_configENS1_25transform_config_selectorIdLb1EEEZNS1_14transform_implILb1ES3_S5_PdS7_NS0_8identityIdEEEE10hipError_tT2_T3_mT4_P12ihipStream_tbEUlT_E_NS1_11comp_targetILNS1_3genE3ELNS1_11target_archE908ELNS1_3gpuE7ELNS1_3repE0EEENS1_30default_config_static_selectorELNS0_4arch9wavefront6targetE1EEEvT1_
	.globl	_ZN7rocprim17ROCPRIM_400000_NS6detail17trampoline_kernelINS0_14default_configENS1_25transform_config_selectorIdLb1EEEZNS1_14transform_implILb1ES3_S5_PdS7_NS0_8identityIdEEEE10hipError_tT2_T3_mT4_P12ihipStream_tbEUlT_E_NS1_11comp_targetILNS1_3genE3ELNS1_11target_archE908ELNS1_3gpuE7ELNS1_3repE0EEENS1_30default_config_static_selectorELNS0_4arch9wavefront6targetE1EEEvT1_
	.p2align	8
	.type	_ZN7rocprim17ROCPRIM_400000_NS6detail17trampoline_kernelINS0_14default_configENS1_25transform_config_selectorIdLb1EEEZNS1_14transform_implILb1ES3_S5_PdS7_NS0_8identityIdEEEE10hipError_tT2_T3_mT4_P12ihipStream_tbEUlT_E_NS1_11comp_targetILNS1_3genE3ELNS1_11target_archE908ELNS1_3gpuE7ELNS1_3repE0EEENS1_30default_config_static_selectorELNS0_4arch9wavefront6targetE1EEEvT1_,@function
_ZN7rocprim17ROCPRIM_400000_NS6detail17trampoline_kernelINS0_14default_configENS1_25transform_config_selectorIdLb1EEEZNS1_14transform_implILb1ES3_S5_PdS7_NS0_8identityIdEEEE10hipError_tT2_T3_mT4_P12ihipStream_tbEUlT_E_NS1_11comp_targetILNS1_3genE3ELNS1_11target_archE908ELNS1_3gpuE7ELNS1_3repE0EEENS1_30default_config_static_selectorELNS0_4arch9wavefront6targetE1EEEvT1_: ; @_ZN7rocprim17ROCPRIM_400000_NS6detail17trampoline_kernelINS0_14default_configENS1_25transform_config_selectorIdLb1EEEZNS1_14transform_implILb1ES3_S5_PdS7_NS0_8identityIdEEEE10hipError_tT2_T3_mT4_P12ihipStream_tbEUlT_E_NS1_11comp_targetILNS1_3genE3ELNS1_11target_archE908ELNS1_3gpuE7ELNS1_3repE0EEENS1_30default_config_static_selectorELNS0_4arch9wavefront6targetE1EEEvT1_
; %bb.0:
	.section	.rodata,"a",@progbits
	.p2align	6, 0x0
	.amdhsa_kernel _ZN7rocprim17ROCPRIM_400000_NS6detail17trampoline_kernelINS0_14default_configENS1_25transform_config_selectorIdLb1EEEZNS1_14transform_implILb1ES3_S5_PdS7_NS0_8identityIdEEEE10hipError_tT2_T3_mT4_P12ihipStream_tbEUlT_E_NS1_11comp_targetILNS1_3genE3ELNS1_11target_archE908ELNS1_3gpuE7ELNS1_3repE0EEENS1_30default_config_static_selectorELNS0_4arch9wavefront6targetE1EEEvT1_
		.amdhsa_group_segment_fixed_size 0
		.amdhsa_private_segment_fixed_size 0
		.amdhsa_kernarg_size 40
		.amdhsa_user_sgpr_count 6
		.amdhsa_user_sgpr_private_segment_buffer 1
		.amdhsa_user_sgpr_dispatch_ptr 0
		.amdhsa_user_sgpr_queue_ptr 0
		.amdhsa_user_sgpr_kernarg_segment_ptr 1
		.amdhsa_user_sgpr_dispatch_id 0
		.amdhsa_user_sgpr_flat_scratch_init 0
		.amdhsa_user_sgpr_private_segment_size 0
		.amdhsa_uses_dynamic_stack 0
		.amdhsa_system_sgpr_private_segment_wavefront_offset 0
		.amdhsa_system_sgpr_workgroup_id_x 1
		.amdhsa_system_sgpr_workgroup_id_y 0
		.amdhsa_system_sgpr_workgroup_id_z 0
		.amdhsa_system_sgpr_workgroup_info 0
		.amdhsa_system_vgpr_workitem_id 0
		.amdhsa_next_free_vgpr 1
		.amdhsa_next_free_sgpr 0
		.amdhsa_reserve_vcc 0
		.amdhsa_reserve_flat_scratch 0
		.amdhsa_float_round_mode_32 0
		.amdhsa_float_round_mode_16_64 0
		.amdhsa_float_denorm_mode_32 3
		.amdhsa_float_denorm_mode_16_64 3
		.amdhsa_dx10_clamp 1
		.amdhsa_ieee_mode 1
		.amdhsa_fp16_overflow 0
		.amdhsa_exception_fp_ieee_invalid_op 0
		.amdhsa_exception_fp_denorm_src 0
		.amdhsa_exception_fp_ieee_div_zero 0
		.amdhsa_exception_fp_ieee_overflow 0
		.amdhsa_exception_fp_ieee_underflow 0
		.amdhsa_exception_fp_ieee_inexact 0
		.amdhsa_exception_int_div_zero 0
	.end_amdhsa_kernel
	.section	.text._ZN7rocprim17ROCPRIM_400000_NS6detail17trampoline_kernelINS0_14default_configENS1_25transform_config_selectorIdLb1EEEZNS1_14transform_implILb1ES3_S5_PdS7_NS0_8identityIdEEEE10hipError_tT2_T3_mT4_P12ihipStream_tbEUlT_E_NS1_11comp_targetILNS1_3genE3ELNS1_11target_archE908ELNS1_3gpuE7ELNS1_3repE0EEENS1_30default_config_static_selectorELNS0_4arch9wavefront6targetE1EEEvT1_,"axG",@progbits,_ZN7rocprim17ROCPRIM_400000_NS6detail17trampoline_kernelINS0_14default_configENS1_25transform_config_selectorIdLb1EEEZNS1_14transform_implILb1ES3_S5_PdS7_NS0_8identityIdEEEE10hipError_tT2_T3_mT4_P12ihipStream_tbEUlT_E_NS1_11comp_targetILNS1_3genE3ELNS1_11target_archE908ELNS1_3gpuE7ELNS1_3repE0EEENS1_30default_config_static_selectorELNS0_4arch9wavefront6targetE1EEEvT1_,comdat
.Lfunc_end14:
	.size	_ZN7rocprim17ROCPRIM_400000_NS6detail17trampoline_kernelINS0_14default_configENS1_25transform_config_selectorIdLb1EEEZNS1_14transform_implILb1ES3_S5_PdS7_NS0_8identityIdEEEE10hipError_tT2_T3_mT4_P12ihipStream_tbEUlT_E_NS1_11comp_targetILNS1_3genE3ELNS1_11target_archE908ELNS1_3gpuE7ELNS1_3repE0EEENS1_30default_config_static_selectorELNS0_4arch9wavefront6targetE1EEEvT1_, .Lfunc_end14-_ZN7rocprim17ROCPRIM_400000_NS6detail17trampoline_kernelINS0_14default_configENS1_25transform_config_selectorIdLb1EEEZNS1_14transform_implILb1ES3_S5_PdS7_NS0_8identityIdEEEE10hipError_tT2_T3_mT4_P12ihipStream_tbEUlT_E_NS1_11comp_targetILNS1_3genE3ELNS1_11target_archE908ELNS1_3gpuE7ELNS1_3repE0EEENS1_30default_config_static_selectorELNS0_4arch9wavefront6targetE1EEEvT1_
                                        ; -- End function
	.set _ZN7rocprim17ROCPRIM_400000_NS6detail17trampoline_kernelINS0_14default_configENS1_25transform_config_selectorIdLb1EEEZNS1_14transform_implILb1ES3_S5_PdS7_NS0_8identityIdEEEE10hipError_tT2_T3_mT4_P12ihipStream_tbEUlT_E_NS1_11comp_targetILNS1_3genE3ELNS1_11target_archE908ELNS1_3gpuE7ELNS1_3repE0EEENS1_30default_config_static_selectorELNS0_4arch9wavefront6targetE1EEEvT1_.num_vgpr, 0
	.set _ZN7rocprim17ROCPRIM_400000_NS6detail17trampoline_kernelINS0_14default_configENS1_25transform_config_selectorIdLb1EEEZNS1_14transform_implILb1ES3_S5_PdS7_NS0_8identityIdEEEE10hipError_tT2_T3_mT4_P12ihipStream_tbEUlT_E_NS1_11comp_targetILNS1_3genE3ELNS1_11target_archE908ELNS1_3gpuE7ELNS1_3repE0EEENS1_30default_config_static_selectorELNS0_4arch9wavefront6targetE1EEEvT1_.num_agpr, 0
	.set _ZN7rocprim17ROCPRIM_400000_NS6detail17trampoline_kernelINS0_14default_configENS1_25transform_config_selectorIdLb1EEEZNS1_14transform_implILb1ES3_S5_PdS7_NS0_8identityIdEEEE10hipError_tT2_T3_mT4_P12ihipStream_tbEUlT_E_NS1_11comp_targetILNS1_3genE3ELNS1_11target_archE908ELNS1_3gpuE7ELNS1_3repE0EEENS1_30default_config_static_selectorELNS0_4arch9wavefront6targetE1EEEvT1_.numbered_sgpr, 0
	.set _ZN7rocprim17ROCPRIM_400000_NS6detail17trampoline_kernelINS0_14default_configENS1_25transform_config_selectorIdLb1EEEZNS1_14transform_implILb1ES3_S5_PdS7_NS0_8identityIdEEEE10hipError_tT2_T3_mT4_P12ihipStream_tbEUlT_E_NS1_11comp_targetILNS1_3genE3ELNS1_11target_archE908ELNS1_3gpuE7ELNS1_3repE0EEENS1_30default_config_static_selectorELNS0_4arch9wavefront6targetE1EEEvT1_.num_named_barrier, 0
	.set _ZN7rocprim17ROCPRIM_400000_NS6detail17trampoline_kernelINS0_14default_configENS1_25transform_config_selectorIdLb1EEEZNS1_14transform_implILb1ES3_S5_PdS7_NS0_8identityIdEEEE10hipError_tT2_T3_mT4_P12ihipStream_tbEUlT_E_NS1_11comp_targetILNS1_3genE3ELNS1_11target_archE908ELNS1_3gpuE7ELNS1_3repE0EEENS1_30default_config_static_selectorELNS0_4arch9wavefront6targetE1EEEvT1_.private_seg_size, 0
	.set _ZN7rocprim17ROCPRIM_400000_NS6detail17trampoline_kernelINS0_14default_configENS1_25transform_config_selectorIdLb1EEEZNS1_14transform_implILb1ES3_S5_PdS7_NS0_8identityIdEEEE10hipError_tT2_T3_mT4_P12ihipStream_tbEUlT_E_NS1_11comp_targetILNS1_3genE3ELNS1_11target_archE908ELNS1_3gpuE7ELNS1_3repE0EEENS1_30default_config_static_selectorELNS0_4arch9wavefront6targetE1EEEvT1_.uses_vcc, 0
	.set _ZN7rocprim17ROCPRIM_400000_NS6detail17trampoline_kernelINS0_14default_configENS1_25transform_config_selectorIdLb1EEEZNS1_14transform_implILb1ES3_S5_PdS7_NS0_8identityIdEEEE10hipError_tT2_T3_mT4_P12ihipStream_tbEUlT_E_NS1_11comp_targetILNS1_3genE3ELNS1_11target_archE908ELNS1_3gpuE7ELNS1_3repE0EEENS1_30default_config_static_selectorELNS0_4arch9wavefront6targetE1EEEvT1_.uses_flat_scratch, 0
	.set _ZN7rocprim17ROCPRIM_400000_NS6detail17trampoline_kernelINS0_14default_configENS1_25transform_config_selectorIdLb1EEEZNS1_14transform_implILb1ES3_S5_PdS7_NS0_8identityIdEEEE10hipError_tT2_T3_mT4_P12ihipStream_tbEUlT_E_NS1_11comp_targetILNS1_3genE3ELNS1_11target_archE908ELNS1_3gpuE7ELNS1_3repE0EEENS1_30default_config_static_selectorELNS0_4arch9wavefront6targetE1EEEvT1_.has_dyn_sized_stack, 0
	.set _ZN7rocprim17ROCPRIM_400000_NS6detail17trampoline_kernelINS0_14default_configENS1_25transform_config_selectorIdLb1EEEZNS1_14transform_implILb1ES3_S5_PdS7_NS0_8identityIdEEEE10hipError_tT2_T3_mT4_P12ihipStream_tbEUlT_E_NS1_11comp_targetILNS1_3genE3ELNS1_11target_archE908ELNS1_3gpuE7ELNS1_3repE0EEENS1_30default_config_static_selectorELNS0_4arch9wavefront6targetE1EEEvT1_.has_recursion, 0
	.set _ZN7rocprim17ROCPRIM_400000_NS6detail17trampoline_kernelINS0_14default_configENS1_25transform_config_selectorIdLb1EEEZNS1_14transform_implILb1ES3_S5_PdS7_NS0_8identityIdEEEE10hipError_tT2_T3_mT4_P12ihipStream_tbEUlT_E_NS1_11comp_targetILNS1_3genE3ELNS1_11target_archE908ELNS1_3gpuE7ELNS1_3repE0EEENS1_30default_config_static_selectorELNS0_4arch9wavefront6targetE1EEEvT1_.has_indirect_call, 0
	.section	.AMDGPU.csdata,"",@progbits
; Kernel info:
; codeLenInByte = 0
; TotalNumSgprs: 4
; NumVgprs: 0
; ScratchSize: 0
; MemoryBound: 0
; FloatMode: 240
; IeeeMode: 1
; LDSByteSize: 0 bytes/workgroup (compile time only)
; SGPRBlocks: 0
; VGPRBlocks: 0
; NumSGPRsForWavesPerEU: 4
; NumVGPRsForWavesPerEU: 1
; Occupancy: 10
; WaveLimiterHint : 0
; COMPUTE_PGM_RSRC2:SCRATCH_EN: 0
; COMPUTE_PGM_RSRC2:USER_SGPR: 6
; COMPUTE_PGM_RSRC2:TRAP_HANDLER: 0
; COMPUTE_PGM_RSRC2:TGID_X_EN: 1
; COMPUTE_PGM_RSRC2:TGID_Y_EN: 0
; COMPUTE_PGM_RSRC2:TGID_Z_EN: 0
; COMPUTE_PGM_RSRC2:TIDIG_COMP_CNT: 0
	.section	.text._ZN7rocprim17ROCPRIM_400000_NS6detail17trampoline_kernelINS0_14default_configENS1_25transform_config_selectorIdLb1EEEZNS1_14transform_implILb1ES3_S5_PdS7_NS0_8identityIdEEEE10hipError_tT2_T3_mT4_P12ihipStream_tbEUlT_E_NS1_11comp_targetILNS1_3genE2ELNS1_11target_archE906ELNS1_3gpuE6ELNS1_3repE0EEENS1_30default_config_static_selectorELNS0_4arch9wavefront6targetE1EEEvT1_,"axG",@progbits,_ZN7rocprim17ROCPRIM_400000_NS6detail17trampoline_kernelINS0_14default_configENS1_25transform_config_selectorIdLb1EEEZNS1_14transform_implILb1ES3_S5_PdS7_NS0_8identityIdEEEE10hipError_tT2_T3_mT4_P12ihipStream_tbEUlT_E_NS1_11comp_targetILNS1_3genE2ELNS1_11target_archE906ELNS1_3gpuE6ELNS1_3repE0EEENS1_30default_config_static_selectorELNS0_4arch9wavefront6targetE1EEEvT1_,comdat
	.protected	_ZN7rocprim17ROCPRIM_400000_NS6detail17trampoline_kernelINS0_14default_configENS1_25transform_config_selectorIdLb1EEEZNS1_14transform_implILb1ES3_S5_PdS7_NS0_8identityIdEEEE10hipError_tT2_T3_mT4_P12ihipStream_tbEUlT_E_NS1_11comp_targetILNS1_3genE2ELNS1_11target_archE906ELNS1_3gpuE6ELNS1_3repE0EEENS1_30default_config_static_selectorELNS0_4arch9wavefront6targetE1EEEvT1_ ; -- Begin function _ZN7rocprim17ROCPRIM_400000_NS6detail17trampoline_kernelINS0_14default_configENS1_25transform_config_selectorIdLb1EEEZNS1_14transform_implILb1ES3_S5_PdS7_NS0_8identityIdEEEE10hipError_tT2_T3_mT4_P12ihipStream_tbEUlT_E_NS1_11comp_targetILNS1_3genE2ELNS1_11target_archE906ELNS1_3gpuE6ELNS1_3repE0EEENS1_30default_config_static_selectorELNS0_4arch9wavefront6targetE1EEEvT1_
	.globl	_ZN7rocprim17ROCPRIM_400000_NS6detail17trampoline_kernelINS0_14default_configENS1_25transform_config_selectorIdLb1EEEZNS1_14transform_implILb1ES3_S5_PdS7_NS0_8identityIdEEEE10hipError_tT2_T3_mT4_P12ihipStream_tbEUlT_E_NS1_11comp_targetILNS1_3genE2ELNS1_11target_archE906ELNS1_3gpuE6ELNS1_3repE0EEENS1_30default_config_static_selectorELNS0_4arch9wavefront6targetE1EEEvT1_
	.p2align	8
	.type	_ZN7rocprim17ROCPRIM_400000_NS6detail17trampoline_kernelINS0_14default_configENS1_25transform_config_selectorIdLb1EEEZNS1_14transform_implILb1ES3_S5_PdS7_NS0_8identityIdEEEE10hipError_tT2_T3_mT4_P12ihipStream_tbEUlT_E_NS1_11comp_targetILNS1_3genE2ELNS1_11target_archE906ELNS1_3gpuE6ELNS1_3repE0EEENS1_30default_config_static_selectorELNS0_4arch9wavefront6targetE1EEEvT1_,@function
_ZN7rocprim17ROCPRIM_400000_NS6detail17trampoline_kernelINS0_14default_configENS1_25transform_config_selectorIdLb1EEEZNS1_14transform_implILb1ES3_S5_PdS7_NS0_8identityIdEEEE10hipError_tT2_T3_mT4_P12ihipStream_tbEUlT_E_NS1_11comp_targetILNS1_3genE2ELNS1_11target_archE906ELNS1_3gpuE6ELNS1_3repE0EEENS1_30default_config_static_selectorELNS0_4arch9wavefront6targetE1EEEvT1_: ; @_ZN7rocprim17ROCPRIM_400000_NS6detail17trampoline_kernelINS0_14default_configENS1_25transform_config_selectorIdLb1EEEZNS1_14transform_implILb1ES3_S5_PdS7_NS0_8identityIdEEEE10hipError_tT2_T3_mT4_P12ihipStream_tbEUlT_E_NS1_11comp_targetILNS1_3genE2ELNS1_11target_archE906ELNS1_3gpuE6ELNS1_3repE0EEENS1_30default_config_static_selectorELNS0_4arch9wavefront6targetE1EEEvT1_
; %bb.0:
	s_load_dword s1, s[4:5], 0x28
	s_load_dword s7, s[4:5], 0x10
	s_lshl_b32 s0, s6, 10
	s_waitcnt lgkmcnt(0)
	s_add_i32 s1, s1, -1
	s_cmp_lg_u32 s6, s1
	s_cselect_b64 s[2:3], -1, 0
	s_sub_i32 s1, s7, s0
	v_cmp_gt_u32_e32 vcc, s1, v0
	s_or_b64 s[2:3], vcc, s[2:3]
	s_and_saveexec_b64 s[6:7], s[2:3]
	s_cbranch_execz .LBB15_2
; %bb.1:
	s_load_dwordx4 s[8:11], s[4:5], 0x0
	s_load_dwordx2 s[2:3], s[4:5], 0x18
	s_mov_b32 s1, 0
	v_lshlrev_b32_e32 v2, 3, v0
	s_waitcnt lgkmcnt(0)
	s_lshl_b64 s[4:5], s[10:11], 3
	s_add_u32 s6, s8, s4
	s_addc_u32 s7, s9, s5
	s_lshl_b64 s[0:1], s[0:1], 3
	s_add_u32 s6, s6, s0
	s_addc_u32 s7, s7, s1
	global_load_dwordx2 v[0:1], v2, s[6:7]
	s_add_u32 s2, s2, s4
	s_addc_u32 s3, s3, s5
	s_add_u32 s0, s2, s0
	s_addc_u32 s1, s3, s1
	s_waitcnt vmcnt(0)
	global_store_dwordx2 v2, v[0:1], s[0:1]
.LBB15_2:
	s_endpgm
	.section	.rodata,"a",@progbits
	.p2align	6, 0x0
	.amdhsa_kernel _ZN7rocprim17ROCPRIM_400000_NS6detail17trampoline_kernelINS0_14default_configENS1_25transform_config_selectorIdLb1EEEZNS1_14transform_implILb1ES3_S5_PdS7_NS0_8identityIdEEEE10hipError_tT2_T3_mT4_P12ihipStream_tbEUlT_E_NS1_11comp_targetILNS1_3genE2ELNS1_11target_archE906ELNS1_3gpuE6ELNS1_3repE0EEENS1_30default_config_static_selectorELNS0_4arch9wavefront6targetE1EEEvT1_
		.amdhsa_group_segment_fixed_size 0
		.amdhsa_private_segment_fixed_size 0
		.amdhsa_kernarg_size 296
		.amdhsa_user_sgpr_count 6
		.amdhsa_user_sgpr_private_segment_buffer 1
		.amdhsa_user_sgpr_dispatch_ptr 0
		.amdhsa_user_sgpr_queue_ptr 0
		.amdhsa_user_sgpr_kernarg_segment_ptr 1
		.amdhsa_user_sgpr_dispatch_id 0
		.amdhsa_user_sgpr_flat_scratch_init 0
		.amdhsa_user_sgpr_private_segment_size 0
		.amdhsa_uses_dynamic_stack 0
		.amdhsa_system_sgpr_private_segment_wavefront_offset 0
		.amdhsa_system_sgpr_workgroup_id_x 1
		.amdhsa_system_sgpr_workgroup_id_y 0
		.amdhsa_system_sgpr_workgroup_id_z 0
		.amdhsa_system_sgpr_workgroup_info 0
		.amdhsa_system_vgpr_workitem_id 0
		.amdhsa_next_free_vgpr 3
		.amdhsa_next_free_sgpr 12
		.amdhsa_reserve_vcc 1
		.amdhsa_reserve_flat_scratch 0
		.amdhsa_float_round_mode_32 0
		.amdhsa_float_round_mode_16_64 0
		.amdhsa_float_denorm_mode_32 3
		.amdhsa_float_denorm_mode_16_64 3
		.amdhsa_dx10_clamp 1
		.amdhsa_ieee_mode 1
		.amdhsa_fp16_overflow 0
		.amdhsa_exception_fp_ieee_invalid_op 0
		.amdhsa_exception_fp_denorm_src 0
		.amdhsa_exception_fp_ieee_div_zero 0
		.amdhsa_exception_fp_ieee_overflow 0
		.amdhsa_exception_fp_ieee_underflow 0
		.amdhsa_exception_fp_ieee_inexact 0
		.amdhsa_exception_int_div_zero 0
	.end_amdhsa_kernel
	.section	.text._ZN7rocprim17ROCPRIM_400000_NS6detail17trampoline_kernelINS0_14default_configENS1_25transform_config_selectorIdLb1EEEZNS1_14transform_implILb1ES3_S5_PdS7_NS0_8identityIdEEEE10hipError_tT2_T3_mT4_P12ihipStream_tbEUlT_E_NS1_11comp_targetILNS1_3genE2ELNS1_11target_archE906ELNS1_3gpuE6ELNS1_3repE0EEENS1_30default_config_static_selectorELNS0_4arch9wavefront6targetE1EEEvT1_,"axG",@progbits,_ZN7rocprim17ROCPRIM_400000_NS6detail17trampoline_kernelINS0_14default_configENS1_25transform_config_selectorIdLb1EEEZNS1_14transform_implILb1ES3_S5_PdS7_NS0_8identityIdEEEE10hipError_tT2_T3_mT4_P12ihipStream_tbEUlT_E_NS1_11comp_targetILNS1_3genE2ELNS1_11target_archE906ELNS1_3gpuE6ELNS1_3repE0EEENS1_30default_config_static_selectorELNS0_4arch9wavefront6targetE1EEEvT1_,comdat
.Lfunc_end15:
	.size	_ZN7rocprim17ROCPRIM_400000_NS6detail17trampoline_kernelINS0_14default_configENS1_25transform_config_selectorIdLb1EEEZNS1_14transform_implILb1ES3_S5_PdS7_NS0_8identityIdEEEE10hipError_tT2_T3_mT4_P12ihipStream_tbEUlT_E_NS1_11comp_targetILNS1_3genE2ELNS1_11target_archE906ELNS1_3gpuE6ELNS1_3repE0EEENS1_30default_config_static_selectorELNS0_4arch9wavefront6targetE1EEEvT1_, .Lfunc_end15-_ZN7rocprim17ROCPRIM_400000_NS6detail17trampoline_kernelINS0_14default_configENS1_25transform_config_selectorIdLb1EEEZNS1_14transform_implILb1ES3_S5_PdS7_NS0_8identityIdEEEE10hipError_tT2_T3_mT4_P12ihipStream_tbEUlT_E_NS1_11comp_targetILNS1_3genE2ELNS1_11target_archE906ELNS1_3gpuE6ELNS1_3repE0EEENS1_30default_config_static_selectorELNS0_4arch9wavefront6targetE1EEEvT1_
                                        ; -- End function
	.set _ZN7rocprim17ROCPRIM_400000_NS6detail17trampoline_kernelINS0_14default_configENS1_25transform_config_selectorIdLb1EEEZNS1_14transform_implILb1ES3_S5_PdS7_NS0_8identityIdEEEE10hipError_tT2_T3_mT4_P12ihipStream_tbEUlT_E_NS1_11comp_targetILNS1_3genE2ELNS1_11target_archE906ELNS1_3gpuE6ELNS1_3repE0EEENS1_30default_config_static_selectorELNS0_4arch9wavefront6targetE1EEEvT1_.num_vgpr, 3
	.set _ZN7rocprim17ROCPRIM_400000_NS6detail17trampoline_kernelINS0_14default_configENS1_25transform_config_selectorIdLb1EEEZNS1_14transform_implILb1ES3_S5_PdS7_NS0_8identityIdEEEE10hipError_tT2_T3_mT4_P12ihipStream_tbEUlT_E_NS1_11comp_targetILNS1_3genE2ELNS1_11target_archE906ELNS1_3gpuE6ELNS1_3repE0EEENS1_30default_config_static_selectorELNS0_4arch9wavefront6targetE1EEEvT1_.num_agpr, 0
	.set _ZN7rocprim17ROCPRIM_400000_NS6detail17trampoline_kernelINS0_14default_configENS1_25transform_config_selectorIdLb1EEEZNS1_14transform_implILb1ES3_S5_PdS7_NS0_8identityIdEEEE10hipError_tT2_T3_mT4_P12ihipStream_tbEUlT_E_NS1_11comp_targetILNS1_3genE2ELNS1_11target_archE906ELNS1_3gpuE6ELNS1_3repE0EEENS1_30default_config_static_selectorELNS0_4arch9wavefront6targetE1EEEvT1_.numbered_sgpr, 12
	.set _ZN7rocprim17ROCPRIM_400000_NS6detail17trampoline_kernelINS0_14default_configENS1_25transform_config_selectorIdLb1EEEZNS1_14transform_implILb1ES3_S5_PdS7_NS0_8identityIdEEEE10hipError_tT2_T3_mT4_P12ihipStream_tbEUlT_E_NS1_11comp_targetILNS1_3genE2ELNS1_11target_archE906ELNS1_3gpuE6ELNS1_3repE0EEENS1_30default_config_static_selectorELNS0_4arch9wavefront6targetE1EEEvT1_.num_named_barrier, 0
	.set _ZN7rocprim17ROCPRIM_400000_NS6detail17trampoline_kernelINS0_14default_configENS1_25transform_config_selectorIdLb1EEEZNS1_14transform_implILb1ES3_S5_PdS7_NS0_8identityIdEEEE10hipError_tT2_T3_mT4_P12ihipStream_tbEUlT_E_NS1_11comp_targetILNS1_3genE2ELNS1_11target_archE906ELNS1_3gpuE6ELNS1_3repE0EEENS1_30default_config_static_selectorELNS0_4arch9wavefront6targetE1EEEvT1_.private_seg_size, 0
	.set _ZN7rocprim17ROCPRIM_400000_NS6detail17trampoline_kernelINS0_14default_configENS1_25transform_config_selectorIdLb1EEEZNS1_14transform_implILb1ES3_S5_PdS7_NS0_8identityIdEEEE10hipError_tT2_T3_mT4_P12ihipStream_tbEUlT_E_NS1_11comp_targetILNS1_3genE2ELNS1_11target_archE906ELNS1_3gpuE6ELNS1_3repE0EEENS1_30default_config_static_selectorELNS0_4arch9wavefront6targetE1EEEvT1_.uses_vcc, 1
	.set _ZN7rocprim17ROCPRIM_400000_NS6detail17trampoline_kernelINS0_14default_configENS1_25transform_config_selectorIdLb1EEEZNS1_14transform_implILb1ES3_S5_PdS7_NS0_8identityIdEEEE10hipError_tT2_T3_mT4_P12ihipStream_tbEUlT_E_NS1_11comp_targetILNS1_3genE2ELNS1_11target_archE906ELNS1_3gpuE6ELNS1_3repE0EEENS1_30default_config_static_selectorELNS0_4arch9wavefront6targetE1EEEvT1_.uses_flat_scratch, 0
	.set _ZN7rocprim17ROCPRIM_400000_NS6detail17trampoline_kernelINS0_14default_configENS1_25transform_config_selectorIdLb1EEEZNS1_14transform_implILb1ES3_S5_PdS7_NS0_8identityIdEEEE10hipError_tT2_T3_mT4_P12ihipStream_tbEUlT_E_NS1_11comp_targetILNS1_3genE2ELNS1_11target_archE906ELNS1_3gpuE6ELNS1_3repE0EEENS1_30default_config_static_selectorELNS0_4arch9wavefront6targetE1EEEvT1_.has_dyn_sized_stack, 0
	.set _ZN7rocprim17ROCPRIM_400000_NS6detail17trampoline_kernelINS0_14default_configENS1_25transform_config_selectorIdLb1EEEZNS1_14transform_implILb1ES3_S5_PdS7_NS0_8identityIdEEEE10hipError_tT2_T3_mT4_P12ihipStream_tbEUlT_E_NS1_11comp_targetILNS1_3genE2ELNS1_11target_archE906ELNS1_3gpuE6ELNS1_3repE0EEENS1_30default_config_static_selectorELNS0_4arch9wavefront6targetE1EEEvT1_.has_recursion, 0
	.set _ZN7rocprim17ROCPRIM_400000_NS6detail17trampoline_kernelINS0_14default_configENS1_25transform_config_selectorIdLb1EEEZNS1_14transform_implILb1ES3_S5_PdS7_NS0_8identityIdEEEE10hipError_tT2_T3_mT4_P12ihipStream_tbEUlT_E_NS1_11comp_targetILNS1_3genE2ELNS1_11target_archE906ELNS1_3gpuE6ELNS1_3repE0EEENS1_30default_config_static_selectorELNS0_4arch9wavefront6targetE1EEEvT1_.has_indirect_call, 0
	.section	.AMDGPU.csdata,"",@progbits
; Kernel info:
; codeLenInByte = 148
; TotalNumSgprs: 16
; NumVgprs: 3
; ScratchSize: 0
; MemoryBound: 0
; FloatMode: 240
; IeeeMode: 1
; LDSByteSize: 0 bytes/workgroup (compile time only)
; SGPRBlocks: 1
; VGPRBlocks: 0
; NumSGPRsForWavesPerEU: 16
; NumVGPRsForWavesPerEU: 3
; Occupancy: 10
; WaveLimiterHint : 0
; COMPUTE_PGM_RSRC2:SCRATCH_EN: 0
; COMPUTE_PGM_RSRC2:USER_SGPR: 6
; COMPUTE_PGM_RSRC2:TRAP_HANDLER: 0
; COMPUTE_PGM_RSRC2:TGID_X_EN: 1
; COMPUTE_PGM_RSRC2:TGID_Y_EN: 0
; COMPUTE_PGM_RSRC2:TGID_Z_EN: 0
; COMPUTE_PGM_RSRC2:TIDIG_COMP_CNT: 0
	.section	.text._ZN7rocprim17ROCPRIM_400000_NS6detail17trampoline_kernelINS0_14default_configENS1_25transform_config_selectorIdLb1EEEZNS1_14transform_implILb1ES3_S5_PdS7_NS0_8identityIdEEEE10hipError_tT2_T3_mT4_P12ihipStream_tbEUlT_E_NS1_11comp_targetILNS1_3genE9ELNS1_11target_archE1100ELNS1_3gpuE3ELNS1_3repE0EEENS1_30default_config_static_selectorELNS0_4arch9wavefront6targetE1EEEvT1_,"axG",@progbits,_ZN7rocprim17ROCPRIM_400000_NS6detail17trampoline_kernelINS0_14default_configENS1_25transform_config_selectorIdLb1EEEZNS1_14transform_implILb1ES3_S5_PdS7_NS0_8identityIdEEEE10hipError_tT2_T3_mT4_P12ihipStream_tbEUlT_E_NS1_11comp_targetILNS1_3genE9ELNS1_11target_archE1100ELNS1_3gpuE3ELNS1_3repE0EEENS1_30default_config_static_selectorELNS0_4arch9wavefront6targetE1EEEvT1_,comdat
	.protected	_ZN7rocprim17ROCPRIM_400000_NS6detail17trampoline_kernelINS0_14default_configENS1_25transform_config_selectorIdLb1EEEZNS1_14transform_implILb1ES3_S5_PdS7_NS0_8identityIdEEEE10hipError_tT2_T3_mT4_P12ihipStream_tbEUlT_E_NS1_11comp_targetILNS1_3genE9ELNS1_11target_archE1100ELNS1_3gpuE3ELNS1_3repE0EEENS1_30default_config_static_selectorELNS0_4arch9wavefront6targetE1EEEvT1_ ; -- Begin function _ZN7rocprim17ROCPRIM_400000_NS6detail17trampoline_kernelINS0_14default_configENS1_25transform_config_selectorIdLb1EEEZNS1_14transform_implILb1ES3_S5_PdS7_NS0_8identityIdEEEE10hipError_tT2_T3_mT4_P12ihipStream_tbEUlT_E_NS1_11comp_targetILNS1_3genE9ELNS1_11target_archE1100ELNS1_3gpuE3ELNS1_3repE0EEENS1_30default_config_static_selectorELNS0_4arch9wavefront6targetE1EEEvT1_
	.globl	_ZN7rocprim17ROCPRIM_400000_NS6detail17trampoline_kernelINS0_14default_configENS1_25transform_config_selectorIdLb1EEEZNS1_14transform_implILb1ES3_S5_PdS7_NS0_8identityIdEEEE10hipError_tT2_T3_mT4_P12ihipStream_tbEUlT_E_NS1_11comp_targetILNS1_3genE9ELNS1_11target_archE1100ELNS1_3gpuE3ELNS1_3repE0EEENS1_30default_config_static_selectorELNS0_4arch9wavefront6targetE1EEEvT1_
	.p2align	8
	.type	_ZN7rocprim17ROCPRIM_400000_NS6detail17trampoline_kernelINS0_14default_configENS1_25transform_config_selectorIdLb1EEEZNS1_14transform_implILb1ES3_S5_PdS7_NS0_8identityIdEEEE10hipError_tT2_T3_mT4_P12ihipStream_tbEUlT_E_NS1_11comp_targetILNS1_3genE9ELNS1_11target_archE1100ELNS1_3gpuE3ELNS1_3repE0EEENS1_30default_config_static_selectorELNS0_4arch9wavefront6targetE1EEEvT1_,@function
_ZN7rocprim17ROCPRIM_400000_NS6detail17trampoline_kernelINS0_14default_configENS1_25transform_config_selectorIdLb1EEEZNS1_14transform_implILb1ES3_S5_PdS7_NS0_8identityIdEEEE10hipError_tT2_T3_mT4_P12ihipStream_tbEUlT_E_NS1_11comp_targetILNS1_3genE9ELNS1_11target_archE1100ELNS1_3gpuE3ELNS1_3repE0EEENS1_30default_config_static_selectorELNS0_4arch9wavefront6targetE1EEEvT1_: ; @_ZN7rocprim17ROCPRIM_400000_NS6detail17trampoline_kernelINS0_14default_configENS1_25transform_config_selectorIdLb1EEEZNS1_14transform_implILb1ES3_S5_PdS7_NS0_8identityIdEEEE10hipError_tT2_T3_mT4_P12ihipStream_tbEUlT_E_NS1_11comp_targetILNS1_3genE9ELNS1_11target_archE1100ELNS1_3gpuE3ELNS1_3repE0EEENS1_30default_config_static_selectorELNS0_4arch9wavefront6targetE1EEEvT1_
; %bb.0:
	.section	.rodata,"a",@progbits
	.p2align	6, 0x0
	.amdhsa_kernel _ZN7rocprim17ROCPRIM_400000_NS6detail17trampoline_kernelINS0_14default_configENS1_25transform_config_selectorIdLb1EEEZNS1_14transform_implILb1ES3_S5_PdS7_NS0_8identityIdEEEE10hipError_tT2_T3_mT4_P12ihipStream_tbEUlT_E_NS1_11comp_targetILNS1_3genE9ELNS1_11target_archE1100ELNS1_3gpuE3ELNS1_3repE0EEENS1_30default_config_static_selectorELNS0_4arch9wavefront6targetE1EEEvT1_
		.amdhsa_group_segment_fixed_size 0
		.amdhsa_private_segment_fixed_size 0
		.amdhsa_kernarg_size 40
		.amdhsa_user_sgpr_count 6
		.amdhsa_user_sgpr_private_segment_buffer 1
		.amdhsa_user_sgpr_dispatch_ptr 0
		.amdhsa_user_sgpr_queue_ptr 0
		.amdhsa_user_sgpr_kernarg_segment_ptr 1
		.amdhsa_user_sgpr_dispatch_id 0
		.amdhsa_user_sgpr_flat_scratch_init 0
		.amdhsa_user_sgpr_private_segment_size 0
		.amdhsa_uses_dynamic_stack 0
		.amdhsa_system_sgpr_private_segment_wavefront_offset 0
		.amdhsa_system_sgpr_workgroup_id_x 1
		.amdhsa_system_sgpr_workgroup_id_y 0
		.amdhsa_system_sgpr_workgroup_id_z 0
		.amdhsa_system_sgpr_workgroup_info 0
		.amdhsa_system_vgpr_workitem_id 0
		.amdhsa_next_free_vgpr 1
		.amdhsa_next_free_sgpr 0
		.amdhsa_reserve_vcc 0
		.amdhsa_reserve_flat_scratch 0
		.amdhsa_float_round_mode_32 0
		.amdhsa_float_round_mode_16_64 0
		.amdhsa_float_denorm_mode_32 3
		.amdhsa_float_denorm_mode_16_64 3
		.amdhsa_dx10_clamp 1
		.amdhsa_ieee_mode 1
		.amdhsa_fp16_overflow 0
		.amdhsa_exception_fp_ieee_invalid_op 0
		.amdhsa_exception_fp_denorm_src 0
		.amdhsa_exception_fp_ieee_div_zero 0
		.amdhsa_exception_fp_ieee_overflow 0
		.amdhsa_exception_fp_ieee_underflow 0
		.amdhsa_exception_fp_ieee_inexact 0
		.amdhsa_exception_int_div_zero 0
	.end_amdhsa_kernel
	.section	.text._ZN7rocprim17ROCPRIM_400000_NS6detail17trampoline_kernelINS0_14default_configENS1_25transform_config_selectorIdLb1EEEZNS1_14transform_implILb1ES3_S5_PdS7_NS0_8identityIdEEEE10hipError_tT2_T3_mT4_P12ihipStream_tbEUlT_E_NS1_11comp_targetILNS1_3genE9ELNS1_11target_archE1100ELNS1_3gpuE3ELNS1_3repE0EEENS1_30default_config_static_selectorELNS0_4arch9wavefront6targetE1EEEvT1_,"axG",@progbits,_ZN7rocprim17ROCPRIM_400000_NS6detail17trampoline_kernelINS0_14default_configENS1_25transform_config_selectorIdLb1EEEZNS1_14transform_implILb1ES3_S5_PdS7_NS0_8identityIdEEEE10hipError_tT2_T3_mT4_P12ihipStream_tbEUlT_E_NS1_11comp_targetILNS1_3genE9ELNS1_11target_archE1100ELNS1_3gpuE3ELNS1_3repE0EEENS1_30default_config_static_selectorELNS0_4arch9wavefront6targetE1EEEvT1_,comdat
.Lfunc_end16:
	.size	_ZN7rocprim17ROCPRIM_400000_NS6detail17trampoline_kernelINS0_14default_configENS1_25transform_config_selectorIdLb1EEEZNS1_14transform_implILb1ES3_S5_PdS7_NS0_8identityIdEEEE10hipError_tT2_T3_mT4_P12ihipStream_tbEUlT_E_NS1_11comp_targetILNS1_3genE9ELNS1_11target_archE1100ELNS1_3gpuE3ELNS1_3repE0EEENS1_30default_config_static_selectorELNS0_4arch9wavefront6targetE1EEEvT1_, .Lfunc_end16-_ZN7rocprim17ROCPRIM_400000_NS6detail17trampoline_kernelINS0_14default_configENS1_25transform_config_selectorIdLb1EEEZNS1_14transform_implILb1ES3_S5_PdS7_NS0_8identityIdEEEE10hipError_tT2_T3_mT4_P12ihipStream_tbEUlT_E_NS1_11comp_targetILNS1_3genE9ELNS1_11target_archE1100ELNS1_3gpuE3ELNS1_3repE0EEENS1_30default_config_static_selectorELNS0_4arch9wavefront6targetE1EEEvT1_
                                        ; -- End function
	.set _ZN7rocprim17ROCPRIM_400000_NS6detail17trampoline_kernelINS0_14default_configENS1_25transform_config_selectorIdLb1EEEZNS1_14transform_implILb1ES3_S5_PdS7_NS0_8identityIdEEEE10hipError_tT2_T3_mT4_P12ihipStream_tbEUlT_E_NS1_11comp_targetILNS1_3genE9ELNS1_11target_archE1100ELNS1_3gpuE3ELNS1_3repE0EEENS1_30default_config_static_selectorELNS0_4arch9wavefront6targetE1EEEvT1_.num_vgpr, 0
	.set _ZN7rocprim17ROCPRIM_400000_NS6detail17trampoline_kernelINS0_14default_configENS1_25transform_config_selectorIdLb1EEEZNS1_14transform_implILb1ES3_S5_PdS7_NS0_8identityIdEEEE10hipError_tT2_T3_mT4_P12ihipStream_tbEUlT_E_NS1_11comp_targetILNS1_3genE9ELNS1_11target_archE1100ELNS1_3gpuE3ELNS1_3repE0EEENS1_30default_config_static_selectorELNS0_4arch9wavefront6targetE1EEEvT1_.num_agpr, 0
	.set _ZN7rocprim17ROCPRIM_400000_NS6detail17trampoline_kernelINS0_14default_configENS1_25transform_config_selectorIdLb1EEEZNS1_14transform_implILb1ES3_S5_PdS7_NS0_8identityIdEEEE10hipError_tT2_T3_mT4_P12ihipStream_tbEUlT_E_NS1_11comp_targetILNS1_3genE9ELNS1_11target_archE1100ELNS1_3gpuE3ELNS1_3repE0EEENS1_30default_config_static_selectorELNS0_4arch9wavefront6targetE1EEEvT1_.numbered_sgpr, 0
	.set _ZN7rocprim17ROCPRIM_400000_NS6detail17trampoline_kernelINS0_14default_configENS1_25transform_config_selectorIdLb1EEEZNS1_14transform_implILb1ES3_S5_PdS7_NS0_8identityIdEEEE10hipError_tT2_T3_mT4_P12ihipStream_tbEUlT_E_NS1_11comp_targetILNS1_3genE9ELNS1_11target_archE1100ELNS1_3gpuE3ELNS1_3repE0EEENS1_30default_config_static_selectorELNS0_4arch9wavefront6targetE1EEEvT1_.num_named_barrier, 0
	.set _ZN7rocprim17ROCPRIM_400000_NS6detail17trampoline_kernelINS0_14default_configENS1_25transform_config_selectorIdLb1EEEZNS1_14transform_implILb1ES3_S5_PdS7_NS0_8identityIdEEEE10hipError_tT2_T3_mT4_P12ihipStream_tbEUlT_E_NS1_11comp_targetILNS1_3genE9ELNS1_11target_archE1100ELNS1_3gpuE3ELNS1_3repE0EEENS1_30default_config_static_selectorELNS0_4arch9wavefront6targetE1EEEvT1_.private_seg_size, 0
	.set _ZN7rocprim17ROCPRIM_400000_NS6detail17trampoline_kernelINS0_14default_configENS1_25transform_config_selectorIdLb1EEEZNS1_14transform_implILb1ES3_S5_PdS7_NS0_8identityIdEEEE10hipError_tT2_T3_mT4_P12ihipStream_tbEUlT_E_NS1_11comp_targetILNS1_3genE9ELNS1_11target_archE1100ELNS1_3gpuE3ELNS1_3repE0EEENS1_30default_config_static_selectorELNS0_4arch9wavefront6targetE1EEEvT1_.uses_vcc, 0
	.set _ZN7rocprim17ROCPRIM_400000_NS6detail17trampoline_kernelINS0_14default_configENS1_25transform_config_selectorIdLb1EEEZNS1_14transform_implILb1ES3_S5_PdS7_NS0_8identityIdEEEE10hipError_tT2_T3_mT4_P12ihipStream_tbEUlT_E_NS1_11comp_targetILNS1_3genE9ELNS1_11target_archE1100ELNS1_3gpuE3ELNS1_3repE0EEENS1_30default_config_static_selectorELNS0_4arch9wavefront6targetE1EEEvT1_.uses_flat_scratch, 0
	.set _ZN7rocprim17ROCPRIM_400000_NS6detail17trampoline_kernelINS0_14default_configENS1_25transform_config_selectorIdLb1EEEZNS1_14transform_implILb1ES3_S5_PdS7_NS0_8identityIdEEEE10hipError_tT2_T3_mT4_P12ihipStream_tbEUlT_E_NS1_11comp_targetILNS1_3genE9ELNS1_11target_archE1100ELNS1_3gpuE3ELNS1_3repE0EEENS1_30default_config_static_selectorELNS0_4arch9wavefront6targetE1EEEvT1_.has_dyn_sized_stack, 0
	.set _ZN7rocprim17ROCPRIM_400000_NS6detail17trampoline_kernelINS0_14default_configENS1_25transform_config_selectorIdLb1EEEZNS1_14transform_implILb1ES3_S5_PdS7_NS0_8identityIdEEEE10hipError_tT2_T3_mT4_P12ihipStream_tbEUlT_E_NS1_11comp_targetILNS1_3genE9ELNS1_11target_archE1100ELNS1_3gpuE3ELNS1_3repE0EEENS1_30default_config_static_selectorELNS0_4arch9wavefront6targetE1EEEvT1_.has_recursion, 0
	.set _ZN7rocprim17ROCPRIM_400000_NS6detail17trampoline_kernelINS0_14default_configENS1_25transform_config_selectorIdLb1EEEZNS1_14transform_implILb1ES3_S5_PdS7_NS0_8identityIdEEEE10hipError_tT2_T3_mT4_P12ihipStream_tbEUlT_E_NS1_11comp_targetILNS1_3genE9ELNS1_11target_archE1100ELNS1_3gpuE3ELNS1_3repE0EEENS1_30default_config_static_selectorELNS0_4arch9wavefront6targetE1EEEvT1_.has_indirect_call, 0
	.section	.AMDGPU.csdata,"",@progbits
; Kernel info:
; codeLenInByte = 0
; TotalNumSgprs: 4
; NumVgprs: 0
; ScratchSize: 0
; MemoryBound: 0
; FloatMode: 240
; IeeeMode: 1
; LDSByteSize: 0 bytes/workgroup (compile time only)
; SGPRBlocks: 0
; VGPRBlocks: 0
; NumSGPRsForWavesPerEU: 4
; NumVGPRsForWavesPerEU: 1
; Occupancy: 10
; WaveLimiterHint : 0
; COMPUTE_PGM_RSRC2:SCRATCH_EN: 0
; COMPUTE_PGM_RSRC2:USER_SGPR: 6
; COMPUTE_PGM_RSRC2:TRAP_HANDLER: 0
; COMPUTE_PGM_RSRC2:TGID_X_EN: 1
; COMPUTE_PGM_RSRC2:TGID_Y_EN: 0
; COMPUTE_PGM_RSRC2:TGID_Z_EN: 0
; COMPUTE_PGM_RSRC2:TIDIG_COMP_CNT: 0
	.section	.text._ZN7rocprim17ROCPRIM_400000_NS6detail17trampoline_kernelINS0_14default_configENS1_25transform_config_selectorIdLb1EEEZNS1_14transform_implILb1ES3_S5_PdS7_NS0_8identityIdEEEE10hipError_tT2_T3_mT4_P12ihipStream_tbEUlT_E_NS1_11comp_targetILNS1_3genE8ELNS1_11target_archE1030ELNS1_3gpuE2ELNS1_3repE0EEENS1_30default_config_static_selectorELNS0_4arch9wavefront6targetE1EEEvT1_,"axG",@progbits,_ZN7rocprim17ROCPRIM_400000_NS6detail17trampoline_kernelINS0_14default_configENS1_25transform_config_selectorIdLb1EEEZNS1_14transform_implILb1ES3_S5_PdS7_NS0_8identityIdEEEE10hipError_tT2_T3_mT4_P12ihipStream_tbEUlT_E_NS1_11comp_targetILNS1_3genE8ELNS1_11target_archE1030ELNS1_3gpuE2ELNS1_3repE0EEENS1_30default_config_static_selectorELNS0_4arch9wavefront6targetE1EEEvT1_,comdat
	.protected	_ZN7rocprim17ROCPRIM_400000_NS6detail17trampoline_kernelINS0_14default_configENS1_25transform_config_selectorIdLb1EEEZNS1_14transform_implILb1ES3_S5_PdS7_NS0_8identityIdEEEE10hipError_tT2_T3_mT4_P12ihipStream_tbEUlT_E_NS1_11comp_targetILNS1_3genE8ELNS1_11target_archE1030ELNS1_3gpuE2ELNS1_3repE0EEENS1_30default_config_static_selectorELNS0_4arch9wavefront6targetE1EEEvT1_ ; -- Begin function _ZN7rocprim17ROCPRIM_400000_NS6detail17trampoline_kernelINS0_14default_configENS1_25transform_config_selectorIdLb1EEEZNS1_14transform_implILb1ES3_S5_PdS7_NS0_8identityIdEEEE10hipError_tT2_T3_mT4_P12ihipStream_tbEUlT_E_NS1_11comp_targetILNS1_3genE8ELNS1_11target_archE1030ELNS1_3gpuE2ELNS1_3repE0EEENS1_30default_config_static_selectorELNS0_4arch9wavefront6targetE1EEEvT1_
	.globl	_ZN7rocprim17ROCPRIM_400000_NS6detail17trampoline_kernelINS0_14default_configENS1_25transform_config_selectorIdLb1EEEZNS1_14transform_implILb1ES3_S5_PdS7_NS0_8identityIdEEEE10hipError_tT2_T3_mT4_P12ihipStream_tbEUlT_E_NS1_11comp_targetILNS1_3genE8ELNS1_11target_archE1030ELNS1_3gpuE2ELNS1_3repE0EEENS1_30default_config_static_selectorELNS0_4arch9wavefront6targetE1EEEvT1_
	.p2align	8
	.type	_ZN7rocprim17ROCPRIM_400000_NS6detail17trampoline_kernelINS0_14default_configENS1_25transform_config_selectorIdLb1EEEZNS1_14transform_implILb1ES3_S5_PdS7_NS0_8identityIdEEEE10hipError_tT2_T3_mT4_P12ihipStream_tbEUlT_E_NS1_11comp_targetILNS1_3genE8ELNS1_11target_archE1030ELNS1_3gpuE2ELNS1_3repE0EEENS1_30default_config_static_selectorELNS0_4arch9wavefront6targetE1EEEvT1_,@function
_ZN7rocprim17ROCPRIM_400000_NS6detail17trampoline_kernelINS0_14default_configENS1_25transform_config_selectorIdLb1EEEZNS1_14transform_implILb1ES3_S5_PdS7_NS0_8identityIdEEEE10hipError_tT2_T3_mT4_P12ihipStream_tbEUlT_E_NS1_11comp_targetILNS1_3genE8ELNS1_11target_archE1030ELNS1_3gpuE2ELNS1_3repE0EEENS1_30default_config_static_selectorELNS0_4arch9wavefront6targetE1EEEvT1_: ; @_ZN7rocprim17ROCPRIM_400000_NS6detail17trampoline_kernelINS0_14default_configENS1_25transform_config_selectorIdLb1EEEZNS1_14transform_implILb1ES3_S5_PdS7_NS0_8identityIdEEEE10hipError_tT2_T3_mT4_P12ihipStream_tbEUlT_E_NS1_11comp_targetILNS1_3genE8ELNS1_11target_archE1030ELNS1_3gpuE2ELNS1_3repE0EEENS1_30default_config_static_selectorELNS0_4arch9wavefront6targetE1EEEvT1_
; %bb.0:
	.section	.rodata,"a",@progbits
	.p2align	6, 0x0
	.amdhsa_kernel _ZN7rocprim17ROCPRIM_400000_NS6detail17trampoline_kernelINS0_14default_configENS1_25transform_config_selectorIdLb1EEEZNS1_14transform_implILb1ES3_S5_PdS7_NS0_8identityIdEEEE10hipError_tT2_T3_mT4_P12ihipStream_tbEUlT_E_NS1_11comp_targetILNS1_3genE8ELNS1_11target_archE1030ELNS1_3gpuE2ELNS1_3repE0EEENS1_30default_config_static_selectorELNS0_4arch9wavefront6targetE1EEEvT1_
		.amdhsa_group_segment_fixed_size 0
		.amdhsa_private_segment_fixed_size 0
		.amdhsa_kernarg_size 40
		.amdhsa_user_sgpr_count 6
		.amdhsa_user_sgpr_private_segment_buffer 1
		.amdhsa_user_sgpr_dispatch_ptr 0
		.amdhsa_user_sgpr_queue_ptr 0
		.amdhsa_user_sgpr_kernarg_segment_ptr 1
		.amdhsa_user_sgpr_dispatch_id 0
		.amdhsa_user_sgpr_flat_scratch_init 0
		.amdhsa_user_sgpr_private_segment_size 0
		.amdhsa_uses_dynamic_stack 0
		.amdhsa_system_sgpr_private_segment_wavefront_offset 0
		.amdhsa_system_sgpr_workgroup_id_x 1
		.amdhsa_system_sgpr_workgroup_id_y 0
		.amdhsa_system_sgpr_workgroup_id_z 0
		.amdhsa_system_sgpr_workgroup_info 0
		.amdhsa_system_vgpr_workitem_id 0
		.amdhsa_next_free_vgpr 1
		.amdhsa_next_free_sgpr 0
		.amdhsa_reserve_vcc 0
		.amdhsa_reserve_flat_scratch 0
		.amdhsa_float_round_mode_32 0
		.amdhsa_float_round_mode_16_64 0
		.amdhsa_float_denorm_mode_32 3
		.amdhsa_float_denorm_mode_16_64 3
		.amdhsa_dx10_clamp 1
		.amdhsa_ieee_mode 1
		.amdhsa_fp16_overflow 0
		.amdhsa_exception_fp_ieee_invalid_op 0
		.amdhsa_exception_fp_denorm_src 0
		.amdhsa_exception_fp_ieee_div_zero 0
		.amdhsa_exception_fp_ieee_overflow 0
		.amdhsa_exception_fp_ieee_underflow 0
		.amdhsa_exception_fp_ieee_inexact 0
		.amdhsa_exception_int_div_zero 0
	.end_amdhsa_kernel
	.section	.text._ZN7rocprim17ROCPRIM_400000_NS6detail17trampoline_kernelINS0_14default_configENS1_25transform_config_selectorIdLb1EEEZNS1_14transform_implILb1ES3_S5_PdS7_NS0_8identityIdEEEE10hipError_tT2_T3_mT4_P12ihipStream_tbEUlT_E_NS1_11comp_targetILNS1_3genE8ELNS1_11target_archE1030ELNS1_3gpuE2ELNS1_3repE0EEENS1_30default_config_static_selectorELNS0_4arch9wavefront6targetE1EEEvT1_,"axG",@progbits,_ZN7rocprim17ROCPRIM_400000_NS6detail17trampoline_kernelINS0_14default_configENS1_25transform_config_selectorIdLb1EEEZNS1_14transform_implILb1ES3_S5_PdS7_NS0_8identityIdEEEE10hipError_tT2_T3_mT4_P12ihipStream_tbEUlT_E_NS1_11comp_targetILNS1_3genE8ELNS1_11target_archE1030ELNS1_3gpuE2ELNS1_3repE0EEENS1_30default_config_static_selectorELNS0_4arch9wavefront6targetE1EEEvT1_,comdat
.Lfunc_end17:
	.size	_ZN7rocprim17ROCPRIM_400000_NS6detail17trampoline_kernelINS0_14default_configENS1_25transform_config_selectorIdLb1EEEZNS1_14transform_implILb1ES3_S5_PdS7_NS0_8identityIdEEEE10hipError_tT2_T3_mT4_P12ihipStream_tbEUlT_E_NS1_11comp_targetILNS1_3genE8ELNS1_11target_archE1030ELNS1_3gpuE2ELNS1_3repE0EEENS1_30default_config_static_selectorELNS0_4arch9wavefront6targetE1EEEvT1_, .Lfunc_end17-_ZN7rocprim17ROCPRIM_400000_NS6detail17trampoline_kernelINS0_14default_configENS1_25transform_config_selectorIdLb1EEEZNS1_14transform_implILb1ES3_S5_PdS7_NS0_8identityIdEEEE10hipError_tT2_T3_mT4_P12ihipStream_tbEUlT_E_NS1_11comp_targetILNS1_3genE8ELNS1_11target_archE1030ELNS1_3gpuE2ELNS1_3repE0EEENS1_30default_config_static_selectorELNS0_4arch9wavefront6targetE1EEEvT1_
                                        ; -- End function
	.set _ZN7rocprim17ROCPRIM_400000_NS6detail17trampoline_kernelINS0_14default_configENS1_25transform_config_selectorIdLb1EEEZNS1_14transform_implILb1ES3_S5_PdS7_NS0_8identityIdEEEE10hipError_tT2_T3_mT4_P12ihipStream_tbEUlT_E_NS1_11comp_targetILNS1_3genE8ELNS1_11target_archE1030ELNS1_3gpuE2ELNS1_3repE0EEENS1_30default_config_static_selectorELNS0_4arch9wavefront6targetE1EEEvT1_.num_vgpr, 0
	.set _ZN7rocprim17ROCPRIM_400000_NS6detail17trampoline_kernelINS0_14default_configENS1_25transform_config_selectorIdLb1EEEZNS1_14transform_implILb1ES3_S5_PdS7_NS0_8identityIdEEEE10hipError_tT2_T3_mT4_P12ihipStream_tbEUlT_E_NS1_11comp_targetILNS1_3genE8ELNS1_11target_archE1030ELNS1_3gpuE2ELNS1_3repE0EEENS1_30default_config_static_selectorELNS0_4arch9wavefront6targetE1EEEvT1_.num_agpr, 0
	.set _ZN7rocprim17ROCPRIM_400000_NS6detail17trampoline_kernelINS0_14default_configENS1_25transform_config_selectorIdLb1EEEZNS1_14transform_implILb1ES3_S5_PdS7_NS0_8identityIdEEEE10hipError_tT2_T3_mT4_P12ihipStream_tbEUlT_E_NS1_11comp_targetILNS1_3genE8ELNS1_11target_archE1030ELNS1_3gpuE2ELNS1_3repE0EEENS1_30default_config_static_selectorELNS0_4arch9wavefront6targetE1EEEvT1_.numbered_sgpr, 0
	.set _ZN7rocprim17ROCPRIM_400000_NS6detail17trampoline_kernelINS0_14default_configENS1_25transform_config_selectorIdLb1EEEZNS1_14transform_implILb1ES3_S5_PdS7_NS0_8identityIdEEEE10hipError_tT2_T3_mT4_P12ihipStream_tbEUlT_E_NS1_11comp_targetILNS1_3genE8ELNS1_11target_archE1030ELNS1_3gpuE2ELNS1_3repE0EEENS1_30default_config_static_selectorELNS0_4arch9wavefront6targetE1EEEvT1_.num_named_barrier, 0
	.set _ZN7rocprim17ROCPRIM_400000_NS6detail17trampoline_kernelINS0_14default_configENS1_25transform_config_selectorIdLb1EEEZNS1_14transform_implILb1ES3_S5_PdS7_NS0_8identityIdEEEE10hipError_tT2_T3_mT4_P12ihipStream_tbEUlT_E_NS1_11comp_targetILNS1_3genE8ELNS1_11target_archE1030ELNS1_3gpuE2ELNS1_3repE0EEENS1_30default_config_static_selectorELNS0_4arch9wavefront6targetE1EEEvT1_.private_seg_size, 0
	.set _ZN7rocprim17ROCPRIM_400000_NS6detail17trampoline_kernelINS0_14default_configENS1_25transform_config_selectorIdLb1EEEZNS1_14transform_implILb1ES3_S5_PdS7_NS0_8identityIdEEEE10hipError_tT2_T3_mT4_P12ihipStream_tbEUlT_E_NS1_11comp_targetILNS1_3genE8ELNS1_11target_archE1030ELNS1_3gpuE2ELNS1_3repE0EEENS1_30default_config_static_selectorELNS0_4arch9wavefront6targetE1EEEvT1_.uses_vcc, 0
	.set _ZN7rocprim17ROCPRIM_400000_NS6detail17trampoline_kernelINS0_14default_configENS1_25transform_config_selectorIdLb1EEEZNS1_14transform_implILb1ES3_S5_PdS7_NS0_8identityIdEEEE10hipError_tT2_T3_mT4_P12ihipStream_tbEUlT_E_NS1_11comp_targetILNS1_3genE8ELNS1_11target_archE1030ELNS1_3gpuE2ELNS1_3repE0EEENS1_30default_config_static_selectorELNS0_4arch9wavefront6targetE1EEEvT1_.uses_flat_scratch, 0
	.set _ZN7rocprim17ROCPRIM_400000_NS6detail17trampoline_kernelINS0_14default_configENS1_25transform_config_selectorIdLb1EEEZNS1_14transform_implILb1ES3_S5_PdS7_NS0_8identityIdEEEE10hipError_tT2_T3_mT4_P12ihipStream_tbEUlT_E_NS1_11comp_targetILNS1_3genE8ELNS1_11target_archE1030ELNS1_3gpuE2ELNS1_3repE0EEENS1_30default_config_static_selectorELNS0_4arch9wavefront6targetE1EEEvT1_.has_dyn_sized_stack, 0
	.set _ZN7rocprim17ROCPRIM_400000_NS6detail17trampoline_kernelINS0_14default_configENS1_25transform_config_selectorIdLb1EEEZNS1_14transform_implILb1ES3_S5_PdS7_NS0_8identityIdEEEE10hipError_tT2_T3_mT4_P12ihipStream_tbEUlT_E_NS1_11comp_targetILNS1_3genE8ELNS1_11target_archE1030ELNS1_3gpuE2ELNS1_3repE0EEENS1_30default_config_static_selectorELNS0_4arch9wavefront6targetE1EEEvT1_.has_recursion, 0
	.set _ZN7rocprim17ROCPRIM_400000_NS6detail17trampoline_kernelINS0_14default_configENS1_25transform_config_selectorIdLb1EEEZNS1_14transform_implILb1ES3_S5_PdS7_NS0_8identityIdEEEE10hipError_tT2_T3_mT4_P12ihipStream_tbEUlT_E_NS1_11comp_targetILNS1_3genE8ELNS1_11target_archE1030ELNS1_3gpuE2ELNS1_3repE0EEENS1_30default_config_static_selectorELNS0_4arch9wavefront6targetE1EEEvT1_.has_indirect_call, 0
	.section	.AMDGPU.csdata,"",@progbits
; Kernel info:
; codeLenInByte = 0
; TotalNumSgprs: 4
; NumVgprs: 0
; ScratchSize: 0
; MemoryBound: 0
; FloatMode: 240
; IeeeMode: 1
; LDSByteSize: 0 bytes/workgroup (compile time only)
; SGPRBlocks: 0
; VGPRBlocks: 0
; NumSGPRsForWavesPerEU: 4
; NumVGPRsForWavesPerEU: 1
; Occupancy: 10
; WaveLimiterHint : 0
; COMPUTE_PGM_RSRC2:SCRATCH_EN: 0
; COMPUTE_PGM_RSRC2:USER_SGPR: 6
; COMPUTE_PGM_RSRC2:TRAP_HANDLER: 0
; COMPUTE_PGM_RSRC2:TGID_X_EN: 1
; COMPUTE_PGM_RSRC2:TGID_Y_EN: 0
; COMPUTE_PGM_RSRC2:TGID_Z_EN: 0
; COMPUTE_PGM_RSRC2:TIDIG_COMP_CNT: 0
	.section	.text._ZN7rocprim17ROCPRIM_400000_NS6detail17trampoline_kernelINS0_14default_configENS1_20scan_config_selectorIdEEZZNS1_9scan_implILNS1_25lookback_scan_determinismE0ELb0ELb0ES3_PKdPddZZZN2at6native31launch_logcumsumexp_cuda_kernelERKNSB_10TensorBaseESF_lENKUlvE_clEvENKUlvE_clEvEUlddE_dEEDaPvRmT3_T4_T5_mT6_P12ihipStream_tbENKUlT_T0_E_clISt17integral_constantIbLb0EESW_EEDaSR_SS_EUlSR_E0_NS1_11comp_targetILNS1_3genE0ELNS1_11target_archE4294967295ELNS1_3gpuE0ELNS1_3repE0EEENS1_30default_config_static_selectorELNS0_4arch9wavefront6targetE1EEEvT1_,"axG",@progbits,_ZN7rocprim17ROCPRIM_400000_NS6detail17trampoline_kernelINS0_14default_configENS1_20scan_config_selectorIdEEZZNS1_9scan_implILNS1_25lookback_scan_determinismE0ELb0ELb0ES3_PKdPddZZZN2at6native31launch_logcumsumexp_cuda_kernelERKNSB_10TensorBaseESF_lENKUlvE_clEvENKUlvE_clEvEUlddE_dEEDaPvRmT3_T4_T5_mT6_P12ihipStream_tbENKUlT_T0_E_clISt17integral_constantIbLb0EESW_EEDaSR_SS_EUlSR_E0_NS1_11comp_targetILNS1_3genE0ELNS1_11target_archE4294967295ELNS1_3gpuE0ELNS1_3repE0EEENS1_30default_config_static_selectorELNS0_4arch9wavefront6targetE1EEEvT1_,comdat
	.globl	_ZN7rocprim17ROCPRIM_400000_NS6detail17trampoline_kernelINS0_14default_configENS1_20scan_config_selectorIdEEZZNS1_9scan_implILNS1_25lookback_scan_determinismE0ELb0ELb0ES3_PKdPddZZZN2at6native31launch_logcumsumexp_cuda_kernelERKNSB_10TensorBaseESF_lENKUlvE_clEvENKUlvE_clEvEUlddE_dEEDaPvRmT3_T4_T5_mT6_P12ihipStream_tbENKUlT_T0_E_clISt17integral_constantIbLb0EESW_EEDaSR_SS_EUlSR_E0_NS1_11comp_targetILNS1_3genE0ELNS1_11target_archE4294967295ELNS1_3gpuE0ELNS1_3repE0EEENS1_30default_config_static_selectorELNS0_4arch9wavefront6targetE1EEEvT1_ ; -- Begin function _ZN7rocprim17ROCPRIM_400000_NS6detail17trampoline_kernelINS0_14default_configENS1_20scan_config_selectorIdEEZZNS1_9scan_implILNS1_25lookback_scan_determinismE0ELb0ELb0ES3_PKdPddZZZN2at6native31launch_logcumsumexp_cuda_kernelERKNSB_10TensorBaseESF_lENKUlvE_clEvENKUlvE_clEvEUlddE_dEEDaPvRmT3_T4_T5_mT6_P12ihipStream_tbENKUlT_T0_E_clISt17integral_constantIbLb0EESW_EEDaSR_SS_EUlSR_E0_NS1_11comp_targetILNS1_3genE0ELNS1_11target_archE4294967295ELNS1_3gpuE0ELNS1_3repE0EEENS1_30default_config_static_selectorELNS0_4arch9wavefront6targetE1EEEvT1_
	.p2align	8
	.type	_ZN7rocprim17ROCPRIM_400000_NS6detail17trampoline_kernelINS0_14default_configENS1_20scan_config_selectorIdEEZZNS1_9scan_implILNS1_25lookback_scan_determinismE0ELb0ELb0ES3_PKdPddZZZN2at6native31launch_logcumsumexp_cuda_kernelERKNSB_10TensorBaseESF_lENKUlvE_clEvENKUlvE_clEvEUlddE_dEEDaPvRmT3_T4_T5_mT6_P12ihipStream_tbENKUlT_T0_E_clISt17integral_constantIbLb0EESW_EEDaSR_SS_EUlSR_E0_NS1_11comp_targetILNS1_3genE0ELNS1_11target_archE4294967295ELNS1_3gpuE0ELNS1_3repE0EEENS1_30default_config_static_selectorELNS0_4arch9wavefront6targetE1EEEvT1_,@function
_ZN7rocprim17ROCPRIM_400000_NS6detail17trampoline_kernelINS0_14default_configENS1_20scan_config_selectorIdEEZZNS1_9scan_implILNS1_25lookback_scan_determinismE0ELb0ELb0ES3_PKdPddZZZN2at6native31launch_logcumsumexp_cuda_kernelERKNSB_10TensorBaseESF_lENKUlvE_clEvENKUlvE_clEvEUlddE_dEEDaPvRmT3_T4_T5_mT6_P12ihipStream_tbENKUlT_T0_E_clISt17integral_constantIbLb0EESW_EEDaSR_SS_EUlSR_E0_NS1_11comp_targetILNS1_3genE0ELNS1_11target_archE4294967295ELNS1_3gpuE0ELNS1_3repE0EEENS1_30default_config_static_selectorELNS0_4arch9wavefront6targetE1EEEvT1_: ; @_ZN7rocprim17ROCPRIM_400000_NS6detail17trampoline_kernelINS0_14default_configENS1_20scan_config_selectorIdEEZZNS1_9scan_implILNS1_25lookback_scan_determinismE0ELb0ELb0ES3_PKdPddZZZN2at6native31launch_logcumsumexp_cuda_kernelERKNSB_10TensorBaseESF_lENKUlvE_clEvENKUlvE_clEvEUlddE_dEEDaPvRmT3_T4_T5_mT6_P12ihipStream_tbENKUlT_T0_E_clISt17integral_constantIbLb0EESW_EEDaSR_SS_EUlSR_E0_NS1_11comp_targetILNS1_3genE0ELNS1_11target_archE4294967295ELNS1_3gpuE0ELNS1_3repE0EEENS1_30default_config_static_selectorELNS0_4arch9wavefront6targetE1EEEvT1_
; %bb.0:
	.section	.rodata,"a",@progbits
	.p2align	6, 0x0
	.amdhsa_kernel _ZN7rocprim17ROCPRIM_400000_NS6detail17trampoline_kernelINS0_14default_configENS1_20scan_config_selectorIdEEZZNS1_9scan_implILNS1_25lookback_scan_determinismE0ELb0ELb0ES3_PKdPddZZZN2at6native31launch_logcumsumexp_cuda_kernelERKNSB_10TensorBaseESF_lENKUlvE_clEvENKUlvE_clEvEUlddE_dEEDaPvRmT3_T4_T5_mT6_P12ihipStream_tbENKUlT_T0_E_clISt17integral_constantIbLb0EESW_EEDaSR_SS_EUlSR_E0_NS1_11comp_targetILNS1_3genE0ELNS1_11target_archE4294967295ELNS1_3gpuE0ELNS1_3repE0EEENS1_30default_config_static_selectorELNS0_4arch9wavefront6targetE1EEEvT1_
		.amdhsa_group_segment_fixed_size 0
		.amdhsa_private_segment_fixed_size 0
		.amdhsa_kernarg_size 40
		.amdhsa_user_sgpr_count 6
		.amdhsa_user_sgpr_private_segment_buffer 1
		.amdhsa_user_sgpr_dispatch_ptr 0
		.amdhsa_user_sgpr_queue_ptr 0
		.amdhsa_user_sgpr_kernarg_segment_ptr 1
		.amdhsa_user_sgpr_dispatch_id 0
		.amdhsa_user_sgpr_flat_scratch_init 0
		.amdhsa_user_sgpr_private_segment_size 0
		.amdhsa_uses_dynamic_stack 0
		.amdhsa_system_sgpr_private_segment_wavefront_offset 0
		.amdhsa_system_sgpr_workgroup_id_x 1
		.amdhsa_system_sgpr_workgroup_id_y 0
		.amdhsa_system_sgpr_workgroup_id_z 0
		.amdhsa_system_sgpr_workgroup_info 0
		.amdhsa_system_vgpr_workitem_id 0
		.amdhsa_next_free_vgpr 1
		.amdhsa_next_free_sgpr 0
		.amdhsa_reserve_vcc 0
		.amdhsa_reserve_flat_scratch 0
		.amdhsa_float_round_mode_32 0
		.amdhsa_float_round_mode_16_64 0
		.amdhsa_float_denorm_mode_32 3
		.amdhsa_float_denorm_mode_16_64 3
		.amdhsa_dx10_clamp 1
		.amdhsa_ieee_mode 1
		.amdhsa_fp16_overflow 0
		.amdhsa_exception_fp_ieee_invalid_op 0
		.amdhsa_exception_fp_denorm_src 0
		.amdhsa_exception_fp_ieee_div_zero 0
		.amdhsa_exception_fp_ieee_overflow 0
		.amdhsa_exception_fp_ieee_underflow 0
		.amdhsa_exception_fp_ieee_inexact 0
		.amdhsa_exception_int_div_zero 0
	.end_amdhsa_kernel
	.section	.text._ZN7rocprim17ROCPRIM_400000_NS6detail17trampoline_kernelINS0_14default_configENS1_20scan_config_selectorIdEEZZNS1_9scan_implILNS1_25lookback_scan_determinismE0ELb0ELb0ES3_PKdPddZZZN2at6native31launch_logcumsumexp_cuda_kernelERKNSB_10TensorBaseESF_lENKUlvE_clEvENKUlvE_clEvEUlddE_dEEDaPvRmT3_T4_T5_mT6_P12ihipStream_tbENKUlT_T0_E_clISt17integral_constantIbLb0EESW_EEDaSR_SS_EUlSR_E0_NS1_11comp_targetILNS1_3genE0ELNS1_11target_archE4294967295ELNS1_3gpuE0ELNS1_3repE0EEENS1_30default_config_static_selectorELNS0_4arch9wavefront6targetE1EEEvT1_,"axG",@progbits,_ZN7rocprim17ROCPRIM_400000_NS6detail17trampoline_kernelINS0_14default_configENS1_20scan_config_selectorIdEEZZNS1_9scan_implILNS1_25lookback_scan_determinismE0ELb0ELb0ES3_PKdPddZZZN2at6native31launch_logcumsumexp_cuda_kernelERKNSB_10TensorBaseESF_lENKUlvE_clEvENKUlvE_clEvEUlddE_dEEDaPvRmT3_T4_T5_mT6_P12ihipStream_tbENKUlT_T0_E_clISt17integral_constantIbLb0EESW_EEDaSR_SS_EUlSR_E0_NS1_11comp_targetILNS1_3genE0ELNS1_11target_archE4294967295ELNS1_3gpuE0ELNS1_3repE0EEENS1_30default_config_static_selectorELNS0_4arch9wavefront6targetE1EEEvT1_,comdat
.Lfunc_end18:
	.size	_ZN7rocprim17ROCPRIM_400000_NS6detail17trampoline_kernelINS0_14default_configENS1_20scan_config_selectorIdEEZZNS1_9scan_implILNS1_25lookback_scan_determinismE0ELb0ELb0ES3_PKdPddZZZN2at6native31launch_logcumsumexp_cuda_kernelERKNSB_10TensorBaseESF_lENKUlvE_clEvENKUlvE_clEvEUlddE_dEEDaPvRmT3_T4_T5_mT6_P12ihipStream_tbENKUlT_T0_E_clISt17integral_constantIbLb0EESW_EEDaSR_SS_EUlSR_E0_NS1_11comp_targetILNS1_3genE0ELNS1_11target_archE4294967295ELNS1_3gpuE0ELNS1_3repE0EEENS1_30default_config_static_selectorELNS0_4arch9wavefront6targetE1EEEvT1_, .Lfunc_end18-_ZN7rocprim17ROCPRIM_400000_NS6detail17trampoline_kernelINS0_14default_configENS1_20scan_config_selectorIdEEZZNS1_9scan_implILNS1_25lookback_scan_determinismE0ELb0ELb0ES3_PKdPddZZZN2at6native31launch_logcumsumexp_cuda_kernelERKNSB_10TensorBaseESF_lENKUlvE_clEvENKUlvE_clEvEUlddE_dEEDaPvRmT3_T4_T5_mT6_P12ihipStream_tbENKUlT_T0_E_clISt17integral_constantIbLb0EESW_EEDaSR_SS_EUlSR_E0_NS1_11comp_targetILNS1_3genE0ELNS1_11target_archE4294967295ELNS1_3gpuE0ELNS1_3repE0EEENS1_30default_config_static_selectorELNS0_4arch9wavefront6targetE1EEEvT1_
                                        ; -- End function
	.set _ZN7rocprim17ROCPRIM_400000_NS6detail17trampoline_kernelINS0_14default_configENS1_20scan_config_selectorIdEEZZNS1_9scan_implILNS1_25lookback_scan_determinismE0ELb0ELb0ES3_PKdPddZZZN2at6native31launch_logcumsumexp_cuda_kernelERKNSB_10TensorBaseESF_lENKUlvE_clEvENKUlvE_clEvEUlddE_dEEDaPvRmT3_T4_T5_mT6_P12ihipStream_tbENKUlT_T0_E_clISt17integral_constantIbLb0EESW_EEDaSR_SS_EUlSR_E0_NS1_11comp_targetILNS1_3genE0ELNS1_11target_archE4294967295ELNS1_3gpuE0ELNS1_3repE0EEENS1_30default_config_static_selectorELNS0_4arch9wavefront6targetE1EEEvT1_.num_vgpr, 0
	.set _ZN7rocprim17ROCPRIM_400000_NS6detail17trampoline_kernelINS0_14default_configENS1_20scan_config_selectorIdEEZZNS1_9scan_implILNS1_25lookback_scan_determinismE0ELb0ELb0ES3_PKdPddZZZN2at6native31launch_logcumsumexp_cuda_kernelERKNSB_10TensorBaseESF_lENKUlvE_clEvENKUlvE_clEvEUlddE_dEEDaPvRmT3_T4_T5_mT6_P12ihipStream_tbENKUlT_T0_E_clISt17integral_constantIbLb0EESW_EEDaSR_SS_EUlSR_E0_NS1_11comp_targetILNS1_3genE0ELNS1_11target_archE4294967295ELNS1_3gpuE0ELNS1_3repE0EEENS1_30default_config_static_selectorELNS0_4arch9wavefront6targetE1EEEvT1_.num_agpr, 0
	.set _ZN7rocprim17ROCPRIM_400000_NS6detail17trampoline_kernelINS0_14default_configENS1_20scan_config_selectorIdEEZZNS1_9scan_implILNS1_25lookback_scan_determinismE0ELb0ELb0ES3_PKdPddZZZN2at6native31launch_logcumsumexp_cuda_kernelERKNSB_10TensorBaseESF_lENKUlvE_clEvENKUlvE_clEvEUlddE_dEEDaPvRmT3_T4_T5_mT6_P12ihipStream_tbENKUlT_T0_E_clISt17integral_constantIbLb0EESW_EEDaSR_SS_EUlSR_E0_NS1_11comp_targetILNS1_3genE0ELNS1_11target_archE4294967295ELNS1_3gpuE0ELNS1_3repE0EEENS1_30default_config_static_selectorELNS0_4arch9wavefront6targetE1EEEvT1_.numbered_sgpr, 0
	.set _ZN7rocprim17ROCPRIM_400000_NS6detail17trampoline_kernelINS0_14default_configENS1_20scan_config_selectorIdEEZZNS1_9scan_implILNS1_25lookback_scan_determinismE0ELb0ELb0ES3_PKdPddZZZN2at6native31launch_logcumsumexp_cuda_kernelERKNSB_10TensorBaseESF_lENKUlvE_clEvENKUlvE_clEvEUlddE_dEEDaPvRmT3_T4_T5_mT6_P12ihipStream_tbENKUlT_T0_E_clISt17integral_constantIbLb0EESW_EEDaSR_SS_EUlSR_E0_NS1_11comp_targetILNS1_3genE0ELNS1_11target_archE4294967295ELNS1_3gpuE0ELNS1_3repE0EEENS1_30default_config_static_selectorELNS0_4arch9wavefront6targetE1EEEvT1_.num_named_barrier, 0
	.set _ZN7rocprim17ROCPRIM_400000_NS6detail17trampoline_kernelINS0_14default_configENS1_20scan_config_selectorIdEEZZNS1_9scan_implILNS1_25lookback_scan_determinismE0ELb0ELb0ES3_PKdPddZZZN2at6native31launch_logcumsumexp_cuda_kernelERKNSB_10TensorBaseESF_lENKUlvE_clEvENKUlvE_clEvEUlddE_dEEDaPvRmT3_T4_T5_mT6_P12ihipStream_tbENKUlT_T0_E_clISt17integral_constantIbLb0EESW_EEDaSR_SS_EUlSR_E0_NS1_11comp_targetILNS1_3genE0ELNS1_11target_archE4294967295ELNS1_3gpuE0ELNS1_3repE0EEENS1_30default_config_static_selectorELNS0_4arch9wavefront6targetE1EEEvT1_.private_seg_size, 0
	.set _ZN7rocprim17ROCPRIM_400000_NS6detail17trampoline_kernelINS0_14default_configENS1_20scan_config_selectorIdEEZZNS1_9scan_implILNS1_25lookback_scan_determinismE0ELb0ELb0ES3_PKdPddZZZN2at6native31launch_logcumsumexp_cuda_kernelERKNSB_10TensorBaseESF_lENKUlvE_clEvENKUlvE_clEvEUlddE_dEEDaPvRmT3_T4_T5_mT6_P12ihipStream_tbENKUlT_T0_E_clISt17integral_constantIbLb0EESW_EEDaSR_SS_EUlSR_E0_NS1_11comp_targetILNS1_3genE0ELNS1_11target_archE4294967295ELNS1_3gpuE0ELNS1_3repE0EEENS1_30default_config_static_selectorELNS0_4arch9wavefront6targetE1EEEvT1_.uses_vcc, 0
	.set _ZN7rocprim17ROCPRIM_400000_NS6detail17trampoline_kernelINS0_14default_configENS1_20scan_config_selectorIdEEZZNS1_9scan_implILNS1_25lookback_scan_determinismE0ELb0ELb0ES3_PKdPddZZZN2at6native31launch_logcumsumexp_cuda_kernelERKNSB_10TensorBaseESF_lENKUlvE_clEvENKUlvE_clEvEUlddE_dEEDaPvRmT3_T4_T5_mT6_P12ihipStream_tbENKUlT_T0_E_clISt17integral_constantIbLb0EESW_EEDaSR_SS_EUlSR_E0_NS1_11comp_targetILNS1_3genE0ELNS1_11target_archE4294967295ELNS1_3gpuE0ELNS1_3repE0EEENS1_30default_config_static_selectorELNS0_4arch9wavefront6targetE1EEEvT1_.uses_flat_scratch, 0
	.set _ZN7rocprim17ROCPRIM_400000_NS6detail17trampoline_kernelINS0_14default_configENS1_20scan_config_selectorIdEEZZNS1_9scan_implILNS1_25lookback_scan_determinismE0ELb0ELb0ES3_PKdPddZZZN2at6native31launch_logcumsumexp_cuda_kernelERKNSB_10TensorBaseESF_lENKUlvE_clEvENKUlvE_clEvEUlddE_dEEDaPvRmT3_T4_T5_mT6_P12ihipStream_tbENKUlT_T0_E_clISt17integral_constantIbLb0EESW_EEDaSR_SS_EUlSR_E0_NS1_11comp_targetILNS1_3genE0ELNS1_11target_archE4294967295ELNS1_3gpuE0ELNS1_3repE0EEENS1_30default_config_static_selectorELNS0_4arch9wavefront6targetE1EEEvT1_.has_dyn_sized_stack, 0
	.set _ZN7rocprim17ROCPRIM_400000_NS6detail17trampoline_kernelINS0_14default_configENS1_20scan_config_selectorIdEEZZNS1_9scan_implILNS1_25lookback_scan_determinismE0ELb0ELb0ES3_PKdPddZZZN2at6native31launch_logcumsumexp_cuda_kernelERKNSB_10TensorBaseESF_lENKUlvE_clEvENKUlvE_clEvEUlddE_dEEDaPvRmT3_T4_T5_mT6_P12ihipStream_tbENKUlT_T0_E_clISt17integral_constantIbLb0EESW_EEDaSR_SS_EUlSR_E0_NS1_11comp_targetILNS1_3genE0ELNS1_11target_archE4294967295ELNS1_3gpuE0ELNS1_3repE0EEENS1_30default_config_static_selectorELNS0_4arch9wavefront6targetE1EEEvT1_.has_recursion, 0
	.set _ZN7rocprim17ROCPRIM_400000_NS6detail17trampoline_kernelINS0_14default_configENS1_20scan_config_selectorIdEEZZNS1_9scan_implILNS1_25lookback_scan_determinismE0ELb0ELb0ES3_PKdPddZZZN2at6native31launch_logcumsumexp_cuda_kernelERKNSB_10TensorBaseESF_lENKUlvE_clEvENKUlvE_clEvEUlddE_dEEDaPvRmT3_T4_T5_mT6_P12ihipStream_tbENKUlT_T0_E_clISt17integral_constantIbLb0EESW_EEDaSR_SS_EUlSR_E0_NS1_11comp_targetILNS1_3genE0ELNS1_11target_archE4294967295ELNS1_3gpuE0ELNS1_3repE0EEENS1_30default_config_static_selectorELNS0_4arch9wavefront6targetE1EEEvT1_.has_indirect_call, 0
	.section	.AMDGPU.csdata,"",@progbits
; Kernel info:
; codeLenInByte = 0
; TotalNumSgprs: 4
; NumVgprs: 0
; ScratchSize: 0
; MemoryBound: 0
; FloatMode: 240
; IeeeMode: 1
; LDSByteSize: 0 bytes/workgroup (compile time only)
; SGPRBlocks: 0
; VGPRBlocks: 0
; NumSGPRsForWavesPerEU: 4
; NumVGPRsForWavesPerEU: 1
; Occupancy: 10
; WaveLimiterHint : 0
; COMPUTE_PGM_RSRC2:SCRATCH_EN: 0
; COMPUTE_PGM_RSRC2:USER_SGPR: 6
; COMPUTE_PGM_RSRC2:TRAP_HANDLER: 0
; COMPUTE_PGM_RSRC2:TGID_X_EN: 1
; COMPUTE_PGM_RSRC2:TGID_Y_EN: 0
; COMPUTE_PGM_RSRC2:TGID_Z_EN: 0
; COMPUTE_PGM_RSRC2:TIDIG_COMP_CNT: 0
	.section	.text._ZN7rocprim17ROCPRIM_400000_NS6detail17trampoline_kernelINS0_14default_configENS1_20scan_config_selectorIdEEZZNS1_9scan_implILNS1_25lookback_scan_determinismE0ELb0ELb0ES3_PKdPddZZZN2at6native31launch_logcumsumexp_cuda_kernelERKNSB_10TensorBaseESF_lENKUlvE_clEvENKUlvE_clEvEUlddE_dEEDaPvRmT3_T4_T5_mT6_P12ihipStream_tbENKUlT_T0_E_clISt17integral_constantIbLb0EESW_EEDaSR_SS_EUlSR_E0_NS1_11comp_targetILNS1_3genE5ELNS1_11target_archE942ELNS1_3gpuE9ELNS1_3repE0EEENS1_30default_config_static_selectorELNS0_4arch9wavefront6targetE1EEEvT1_,"axG",@progbits,_ZN7rocprim17ROCPRIM_400000_NS6detail17trampoline_kernelINS0_14default_configENS1_20scan_config_selectorIdEEZZNS1_9scan_implILNS1_25lookback_scan_determinismE0ELb0ELb0ES3_PKdPddZZZN2at6native31launch_logcumsumexp_cuda_kernelERKNSB_10TensorBaseESF_lENKUlvE_clEvENKUlvE_clEvEUlddE_dEEDaPvRmT3_T4_T5_mT6_P12ihipStream_tbENKUlT_T0_E_clISt17integral_constantIbLb0EESW_EEDaSR_SS_EUlSR_E0_NS1_11comp_targetILNS1_3genE5ELNS1_11target_archE942ELNS1_3gpuE9ELNS1_3repE0EEENS1_30default_config_static_selectorELNS0_4arch9wavefront6targetE1EEEvT1_,comdat
	.globl	_ZN7rocprim17ROCPRIM_400000_NS6detail17trampoline_kernelINS0_14default_configENS1_20scan_config_selectorIdEEZZNS1_9scan_implILNS1_25lookback_scan_determinismE0ELb0ELb0ES3_PKdPddZZZN2at6native31launch_logcumsumexp_cuda_kernelERKNSB_10TensorBaseESF_lENKUlvE_clEvENKUlvE_clEvEUlddE_dEEDaPvRmT3_T4_T5_mT6_P12ihipStream_tbENKUlT_T0_E_clISt17integral_constantIbLb0EESW_EEDaSR_SS_EUlSR_E0_NS1_11comp_targetILNS1_3genE5ELNS1_11target_archE942ELNS1_3gpuE9ELNS1_3repE0EEENS1_30default_config_static_selectorELNS0_4arch9wavefront6targetE1EEEvT1_ ; -- Begin function _ZN7rocprim17ROCPRIM_400000_NS6detail17trampoline_kernelINS0_14default_configENS1_20scan_config_selectorIdEEZZNS1_9scan_implILNS1_25lookback_scan_determinismE0ELb0ELb0ES3_PKdPddZZZN2at6native31launch_logcumsumexp_cuda_kernelERKNSB_10TensorBaseESF_lENKUlvE_clEvENKUlvE_clEvEUlddE_dEEDaPvRmT3_T4_T5_mT6_P12ihipStream_tbENKUlT_T0_E_clISt17integral_constantIbLb0EESW_EEDaSR_SS_EUlSR_E0_NS1_11comp_targetILNS1_3genE5ELNS1_11target_archE942ELNS1_3gpuE9ELNS1_3repE0EEENS1_30default_config_static_selectorELNS0_4arch9wavefront6targetE1EEEvT1_
	.p2align	8
	.type	_ZN7rocprim17ROCPRIM_400000_NS6detail17trampoline_kernelINS0_14default_configENS1_20scan_config_selectorIdEEZZNS1_9scan_implILNS1_25lookback_scan_determinismE0ELb0ELb0ES3_PKdPddZZZN2at6native31launch_logcumsumexp_cuda_kernelERKNSB_10TensorBaseESF_lENKUlvE_clEvENKUlvE_clEvEUlddE_dEEDaPvRmT3_T4_T5_mT6_P12ihipStream_tbENKUlT_T0_E_clISt17integral_constantIbLb0EESW_EEDaSR_SS_EUlSR_E0_NS1_11comp_targetILNS1_3genE5ELNS1_11target_archE942ELNS1_3gpuE9ELNS1_3repE0EEENS1_30default_config_static_selectorELNS0_4arch9wavefront6targetE1EEEvT1_,@function
_ZN7rocprim17ROCPRIM_400000_NS6detail17trampoline_kernelINS0_14default_configENS1_20scan_config_selectorIdEEZZNS1_9scan_implILNS1_25lookback_scan_determinismE0ELb0ELb0ES3_PKdPddZZZN2at6native31launch_logcumsumexp_cuda_kernelERKNSB_10TensorBaseESF_lENKUlvE_clEvENKUlvE_clEvEUlddE_dEEDaPvRmT3_T4_T5_mT6_P12ihipStream_tbENKUlT_T0_E_clISt17integral_constantIbLb0EESW_EEDaSR_SS_EUlSR_E0_NS1_11comp_targetILNS1_3genE5ELNS1_11target_archE942ELNS1_3gpuE9ELNS1_3repE0EEENS1_30default_config_static_selectorELNS0_4arch9wavefront6targetE1EEEvT1_: ; @_ZN7rocprim17ROCPRIM_400000_NS6detail17trampoline_kernelINS0_14default_configENS1_20scan_config_selectorIdEEZZNS1_9scan_implILNS1_25lookback_scan_determinismE0ELb0ELb0ES3_PKdPddZZZN2at6native31launch_logcumsumexp_cuda_kernelERKNSB_10TensorBaseESF_lENKUlvE_clEvENKUlvE_clEvEUlddE_dEEDaPvRmT3_T4_T5_mT6_P12ihipStream_tbENKUlT_T0_E_clISt17integral_constantIbLb0EESW_EEDaSR_SS_EUlSR_E0_NS1_11comp_targetILNS1_3genE5ELNS1_11target_archE942ELNS1_3gpuE9ELNS1_3repE0EEENS1_30default_config_static_selectorELNS0_4arch9wavefront6targetE1EEEvT1_
; %bb.0:
	.section	.rodata,"a",@progbits
	.p2align	6, 0x0
	.amdhsa_kernel _ZN7rocprim17ROCPRIM_400000_NS6detail17trampoline_kernelINS0_14default_configENS1_20scan_config_selectorIdEEZZNS1_9scan_implILNS1_25lookback_scan_determinismE0ELb0ELb0ES3_PKdPddZZZN2at6native31launch_logcumsumexp_cuda_kernelERKNSB_10TensorBaseESF_lENKUlvE_clEvENKUlvE_clEvEUlddE_dEEDaPvRmT3_T4_T5_mT6_P12ihipStream_tbENKUlT_T0_E_clISt17integral_constantIbLb0EESW_EEDaSR_SS_EUlSR_E0_NS1_11comp_targetILNS1_3genE5ELNS1_11target_archE942ELNS1_3gpuE9ELNS1_3repE0EEENS1_30default_config_static_selectorELNS0_4arch9wavefront6targetE1EEEvT1_
		.amdhsa_group_segment_fixed_size 0
		.amdhsa_private_segment_fixed_size 0
		.amdhsa_kernarg_size 40
		.amdhsa_user_sgpr_count 6
		.amdhsa_user_sgpr_private_segment_buffer 1
		.amdhsa_user_sgpr_dispatch_ptr 0
		.amdhsa_user_sgpr_queue_ptr 0
		.amdhsa_user_sgpr_kernarg_segment_ptr 1
		.amdhsa_user_sgpr_dispatch_id 0
		.amdhsa_user_sgpr_flat_scratch_init 0
		.amdhsa_user_sgpr_private_segment_size 0
		.amdhsa_uses_dynamic_stack 0
		.amdhsa_system_sgpr_private_segment_wavefront_offset 0
		.amdhsa_system_sgpr_workgroup_id_x 1
		.amdhsa_system_sgpr_workgroup_id_y 0
		.amdhsa_system_sgpr_workgroup_id_z 0
		.amdhsa_system_sgpr_workgroup_info 0
		.amdhsa_system_vgpr_workitem_id 0
		.amdhsa_next_free_vgpr 1
		.amdhsa_next_free_sgpr 0
		.amdhsa_reserve_vcc 0
		.amdhsa_reserve_flat_scratch 0
		.amdhsa_float_round_mode_32 0
		.amdhsa_float_round_mode_16_64 0
		.amdhsa_float_denorm_mode_32 3
		.amdhsa_float_denorm_mode_16_64 3
		.amdhsa_dx10_clamp 1
		.amdhsa_ieee_mode 1
		.amdhsa_fp16_overflow 0
		.amdhsa_exception_fp_ieee_invalid_op 0
		.amdhsa_exception_fp_denorm_src 0
		.amdhsa_exception_fp_ieee_div_zero 0
		.amdhsa_exception_fp_ieee_overflow 0
		.amdhsa_exception_fp_ieee_underflow 0
		.amdhsa_exception_fp_ieee_inexact 0
		.amdhsa_exception_int_div_zero 0
	.end_amdhsa_kernel
	.section	.text._ZN7rocprim17ROCPRIM_400000_NS6detail17trampoline_kernelINS0_14default_configENS1_20scan_config_selectorIdEEZZNS1_9scan_implILNS1_25lookback_scan_determinismE0ELb0ELb0ES3_PKdPddZZZN2at6native31launch_logcumsumexp_cuda_kernelERKNSB_10TensorBaseESF_lENKUlvE_clEvENKUlvE_clEvEUlddE_dEEDaPvRmT3_T4_T5_mT6_P12ihipStream_tbENKUlT_T0_E_clISt17integral_constantIbLb0EESW_EEDaSR_SS_EUlSR_E0_NS1_11comp_targetILNS1_3genE5ELNS1_11target_archE942ELNS1_3gpuE9ELNS1_3repE0EEENS1_30default_config_static_selectorELNS0_4arch9wavefront6targetE1EEEvT1_,"axG",@progbits,_ZN7rocprim17ROCPRIM_400000_NS6detail17trampoline_kernelINS0_14default_configENS1_20scan_config_selectorIdEEZZNS1_9scan_implILNS1_25lookback_scan_determinismE0ELb0ELb0ES3_PKdPddZZZN2at6native31launch_logcumsumexp_cuda_kernelERKNSB_10TensorBaseESF_lENKUlvE_clEvENKUlvE_clEvEUlddE_dEEDaPvRmT3_T4_T5_mT6_P12ihipStream_tbENKUlT_T0_E_clISt17integral_constantIbLb0EESW_EEDaSR_SS_EUlSR_E0_NS1_11comp_targetILNS1_3genE5ELNS1_11target_archE942ELNS1_3gpuE9ELNS1_3repE0EEENS1_30default_config_static_selectorELNS0_4arch9wavefront6targetE1EEEvT1_,comdat
.Lfunc_end19:
	.size	_ZN7rocprim17ROCPRIM_400000_NS6detail17trampoline_kernelINS0_14default_configENS1_20scan_config_selectorIdEEZZNS1_9scan_implILNS1_25lookback_scan_determinismE0ELb0ELb0ES3_PKdPddZZZN2at6native31launch_logcumsumexp_cuda_kernelERKNSB_10TensorBaseESF_lENKUlvE_clEvENKUlvE_clEvEUlddE_dEEDaPvRmT3_T4_T5_mT6_P12ihipStream_tbENKUlT_T0_E_clISt17integral_constantIbLb0EESW_EEDaSR_SS_EUlSR_E0_NS1_11comp_targetILNS1_3genE5ELNS1_11target_archE942ELNS1_3gpuE9ELNS1_3repE0EEENS1_30default_config_static_selectorELNS0_4arch9wavefront6targetE1EEEvT1_, .Lfunc_end19-_ZN7rocprim17ROCPRIM_400000_NS6detail17trampoline_kernelINS0_14default_configENS1_20scan_config_selectorIdEEZZNS1_9scan_implILNS1_25lookback_scan_determinismE0ELb0ELb0ES3_PKdPddZZZN2at6native31launch_logcumsumexp_cuda_kernelERKNSB_10TensorBaseESF_lENKUlvE_clEvENKUlvE_clEvEUlddE_dEEDaPvRmT3_T4_T5_mT6_P12ihipStream_tbENKUlT_T0_E_clISt17integral_constantIbLb0EESW_EEDaSR_SS_EUlSR_E0_NS1_11comp_targetILNS1_3genE5ELNS1_11target_archE942ELNS1_3gpuE9ELNS1_3repE0EEENS1_30default_config_static_selectorELNS0_4arch9wavefront6targetE1EEEvT1_
                                        ; -- End function
	.set _ZN7rocprim17ROCPRIM_400000_NS6detail17trampoline_kernelINS0_14default_configENS1_20scan_config_selectorIdEEZZNS1_9scan_implILNS1_25lookback_scan_determinismE0ELb0ELb0ES3_PKdPddZZZN2at6native31launch_logcumsumexp_cuda_kernelERKNSB_10TensorBaseESF_lENKUlvE_clEvENKUlvE_clEvEUlddE_dEEDaPvRmT3_T4_T5_mT6_P12ihipStream_tbENKUlT_T0_E_clISt17integral_constantIbLb0EESW_EEDaSR_SS_EUlSR_E0_NS1_11comp_targetILNS1_3genE5ELNS1_11target_archE942ELNS1_3gpuE9ELNS1_3repE0EEENS1_30default_config_static_selectorELNS0_4arch9wavefront6targetE1EEEvT1_.num_vgpr, 0
	.set _ZN7rocprim17ROCPRIM_400000_NS6detail17trampoline_kernelINS0_14default_configENS1_20scan_config_selectorIdEEZZNS1_9scan_implILNS1_25lookback_scan_determinismE0ELb0ELb0ES3_PKdPddZZZN2at6native31launch_logcumsumexp_cuda_kernelERKNSB_10TensorBaseESF_lENKUlvE_clEvENKUlvE_clEvEUlddE_dEEDaPvRmT3_T4_T5_mT6_P12ihipStream_tbENKUlT_T0_E_clISt17integral_constantIbLb0EESW_EEDaSR_SS_EUlSR_E0_NS1_11comp_targetILNS1_3genE5ELNS1_11target_archE942ELNS1_3gpuE9ELNS1_3repE0EEENS1_30default_config_static_selectorELNS0_4arch9wavefront6targetE1EEEvT1_.num_agpr, 0
	.set _ZN7rocprim17ROCPRIM_400000_NS6detail17trampoline_kernelINS0_14default_configENS1_20scan_config_selectorIdEEZZNS1_9scan_implILNS1_25lookback_scan_determinismE0ELb0ELb0ES3_PKdPddZZZN2at6native31launch_logcumsumexp_cuda_kernelERKNSB_10TensorBaseESF_lENKUlvE_clEvENKUlvE_clEvEUlddE_dEEDaPvRmT3_T4_T5_mT6_P12ihipStream_tbENKUlT_T0_E_clISt17integral_constantIbLb0EESW_EEDaSR_SS_EUlSR_E0_NS1_11comp_targetILNS1_3genE5ELNS1_11target_archE942ELNS1_3gpuE9ELNS1_3repE0EEENS1_30default_config_static_selectorELNS0_4arch9wavefront6targetE1EEEvT1_.numbered_sgpr, 0
	.set _ZN7rocprim17ROCPRIM_400000_NS6detail17trampoline_kernelINS0_14default_configENS1_20scan_config_selectorIdEEZZNS1_9scan_implILNS1_25lookback_scan_determinismE0ELb0ELb0ES3_PKdPddZZZN2at6native31launch_logcumsumexp_cuda_kernelERKNSB_10TensorBaseESF_lENKUlvE_clEvENKUlvE_clEvEUlddE_dEEDaPvRmT3_T4_T5_mT6_P12ihipStream_tbENKUlT_T0_E_clISt17integral_constantIbLb0EESW_EEDaSR_SS_EUlSR_E0_NS1_11comp_targetILNS1_3genE5ELNS1_11target_archE942ELNS1_3gpuE9ELNS1_3repE0EEENS1_30default_config_static_selectorELNS0_4arch9wavefront6targetE1EEEvT1_.num_named_barrier, 0
	.set _ZN7rocprim17ROCPRIM_400000_NS6detail17trampoline_kernelINS0_14default_configENS1_20scan_config_selectorIdEEZZNS1_9scan_implILNS1_25lookback_scan_determinismE0ELb0ELb0ES3_PKdPddZZZN2at6native31launch_logcumsumexp_cuda_kernelERKNSB_10TensorBaseESF_lENKUlvE_clEvENKUlvE_clEvEUlddE_dEEDaPvRmT3_T4_T5_mT6_P12ihipStream_tbENKUlT_T0_E_clISt17integral_constantIbLb0EESW_EEDaSR_SS_EUlSR_E0_NS1_11comp_targetILNS1_3genE5ELNS1_11target_archE942ELNS1_3gpuE9ELNS1_3repE0EEENS1_30default_config_static_selectorELNS0_4arch9wavefront6targetE1EEEvT1_.private_seg_size, 0
	.set _ZN7rocprim17ROCPRIM_400000_NS6detail17trampoline_kernelINS0_14default_configENS1_20scan_config_selectorIdEEZZNS1_9scan_implILNS1_25lookback_scan_determinismE0ELb0ELb0ES3_PKdPddZZZN2at6native31launch_logcumsumexp_cuda_kernelERKNSB_10TensorBaseESF_lENKUlvE_clEvENKUlvE_clEvEUlddE_dEEDaPvRmT3_T4_T5_mT6_P12ihipStream_tbENKUlT_T0_E_clISt17integral_constantIbLb0EESW_EEDaSR_SS_EUlSR_E0_NS1_11comp_targetILNS1_3genE5ELNS1_11target_archE942ELNS1_3gpuE9ELNS1_3repE0EEENS1_30default_config_static_selectorELNS0_4arch9wavefront6targetE1EEEvT1_.uses_vcc, 0
	.set _ZN7rocprim17ROCPRIM_400000_NS6detail17trampoline_kernelINS0_14default_configENS1_20scan_config_selectorIdEEZZNS1_9scan_implILNS1_25lookback_scan_determinismE0ELb0ELb0ES3_PKdPddZZZN2at6native31launch_logcumsumexp_cuda_kernelERKNSB_10TensorBaseESF_lENKUlvE_clEvENKUlvE_clEvEUlddE_dEEDaPvRmT3_T4_T5_mT6_P12ihipStream_tbENKUlT_T0_E_clISt17integral_constantIbLb0EESW_EEDaSR_SS_EUlSR_E0_NS1_11comp_targetILNS1_3genE5ELNS1_11target_archE942ELNS1_3gpuE9ELNS1_3repE0EEENS1_30default_config_static_selectorELNS0_4arch9wavefront6targetE1EEEvT1_.uses_flat_scratch, 0
	.set _ZN7rocprim17ROCPRIM_400000_NS6detail17trampoline_kernelINS0_14default_configENS1_20scan_config_selectorIdEEZZNS1_9scan_implILNS1_25lookback_scan_determinismE0ELb0ELb0ES3_PKdPddZZZN2at6native31launch_logcumsumexp_cuda_kernelERKNSB_10TensorBaseESF_lENKUlvE_clEvENKUlvE_clEvEUlddE_dEEDaPvRmT3_T4_T5_mT6_P12ihipStream_tbENKUlT_T0_E_clISt17integral_constantIbLb0EESW_EEDaSR_SS_EUlSR_E0_NS1_11comp_targetILNS1_3genE5ELNS1_11target_archE942ELNS1_3gpuE9ELNS1_3repE0EEENS1_30default_config_static_selectorELNS0_4arch9wavefront6targetE1EEEvT1_.has_dyn_sized_stack, 0
	.set _ZN7rocprim17ROCPRIM_400000_NS6detail17trampoline_kernelINS0_14default_configENS1_20scan_config_selectorIdEEZZNS1_9scan_implILNS1_25lookback_scan_determinismE0ELb0ELb0ES3_PKdPddZZZN2at6native31launch_logcumsumexp_cuda_kernelERKNSB_10TensorBaseESF_lENKUlvE_clEvENKUlvE_clEvEUlddE_dEEDaPvRmT3_T4_T5_mT6_P12ihipStream_tbENKUlT_T0_E_clISt17integral_constantIbLb0EESW_EEDaSR_SS_EUlSR_E0_NS1_11comp_targetILNS1_3genE5ELNS1_11target_archE942ELNS1_3gpuE9ELNS1_3repE0EEENS1_30default_config_static_selectorELNS0_4arch9wavefront6targetE1EEEvT1_.has_recursion, 0
	.set _ZN7rocprim17ROCPRIM_400000_NS6detail17trampoline_kernelINS0_14default_configENS1_20scan_config_selectorIdEEZZNS1_9scan_implILNS1_25lookback_scan_determinismE0ELb0ELb0ES3_PKdPddZZZN2at6native31launch_logcumsumexp_cuda_kernelERKNSB_10TensorBaseESF_lENKUlvE_clEvENKUlvE_clEvEUlddE_dEEDaPvRmT3_T4_T5_mT6_P12ihipStream_tbENKUlT_T0_E_clISt17integral_constantIbLb0EESW_EEDaSR_SS_EUlSR_E0_NS1_11comp_targetILNS1_3genE5ELNS1_11target_archE942ELNS1_3gpuE9ELNS1_3repE0EEENS1_30default_config_static_selectorELNS0_4arch9wavefront6targetE1EEEvT1_.has_indirect_call, 0
	.section	.AMDGPU.csdata,"",@progbits
; Kernel info:
; codeLenInByte = 0
; TotalNumSgprs: 4
; NumVgprs: 0
; ScratchSize: 0
; MemoryBound: 0
; FloatMode: 240
; IeeeMode: 1
; LDSByteSize: 0 bytes/workgroup (compile time only)
; SGPRBlocks: 0
; VGPRBlocks: 0
; NumSGPRsForWavesPerEU: 4
; NumVGPRsForWavesPerEU: 1
; Occupancy: 10
; WaveLimiterHint : 0
; COMPUTE_PGM_RSRC2:SCRATCH_EN: 0
; COMPUTE_PGM_RSRC2:USER_SGPR: 6
; COMPUTE_PGM_RSRC2:TRAP_HANDLER: 0
; COMPUTE_PGM_RSRC2:TGID_X_EN: 1
; COMPUTE_PGM_RSRC2:TGID_Y_EN: 0
; COMPUTE_PGM_RSRC2:TGID_Z_EN: 0
; COMPUTE_PGM_RSRC2:TIDIG_COMP_CNT: 0
	.section	.text._ZN7rocprim17ROCPRIM_400000_NS6detail17trampoline_kernelINS0_14default_configENS1_20scan_config_selectorIdEEZZNS1_9scan_implILNS1_25lookback_scan_determinismE0ELb0ELb0ES3_PKdPddZZZN2at6native31launch_logcumsumexp_cuda_kernelERKNSB_10TensorBaseESF_lENKUlvE_clEvENKUlvE_clEvEUlddE_dEEDaPvRmT3_T4_T5_mT6_P12ihipStream_tbENKUlT_T0_E_clISt17integral_constantIbLb0EESW_EEDaSR_SS_EUlSR_E0_NS1_11comp_targetILNS1_3genE4ELNS1_11target_archE910ELNS1_3gpuE8ELNS1_3repE0EEENS1_30default_config_static_selectorELNS0_4arch9wavefront6targetE1EEEvT1_,"axG",@progbits,_ZN7rocprim17ROCPRIM_400000_NS6detail17trampoline_kernelINS0_14default_configENS1_20scan_config_selectorIdEEZZNS1_9scan_implILNS1_25lookback_scan_determinismE0ELb0ELb0ES3_PKdPddZZZN2at6native31launch_logcumsumexp_cuda_kernelERKNSB_10TensorBaseESF_lENKUlvE_clEvENKUlvE_clEvEUlddE_dEEDaPvRmT3_T4_T5_mT6_P12ihipStream_tbENKUlT_T0_E_clISt17integral_constantIbLb0EESW_EEDaSR_SS_EUlSR_E0_NS1_11comp_targetILNS1_3genE4ELNS1_11target_archE910ELNS1_3gpuE8ELNS1_3repE0EEENS1_30default_config_static_selectorELNS0_4arch9wavefront6targetE1EEEvT1_,comdat
	.globl	_ZN7rocprim17ROCPRIM_400000_NS6detail17trampoline_kernelINS0_14default_configENS1_20scan_config_selectorIdEEZZNS1_9scan_implILNS1_25lookback_scan_determinismE0ELb0ELb0ES3_PKdPddZZZN2at6native31launch_logcumsumexp_cuda_kernelERKNSB_10TensorBaseESF_lENKUlvE_clEvENKUlvE_clEvEUlddE_dEEDaPvRmT3_T4_T5_mT6_P12ihipStream_tbENKUlT_T0_E_clISt17integral_constantIbLb0EESW_EEDaSR_SS_EUlSR_E0_NS1_11comp_targetILNS1_3genE4ELNS1_11target_archE910ELNS1_3gpuE8ELNS1_3repE0EEENS1_30default_config_static_selectorELNS0_4arch9wavefront6targetE1EEEvT1_ ; -- Begin function _ZN7rocprim17ROCPRIM_400000_NS6detail17trampoline_kernelINS0_14default_configENS1_20scan_config_selectorIdEEZZNS1_9scan_implILNS1_25lookback_scan_determinismE0ELb0ELb0ES3_PKdPddZZZN2at6native31launch_logcumsumexp_cuda_kernelERKNSB_10TensorBaseESF_lENKUlvE_clEvENKUlvE_clEvEUlddE_dEEDaPvRmT3_T4_T5_mT6_P12ihipStream_tbENKUlT_T0_E_clISt17integral_constantIbLb0EESW_EEDaSR_SS_EUlSR_E0_NS1_11comp_targetILNS1_3genE4ELNS1_11target_archE910ELNS1_3gpuE8ELNS1_3repE0EEENS1_30default_config_static_selectorELNS0_4arch9wavefront6targetE1EEEvT1_
	.p2align	8
	.type	_ZN7rocprim17ROCPRIM_400000_NS6detail17trampoline_kernelINS0_14default_configENS1_20scan_config_selectorIdEEZZNS1_9scan_implILNS1_25lookback_scan_determinismE0ELb0ELb0ES3_PKdPddZZZN2at6native31launch_logcumsumexp_cuda_kernelERKNSB_10TensorBaseESF_lENKUlvE_clEvENKUlvE_clEvEUlddE_dEEDaPvRmT3_T4_T5_mT6_P12ihipStream_tbENKUlT_T0_E_clISt17integral_constantIbLb0EESW_EEDaSR_SS_EUlSR_E0_NS1_11comp_targetILNS1_3genE4ELNS1_11target_archE910ELNS1_3gpuE8ELNS1_3repE0EEENS1_30default_config_static_selectorELNS0_4arch9wavefront6targetE1EEEvT1_,@function
_ZN7rocprim17ROCPRIM_400000_NS6detail17trampoline_kernelINS0_14default_configENS1_20scan_config_selectorIdEEZZNS1_9scan_implILNS1_25lookback_scan_determinismE0ELb0ELb0ES3_PKdPddZZZN2at6native31launch_logcumsumexp_cuda_kernelERKNSB_10TensorBaseESF_lENKUlvE_clEvENKUlvE_clEvEUlddE_dEEDaPvRmT3_T4_T5_mT6_P12ihipStream_tbENKUlT_T0_E_clISt17integral_constantIbLb0EESW_EEDaSR_SS_EUlSR_E0_NS1_11comp_targetILNS1_3genE4ELNS1_11target_archE910ELNS1_3gpuE8ELNS1_3repE0EEENS1_30default_config_static_selectorELNS0_4arch9wavefront6targetE1EEEvT1_: ; @_ZN7rocprim17ROCPRIM_400000_NS6detail17trampoline_kernelINS0_14default_configENS1_20scan_config_selectorIdEEZZNS1_9scan_implILNS1_25lookback_scan_determinismE0ELb0ELb0ES3_PKdPddZZZN2at6native31launch_logcumsumexp_cuda_kernelERKNSB_10TensorBaseESF_lENKUlvE_clEvENKUlvE_clEvEUlddE_dEEDaPvRmT3_T4_T5_mT6_P12ihipStream_tbENKUlT_T0_E_clISt17integral_constantIbLb0EESW_EEDaSR_SS_EUlSR_E0_NS1_11comp_targetILNS1_3genE4ELNS1_11target_archE910ELNS1_3gpuE8ELNS1_3repE0EEENS1_30default_config_static_selectorELNS0_4arch9wavefront6targetE1EEEvT1_
; %bb.0:
	.section	.rodata,"a",@progbits
	.p2align	6, 0x0
	.amdhsa_kernel _ZN7rocprim17ROCPRIM_400000_NS6detail17trampoline_kernelINS0_14default_configENS1_20scan_config_selectorIdEEZZNS1_9scan_implILNS1_25lookback_scan_determinismE0ELb0ELb0ES3_PKdPddZZZN2at6native31launch_logcumsumexp_cuda_kernelERKNSB_10TensorBaseESF_lENKUlvE_clEvENKUlvE_clEvEUlddE_dEEDaPvRmT3_T4_T5_mT6_P12ihipStream_tbENKUlT_T0_E_clISt17integral_constantIbLb0EESW_EEDaSR_SS_EUlSR_E0_NS1_11comp_targetILNS1_3genE4ELNS1_11target_archE910ELNS1_3gpuE8ELNS1_3repE0EEENS1_30default_config_static_selectorELNS0_4arch9wavefront6targetE1EEEvT1_
		.amdhsa_group_segment_fixed_size 0
		.amdhsa_private_segment_fixed_size 0
		.amdhsa_kernarg_size 40
		.amdhsa_user_sgpr_count 6
		.amdhsa_user_sgpr_private_segment_buffer 1
		.amdhsa_user_sgpr_dispatch_ptr 0
		.amdhsa_user_sgpr_queue_ptr 0
		.amdhsa_user_sgpr_kernarg_segment_ptr 1
		.amdhsa_user_sgpr_dispatch_id 0
		.amdhsa_user_sgpr_flat_scratch_init 0
		.amdhsa_user_sgpr_private_segment_size 0
		.amdhsa_uses_dynamic_stack 0
		.amdhsa_system_sgpr_private_segment_wavefront_offset 0
		.amdhsa_system_sgpr_workgroup_id_x 1
		.amdhsa_system_sgpr_workgroup_id_y 0
		.amdhsa_system_sgpr_workgroup_id_z 0
		.amdhsa_system_sgpr_workgroup_info 0
		.amdhsa_system_vgpr_workitem_id 0
		.amdhsa_next_free_vgpr 1
		.amdhsa_next_free_sgpr 0
		.amdhsa_reserve_vcc 0
		.amdhsa_reserve_flat_scratch 0
		.amdhsa_float_round_mode_32 0
		.amdhsa_float_round_mode_16_64 0
		.amdhsa_float_denorm_mode_32 3
		.amdhsa_float_denorm_mode_16_64 3
		.amdhsa_dx10_clamp 1
		.amdhsa_ieee_mode 1
		.amdhsa_fp16_overflow 0
		.amdhsa_exception_fp_ieee_invalid_op 0
		.amdhsa_exception_fp_denorm_src 0
		.amdhsa_exception_fp_ieee_div_zero 0
		.amdhsa_exception_fp_ieee_overflow 0
		.amdhsa_exception_fp_ieee_underflow 0
		.amdhsa_exception_fp_ieee_inexact 0
		.amdhsa_exception_int_div_zero 0
	.end_amdhsa_kernel
	.section	.text._ZN7rocprim17ROCPRIM_400000_NS6detail17trampoline_kernelINS0_14default_configENS1_20scan_config_selectorIdEEZZNS1_9scan_implILNS1_25lookback_scan_determinismE0ELb0ELb0ES3_PKdPddZZZN2at6native31launch_logcumsumexp_cuda_kernelERKNSB_10TensorBaseESF_lENKUlvE_clEvENKUlvE_clEvEUlddE_dEEDaPvRmT3_T4_T5_mT6_P12ihipStream_tbENKUlT_T0_E_clISt17integral_constantIbLb0EESW_EEDaSR_SS_EUlSR_E0_NS1_11comp_targetILNS1_3genE4ELNS1_11target_archE910ELNS1_3gpuE8ELNS1_3repE0EEENS1_30default_config_static_selectorELNS0_4arch9wavefront6targetE1EEEvT1_,"axG",@progbits,_ZN7rocprim17ROCPRIM_400000_NS6detail17trampoline_kernelINS0_14default_configENS1_20scan_config_selectorIdEEZZNS1_9scan_implILNS1_25lookback_scan_determinismE0ELb0ELb0ES3_PKdPddZZZN2at6native31launch_logcumsumexp_cuda_kernelERKNSB_10TensorBaseESF_lENKUlvE_clEvENKUlvE_clEvEUlddE_dEEDaPvRmT3_T4_T5_mT6_P12ihipStream_tbENKUlT_T0_E_clISt17integral_constantIbLb0EESW_EEDaSR_SS_EUlSR_E0_NS1_11comp_targetILNS1_3genE4ELNS1_11target_archE910ELNS1_3gpuE8ELNS1_3repE0EEENS1_30default_config_static_selectorELNS0_4arch9wavefront6targetE1EEEvT1_,comdat
.Lfunc_end20:
	.size	_ZN7rocprim17ROCPRIM_400000_NS6detail17trampoline_kernelINS0_14default_configENS1_20scan_config_selectorIdEEZZNS1_9scan_implILNS1_25lookback_scan_determinismE0ELb0ELb0ES3_PKdPddZZZN2at6native31launch_logcumsumexp_cuda_kernelERKNSB_10TensorBaseESF_lENKUlvE_clEvENKUlvE_clEvEUlddE_dEEDaPvRmT3_T4_T5_mT6_P12ihipStream_tbENKUlT_T0_E_clISt17integral_constantIbLb0EESW_EEDaSR_SS_EUlSR_E0_NS1_11comp_targetILNS1_3genE4ELNS1_11target_archE910ELNS1_3gpuE8ELNS1_3repE0EEENS1_30default_config_static_selectorELNS0_4arch9wavefront6targetE1EEEvT1_, .Lfunc_end20-_ZN7rocprim17ROCPRIM_400000_NS6detail17trampoline_kernelINS0_14default_configENS1_20scan_config_selectorIdEEZZNS1_9scan_implILNS1_25lookback_scan_determinismE0ELb0ELb0ES3_PKdPddZZZN2at6native31launch_logcumsumexp_cuda_kernelERKNSB_10TensorBaseESF_lENKUlvE_clEvENKUlvE_clEvEUlddE_dEEDaPvRmT3_T4_T5_mT6_P12ihipStream_tbENKUlT_T0_E_clISt17integral_constantIbLb0EESW_EEDaSR_SS_EUlSR_E0_NS1_11comp_targetILNS1_3genE4ELNS1_11target_archE910ELNS1_3gpuE8ELNS1_3repE0EEENS1_30default_config_static_selectorELNS0_4arch9wavefront6targetE1EEEvT1_
                                        ; -- End function
	.set _ZN7rocprim17ROCPRIM_400000_NS6detail17trampoline_kernelINS0_14default_configENS1_20scan_config_selectorIdEEZZNS1_9scan_implILNS1_25lookback_scan_determinismE0ELb0ELb0ES3_PKdPddZZZN2at6native31launch_logcumsumexp_cuda_kernelERKNSB_10TensorBaseESF_lENKUlvE_clEvENKUlvE_clEvEUlddE_dEEDaPvRmT3_T4_T5_mT6_P12ihipStream_tbENKUlT_T0_E_clISt17integral_constantIbLb0EESW_EEDaSR_SS_EUlSR_E0_NS1_11comp_targetILNS1_3genE4ELNS1_11target_archE910ELNS1_3gpuE8ELNS1_3repE0EEENS1_30default_config_static_selectorELNS0_4arch9wavefront6targetE1EEEvT1_.num_vgpr, 0
	.set _ZN7rocprim17ROCPRIM_400000_NS6detail17trampoline_kernelINS0_14default_configENS1_20scan_config_selectorIdEEZZNS1_9scan_implILNS1_25lookback_scan_determinismE0ELb0ELb0ES3_PKdPddZZZN2at6native31launch_logcumsumexp_cuda_kernelERKNSB_10TensorBaseESF_lENKUlvE_clEvENKUlvE_clEvEUlddE_dEEDaPvRmT3_T4_T5_mT6_P12ihipStream_tbENKUlT_T0_E_clISt17integral_constantIbLb0EESW_EEDaSR_SS_EUlSR_E0_NS1_11comp_targetILNS1_3genE4ELNS1_11target_archE910ELNS1_3gpuE8ELNS1_3repE0EEENS1_30default_config_static_selectorELNS0_4arch9wavefront6targetE1EEEvT1_.num_agpr, 0
	.set _ZN7rocprim17ROCPRIM_400000_NS6detail17trampoline_kernelINS0_14default_configENS1_20scan_config_selectorIdEEZZNS1_9scan_implILNS1_25lookback_scan_determinismE0ELb0ELb0ES3_PKdPddZZZN2at6native31launch_logcumsumexp_cuda_kernelERKNSB_10TensorBaseESF_lENKUlvE_clEvENKUlvE_clEvEUlddE_dEEDaPvRmT3_T4_T5_mT6_P12ihipStream_tbENKUlT_T0_E_clISt17integral_constantIbLb0EESW_EEDaSR_SS_EUlSR_E0_NS1_11comp_targetILNS1_3genE4ELNS1_11target_archE910ELNS1_3gpuE8ELNS1_3repE0EEENS1_30default_config_static_selectorELNS0_4arch9wavefront6targetE1EEEvT1_.numbered_sgpr, 0
	.set _ZN7rocprim17ROCPRIM_400000_NS6detail17trampoline_kernelINS0_14default_configENS1_20scan_config_selectorIdEEZZNS1_9scan_implILNS1_25lookback_scan_determinismE0ELb0ELb0ES3_PKdPddZZZN2at6native31launch_logcumsumexp_cuda_kernelERKNSB_10TensorBaseESF_lENKUlvE_clEvENKUlvE_clEvEUlddE_dEEDaPvRmT3_T4_T5_mT6_P12ihipStream_tbENKUlT_T0_E_clISt17integral_constantIbLb0EESW_EEDaSR_SS_EUlSR_E0_NS1_11comp_targetILNS1_3genE4ELNS1_11target_archE910ELNS1_3gpuE8ELNS1_3repE0EEENS1_30default_config_static_selectorELNS0_4arch9wavefront6targetE1EEEvT1_.num_named_barrier, 0
	.set _ZN7rocprim17ROCPRIM_400000_NS6detail17trampoline_kernelINS0_14default_configENS1_20scan_config_selectorIdEEZZNS1_9scan_implILNS1_25lookback_scan_determinismE0ELb0ELb0ES3_PKdPddZZZN2at6native31launch_logcumsumexp_cuda_kernelERKNSB_10TensorBaseESF_lENKUlvE_clEvENKUlvE_clEvEUlddE_dEEDaPvRmT3_T4_T5_mT6_P12ihipStream_tbENKUlT_T0_E_clISt17integral_constantIbLb0EESW_EEDaSR_SS_EUlSR_E0_NS1_11comp_targetILNS1_3genE4ELNS1_11target_archE910ELNS1_3gpuE8ELNS1_3repE0EEENS1_30default_config_static_selectorELNS0_4arch9wavefront6targetE1EEEvT1_.private_seg_size, 0
	.set _ZN7rocprim17ROCPRIM_400000_NS6detail17trampoline_kernelINS0_14default_configENS1_20scan_config_selectorIdEEZZNS1_9scan_implILNS1_25lookback_scan_determinismE0ELb0ELb0ES3_PKdPddZZZN2at6native31launch_logcumsumexp_cuda_kernelERKNSB_10TensorBaseESF_lENKUlvE_clEvENKUlvE_clEvEUlddE_dEEDaPvRmT3_T4_T5_mT6_P12ihipStream_tbENKUlT_T0_E_clISt17integral_constantIbLb0EESW_EEDaSR_SS_EUlSR_E0_NS1_11comp_targetILNS1_3genE4ELNS1_11target_archE910ELNS1_3gpuE8ELNS1_3repE0EEENS1_30default_config_static_selectorELNS0_4arch9wavefront6targetE1EEEvT1_.uses_vcc, 0
	.set _ZN7rocprim17ROCPRIM_400000_NS6detail17trampoline_kernelINS0_14default_configENS1_20scan_config_selectorIdEEZZNS1_9scan_implILNS1_25lookback_scan_determinismE0ELb0ELb0ES3_PKdPddZZZN2at6native31launch_logcumsumexp_cuda_kernelERKNSB_10TensorBaseESF_lENKUlvE_clEvENKUlvE_clEvEUlddE_dEEDaPvRmT3_T4_T5_mT6_P12ihipStream_tbENKUlT_T0_E_clISt17integral_constantIbLb0EESW_EEDaSR_SS_EUlSR_E0_NS1_11comp_targetILNS1_3genE4ELNS1_11target_archE910ELNS1_3gpuE8ELNS1_3repE0EEENS1_30default_config_static_selectorELNS0_4arch9wavefront6targetE1EEEvT1_.uses_flat_scratch, 0
	.set _ZN7rocprim17ROCPRIM_400000_NS6detail17trampoline_kernelINS0_14default_configENS1_20scan_config_selectorIdEEZZNS1_9scan_implILNS1_25lookback_scan_determinismE0ELb0ELb0ES3_PKdPddZZZN2at6native31launch_logcumsumexp_cuda_kernelERKNSB_10TensorBaseESF_lENKUlvE_clEvENKUlvE_clEvEUlddE_dEEDaPvRmT3_T4_T5_mT6_P12ihipStream_tbENKUlT_T0_E_clISt17integral_constantIbLb0EESW_EEDaSR_SS_EUlSR_E0_NS1_11comp_targetILNS1_3genE4ELNS1_11target_archE910ELNS1_3gpuE8ELNS1_3repE0EEENS1_30default_config_static_selectorELNS0_4arch9wavefront6targetE1EEEvT1_.has_dyn_sized_stack, 0
	.set _ZN7rocprim17ROCPRIM_400000_NS6detail17trampoline_kernelINS0_14default_configENS1_20scan_config_selectorIdEEZZNS1_9scan_implILNS1_25lookback_scan_determinismE0ELb0ELb0ES3_PKdPddZZZN2at6native31launch_logcumsumexp_cuda_kernelERKNSB_10TensorBaseESF_lENKUlvE_clEvENKUlvE_clEvEUlddE_dEEDaPvRmT3_T4_T5_mT6_P12ihipStream_tbENKUlT_T0_E_clISt17integral_constantIbLb0EESW_EEDaSR_SS_EUlSR_E0_NS1_11comp_targetILNS1_3genE4ELNS1_11target_archE910ELNS1_3gpuE8ELNS1_3repE0EEENS1_30default_config_static_selectorELNS0_4arch9wavefront6targetE1EEEvT1_.has_recursion, 0
	.set _ZN7rocprim17ROCPRIM_400000_NS6detail17trampoline_kernelINS0_14default_configENS1_20scan_config_selectorIdEEZZNS1_9scan_implILNS1_25lookback_scan_determinismE0ELb0ELb0ES3_PKdPddZZZN2at6native31launch_logcumsumexp_cuda_kernelERKNSB_10TensorBaseESF_lENKUlvE_clEvENKUlvE_clEvEUlddE_dEEDaPvRmT3_T4_T5_mT6_P12ihipStream_tbENKUlT_T0_E_clISt17integral_constantIbLb0EESW_EEDaSR_SS_EUlSR_E0_NS1_11comp_targetILNS1_3genE4ELNS1_11target_archE910ELNS1_3gpuE8ELNS1_3repE0EEENS1_30default_config_static_selectorELNS0_4arch9wavefront6targetE1EEEvT1_.has_indirect_call, 0
	.section	.AMDGPU.csdata,"",@progbits
; Kernel info:
; codeLenInByte = 0
; TotalNumSgprs: 4
; NumVgprs: 0
; ScratchSize: 0
; MemoryBound: 0
; FloatMode: 240
; IeeeMode: 1
; LDSByteSize: 0 bytes/workgroup (compile time only)
; SGPRBlocks: 0
; VGPRBlocks: 0
; NumSGPRsForWavesPerEU: 4
; NumVGPRsForWavesPerEU: 1
; Occupancy: 10
; WaveLimiterHint : 0
; COMPUTE_PGM_RSRC2:SCRATCH_EN: 0
; COMPUTE_PGM_RSRC2:USER_SGPR: 6
; COMPUTE_PGM_RSRC2:TRAP_HANDLER: 0
; COMPUTE_PGM_RSRC2:TGID_X_EN: 1
; COMPUTE_PGM_RSRC2:TGID_Y_EN: 0
; COMPUTE_PGM_RSRC2:TGID_Z_EN: 0
; COMPUTE_PGM_RSRC2:TIDIG_COMP_CNT: 0
	.section	.text._ZN7rocprim17ROCPRIM_400000_NS6detail17trampoline_kernelINS0_14default_configENS1_20scan_config_selectorIdEEZZNS1_9scan_implILNS1_25lookback_scan_determinismE0ELb0ELb0ES3_PKdPddZZZN2at6native31launch_logcumsumexp_cuda_kernelERKNSB_10TensorBaseESF_lENKUlvE_clEvENKUlvE_clEvEUlddE_dEEDaPvRmT3_T4_T5_mT6_P12ihipStream_tbENKUlT_T0_E_clISt17integral_constantIbLb0EESW_EEDaSR_SS_EUlSR_E0_NS1_11comp_targetILNS1_3genE3ELNS1_11target_archE908ELNS1_3gpuE7ELNS1_3repE0EEENS1_30default_config_static_selectorELNS0_4arch9wavefront6targetE1EEEvT1_,"axG",@progbits,_ZN7rocprim17ROCPRIM_400000_NS6detail17trampoline_kernelINS0_14default_configENS1_20scan_config_selectorIdEEZZNS1_9scan_implILNS1_25lookback_scan_determinismE0ELb0ELb0ES3_PKdPddZZZN2at6native31launch_logcumsumexp_cuda_kernelERKNSB_10TensorBaseESF_lENKUlvE_clEvENKUlvE_clEvEUlddE_dEEDaPvRmT3_T4_T5_mT6_P12ihipStream_tbENKUlT_T0_E_clISt17integral_constantIbLb0EESW_EEDaSR_SS_EUlSR_E0_NS1_11comp_targetILNS1_3genE3ELNS1_11target_archE908ELNS1_3gpuE7ELNS1_3repE0EEENS1_30default_config_static_selectorELNS0_4arch9wavefront6targetE1EEEvT1_,comdat
	.globl	_ZN7rocprim17ROCPRIM_400000_NS6detail17trampoline_kernelINS0_14default_configENS1_20scan_config_selectorIdEEZZNS1_9scan_implILNS1_25lookback_scan_determinismE0ELb0ELb0ES3_PKdPddZZZN2at6native31launch_logcumsumexp_cuda_kernelERKNSB_10TensorBaseESF_lENKUlvE_clEvENKUlvE_clEvEUlddE_dEEDaPvRmT3_T4_T5_mT6_P12ihipStream_tbENKUlT_T0_E_clISt17integral_constantIbLb0EESW_EEDaSR_SS_EUlSR_E0_NS1_11comp_targetILNS1_3genE3ELNS1_11target_archE908ELNS1_3gpuE7ELNS1_3repE0EEENS1_30default_config_static_selectorELNS0_4arch9wavefront6targetE1EEEvT1_ ; -- Begin function _ZN7rocprim17ROCPRIM_400000_NS6detail17trampoline_kernelINS0_14default_configENS1_20scan_config_selectorIdEEZZNS1_9scan_implILNS1_25lookback_scan_determinismE0ELb0ELb0ES3_PKdPddZZZN2at6native31launch_logcumsumexp_cuda_kernelERKNSB_10TensorBaseESF_lENKUlvE_clEvENKUlvE_clEvEUlddE_dEEDaPvRmT3_T4_T5_mT6_P12ihipStream_tbENKUlT_T0_E_clISt17integral_constantIbLb0EESW_EEDaSR_SS_EUlSR_E0_NS1_11comp_targetILNS1_3genE3ELNS1_11target_archE908ELNS1_3gpuE7ELNS1_3repE0EEENS1_30default_config_static_selectorELNS0_4arch9wavefront6targetE1EEEvT1_
	.p2align	8
	.type	_ZN7rocprim17ROCPRIM_400000_NS6detail17trampoline_kernelINS0_14default_configENS1_20scan_config_selectorIdEEZZNS1_9scan_implILNS1_25lookback_scan_determinismE0ELb0ELb0ES3_PKdPddZZZN2at6native31launch_logcumsumexp_cuda_kernelERKNSB_10TensorBaseESF_lENKUlvE_clEvENKUlvE_clEvEUlddE_dEEDaPvRmT3_T4_T5_mT6_P12ihipStream_tbENKUlT_T0_E_clISt17integral_constantIbLb0EESW_EEDaSR_SS_EUlSR_E0_NS1_11comp_targetILNS1_3genE3ELNS1_11target_archE908ELNS1_3gpuE7ELNS1_3repE0EEENS1_30default_config_static_selectorELNS0_4arch9wavefront6targetE1EEEvT1_,@function
_ZN7rocprim17ROCPRIM_400000_NS6detail17trampoline_kernelINS0_14default_configENS1_20scan_config_selectorIdEEZZNS1_9scan_implILNS1_25lookback_scan_determinismE0ELb0ELb0ES3_PKdPddZZZN2at6native31launch_logcumsumexp_cuda_kernelERKNSB_10TensorBaseESF_lENKUlvE_clEvENKUlvE_clEvEUlddE_dEEDaPvRmT3_T4_T5_mT6_P12ihipStream_tbENKUlT_T0_E_clISt17integral_constantIbLb0EESW_EEDaSR_SS_EUlSR_E0_NS1_11comp_targetILNS1_3genE3ELNS1_11target_archE908ELNS1_3gpuE7ELNS1_3repE0EEENS1_30default_config_static_selectorELNS0_4arch9wavefront6targetE1EEEvT1_: ; @_ZN7rocprim17ROCPRIM_400000_NS6detail17trampoline_kernelINS0_14default_configENS1_20scan_config_selectorIdEEZZNS1_9scan_implILNS1_25lookback_scan_determinismE0ELb0ELb0ES3_PKdPddZZZN2at6native31launch_logcumsumexp_cuda_kernelERKNSB_10TensorBaseESF_lENKUlvE_clEvENKUlvE_clEvEUlddE_dEEDaPvRmT3_T4_T5_mT6_P12ihipStream_tbENKUlT_T0_E_clISt17integral_constantIbLb0EESW_EEDaSR_SS_EUlSR_E0_NS1_11comp_targetILNS1_3genE3ELNS1_11target_archE908ELNS1_3gpuE7ELNS1_3repE0EEENS1_30default_config_static_selectorELNS0_4arch9wavefront6targetE1EEEvT1_
; %bb.0:
	.section	.rodata,"a",@progbits
	.p2align	6, 0x0
	.amdhsa_kernel _ZN7rocprim17ROCPRIM_400000_NS6detail17trampoline_kernelINS0_14default_configENS1_20scan_config_selectorIdEEZZNS1_9scan_implILNS1_25lookback_scan_determinismE0ELb0ELb0ES3_PKdPddZZZN2at6native31launch_logcumsumexp_cuda_kernelERKNSB_10TensorBaseESF_lENKUlvE_clEvENKUlvE_clEvEUlddE_dEEDaPvRmT3_T4_T5_mT6_P12ihipStream_tbENKUlT_T0_E_clISt17integral_constantIbLb0EESW_EEDaSR_SS_EUlSR_E0_NS1_11comp_targetILNS1_3genE3ELNS1_11target_archE908ELNS1_3gpuE7ELNS1_3repE0EEENS1_30default_config_static_selectorELNS0_4arch9wavefront6targetE1EEEvT1_
		.amdhsa_group_segment_fixed_size 0
		.amdhsa_private_segment_fixed_size 0
		.amdhsa_kernarg_size 40
		.amdhsa_user_sgpr_count 6
		.amdhsa_user_sgpr_private_segment_buffer 1
		.amdhsa_user_sgpr_dispatch_ptr 0
		.amdhsa_user_sgpr_queue_ptr 0
		.amdhsa_user_sgpr_kernarg_segment_ptr 1
		.amdhsa_user_sgpr_dispatch_id 0
		.amdhsa_user_sgpr_flat_scratch_init 0
		.amdhsa_user_sgpr_private_segment_size 0
		.amdhsa_uses_dynamic_stack 0
		.amdhsa_system_sgpr_private_segment_wavefront_offset 0
		.amdhsa_system_sgpr_workgroup_id_x 1
		.amdhsa_system_sgpr_workgroup_id_y 0
		.amdhsa_system_sgpr_workgroup_id_z 0
		.amdhsa_system_sgpr_workgroup_info 0
		.amdhsa_system_vgpr_workitem_id 0
		.amdhsa_next_free_vgpr 1
		.amdhsa_next_free_sgpr 0
		.amdhsa_reserve_vcc 0
		.amdhsa_reserve_flat_scratch 0
		.amdhsa_float_round_mode_32 0
		.amdhsa_float_round_mode_16_64 0
		.amdhsa_float_denorm_mode_32 3
		.amdhsa_float_denorm_mode_16_64 3
		.amdhsa_dx10_clamp 1
		.amdhsa_ieee_mode 1
		.amdhsa_fp16_overflow 0
		.amdhsa_exception_fp_ieee_invalid_op 0
		.amdhsa_exception_fp_denorm_src 0
		.amdhsa_exception_fp_ieee_div_zero 0
		.amdhsa_exception_fp_ieee_overflow 0
		.amdhsa_exception_fp_ieee_underflow 0
		.amdhsa_exception_fp_ieee_inexact 0
		.amdhsa_exception_int_div_zero 0
	.end_amdhsa_kernel
	.section	.text._ZN7rocprim17ROCPRIM_400000_NS6detail17trampoline_kernelINS0_14default_configENS1_20scan_config_selectorIdEEZZNS1_9scan_implILNS1_25lookback_scan_determinismE0ELb0ELb0ES3_PKdPddZZZN2at6native31launch_logcumsumexp_cuda_kernelERKNSB_10TensorBaseESF_lENKUlvE_clEvENKUlvE_clEvEUlddE_dEEDaPvRmT3_T4_T5_mT6_P12ihipStream_tbENKUlT_T0_E_clISt17integral_constantIbLb0EESW_EEDaSR_SS_EUlSR_E0_NS1_11comp_targetILNS1_3genE3ELNS1_11target_archE908ELNS1_3gpuE7ELNS1_3repE0EEENS1_30default_config_static_selectorELNS0_4arch9wavefront6targetE1EEEvT1_,"axG",@progbits,_ZN7rocprim17ROCPRIM_400000_NS6detail17trampoline_kernelINS0_14default_configENS1_20scan_config_selectorIdEEZZNS1_9scan_implILNS1_25lookback_scan_determinismE0ELb0ELb0ES3_PKdPddZZZN2at6native31launch_logcumsumexp_cuda_kernelERKNSB_10TensorBaseESF_lENKUlvE_clEvENKUlvE_clEvEUlddE_dEEDaPvRmT3_T4_T5_mT6_P12ihipStream_tbENKUlT_T0_E_clISt17integral_constantIbLb0EESW_EEDaSR_SS_EUlSR_E0_NS1_11comp_targetILNS1_3genE3ELNS1_11target_archE908ELNS1_3gpuE7ELNS1_3repE0EEENS1_30default_config_static_selectorELNS0_4arch9wavefront6targetE1EEEvT1_,comdat
.Lfunc_end21:
	.size	_ZN7rocprim17ROCPRIM_400000_NS6detail17trampoline_kernelINS0_14default_configENS1_20scan_config_selectorIdEEZZNS1_9scan_implILNS1_25lookback_scan_determinismE0ELb0ELb0ES3_PKdPddZZZN2at6native31launch_logcumsumexp_cuda_kernelERKNSB_10TensorBaseESF_lENKUlvE_clEvENKUlvE_clEvEUlddE_dEEDaPvRmT3_T4_T5_mT6_P12ihipStream_tbENKUlT_T0_E_clISt17integral_constantIbLb0EESW_EEDaSR_SS_EUlSR_E0_NS1_11comp_targetILNS1_3genE3ELNS1_11target_archE908ELNS1_3gpuE7ELNS1_3repE0EEENS1_30default_config_static_selectorELNS0_4arch9wavefront6targetE1EEEvT1_, .Lfunc_end21-_ZN7rocprim17ROCPRIM_400000_NS6detail17trampoline_kernelINS0_14default_configENS1_20scan_config_selectorIdEEZZNS1_9scan_implILNS1_25lookback_scan_determinismE0ELb0ELb0ES3_PKdPddZZZN2at6native31launch_logcumsumexp_cuda_kernelERKNSB_10TensorBaseESF_lENKUlvE_clEvENKUlvE_clEvEUlddE_dEEDaPvRmT3_T4_T5_mT6_P12ihipStream_tbENKUlT_T0_E_clISt17integral_constantIbLb0EESW_EEDaSR_SS_EUlSR_E0_NS1_11comp_targetILNS1_3genE3ELNS1_11target_archE908ELNS1_3gpuE7ELNS1_3repE0EEENS1_30default_config_static_selectorELNS0_4arch9wavefront6targetE1EEEvT1_
                                        ; -- End function
	.set _ZN7rocprim17ROCPRIM_400000_NS6detail17trampoline_kernelINS0_14default_configENS1_20scan_config_selectorIdEEZZNS1_9scan_implILNS1_25lookback_scan_determinismE0ELb0ELb0ES3_PKdPddZZZN2at6native31launch_logcumsumexp_cuda_kernelERKNSB_10TensorBaseESF_lENKUlvE_clEvENKUlvE_clEvEUlddE_dEEDaPvRmT3_T4_T5_mT6_P12ihipStream_tbENKUlT_T0_E_clISt17integral_constantIbLb0EESW_EEDaSR_SS_EUlSR_E0_NS1_11comp_targetILNS1_3genE3ELNS1_11target_archE908ELNS1_3gpuE7ELNS1_3repE0EEENS1_30default_config_static_selectorELNS0_4arch9wavefront6targetE1EEEvT1_.num_vgpr, 0
	.set _ZN7rocprim17ROCPRIM_400000_NS6detail17trampoline_kernelINS0_14default_configENS1_20scan_config_selectorIdEEZZNS1_9scan_implILNS1_25lookback_scan_determinismE0ELb0ELb0ES3_PKdPddZZZN2at6native31launch_logcumsumexp_cuda_kernelERKNSB_10TensorBaseESF_lENKUlvE_clEvENKUlvE_clEvEUlddE_dEEDaPvRmT3_T4_T5_mT6_P12ihipStream_tbENKUlT_T0_E_clISt17integral_constantIbLb0EESW_EEDaSR_SS_EUlSR_E0_NS1_11comp_targetILNS1_3genE3ELNS1_11target_archE908ELNS1_3gpuE7ELNS1_3repE0EEENS1_30default_config_static_selectorELNS0_4arch9wavefront6targetE1EEEvT1_.num_agpr, 0
	.set _ZN7rocprim17ROCPRIM_400000_NS6detail17trampoline_kernelINS0_14default_configENS1_20scan_config_selectorIdEEZZNS1_9scan_implILNS1_25lookback_scan_determinismE0ELb0ELb0ES3_PKdPddZZZN2at6native31launch_logcumsumexp_cuda_kernelERKNSB_10TensorBaseESF_lENKUlvE_clEvENKUlvE_clEvEUlddE_dEEDaPvRmT3_T4_T5_mT6_P12ihipStream_tbENKUlT_T0_E_clISt17integral_constantIbLb0EESW_EEDaSR_SS_EUlSR_E0_NS1_11comp_targetILNS1_3genE3ELNS1_11target_archE908ELNS1_3gpuE7ELNS1_3repE0EEENS1_30default_config_static_selectorELNS0_4arch9wavefront6targetE1EEEvT1_.numbered_sgpr, 0
	.set _ZN7rocprim17ROCPRIM_400000_NS6detail17trampoline_kernelINS0_14default_configENS1_20scan_config_selectorIdEEZZNS1_9scan_implILNS1_25lookback_scan_determinismE0ELb0ELb0ES3_PKdPddZZZN2at6native31launch_logcumsumexp_cuda_kernelERKNSB_10TensorBaseESF_lENKUlvE_clEvENKUlvE_clEvEUlddE_dEEDaPvRmT3_T4_T5_mT6_P12ihipStream_tbENKUlT_T0_E_clISt17integral_constantIbLb0EESW_EEDaSR_SS_EUlSR_E0_NS1_11comp_targetILNS1_3genE3ELNS1_11target_archE908ELNS1_3gpuE7ELNS1_3repE0EEENS1_30default_config_static_selectorELNS0_4arch9wavefront6targetE1EEEvT1_.num_named_barrier, 0
	.set _ZN7rocprim17ROCPRIM_400000_NS6detail17trampoline_kernelINS0_14default_configENS1_20scan_config_selectorIdEEZZNS1_9scan_implILNS1_25lookback_scan_determinismE0ELb0ELb0ES3_PKdPddZZZN2at6native31launch_logcumsumexp_cuda_kernelERKNSB_10TensorBaseESF_lENKUlvE_clEvENKUlvE_clEvEUlddE_dEEDaPvRmT3_T4_T5_mT6_P12ihipStream_tbENKUlT_T0_E_clISt17integral_constantIbLb0EESW_EEDaSR_SS_EUlSR_E0_NS1_11comp_targetILNS1_3genE3ELNS1_11target_archE908ELNS1_3gpuE7ELNS1_3repE0EEENS1_30default_config_static_selectorELNS0_4arch9wavefront6targetE1EEEvT1_.private_seg_size, 0
	.set _ZN7rocprim17ROCPRIM_400000_NS6detail17trampoline_kernelINS0_14default_configENS1_20scan_config_selectorIdEEZZNS1_9scan_implILNS1_25lookback_scan_determinismE0ELb0ELb0ES3_PKdPddZZZN2at6native31launch_logcumsumexp_cuda_kernelERKNSB_10TensorBaseESF_lENKUlvE_clEvENKUlvE_clEvEUlddE_dEEDaPvRmT3_T4_T5_mT6_P12ihipStream_tbENKUlT_T0_E_clISt17integral_constantIbLb0EESW_EEDaSR_SS_EUlSR_E0_NS1_11comp_targetILNS1_3genE3ELNS1_11target_archE908ELNS1_3gpuE7ELNS1_3repE0EEENS1_30default_config_static_selectorELNS0_4arch9wavefront6targetE1EEEvT1_.uses_vcc, 0
	.set _ZN7rocprim17ROCPRIM_400000_NS6detail17trampoline_kernelINS0_14default_configENS1_20scan_config_selectorIdEEZZNS1_9scan_implILNS1_25lookback_scan_determinismE0ELb0ELb0ES3_PKdPddZZZN2at6native31launch_logcumsumexp_cuda_kernelERKNSB_10TensorBaseESF_lENKUlvE_clEvENKUlvE_clEvEUlddE_dEEDaPvRmT3_T4_T5_mT6_P12ihipStream_tbENKUlT_T0_E_clISt17integral_constantIbLb0EESW_EEDaSR_SS_EUlSR_E0_NS1_11comp_targetILNS1_3genE3ELNS1_11target_archE908ELNS1_3gpuE7ELNS1_3repE0EEENS1_30default_config_static_selectorELNS0_4arch9wavefront6targetE1EEEvT1_.uses_flat_scratch, 0
	.set _ZN7rocprim17ROCPRIM_400000_NS6detail17trampoline_kernelINS0_14default_configENS1_20scan_config_selectorIdEEZZNS1_9scan_implILNS1_25lookback_scan_determinismE0ELb0ELb0ES3_PKdPddZZZN2at6native31launch_logcumsumexp_cuda_kernelERKNSB_10TensorBaseESF_lENKUlvE_clEvENKUlvE_clEvEUlddE_dEEDaPvRmT3_T4_T5_mT6_P12ihipStream_tbENKUlT_T0_E_clISt17integral_constantIbLb0EESW_EEDaSR_SS_EUlSR_E0_NS1_11comp_targetILNS1_3genE3ELNS1_11target_archE908ELNS1_3gpuE7ELNS1_3repE0EEENS1_30default_config_static_selectorELNS0_4arch9wavefront6targetE1EEEvT1_.has_dyn_sized_stack, 0
	.set _ZN7rocprim17ROCPRIM_400000_NS6detail17trampoline_kernelINS0_14default_configENS1_20scan_config_selectorIdEEZZNS1_9scan_implILNS1_25lookback_scan_determinismE0ELb0ELb0ES3_PKdPddZZZN2at6native31launch_logcumsumexp_cuda_kernelERKNSB_10TensorBaseESF_lENKUlvE_clEvENKUlvE_clEvEUlddE_dEEDaPvRmT3_T4_T5_mT6_P12ihipStream_tbENKUlT_T0_E_clISt17integral_constantIbLb0EESW_EEDaSR_SS_EUlSR_E0_NS1_11comp_targetILNS1_3genE3ELNS1_11target_archE908ELNS1_3gpuE7ELNS1_3repE0EEENS1_30default_config_static_selectorELNS0_4arch9wavefront6targetE1EEEvT1_.has_recursion, 0
	.set _ZN7rocprim17ROCPRIM_400000_NS6detail17trampoline_kernelINS0_14default_configENS1_20scan_config_selectorIdEEZZNS1_9scan_implILNS1_25lookback_scan_determinismE0ELb0ELb0ES3_PKdPddZZZN2at6native31launch_logcumsumexp_cuda_kernelERKNSB_10TensorBaseESF_lENKUlvE_clEvENKUlvE_clEvEUlddE_dEEDaPvRmT3_T4_T5_mT6_P12ihipStream_tbENKUlT_T0_E_clISt17integral_constantIbLb0EESW_EEDaSR_SS_EUlSR_E0_NS1_11comp_targetILNS1_3genE3ELNS1_11target_archE908ELNS1_3gpuE7ELNS1_3repE0EEENS1_30default_config_static_selectorELNS0_4arch9wavefront6targetE1EEEvT1_.has_indirect_call, 0
	.section	.AMDGPU.csdata,"",@progbits
; Kernel info:
; codeLenInByte = 0
; TotalNumSgprs: 4
; NumVgprs: 0
; ScratchSize: 0
; MemoryBound: 0
; FloatMode: 240
; IeeeMode: 1
; LDSByteSize: 0 bytes/workgroup (compile time only)
; SGPRBlocks: 0
; VGPRBlocks: 0
; NumSGPRsForWavesPerEU: 4
; NumVGPRsForWavesPerEU: 1
; Occupancy: 10
; WaveLimiterHint : 0
; COMPUTE_PGM_RSRC2:SCRATCH_EN: 0
; COMPUTE_PGM_RSRC2:USER_SGPR: 6
; COMPUTE_PGM_RSRC2:TRAP_HANDLER: 0
; COMPUTE_PGM_RSRC2:TGID_X_EN: 1
; COMPUTE_PGM_RSRC2:TGID_Y_EN: 0
; COMPUTE_PGM_RSRC2:TGID_Z_EN: 0
; COMPUTE_PGM_RSRC2:TIDIG_COMP_CNT: 0
	.section	.text._ZN7rocprim17ROCPRIM_400000_NS6detail17trampoline_kernelINS0_14default_configENS1_20scan_config_selectorIdEEZZNS1_9scan_implILNS1_25lookback_scan_determinismE0ELb0ELb0ES3_PKdPddZZZN2at6native31launch_logcumsumexp_cuda_kernelERKNSB_10TensorBaseESF_lENKUlvE_clEvENKUlvE_clEvEUlddE_dEEDaPvRmT3_T4_T5_mT6_P12ihipStream_tbENKUlT_T0_E_clISt17integral_constantIbLb0EESW_EEDaSR_SS_EUlSR_E0_NS1_11comp_targetILNS1_3genE2ELNS1_11target_archE906ELNS1_3gpuE6ELNS1_3repE0EEENS1_30default_config_static_selectorELNS0_4arch9wavefront6targetE1EEEvT1_,"axG",@progbits,_ZN7rocprim17ROCPRIM_400000_NS6detail17trampoline_kernelINS0_14default_configENS1_20scan_config_selectorIdEEZZNS1_9scan_implILNS1_25lookback_scan_determinismE0ELb0ELb0ES3_PKdPddZZZN2at6native31launch_logcumsumexp_cuda_kernelERKNSB_10TensorBaseESF_lENKUlvE_clEvENKUlvE_clEvEUlddE_dEEDaPvRmT3_T4_T5_mT6_P12ihipStream_tbENKUlT_T0_E_clISt17integral_constantIbLb0EESW_EEDaSR_SS_EUlSR_E0_NS1_11comp_targetILNS1_3genE2ELNS1_11target_archE906ELNS1_3gpuE6ELNS1_3repE0EEENS1_30default_config_static_selectorELNS0_4arch9wavefront6targetE1EEEvT1_,comdat
	.globl	_ZN7rocprim17ROCPRIM_400000_NS6detail17trampoline_kernelINS0_14default_configENS1_20scan_config_selectorIdEEZZNS1_9scan_implILNS1_25lookback_scan_determinismE0ELb0ELb0ES3_PKdPddZZZN2at6native31launch_logcumsumexp_cuda_kernelERKNSB_10TensorBaseESF_lENKUlvE_clEvENKUlvE_clEvEUlddE_dEEDaPvRmT3_T4_T5_mT6_P12ihipStream_tbENKUlT_T0_E_clISt17integral_constantIbLb0EESW_EEDaSR_SS_EUlSR_E0_NS1_11comp_targetILNS1_3genE2ELNS1_11target_archE906ELNS1_3gpuE6ELNS1_3repE0EEENS1_30default_config_static_selectorELNS0_4arch9wavefront6targetE1EEEvT1_ ; -- Begin function _ZN7rocprim17ROCPRIM_400000_NS6detail17trampoline_kernelINS0_14default_configENS1_20scan_config_selectorIdEEZZNS1_9scan_implILNS1_25lookback_scan_determinismE0ELb0ELb0ES3_PKdPddZZZN2at6native31launch_logcumsumexp_cuda_kernelERKNSB_10TensorBaseESF_lENKUlvE_clEvENKUlvE_clEvEUlddE_dEEDaPvRmT3_T4_T5_mT6_P12ihipStream_tbENKUlT_T0_E_clISt17integral_constantIbLb0EESW_EEDaSR_SS_EUlSR_E0_NS1_11comp_targetILNS1_3genE2ELNS1_11target_archE906ELNS1_3gpuE6ELNS1_3repE0EEENS1_30default_config_static_selectorELNS0_4arch9wavefront6targetE1EEEvT1_
	.p2align	8
	.type	_ZN7rocprim17ROCPRIM_400000_NS6detail17trampoline_kernelINS0_14default_configENS1_20scan_config_selectorIdEEZZNS1_9scan_implILNS1_25lookback_scan_determinismE0ELb0ELb0ES3_PKdPddZZZN2at6native31launch_logcumsumexp_cuda_kernelERKNSB_10TensorBaseESF_lENKUlvE_clEvENKUlvE_clEvEUlddE_dEEDaPvRmT3_T4_T5_mT6_P12ihipStream_tbENKUlT_T0_E_clISt17integral_constantIbLb0EESW_EEDaSR_SS_EUlSR_E0_NS1_11comp_targetILNS1_3genE2ELNS1_11target_archE906ELNS1_3gpuE6ELNS1_3repE0EEENS1_30default_config_static_selectorELNS0_4arch9wavefront6targetE1EEEvT1_,@function
_ZN7rocprim17ROCPRIM_400000_NS6detail17trampoline_kernelINS0_14default_configENS1_20scan_config_selectorIdEEZZNS1_9scan_implILNS1_25lookback_scan_determinismE0ELb0ELb0ES3_PKdPddZZZN2at6native31launch_logcumsumexp_cuda_kernelERKNSB_10TensorBaseESF_lENKUlvE_clEvENKUlvE_clEvEUlddE_dEEDaPvRmT3_T4_T5_mT6_P12ihipStream_tbENKUlT_T0_E_clISt17integral_constantIbLb0EESW_EEDaSR_SS_EUlSR_E0_NS1_11comp_targetILNS1_3genE2ELNS1_11target_archE906ELNS1_3gpuE6ELNS1_3repE0EEENS1_30default_config_static_selectorELNS0_4arch9wavefront6targetE1EEEvT1_: ; @_ZN7rocprim17ROCPRIM_400000_NS6detail17trampoline_kernelINS0_14default_configENS1_20scan_config_selectorIdEEZZNS1_9scan_implILNS1_25lookback_scan_determinismE0ELb0ELb0ES3_PKdPddZZZN2at6native31launch_logcumsumexp_cuda_kernelERKNSB_10TensorBaseESF_lENKUlvE_clEvENKUlvE_clEvEUlddE_dEEDaPvRmT3_T4_T5_mT6_P12ihipStream_tbENKUlT_T0_E_clISt17integral_constantIbLb0EESW_EEDaSR_SS_EUlSR_E0_NS1_11comp_targetILNS1_3genE2ELNS1_11target_archE906ELNS1_3gpuE6ELNS1_3repE0EEENS1_30default_config_static_selectorELNS0_4arch9wavefront6targetE1EEEvT1_
; %bb.0:
	s_load_dwordx4 s[20:23], s[4:5], 0x0
	v_lshlrev_b32_e32 v57, 3, v0
	s_waitcnt lgkmcnt(0)
	s_load_dwordx2 s[18:19], s[20:21], 0x0
	v_cmp_gt_u32_e32 vcc, s22, v0
	s_waitcnt lgkmcnt(0)
	v_mov_b32_e32 v1, s18
	v_mov_b32_e32 v2, s19
	s_and_saveexec_b64 s[0:1], vcc
	s_cbranch_execz .LBB22_2
; %bb.1:
	global_load_dwordx2 v[1:2], v57, s[20:21]
.LBB22_2:
	s_or_b64 exec, exec, s[0:1]
	v_or_b32_e32 v3, 0x80, v0
	v_cmp_gt_u32_e64 s[0:1], s22, v3
	v_mov_b32_e32 v3, s18
	v_mov_b32_e32 v4, s19
	s_and_saveexec_b64 s[2:3], s[0:1]
	s_cbranch_execz .LBB22_4
; %bb.3:
	global_load_dwordx2 v[3:4], v57, s[20:21] offset:1024
.LBB22_4:
	s_or_b64 exec, exec, s[2:3]
	v_or_b32_e32 v5, 0x100, v0
	v_cmp_gt_u32_e64 s[2:3], s22, v5
	v_mov_b32_e32 v5, s18
	v_mov_b32_e32 v6, s19
	s_and_saveexec_b64 s[6:7], s[2:3]
	s_cbranch_execz .LBB22_6
; %bb.5:
	global_load_dwordx2 v[5:6], v57, s[20:21] offset:2048
.LBB22_6:
	;; [unrolled: 10-line block ×3, first 2 shown]
	s_or_b64 exec, exec, s[6:7]
	v_or_b32_e32 v11, 0x200, v0
	v_mov_b32_e32 v9, s18
	v_cmp_gt_u32_e64 s[6:7], s22, v11
	v_mov_b32_e32 v10, s19
	s_and_saveexec_b64 s[8:9], s[6:7]
	s_cbranch_execz .LBB22_10
; %bb.9:
	v_lshlrev_b32_e32 v9, 3, v11
	global_load_dwordx2 v[9:10], v9, s[20:21]
.LBB22_10:
	s_or_b64 exec, exec, s[8:9]
	v_or_b32_e32 v13, 0x280, v0
	v_mov_b32_e32 v11, s18
	v_cmp_gt_u32_e64 s[8:9], s22, v13
	v_mov_b32_e32 v12, s19
	s_and_saveexec_b64 s[10:11], s[8:9]
	s_cbranch_execz .LBB22_12
; %bb.11:
	v_lshlrev_b32_e32 v11, 3, v13
	global_load_dwordx2 v[11:12], v11, s[20:21]
.LBB22_12:
	;; [unrolled: 11-line block ×6, first 2 shown]
	s_or_b64 exec, exec, s[18:19]
	s_movk_i32 s18, 0x48
	s_waitcnt vmcnt(0)
	ds_write2st64_b64 v57, v[1:2], v[3:4] offset1:2
	ds_write2st64_b64 v57, v[5:6], v[7:8] offset0:4 offset1:6
	ds_write2st64_b64 v57, v[9:10], v[11:12] offset0:8 offset1:10
	;; [unrolled: 1-line block ×4, first 2 shown]
	v_mad_u32_u24 v5, v0, s18, v57
	s_waitcnt lgkmcnt(0)
	s_barrier
	ds_read_b128 v[1:4], v5
	ds_read_b128 v[17:20], v5 offset:16
	s_movk_i32 s30, 0x1f8
	s_waitcnt lgkmcnt(1)
	v_max_f64 v[29:30], v[3:4], v[3:4]
	v_max_f64 v[47:48], v[1:2], v[1:2]
	v_cmp_u_f64_e64 s[38:39], v[1:2], v[1:2]
	v_cmp_u_f64_e64 s[18:19], v[3:4], v[3:4]
	v_mov_b32_e32 v50, v2
	v_mov_b32_e32 v49, v1
	v_min_f64 v[43:44], v[47:48], v[29:30]
	v_max_f64 v[45:46], v[47:48], v[29:30]
	v_cndmask_b32_e64 v6, v43, v1, s[38:39]
	v_cndmask_b32_e64 v7, v44, v2, s[38:39]
	;; [unrolled: 1-line block ×8, first 2 shown]
	v_cmp_neq_f64_e64 s[20:21], v[23:24], v[21:22]
	v_cmp_class_f64_e64 s[22:23], v[23:24], s30
	ds_read_b128 v[13:16], v5 offset:32
	ds_read_b128 v[9:12], v5 offset:48
	;; [unrolled: 1-line block ×3, first 2 shown]
	s_waitcnt lgkmcnt(0)
	s_barrier
	s_or_b64 s[20:21], s[20:21], s[22:23]
	s_and_saveexec_b64 s[24:25], s[20:21]
	s_cbranch_execz .LBB22_22
; %bb.21:
	v_add_f64 v[23:24], v[23:24], -v[21:22]
	s_mov_b32 s20, 0x652b82fe
	s_mov_b32 s21, 0x3ff71547
	;; [unrolled: 1-line block ×6, first 2 shown]
	v_mov_b32_e32 v31, 0xfca7ab0c
	v_mul_f64 v[25:26], v[23:24], s[20:21]
	s_mov_b32 s20, 0x6a5dcb37
	v_mov_b32_e32 v32, 0x3e928af3
	s_mov_b32 s21, 0x3e5ade15
	s_mov_b32 s22, 0
	;; [unrolled: 1-line block ×3, first 2 shown]
	v_cmp_ngt_f64_e64 s[22:23], s[22:23], v[23:24]
	v_mov_b32_e32 v55, 0x7ff00000
	v_rndne_f64_e32 v[25:26], v[25:26]
	v_fma_f64 v[27:28], v[25:26], s[26:27], v[23:24]
	s_mov_b32 s27, 0x3fe62e42
	v_fma_f64 v[27:28], v[25:26], s[28:29], v[27:28]
	v_cvt_i32_f64_e32 v25, v[25:26]
	s_mov_b32 s29, 0x3c7abc9e
	v_fma_f64 v[31:32], v[27:28], s[20:21], v[31:32]
	s_mov_b32 s20, 0x623fde64
	s_mov_b32 s21, 0x3ec71dee
	v_fma_f64 v[31:32], v[27:28], v[31:32], s[20:21]
	s_mov_b32 s20, 0x7c89e6b0
	;; [unrolled: 3-line block ×9, first 2 shown]
	s_mov_b32 s21, 0x40900000
	v_cmp_nlt_f64_e64 s[20:21], s[20:21], v[23:24]
	v_fma_f64 v[31:32], v[27:28], v[31:32], 1.0
	v_fma_f64 v[27:28], v[27:28], v[31:32], 1.0
	v_ldexp_f64 v[25:26], v[27:28], v25
	v_cndmask_b32_e64 v26, v55, v26, s[20:21]
	s_and_b64 s[20:21], s[22:23], s[20:21]
	v_cndmask_b32_e64 v24, 0, v26, s[22:23]
	v_cndmask_b32_e64 v23, 0, v25, s[20:21]
	v_add_f64 v[25:26], v[23:24], 1.0
	s_mov_b32 s23, 0x3fe55555
	s_mov_b32 s22, 0x55555555
	v_frexp_mant_f64_e32 v[31:32], v[25:26]
	v_frexp_exp_i32_f64_e32 v35, v[25:26]
	v_add_f64 v[27:28], v[25:26], -1.0
	v_cmp_gt_f64_e64 s[20:21], s[22:23], v[31:32]
	s_mov_b32 s22, 0x55555780
	v_add_f64 v[33:34], v[27:28], -v[25:26]
	v_add_f64 v[27:28], v[23:24], -v[27:28]
	v_subbrev_co_u32_e64 v56, s[20:21], 0, v35, s[20:21]
	v_sub_u32_e32 v35, 0, v56
	v_ldexp_f64 v[25:26], v[25:26], v35
	v_add_f64 v[31:32], v[33:34], 1.0
	s_mov_b32 s20, 0xbf559e2b
	s_mov_b32 s21, 0x3fc3ab76
	v_add_f64 v[33:34], v[25:26], 1.0
	v_add_f64 v[27:28], v[27:28], v[31:32]
	v_add_f64 v[39:40], v[25:26], -1.0
	v_add_f64 v[31:32], v[33:34], -1.0
	v_ldexp_f64 v[27:28], v[27:28], v35
	v_add_f64 v[41:42], v[39:40], 1.0
	v_add_f64 v[31:32], v[25:26], -v[31:32]
	v_add_f64 v[25:26], v[25:26], -v[41:42]
	v_add_f64 v[31:32], v[27:28], v[31:32]
	v_add_f64 v[25:26], v[27:28], v[25:26]
	;; [unrolled: 1-line block ×4, first 2 shown]
	v_rcp_f64_e32 v[37:38], v[35:36]
	v_add_f64 v[33:34], v[35:36], -v[33:34]
	v_add_f64 v[39:40], v[41:42], -v[39:40]
	;; [unrolled: 1-line block ×4, first 2 shown]
	v_fma_f64 v[49:50], -v[35:36], v[37:38], 1.0
	v_fma_f64 v[37:38], v[49:50], v[37:38], v[37:38]
	v_fma_f64 v[27:28], -v[35:36], v[37:38], 1.0
	v_fma_f64 v[27:28], v[27:28], v[37:38], v[37:38]
	v_mul_f64 v[37:38], v[41:42], v[27:28]
	v_mul_f64 v[49:50], v[35:36], v[37:38]
	v_fma_f64 v[33:34], v[37:38], v[35:36], -v[49:50]
	v_fma_f64 v[33:34], v[37:38], v[31:32], v[33:34]
	v_add_f64 v[51:52], v[49:50], v[33:34]
	v_add_f64 v[53:54], v[41:42], -v[51:52]
	v_add_f64 v[39:40], v[51:52], -v[49:50]
	;; [unrolled: 1-line block ×5, first 2 shown]
	v_add_f64 v[25:26], v[25:26], v[41:42]
	v_add_f64 v[25:26], v[33:34], v[25:26]
	;; [unrolled: 1-line block ×3, first 2 shown]
	v_mul_f64 v[39:40], v[27:28], v[33:34]
	v_add_f64 v[51:52], v[53:54], -v[33:34]
	v_mul_f64 v[41:42], v[35:36], v[39:40]
	v_add_f64 v[25:26], v[25:26], v[51:52]
	v_fma_f64 v[35:36], v[39:40], v[35:36], -v[41:42]
	v_fma_f64 v[31:32], v[39:40], v[31:32], v[35:36]
	v_add_f64 v[35:36], v[41:42], v[31:32]
	v_add_f64 v[49:50], v[33:34], -v[35:36]
	v_add_f64 v[41:42], v[35:36], -v[41:42]
	;; [unrolled: 1-line block ×5, first 2 shown]
	v_mov_b32_e32 v35, 0x6b47b09a
	v_mov_b32_e32 v36, 0x3fc38538
	v_add_f64 v[25:26], v[25:26], v[33:34]
	v_add_f64 v[33:34], v[37:38], v[39:40]
	;; [unrolled: 1-line block ×3, first 2 shown]
	v_add_f64 v[31:32], v[33:34], -v[37:38]
	v_add_f64 v[25:26], v[49:50], v[25:26]
	v_add_f64 v[31:32], v[39:40], -v[31:32]
	v_mul_f64 v[25:26], v[27:28], v[25:26]
	v_add_f64 v[25:26], v[31:32], v[25:26]
	v_add_f64 v[27:28], v[33:34], v[25:26]
	v_mul_f64 v[31:32], v[27:28], v[27:28]
	v_fma_f64 v[35:36], v[31:32], s[20:21], v[35:36]
	s_mov_b32 s20, 0xd7f4df2e
	s_mov_b32 s21, 0x3fc7474d
	v_mul_f64 v[37:38], v[27:28], v[31:32]
	v_fma_f64 v[35:36], v[31:32], v[35:36], s[20:21]
	s_mov_b32 s20, 0x16291751
	s_mov_b32 s21, 0x3fcc71c0
	v_fma_f64 v[35:36], v[31:32], v[35:36], s[20:21]
	s_mov_b32 s20, 0x9b27acf1
	s_mov_b32 s21, 0x3fd24924
	;; [unrolled: 3-line block ×3, first 2 shown]
	v_fma_f64 v[35:36], v[31:32], v[35:36], s[20:21]
	v_cmp_nge_f64_e64 s[20:21], -1.0, v[23:24]
	v_fma_f64 v[31:32], v[31:32], v[35:36], s[22:23]
	v_ldexp_f64 v[35:36], v[27:28], 1
	v_add_f64 v[27:28], v[27:28], -v[33:34]
	s_mov_b32 s22, 0
	s_mov_b32 s23, 0x7ff00000
	v_cmp_neq_f64_e64 s[22:23], s[22:23], v[23:24]
	v_mul_f64 v[31:32], v[37:38], v[31:32]
	v_cvt_f64_i32_e32 v[37:38], v56
	v_add_f64 v[25:26], v[25:26], -v[27:28]
	v_mul_f64 v[39:40], v[37:38], s[26:27]
	s_and_b64 s[20:21], s[20:21], s[22:23]
	v_add_f64 v[33:34], v[35:36], v[31:32]
	v_ldexp_f64 v[25:26], v[25:26], 1
	v_add_f64 v[27:28], v[33:34], -v[35:36]
	v_fma_f64 v[35:36], v[37:38], s[26:27], -v[39:40]
	v_add_f64 v[27:28], v[31:32], -v[27:28]
	v_fma_f64 v[31:32], v[37:38], s[28:29], v[35:36]
	v_add_f64 v[25:26], v[25:26], v[27:28]
	v_add_f64 v[27:28], v[39:40], v[31:32]
	;; [unrolled: 1-line block ×3, first 2 shown]
	v_add_f64 v[39:40], v[27:28], -v[39:40]
	v_add_f64 v[37:38], v[27:28], v[35:36]
	v_add_f64 v[33:34], v[35:36], -v[33:34]
	v_add_f64 v[31:32], v[31:32], -v[39:40]
	;; [unrolled: 1-line block ×6, first 2 shown]
	v_add_f64 v[35:36], v[31:32], v[25:26]
	v_add_f64 v[27:28], v[27:28], -v[49:50]
	v_add_f64 v[27:28], v[33:34], v[27:28]
	v_add_f64 v[33:34], v[35:36], -v[31:32]
	;; [unrolled: 2-line block ×3, first 2 shown]
	v_add_f64 v[25:26], v[25:26], -v[33:34]
	v_add_f64 v[39:40], v[37:38], v[27:28]
	v_add_f64 v[31:32], v[31:32], -v[35:36]
	v_add_f64 v[33:34], v[39:40], -v[37:38]
	v_add_f64 v[25:26], v[25:26], v[31:32]
	v_add_f64 v[27:28], v[27:28], -v[33:34]
	v_add_f64 v[25:26], v[25:26], v[27:28]
	v_mov_b32_e32 v27, 0x7ff80000
	v_mov_b32_e32 v28, 0xfff00000
	v_add_f64 v[25:26], v[39:40], v[25:26]
	v_cndmask_b32_e64 v25, 0, v25, s[20:21]
	v_cmp_ngt_f64_e64 s[20:21], -1.0, v[23:24]
	v_cndmask_b32_e64 v26, v55, v26, s[22:23]
	v_cndmask_b32_e64 v26, v27, v26, s[20:21]
	v_cmp_neq_f64_e64 s[20:21], -1.0, v[23:24]
	v_cndmask_b32_e64 v26, v28, v26, s[20:21]
	v_add_f64 v[49:50], v[21:22], v[25:26]
.LBB22_22:
	s_or_b64 exec, exec, s[24:25]
	v_max_f64 v[25:26], v[17:18], v[17:18]
	v_max_f64 v[21:22], v[49:50], v[49:50]
	v_cmp_u_f64_e64 s[20:21], v[49:50], v[49:50]
	v_cmp_u_f64_e64 s[22:23], v[17:18], v[17:18]
	v_min_f64 v[23:24], v[21:22], v[25:26]
	v_max_f64 v[21:22], v[21:22], v[25:26]
	v_cndmask_b32_e64 v23, v23, v49, s[20:21]
	v_cndmask_b32_e64 v24, v24, v50, s[20:21]
	;; [unrolled: 1-line block ×8, first 2 shown]
	v_cmp_neq_f64_e64 s[20:21], v[23:24], v[21:22]
	v_cmp_class_f64_e64 s[24:25], v[23:24], s30
	s_or_b64 s[20:21], s[20:21], s[24:25]
	s_and_saveexec_b64 s[26:27], s[20:21]
	s_cbranch_execz .LBB22_24
; %bb.23:
	v_add_f64 v[23:24], v[23:24], -v[21:22]
	s_mov_b32 s20, 0x652b82fe
	s_mov_b32 s21, 0x3ff71547
	;; [unrolled: 1-line block ×6, first 2 shown]
	v_mov_b32_e32 v33, 0xfca7ab0c
	v_mul_f64 v[27:28], v[23:24], s[20:21]
	s_mov_b32 s20, 0x6a5dcb37
	v_mov_b32_e32 v34, 0x3e928af3
	s_mov_b32 s21, 0x3e5ade15
	s_mov_b32 s24, 0
	;; [unrolled: 1-line block ×3, first 2 shown]
	v_cmp_ngt_f64_e64 s[24:25], s[24:25], v[23:24]
	v_mov_b32_e32 v58, 0x7ff00000
	v_rndne_f64_e32 v[27:28], v[27:28]
	v_fma_f64 v[31:32], v[27:28], s[28:29], v[23:24]
	s_mov_b32 s29, 0x3fe62e42
	v_fma_f64 v[31:32], v[27:28], s[30:31], v[31:32]
	v_cvt_i32_f64_e32 v27, v[27:28]
	s_mov_b32 s31, 0x3c7abc9e
	v_fma_f64 v[33:34], v[31:32], s[20:21], v[33:34]
	s_mov_b32 s20, 0x623fde64
	s_mov_b32 s21, 0x3ec71dee
	v_fma_f64 v[33:34], v[31:32], v[33:34], s[20:21]
	s_mov_b32 s20, 0x7c89e6b0
	;; [unrolled: 3-line block ×9, first 2 shown]
	s_mov_b32 s21, 0x40900000
	v_cmp_nlt_f64_e64 s[20:21], s[20:21], v[23:24]
	v_fma_f64 v[33:34], v[31:32], v[33:34], 1.0
	v_fma_f64 v[31:32], v[31:32], v[33:34], 1.0
	v_ldexp_f64 v[27:28], v[31:32], v27
	v_cndmask_b32_e64 v28, v58, v28, s[20:21]
	s_and_b64 s[20:21], s[24:25], s[20:21]
	v_cndmask_b32_e64 v24, 0, v28, s[24:25]
	v_cndmask_b32_e64 v23, 0, v27, s[20:21]
	v_add_f64 v[27:28], v[23:24], 1.0
	s_mov_b32 s25, 0x3fe55555
	s_mov_b32 s24, 0x55555555
	v_frexp_mant_f64_e32 v[33:34], v[27:28]
	v_frexp_exp_i32_f64_e32 v37, v[27:28]
	v_add_f64 v[31:32], v[27:28], -1.0
	v_cmp_gt_f64_e64 s[20:21], s[24:25], v[33:34]
	s_mov_b32 s24, 0x55555780
	v_add_f64 v[35:36], v[31:32], -v[27:28]
	v_add_f64 v[31:32], v[23:24], -v[31:32]
	v_subbrev_co_u32_e64 v59, s[20:21], 0, v37, s[20:21]
	v_sub_u32_e32 v37, 0, v59
	v_ldexp_f64 v[27:28], v[27:28], v37
	v_add_f64 v[33:34], v[35:36], 1.0
	s_mov_b32 s20, 0xbf559e2b
	s_mov_b32 s21, 0x3fc3ab76
	v_add_f64 v[35:36], v[27:28], 1.0
	v_add_f64 v[31:32], v[31:32], v[33:34]
	v_add_f64 v[41:42], v[27:28], -1.0
	v_add_f64 v[33:34], v[35:36], -1.0
	v_ldexp_f64 v[31:32], v[31:32], v37
	v_add_f64 v[49:50], v[41:42], 1.0
	v_add_f64 v[33:34], v[27:28], -v[33:34]
	v_add_f64 v[27:28], v[27:28], -v[49:50]
	v_add_f64 v[33:34], v[31:32], v[33:34]
	v_add_f64 v[27:28], v[31:32], v[27:28]
	;; [unrolled: 1-line block ×4, first 2 shown]
	v_rcp_f64_e32 v[39:40], v[37:38]
	v_add_f64 v[35:36], v[37:38], -v[35:36]
	v_add_f64 v[41:42], v[49:50], -v[41:42]
	;; [unrolled: 1-line block ×4, first 2 shown]
	v_fma_f64 v[51:52], -v[37:38], v[39:40], 1.0
	v_fma_f64 v[39:40], v[51:52], v[39:40], v[39:40]
	v_fma_f64 v[31:32], -v[37:38], v[39:40], 1.0
	v_fma_f64 v[31:32], v[31:32], v[39:40], v[39:40]
	v_mul_f64 v[39:40], v[49:50], v[31:32]
	v_mul_f64 v[51:52], v[37:38], v[39:40]
	v_fma_f64 v[35:36], v[39:40], v[37:38], -v[51:52]
	v_fma_f64 v[35:36], v[39:40], v[33:34], v[35:36]
	v_add_f64 v[53:54], v[51:52], v[35:36]
	v_add_f64 v[55:56], v[49:50], -v[53:54]
	v_add_f64 v[41:42], v[53:54], -v[51:52]
	;; [unrolled: 1-line block ×5, first 2 shown]
	v_add_f64 v[27:28], v[27:28], v[49:50]
	v_add_f64 v[27:28], v[35:36], v[27:28]
	;; [unrolled: 1-line block ×3, first 2 shown]
	v_mul_f64 v[41:42], v[31:32], v[35:36]
	v_add_f64 v[53:54], v[55:56], -v[35:36]
	v_mul_f64 v[49:50], v[37:38], v[41:42]
	v_add_f64 v[27:28], v[27:28], v[53:54]
	v_fma_f64 v[37:38], v[41:42], v[37:38], -v[49:50]
	v_fma_f64 v[33:34], v[41:42], v[33:34], v[37:38]
	v_add_f64 v[37:38], v[49:50], v[33:34]
	v_add_f64 v[51:52], v[35:36], -v[37:38]
	v_add_f64 v[49:50], v[37:38], -v[49:50]
	;; [unrolled: 1-line block ×5, first 2 shown]
	v_mov_b32_e32 v37, 0x6b47b09a
	v_mov_b32_e32 v38, 0x3fc38538
	v_add_f64 v[27:28], v[27:28], v[35:36]
	v_add_f64 v[35:36], v[39:40], v[41:42]
	;; [unrolled: 1-line block ×3, first 2 shown]
	v_add_f64 v[33:34], v[35:36], -v[39:40]
	v_add_f64 v[27:28], v[51:52], v[27:28]
	v_add_f64 v[33:34], v[41:42], -v[33:34]
	v_mul_f64 v[27:28], v[31:32], v[27:28]
	v_add_f64 v[27:28], v[33:34], v[27:28]
	v_add_f64 v[31:32], v[35:36], v[27:28]
	v_mul_f64 v[33:34], v[31:32], v[31:32]
	v_fma_f64 v[37:38], v[33:34], s[20:21], v[37:38]
	s_mov_b32 s20, 0xd7f4df2e
	s_mov_b32 s21, 0x3fc7474d
	v_mul_f64 v[39:40], v[31:32], v[33:34]
	v_fma_f64 v[37:38], v[33:34], v[37:38], s[20:21]
	s_mov_b32 s20, 0x16291751
	s_mov_b32 s21, 0x3fcc71c0
	v_fma_f64 v[37:38], v[33:34], v[37:38], s[20:21]
	s_mov_b32 s20, 0x9b27acf1
	s_mov_b32 s21, 0x3fd24924
	;; [unrolled: 3-line block ×3, first 2 shown]
	v_fma_f64 v[37:38], v[33:34], v[37:38], s[20:21]
	v_cmp_nge_f64_e64 s[20:21], -1.0, v[23:24]
	v_fma_f64 v[33:34], v[33:34], v[37:38], s[24:25]
	v_ldexp_f64 v[37:38], v[31:32], 1
	v_add_f64 v[31:32], v[31:32], -v[35:36]
	s_mov_b32 s24, 0
	s_mov_b32 s25, 0x7ff00000
	v_cmp_neq_f64_e64 s[24:25], s[24:25], v[23:24]
	v_mul_f64 v[33:34], v[39:40], v[33:34]
	v_cvt_f64_i32_e32 v[39:40], v59
	v_add_f64 v[27:28], v[27:28], -v[31:32]
	v_mul_f64 v[41:42], v[39:40], s[28:29]
	s_and_b64 s[20:21], s[20:21], s[24:25]
	v_add_f64 v[35:36], v[37:38], v[33:34]
	v_ldexp_f64 v[27:28], v[27:28], 1
	v_add_f64 v[31:32], v[35:36], -v[37:38]
	v_fma_f64 v[37:38], v[39:40], s[28:29], -v[41:42]
	v_add_f64 v[31:32], v[33:34], -v[31:32]
	v_fma_f64 v[33:34], v[39:40], s[30:31], v[37:38]
	v_add_f64 v[27:28], v[27:28], v[31:32]
	v_add_f64 v[31:32], v[41:42], v[33:34]
	;; [unrolled: 1-line block ×3, first 2 shown]
	v_add_f64 v[41:42], v[31:32], -v[41:42]
	v_add_f64 v[39:40], v[31:32], v[37:38]
	v_add_f64 v[35:36], v[37:38], -v[35:36]
	v_add_f64 v[33:34], v[33:34], -v[41:42]
	;; [unrolled: 1-line block ×6, first 2 shown]
	v_add_f64 v[37:38], v[33:34], v[27:28]
	v_add_f64 v[31:32], v[31:32], -v[51:52]
	v_add_f64 v[31:32], v[35:36], v[31:32]
	v_add_f64 v[35:36], v[37:38], -v[33:34]
	v_add_f64 v[31:32], v[37:38], v[31:32]
	v_add_f64 v[37:38], v[37:38], -v[35:36]
	v_add_f64 v[27:28], v[27:28], -v[35:36]
	v_add_f64 v[41:42], v[39:40], v[31:32]
	v_add_f64 v[33:34], v[33:34], -v[37:38]
	v_add_f64 v[35:36], v[41:42], -v[39:40]
	v_add_f64 v[27:28], v[27:28], v[33:34]
	v_add_f64 v[31:32], v[31:32], -v[35:36]
	v_add_f64 v[27:28], v[27:28], v[31:32]
	v_mov_b32_e32 v31, 0x7ff80000
	v_mov_b32_e32 v32, 0xfff00000
	v_add_f64 v[27:28], v[41:42], v[27:28]
	v_cndmask_b32_e64 v27, 0, v27, s[20:21]
	v_cmp_ngt_f64_e64 s[20:21], -1.0, v[23:24]
	v_cndmask_b32_e64 v28, v58, v28, s[24:25]
	v_cndmask_b32_e64 v28, v31, v28, s[20:21]
	v_cmp_neq_f64_e64 s[20:21], -1.0, v[23:24]
	v_cndmask_b32_e64 v28, v32, v28, s[20:21]
	v_add_f64 v[49:50], v[21:22], v[27:28]
.LBB22_24:
	s_or_b64 exec, exec, s[26:27]
	v_max_f64 v[27:28], v[19:20], v[19:20]
	v_max_f64 v[21:22], v[49:50], v[49:50]
	v_cmp_u_f64_e64 s[24:25], v[49:50], v[49:50]
	v_cmp_u_f64_e64 s[20:21], v[19:20], v[19:20]
	s_movk_i32 s33, 0x1f8
	v_min_f64 v[23:24], v[21:22], v[27:28]
	v_max_f64 v[21:22], v[21:22], v[27:28]
	v_cndmask_b32_e64 v23, v23, v49, s[24:25]
	v_cndmask_b32_e64 v24, v24, v50, s[24:25]
	v_cndmask_b32_e64 v21, v21, v49, s[24:25]
	v_cndmask_b32_e64 v22, v22, v50, s[24:25]
	v_cndmask_b32_e64 v24, v24, v20, s[20:21]
	v_cndmask_b32_e64 v23, v23, v19, s[20:21]
	v_cndmask_b32_e64 v22, v22, v20, s[20:21]
	v_cndmask_b32_e64 v21, v21, v19, s[20:21]
	v_cmp_neq_f64_e64 s[24:25], v[23:24], v[21:22]
	v_cmp_class_f64_e64 s[26:27], v[23:24], s33
	s_or_b64 s[24:25], s[24:25], s[26:27]
	s_and_saveexec_b64 s[28:29], s[24:25]
	s_cbranch_execz .LBB22_26
; %bb.25:
	v_add_f64 v[23:24], v[23:24], -v[21:22]
	s_mov_b32 s24, 0x652b82fe
	s_mov_b32 s25, 0x3ff71547
	;; [unrolled: 1-line block ×6, first 2 shown]
	v_mov_b32_e32 v35, 0xfca7ab0c
	v_mul_f64 v[31:32], v[23:24], s[24:25]
	s_mov_b32 s24, 0x6a5dcb37
	v_mov_b32_e32 v36, 0x3e928af3
	s_mov_b32 s25, 0x3e5ade15
	s_mov_b32 s26, 0
	;; [unrolled: 1-line block ×3, first 2 shown]
	v_cmp_ngt_f64_e64 s[26:27], s[26:27], v[23:24]
	v_mov_b32_e32 v60, 0x7ff00000
	v_rndne_f64_e32 v[31:32], v[31:32]
	v_fma_f64 v[33:34], v[31:32], s[30:31], v[23:24]
	s_mov_b32 s31, 0x3fe62e42
	v_fma_f64 v[33:34], v[31:32], s[34:35], v[33:34]
	v_cvt_i32_f64_e32 v31, v[31:32]
	s_mov_b32 s35, 0x3c7abc9e
	v_fma_f64 v[35:36], v[33:34], s[24:25], v[35:36]
	s_mov_b32 s24, 0x623fde64
	s_mov_b32 s25, 0x3ec71dee
	v_fma_f64 v[35:36], v[33:34], v[35:36], s[24:25]
	s_mov_b32 s24, 0x7c89e6b0
	;; [unrolled: 3-line block ×9, first 2 shown]
	s_mov_b32 s25, 0x40900000
	v_cmp_nlt_f64_e64 s[24:25], s[24:25], v[23:24]
	v_fma_f64 v[35:36], v[33:34], v[35:36], 1.0
	v_fma_f64 v[33:34], v[33:34], v[35:36], 1.0
	v_ldexp_f64 v[31:32], v[33:34], v31
	v_cndmask_b32_e64 v32, v60, v32, s[24:25]
	s_and_b64 s[24:25], s[26:27], s[24:25]
	v_cndmask_b32_e64 v24, 0, v32, s[26:27]
	v_cndmask_b32_e64 v23, 0, v31, s[24:25]
	v_add_f64 v[31:32], v[23:24], 1.0
	s_mov_b32 s27, 0x3fe55555
	s_mov_b32 s26, 0x55555555
	v_frexp_mant_f64_e32 v[35:36], v[31:32]
	v_frexp_exp_i32_f64_e32 v39, v[31:32]
	v_add_f64 v[33:34], v[31:32], -1.0
	v_cmp_gt_f64_e64 s[24:25], s[26:27], v[35:36]
	s_mov_b32 s26, 0x55555780
	v_add_f64 v[37:38], v[33:34], -v[31:32]
	v_add_f64 v[33:34], v[23:24], -v[33:34]
	v_subbrev_co_u32_e64 v61, s[24:25], 0, v39, s[24:25]
	v_sub_u32_e32 v39, 0, v61
	v_ldexp_f64 v[31:32], v[31:32], v39
	v_add_f64 v[35:36], v[37:38], 1.0
	s_mov_b32 s24, 0xbf559e2b
	s_mov_b32 s25, 0x3fc3ab76
	v_add_f64 v[37:38], v[31:32], 1.0
	v_add_f64 v[33:34], v[33:34], v[35:36]
	v_add_f64 v[49:50], v[31:32], -1.0
	v_add_f64 v[35:36], v[37:38], -1.0
	v_ldexp_f64 v[33:34], v[33:34], v39
	v_add_f64 v[51:52], v[49:50], 1.0
	v_add_f64 v[35:36], v[31:32], -v[35:36]
	v_add_f64 v[31:32], v[31:32], -v[51:52]
	v_add_f64 v[35:36], v[33:34], v[35:36]
	v_add_f64 v[31:32], v[33:34], v[31:32]
	;; [unrolled: 1-line block ×4, first 2 shown]
	v_rcp_f64_e32 v[41:42], v[39:40]
	v_add_f64 v[37:38], v[39:40], -v[37:38]
	v_add_f64 v[49:50], v[51:52], -v[49:50]
	;; [unrolled: 1-line block ×4, first 2 shown]
	v_fma_f64 v[53:54], -v[39:40], v[41:42], 1.0
	v_fma_f64 v[41:42], v[53:54], v[41:42], v[41:42]
	v_fma_f64 v[33:34], -v[39:40], v[41:42], 1.0
	v_fma_f64 v[33:34], v[33:34], v[41:42], v[41:42]
	v_mul_f64 v[41:42], v[51:52], v[33:34]
	v_mul_f64 v[53:54], v[39:40], v[41:42]
	v_fma_f64 v[37:38], v[41:42], v[39:40], -v[53:54]
	v_fma_f64 v[37:38], v[41:42], v[35:36], v[37:38]
	v_add_f64 v[55:56], v[53:54], v[37:38]
	v_add_f64 v[58:59], v[51:52], -v[55:56]
	v_add_f64 v[49:50], v[55:56], -v[53:54]
	;; [unrolled: 1-line block ×5, first 2 shown]
	v_add_f64 v[31:32], v[31:32], v[51:52]
	v_add_f64 v[31:32], v[37:38], v[31:32]
	;; [unrolled: 1-line block ×3, first 2 shown]
	v_mul_f64 v[49:50], v[33:34], v[37:38]
	v_add_f64 v[55:56], v[58:59], -v[37:38]
	v_mul_f64 v[51:52], v[39:40], v[49:50]
	v_add_f64 v[31:32], v[31:32], v[55:56]
	v_fma_f64 v[39:40], v[49:50], v[39:40], -v[51:52]
	v_fma_f64 v[35:36], v[49:50], v[35:36], v[39:40]
	v_add_f64 v[39:40], v[51:52], v[35:36]
	v_add_f64 v[53:54], v[37:38], -v[39:40]
	v_add_f64 v[51:52], v[39:40], -v[51:52]
	;; [unrolled: 1-line block ×5, first 2 shown]
	v_mov_b32_e32 v39, 0x6b47b09a
	v_mov_b32_e32 v40, 0x3fc38538
	v_add_f64 v[31:32], v[31:32], v[37:38]
	v_add_f64 v[37:38], v[41:42], v[49:50]
	;; [unrolled: 1-line block ×3, first 2 shown]
	v_add_f64 v[35:36], v[37:38], -v[41:42]
	v_add_f64 v[31:32], v[53:54], v[31:32]
	v_add_f64 v[35:36], v[49:50], -v[35:36]
	v_mul_f64 v[31:32], v[33:34], v[31:32]
	v_add_f64 v[31:32], v[35:36], v[31:32]
	v_add_f64 v[33:34], v[37:38], v[31:32]
	v_mul_f64 v[35:36], v[33:34], v[33:34]
	v_fma_f64 v[39:40], v[35:36], s[24:25], v[39:40]
	s_mov_b32 s24, 0xd7f4df2e
	s_mov_b32 s25, 0x3fc7474d
	v_mul_f64 v[41:42], v[33:34], v[35:36]
	v_fma_f64 v[39:40], v[35:36], v[39:40], s[24:25]
	s_mov_b32 s24, 0x16291751
	s_mov_b32 s25, 0x3fcc71c0
	v_fma_f64 v[39:40], v[35:36], v[39:40], s[24:25]
	s_mov_b32 s24, 0x9b27acf1
	s_mov_b32 s25, 0x3fd24924
	;; [unrolled: 3-line block ×3, first 2 shown]
	v_fma_f64 v[39:40], v[35:36], v[39:40], s[24:25]
	v_cmp_nge_f64_e64 s[24:25], -1.0, v[23:24]
	v_fma_f64 v[35:36], v[35:36], v[39:40], s[26:27]
	v_ldexp_f64 v[39:40], v[33:34], 1
	v_add_f64 v[33:34], v[33:34], -v[37:38]
	s_mov_b32 s26, 0
	s_mov_b32 s27, 0x7ff00000
	v_cmp_neq_f64_e64 s[26:27], s[26:27], v[23:24]
	v_mul_f64 v[35:36], v[41:42], v[35:36]
	v_cvt_f64_i32_e32 v[41:42], v61
	v_add_f64 v[31:32], v[31:32], -v[33:34]
	v_mul_f64 v[49:50], v[41:42], s[30:31]
	s_and_b64 s[24:25], s[24:25], s[26:27]
	v_add_f64 v[37:38], v[39:40], v[35:36]
	v_ldexp_f64 v[31:32], v[31:32], 1
	v_add_f64 v[33:34], v[37:38], -v[39:40]
	v_fma_f64 v[39:40], v[41:42], s[30:31], -v[49:50]
	v_add_f64 v[33:34], v[35:36], -v[33:34]
	v_fma_f64 v[35:36], v[41:42], s[34:35], v[39:40]
	v_add_f64 v[31:32], v[31:32], v[33:34]
	v_add_f64 v[33:34], v[49:50], v[35:36]
	;; [unrolled: 1-line block ×3, first 2 shown]
	v_add_f64 v[49:50], v[33:34], -v[49:50]
	v_add_f64 v[41:42], v[33:34], v[39:40]
	v_add_f64 v[37:38], v[39:40], -v[37:38]
	v_add_f64 v[35:36], v[35:36], -v[49:50]
	;; [unrolled: 1-line block ×6, first 2 shown]
	v_add_f64 v[39:40], v[35:36], v[31:32]
	v_add_f64 v[33:34], v[33:34], -v[53:54]
	v_add_f64 v[33:34], v[37:38], v[33:34]
	v_add_f64 v[37:38], v[39:40], -v[35:36]
	;; [unrolled: 2-line block ×3, first 2 shown]
	v_add_f64 v[31:32], v[31:32], -v[37:38]
	v_add_f64 v[49:50], v[41:42], v[33:34]
	v_add_f64 v[35:36], v[35:36], -v[39:40]
	v_add_f64 v[37:38], v[49:50], -v[41:42]
	v_add_f64 v[31:32], v[31:32], v[35:36]
	v_add_f64 v[33:34], v[33:34], -v[37:38]
	v_add_f64 v[31:32], v[31:32], v[33:34]
	v_mov_b32_e32 v33, 0x7ff80000
	v_mov_b32_e32 v34, 0xfff00000
	v_add_f64 v[31:32], v[49:50], v[31:32]
	v_cndmask_b32_e64 v31, 0, v31, s[24:25]
	v_cmp_ngt_f64_e64 s[24:25], -1.0, v[23:24]
	v_cndmask_b32_e64 v32, v60, v32, s[26:27]
	v_cndmask_b32_e64 v32, v33, v32, s[24:25]
	v_cmp_neq_f64_e64 s[24:25], -1.0, v[23:24]
	v_cndmask_b32_e64 v32, v34, v32, s[24:25]
	v_add_f64 v[49:50], v[21:22], v[31:32]
.LBB22_26:
	s_or_b64 exec, exec, s[28:29]
	v_max_f64 v[31:32], v[13:14], v[13:14]
	v_max_f64 v[21:22], v[49:50], v[49:50]
	v_cmp_u_f64_e64 s[24:25], v[49:50], v[49:50]
	v_cmp_u_f64_e64 s[26:27], v[13:14], v[13:14]
	v_min_f64 v[23:24], v[21:22], v[31:32]
	v_max_f64 v[21:22], v[21:22], v[31:32]
	v_cndmask_b32_e64 v23, v23, v49, s[24:25]
	v_cndmask_b32_e64 v24, v24, v50, s[24:25]
	;; [unrolled: 1-line block ×8, first 2 shown]
	v_cmp_neq_f64_e64 s[24:25], v[23:24], v[21:22]
	v_cmp_class_f64_e64 s[28:29], v[23:24], s33
	s_or_b64 s[24:25], s[24:25], s[28:29]
	s_and_saveexec_b64 s[30:31], s[24:25]
	s_cbranch_execz .LBB22_28
; %bb.27:
	v_add_f64 v[23:24], v[23:24], -v[21:22]
	s_mov_b32 s24, 0x652b82fe
	s_mov_b32 s25, 0x3ff71547
	;; [unrolled: 1-line block ×6, first 2 shown]
	v_mov_b32_e32 v37, 0xfca7ab0c
	v_mul_f64 v[33:34], v[23:24], s[24:25]
	s_mov_b32 s24, 0x6a5dcb37
	v_mov_b32_e32 v38, 0x3e928af3
	s_mov_b32 s25, 0x3e5ade15
	s_mov_b32 s28, 0
	;; [unrolled: 1-line block ×3, first 2 shown]
	v_cmp_ngt_f64_e64 s[28:29], s[28:29], v[23:24]
	v_mov_b32_e32 v62, 0x7ff00000
	v_rndne_f64_e32 v[33:34], v[33:34]
	v_fma_f64 v[35:36], v[33:34], s[34:35], v[23:24]
	s_mov_b32 s35, 0x3fe62e42
	v_fma_f64 v[35:36], v[33:34], s[36:37], v[35:36]
	v_cvt_i32_f64_e32 v33, v[33:34]
	s_mov_b32 s37, 0x3c7abc9e
	v_fma_f64 v[37:38], v[35:36], s[24:25], v[37:38]
	s_mov_b32 s24, 0x623fde64
	s_mov_b32 s25, 0x3ec71dee
	v_fma_f64 v[37:38], v[35:36], v[37:38], s[24:25]
	s_mov_b32 s24, 0x7c89e6b0
	;; [unrolled: 3-line block ×9, first 2 shown]
	s_mov_b32 s25, 0x40900000
	v_cmp_nlt_f64_e64 s[24:25], s[24:25], v[23:24]
	v_fma_f64 v[37:38], v[35:36], v[37:38], 1.0
	v_fma_f64 v[35:36], v[35:36], v[37:38], 1.0
	v_ldexp_f64 v[33:34], v[35:36], v33
	v_cndmask_b32_e64 v34, v62, v34, s[24:25]
	s_and_b64 s[24:25], s[28:29], s[24:25]
	v_cndmask_b32_e64 v24, 0, v34, s[28:29]
	v_cndmask_b32_e64 v23, 0, v33, s[24:25]
	v_add_f64 v[33:34], v[23:24], 1.0
	s_mov_b32 s29, 0x3fe55555
	s_mov_b32 s28, 0x55555555
	v_frexp_mant_f64_e32 v[37:38], v[33:34]
	v_frexp_exp_i32_f64_e32 v41, v[33:34]
	v_add_f64 v[35:36], v[33:34], -1.0
	v_cmp_gt_f64_e64 s[24:25], s[28:29], v[37:38]
	s_mov_b32 s28, 0x55555780
	v_add_f64 v[39:40], v[35:36], -v[33:34]
	v_add_f64 v[35:36], v[23:24], -v[35:36]
	v_subbrev_co_u32_e64 v63, s[24:25], 0, v41, s[24:25]
	v_sub_u32_e32 v41, 0, v63
	v_ldexp_f64 v[33:34], v[33:34], v41
	v_add_f64 v[37:38], v[39:40], 1.0
	s_mov_b32 s24, 0xbf559e2b
	s_mov_b32 s25, 0x3fc3ab76
	v_add_f64 v[39:40], v[33:34], 1.0
	v_add_f64 v[35:36], v[35:36], v[37:38]
	v_add_f64 v[51:52], v[33:34], -1.0
	v_add_f64 v[37:38], v[39:40], -1.0
	v_ldexp_f64 v[35:36], v[35:36], v41
	v_add_f64 v[53:54], v[51:52], 1.0
	v_add_f64 v[37:38], v[33:34], -v[37:38]
	v_add_f64 v[33:34], v[33:34], -v[53:54]
	v_add_f64 v[37:38], v[35:36], v[37:38]
	v_add_f64 v[33:34], v[35:36], v[33:34]
	;; [unrolled: 1-line block ×4, first 2 shown]
	v_rcp_f64_e32 v[49:50], v[41:42]
	v_add_f64 v[39:40], v[41:42], -v[39:40]
	v_add_f64 v[51:52], v[53:54], -v[51:52]
	;; [unrolled: 1-line block ×4, first 2 shown]
	v_fma_f64 v[55:56], -v[41:42], v[49:50], 1.0
	v_fma_f64 v[49:50], v[55:56], v[49:50], v[49:50]
	v_fma_f64 v[35:36], -v[41:42], v[49:50], 1.0
	v_fma_f64 v[35:36], v[35:36], v[49:50], v[49:50]
	v_mul_f64 v[49:50], v[53:54], v[35:36]
	v_mul_f64 v[55:56], v[41:42], v[49:50]
	v_fma_f64 v[39:40], v[49:50], v[41:42], -v[55:56]
	v_fma_f64 v[39:40], v[49:50], v[37:38], v[39:40]
	v_add_f64 v[58:59], v[55:56], v[39:40]
	v_add_f64 v[60:61], v[53:54], -v[58:59]
	v_add_f64 v[51:52], v[58:59], -v[55:56]
	;; [unrolled: 1-line block ×5, first 2 shown]
	v_add_f64 v[33:34], v[33:34], v[53:54]
	v_add_f64 v[33:34], v[39:40], v[33:34]
	v_add_f64 v[39:40], v[60:61], v[33:34]
	v_mul_f64 v[51:52], v[35:36], v[39:40]
	v_add_f64 v[58:59], v[60:61], -v[39:40]
	v_mul_f64 v[53:54], v[41:42], v[51:52]
	v_add_f64 v[33:34], v[33:34], v[58:59]
	v_fma_f64 v[41:42], v[51:52], v[41:42], -v[53:54]
	v_fma_f64 v[37:38], v[51:52], v[37:38], v[41:42]
	v_add_f64 v[41:42], v[53:54], v[37:38]
	v_add_f64 v[55:56], v[39:40], -v[41:42]
	v_add_f64 v[53:54], v[41:42], -v[53:54]
	;; [unrolled: 1-line block ×5, first 2 shown]
	v_mov_b32_e32 v41, 0x6b47b09a
	v_mov_b32_e32 v42, 0x3fc38538
	v_add_f64 v[33:34], v[33:34], v[39:40]
	v_add_f64 v[39:40], v[49:50], v[51:52]
	;; [unrolled: 1-line block ×3, first 2 shown]
	v_add_f64 v[37:38], v[39:40], -v[49:50]
	v_add_f64 v[33:34], v[55:56], v[33:34]
	v_add_f64 v[37:38], v[51:52], -v[37:38]
	v_mul_f64 v[33:34], v[35:36], v[33:34]
	v_add_f64 v[33:34], v[37:38], v[33:34]
	v_add_f64 v[35:36], v[39:40], v[33:34]
	v_mul_f64 v[37:38], v[35:36], v[35:36]
	v_fma_f64 v[41:42], v[37:38], s[24:25], v[41:42]
	s_mov_b32 s24, 0xd7f4df2e
	s_mov_b32 s25, 0x3fc7474d
	v_mul_f64 v[49:50], v[35:36], v[37:38]
	v_fma_f64 v[41:42], v[37:38], v[41:42], s[24:25]
	s_mov_b32 s24, 0x16291751
	s_mov_b32 s25, 0x3fcc71c0
	v_fma_f64 v[41:42], v[37:38], v[41:42], s[24:25]
	s_mov_b32 s24, 0x9b27acf1
	s_mov_b32 s25, 0x3fd24924
	;; [unrolled: 3-line block ×3, first 2 shown]
	v_fma_f64 v[41:42], v[37:38], v[41:42], s[24:25]
	v_cmp_nge_f64_e64 s[24:25], -1.0, v[23:24]
	v_fma_f64 v[37:38], v[37:38], v[41:42], s[28:29]
	v_ldexp_f64 v[41:42], v[35:36], 1
	v_add_f64 v[35:36], v[35:36], -v[39:40]
	s_mov_b32 s28, 0
	s_mov_b32 s29, 0x7ff00000
	v_cmp_neq_f64_e64 s[28:29], s[28:29], v[23:24]
	v_mul_f64 v[37:38], v[49:50], v[37:38]
	v_cvt_f64_i32_e32 v[49:50], v63
	v_add_f64 v[33:34], v[33:34], -v[35:36]
	v_mul_f64 v[51:52], v[49:50], s[34:35]
	s_and_b64 s[24:25], s[24:25], s[28:29]
	v_add_f64 v[39:40], v[41:42], v[37:38]
	v_ldexp_f64 v[33:34], v[33:34], 1
	v_add_f64 v[35:36], v[39:40], -v[41:42]
	v_fma_f64 v[41:42], v[49:50], s[34:35], -v[51:52]
	v_add_f64 v[35:36], v[37:38], -v[35:36]
	v_fma_f64 v[37:38], v[49:50], s[36:37], v[41:42]
	v_add_f64 v[33:34], v[33:34], v[35:36]
	v_add_f64 v[35:36], v[51:52], v[37:38]
	;; [unrolled: 1-line block ×3, first 2 shown]
	v_add_f64 v[51:52], v[35:36], -v[51:52]
	v_add_f64 v[49:50], v[35:36], v[41:42]
	v_add_f64 v[39:40], v[41:42], -v[39:40]
	v_add_f64 v[37:38], v[37:38], -v[51:52]
	;; [unrolled: 1-line block ×6, first 2 shown]
	v_add_f64 v[41:42], v[37:38], v[33:34]
	v_add_f64 v[35:36], v[35:36], -v[55:56]
	v_add_f64 v[35:36], v[39:40], v[35:36]
	v_add_f64 v[39:40], v[41:42], -v[37:38]
	;; [unrolled: 2-line block ×3, first 2 shown]
	v_add_f64 v[33:34], v[33:34], -v[39:40]
	v_add_f64 v[51:52], v[49:50], v[35:36]
	v_add_f64 v[37:38], v[37:38], -v[41:42]
	v_add_f64 v[39:40], v[51:52], -v[49:50]
	v_add_f64 v[33:34], v[33:34], v[37:38]
	v_add_f64 v[35:36], v[35:36], -v[39:40]
	v_add_f64 v[33:34], v[33:34], v[35:36]
	v_mov_b32_e32 v35, 0x7ff80000
	v_mov_b32_e32 v36, 0xfff00000
	v_add_f64 v[33:34], v[51:52], v[33:34]
	v_cndmask_b32_e64 v33, 0, v33, s[24:25]
	v_cmp_ngt_f64_e64 s[24:25], -1.0, v[23:24]
	v_cndmask_b32_e64 v34, v62, v34, s[28:29]
	v_cndmask_b32_e64 v34, v35, v34, s[24:25]
	v_cmp_neq_f64_e64 s[24:25], -1.0, v[23:24]
	v_cndmask_b32_e64 v34, v36, v34, s[24:25]
	v_add_f64 v[49:50], v[21:22], v[33:34]
.LBB22_28:
	s_or_b64 exec, exec, s[30:31]
	v_max_f64 v[33:34], v[15:16], v[15:16]
	v_max_f64 v[21:22], v[49:50], v[49:50]
	v_cmp_u_f64_e64 s[28:29], v[49:50], v[49:50]
	v_cmp_u_f64_e64 s[24:25], v[15:16], v[15:16]
	v_min_f64 v[23:24], v[21:22], v[33:34]
	v_max_f64 v[21:22], v[21:22], v[33:34]
	v_cndmask_b32_e64 v23, v23, v49, s[28:29]
	v_cndmask_b32_e64 v24, v24, v50, s[28:29]
	;; [unrolled: 1-line block ×8, first 2 shown]
	v_cmp_neq_f64_e64 s[28:29], v[23:24], v[21:22]
	v_cmp_class_f64_e64 s[30:31], v[23:24], s33
	s_or_b64 s[28:29], s[28:29], s[30:31]
	s_and_saveexec_b64 s[34:35], s[28:29]
	s_cbranch_execz .LBB22_30
; %bb.29:
	v_add_f64 v[23:24], v[23:24], -v[21:22]
	s_mov_b32 s28, 0x652b82fe
	s_mov_b32 s29, 0x3ff71547
	;; [unrolled: 1-line block ×6, first 2 shown]
	v_mov_b32_e32 v39, 0xfca7ab0c
	v_mul_f64 v[35:36], v[23:24], s[28:29]
	s_mov_b32 s28, 0x6a5dcb37
	v_mov_b32_e32 v40, 0x3e928af3
	s_mov_b32 s29, 0x3e5ade15
	s_mov_b32 s30, 0
	;; [unrolled: 1-line block ×3, first 2 shown]
	v_cmp_ngt_f64_e64 s[30:31], s[30:31], v[23:24]
	v_mov_b32_e32 v64, 0x7ff00000
	v_rndne_f64_e32 v[35:36], v[35:36]
	v_fma_f64 v[37:38], v[35:36], s[36:37], v[23:24]
	s_mov_b32 s37, 0x3fe62e42
	v_fma_f64 v[37:38], v[35:36], s[42:43], v[37:38]
	v_cvt_i32_f64_e32 v35, v[35:36]
	s_mov_b32 s43, 0x3c7abc9e
	v_fma_f64 v[39:40], v[37:38], s[28:29], v[39:40]
	s_mov_b32 s28, 0x623fde64
	s_mov_b32 s29, 0x3ec71dee
	v_fma_f64 v[39:40], v[37:38], v[39:40], s[28:29]
	s_mov_b32 s28, 0x7c89e6b0
	;; [unrolled: 3-line block ×9, first 2 shown]
	s_mov_b32 s29, 0x40900000
	v_cmp_nlt_f64_e64 s[28:29], s[28:29], v[23:24]
	v_fma_f64 v[39:40], v[37:38], v[39:40], 1.0
	v_fma_f64 v[37:38], v[37:38], v[39:40], 1.0
	v_ldexp_f64 v[35:36], v[37:38], v35
	v_cndmask_b32_e64 v36, v64, v36, s[28:29]
	s_and_b64 s[28:29], s[30:31], s[28:29]
	v_cndmask_b32_e64 v24, 0, v36, s[30:31]
	v_cndmask_b32_e64 v23, 0, v35, s[28:29]
	v_add_f64 v[35:36], v[23:24], 1.0
	s_mov_b32 s31, 0x3fe55555
	s_mov_b32 s30, 0x55555555
	v_frexp_mant_f64_e32 v[39:40], v[35:36]
	v_frexp_exp_i32_f64_e32 v49, v[35:36]
	v_add_f64 v[37:38], v[35:36], -1.0
	v_cmp_gt_f64_e64 s[28:29], s[30:31], v[39:40]
	s_mov_b32 s30, 0x55555780
	v_add_f64 v[41:42], v[37:38], -v[35:36]
	v_add_f64 v[37:38], v[23:24], -v[37:38]
	v_subbrev_co_u32_e64 v65, s[28:29], 0, v49, s[28:29]
	v_sub_u32_e32 v49, 0, v65
	v_ldexp_f64 v[35:36], v[35:36], v49
	v_add_f64 v[39:40], v[41:42], 1.0
	s_mov_b32 s28, 0xbf559e2b
	s_mov_b32 s29, 0x3fc3ab76
	v_add_f64 v[41:42], v[35:36], 1.0
	v_add_f64 v[37:38], v[37:38], v[39:40]
	v_add_f64 v[53:54], v[35:36], -1.0
	v_add_f64 v[39:40], v[41:42], -1.0
	v_ldexp_f64 v[37:38], v[37:38], v49
	v_add_f64 v[55:56], v[53:54], 1.0
	v_add_f64 v[39:40], v[35:36], -v[39:40]
	v_add_f64 v[35:36], v[35:36], -v[55:56]
	v_add_f64 v[39:40], v[37:38], v[39:40]
	v_add_f64 v[35:36], v[37:38], v[35:36]
	;; [unrolled: 1-line block ×4, first 2 shown]
	v_rcp_f64_e32 v[51:52], v[49:50]
	v_add_f64 v[41:42], v[49:50], -v[41:42]
	v_add_f64 v[53:54], v[55:56], -v[53:54]
	;; [unrolled: 1-line block ×4, first 2 shown]
	v_fma_f64 v[58:59], -v[49:50], v[51:52], 1.0
	v_fma_f64 v[51:52], v[58:59], v[51:52], v[51:52]
	v_fma_f64 v[37:38], -v[49:50], v[51:52], 1.0
	v_fma_f64 v[37:38], v[37:38], v[51:52], v[51:52]
	v_mul_f64 v[51:52], v[55:56], v[37:38]
	v_mul_f64 v[58:59], v[49:50], v[51:52]
	v_fma_f64 v[41:42], v[51:52], v[49:50], -v[58:59]
	v_fma_f64 v[41:42], v[51:52], v[39:40], v[41:42]
	v_add_f64 v[60:61], v[58:59], v[41:42]
	v_add_f64 v[62:63], v[55:56], -v[60:61]
	v_add_f64 v[53:54], v[60:61], -v[58:59]
	;; [unrolled: 1-line block ×5, first 2 shown]
	v_add_f64 v[35:36], v[35:36], v[55:56]
	v_add_f64 v[35:36], v[41:42], v[35:36]
	;; [unrolled: 1-line block ×3, first 2 shown]
	v_mul_f64 v[53:54], v[37:38], v[41:42]
	v_add_f64 v[60:61], v[62:63], -v[41:42]
	v_mul_f64 v[55:56], v[49:50], v[53:54]
	v_add_f64 v[35:36], v[35:36], v[60:61]
	v_fma_f64 v[49:50], v[53:54], v[49:50], -v[55:56]
	v_fma_f64 v[39:40], v[53:54], v[39:40], v[49:50]
	v_add_f64 v[49:50], v[55:56], v[39:40]
	v_add_f64 v[58:59], v[41:42], -v[49:50]
	v_add_f64 v[55:56], v[49:50], -v[55:56]
	;; [unrolled: 1-line block ×5, first 2 shown]
	v_mov_b32_e32 v49, 0x6b47b09a
	v_mov_b32_e32 v50, 0x3fc38538
	v_add_f64 v[35:36], v[35:36], v[41:42]
	v_add_f64 v[41:42], v[51:52], v[53:54]
	;; [unrolled: 1-line block ×3, first 2 shown]
	v_add_f64 v[39:40], v[41:42], -v[51:52]
	v_add_f64 v[35:36], v[58:59], v[35:36]
	v_add_f64 v[39:40], v[53:54], -v[39:40]
	v_mul_f64 v[35:36], v[37:38], v[35:36]
	v_add_f64 v[35:36], v[39:40], v[35:36]
	v_add_f64 v[37:38], v[41:42], v[35:36]
	v_mul_f64 v[39:40], v[37:38], v[37:38]
	v_fma_f64 v[49:50], v[39:40], s[28:29], v[49:50]
	s_mov_b32 s28, 0xd7f4df2e
	s_mov_b32 s29, 0x3fc7474d
	v_mul_f64 v[51:52], v[37:38], v[39:40]
	v_fma_f64 v[49:50], v[39:40], v[49:50], s[28:29]
	s_mov_b32 s28, 0x16291751
	s_mov_b32 s29, 0x3fcc71c0
	v_fma_f64 v[49:50], v[39:40], v[49:50], s[28:29]
	s_mov_b32 s28, 0x9b27acf1
	s_mov_b32 s29, 0x3fd24924
	v_fma_f64 v[49:50], v[39:40], v[49:50], s[28:29]
	s_mov_b32 s28, 0x998ef7b6
	s_mov_b32 s29, 0x3fd99999
	v_fma_f64 v[49:50], v[39:40], v[49:50], s[28:29]
	v_cmp_nge_f64_e64 s[28:29], -1.0, v[23:24]
	v_fma_f64 v[39:40], v[39:40], v[49:50], s[30:31]
	v_ldexp_f64 v[49:50], v[37:38], 1
	v_add_f64 v[37:38], v[37:38], -v[41:42]
	s_mov_b32 s30, 0
	s_mov_b32 s31, 0x7ff00000
	v_cmp_neq_f64_e64 s[30:31], s[30:31], v[23:24]
	v_mul_f64 v[39:40], v[51:52], v[39:40]
	v_cvt_f64_i32_e32 v[51:52], v65
	v_add_f64 v[35:36], v[35:36], -v[37:38]
	v_mul_f64 v[53:54], v[51:52], s[36:37]
	s_and_b64 s[28:29], s[28:29], s[30:31]
	v_add_f64 v[41:42], v[49:50], v[39:40]
	v_ldexp_f64 v[35:36], v[35:36], 1
	v_add_f64 v[37:38], v[41:42], -v[49:50]
	v_fma_f64 v[49:50], v[51:52], s[36:37], -v[53:54]
	v_add_f64 v[37:38], v[39:40], -v[37:38]
	v_fma_f64 v[39:40], v[51:52], s[42:43], v[49:50]
	v_add_f64 v[35:36], v[35:36], v[37:38]
	v_add_f64 v[37:38], v[53:54], v[39:40]
	;; [unrolled: 1-line block ×3, first 2 shown]
	v_add_f64 v[53:54], v[37:38], -v[53:54]
	v_add_f64 v[51:52], v[37:38], v[49:50]
	v_add_f64 v[41:42], v[49:50], -v[41:42]
	v_add_f64 v[39:40], v[39:40], -v[53:54]
	;; [unrolled: 1-line block ×6, first 2 shown]
	v_add_f64 v[49:50], v[39:40], v[35:36]
	v_add_f64 v[37:38], v[37:38], -v[58:59]
	v_add_f64 v[37:38], v[41:42], v[37:38]
	v_add_f64 v[41:42], v[49:50], -v[39:40]
	;; [unrolled: 2-line block ×3, first 2 shown]
	v_add_f64 v[35:36], v[35:36], -v[41:42]
	v_add_f64 v[53:54], v[51:52], v[37:38]
	v_add_f64 v[39:40], v[39:40], -v[49:50]
	v_add_f64 v[41:42], v[53:54], -v[51:52]
	v_add_f64 v[35:36], v[35:36], v[39:40]
	v_add_f64 v[37:38], v[37:38], -v[41:42]
	v_add_f64 v[35:36], v[35:36], v[37:38]
	v_mov_b32_e32 v37, 0x7ff80000
	v_mov_b32_e32 v38, 0xfff00000
	v_add_f64 v[35:36], v[53:54], v[35:36]
	v_cndmask_b32_e64 v35, 0, v35, s[28:29]
	v_cmp_ngt_f64_e64 s[28:29], -1.0, v[23:24]
	v_cndmask_b32_e64 v36, v64, v36, s[30:31]
	v_cndmask_b32_e64 v36, v37, v36, s[28:29]
	v_cmp_neq_f64_e64 s[28:29], -1.0, v[23:24]
	v_cndmask_b32_e64 v36, v38, v36, s[28:29]
	v_add_f64 v[49:50], v[21:22], v[35:36]
.LBB22_30:
	s_or_b64 exec, exec, s[34:35]
	v_max_f64 v[35:36], v[9:10], v[9:10]
	v_max_f64 v[21:22], v[49:50], v[49:50]
	v_cmp_u_f64_e64 s[28:29], v[49:50], v[49:50]
	v_cmp_u_f64_e64 s[30:31], v[9:10], v[9:10]
	v_min_f64 v[23:24], v[21:22], v[35:36]
	v_max_f64 v[21:22], v[21:22], v[35:36]
	v_cndmask_b32_e64 v23, v23, v49, s[28:29]
	v_cndmask_b32_e64 v24, v24, v50, s[28:29]
	;; [unrolled: 1-line block ×8, first 2 shown]
	v_cmp_neq_f64_e64 s[28:29], v[23:24], v[21:22]
	v_cmp_class_f64_e64 s[34:35], v[23:24], s33
	s_or_b64 s[28:29], s[28:29], s[34:35]
	s_and_saveexec_b64 s[36:37], s[28:29]
	s_cbranch_execz .LBB22_32
; %bb.31:
	v_add_f64 v[23:24], v[23:24], -v[21:22]
	s_mov_b32 s28, 0x652b82fe
	s_mov_b32 s29, 0x3ff71547
	;; [unrolled: 1-line block ×6, first 2 shown]
	v_mov_b32_e32 v41, 0xfca7ab0c
	v_mul_f64 v[37:38], v[23:24], s[28:29]
	s_mov_b32 s28, 0x6a5dcb37
	v_mov_b32_e32 v42, 0x3e928af3
	s_mov_b32 s29, 0x3e5ade15
	s_mov_b32 s34, 0
	;; [unrolled: 1-line block ×3, first 2 shown]
	v_cmp_ngt_f64_e64 s[34:35], s[34:35], v[23:24]
	v_mov_b32_e32 v66, 0x7ff00000
	v_rndne_f64_e32 v[37:38], v[37:38]
	v_fma_f64 v[39:40], v[37:38], s[42:43], v[23:24]
	s_mov_b32 s43, 0x3fe62e42
	v_fma_f64 v[39:40], v[37:38], s[44:45], v[39:40]
	v_cvt_i32_f64_e32 v37, v[37:38]
	s_mov_b32 s45, 0x3c7abc9e
	v_fma_f64 v[41:42], v[39:40], s[28:29], v[41:42]
	s_mov_b32 s28, 0x623fde64
	s_mov_b32 s29, 0x3ec71dee
	v_fma_f64 v[41:42], v[39:40], v[41:42], s[28:29]
	s_mov_b32 s28, 0x7c89e6b0
	;; [unrolled: 3-line block ×9, first 2 shown]
	s_mov_b32 s29, 0x40900000
	v_cmp_nlt_f64_e64 s[28:29], s[28:29], v[23:24]
	v_fma_f64 v[41:42], v[39:40], v[41:42], 1.0
	v_fma_f64 v[39:40], v[39:40], v[41:42], 1.0
	v_ldexp_f64 v[37:38], v[39:40], v37
	v_cndmask_b32_e64 v38, v66, v38, s[28:29]
	s_and_b64 s[28:29], s[34:35], s[28:29]
	v_cndmask_b32_e64 v24, 0, v38, s[34:35]
	v_cndmask_b32_e64 v23, 0, v37, s[28:29]
	v_add_f64 v[37:38], v[23:24], 1.0
	s_mov_b32 s35, 0x3fe55555
	s_mov_b32 s34, 0x55555555
	v_frexp_mant_f64_e32 v[41:42], v[37:38]
	v_frexp_exp_i32_f64_e32 v51, v[37:38]
	v_add_f64 v[39:40], v[37:38], -1.0
	v_cmp_gt_f64_e64 s[28:29], s[34:35], v[41:42]
	s_mov_b32 s34, 0x55555780
	v_add_f64 v[49:50], v[39:40], -v[37:38]
	v_add_f64 v[39:40], v[23:24], -v[39:40]
	v_subbrev_co_u32_e64 v67, s[28:29], 0, v51, s[28:29]
	v_sub_u32_e32 v51, 0, v67
	v_ldexp_f64 v[37:38], v[37:38], v51
	v_add_f64 v[41:42], v[49:50], 1.0
	s_mov_b32 s28, 0xbf559e2b
	s_mov_b32 s29, 0x3fc3ab76
	v_add_f64 v[49:50], v[37:38], 1.0
	v_add_f64 v[39:40], v[39:40], v[41:42]
	v_add_f64 v[55:56], v[37:38], -1.0
	v_add_f64 v[41:42], v[49:50], -1.0
	v_ldexp_f64 v[39:40], v[39:40], v51
	v_add_f64 v[58:59], v[55:56], 1.0
	v_add_f64 v[41:42], v[37:38], -v[41:42]
	v_add_f64 v[37:38], v[37:38], -v[58:59]
	v_add_f64 v[41:42], v[39:40], v[41:42]
	v_add_f64 v[37:38], v[39:40], v[37:38]
	;; [unrolled: 1-line block ×4, first 2 shown]
	v_rcp_f64_e32 v[53:54], v[51:52]
	v_add_f64 v[49:50], v[51:52], -v[49:50]
	v_add_f64 v[55:56], v[58:59], -v[55:56]
	;; [unrolled: 1-line block ×4, first 2 shown]
	v_fma_f64 v[60:61], -v[51:52], v[53:54], 1.0
	v_fma_f64 v[53:54], v[60:61], v[53:54], v[53:54]
	v_fma_f64 v[39:40], -v[51:52], v[53:54], 1.0
	v_fma_f64 v[39:40], v[39:40], v[53:54], v[53:54]
	v_mul_f64 v[53:54], v[58:59], v[39:40]
	v_mul_f64 v[60:61], v[51:52], v[53:54]
	v_fma_f64 v[49:50], v[53:54], v[51:52], -v[60:61]
	v_fma_f64 v[49:50], v[53:54], v[41:42], v[49:50]
	v_add_f64 v[62:63], v[60:61], v[49:50]
	v_add_f64 v[64:65], v[58:59], -v[62:63]
	v_add_f64 v[55:56], v[62:63], -v[60:61]
	;; [unrolled: 1-line block ×5, first 2 shown]
	v_add_f64 v[37:38], v[37:38], v[58:59]
	v_add_f64 v[37:38], v[49:50], v[37:38]
	;; [unrolled: 1-line block ×3, first 2 shown]
	v_mul_f64 v[55:56], v[39:40], v[49:50]
	v_add_f64 v[62:63], v[64:65], -v[49:50]
	v_mul_f64 v[58:59], v[51:52], v[55:56]
	v_add_f64 v[37:38], v[37:38], v[62:63]
	v_fma_f64 v[51:52], v[55:56], v[51:52], -v[58:59]
	v_fma_f64 v[41:42], v[55:56], v[41:42], v[51:52]
	v_add_f64 v[51:52], v[58:59], v[41:42]
	v_add_f64 v[60:61], v[49:50], -v[51:52]
	v_add_f64 v[58:59], v[51:52], -v[58:59]
	;; [unrolled: 1-line block ×5, first 2 shown]
	v_mov_b32_e32 v51, 0x6b47b09a
	v_mov_b32_e32 v52, 0x3fc38538
	v_add_f64 v[37:38], v[37:38], v[49:50]
	v_add_f64 v[49:50], v[53:54], v[55:56]
	;; [unrolled: 1-line block ×3, first 2 shown]
	v_add_f64 v[41:42], v[49:50], -v[53:54]
	v_add_f64 v[37:38], v[60:61], v[37:38]
	v_add_f64 v[41:42], v[55:56], -v[41:42]
	v_mul_f64 v[37:38], v[39:40], v[37:38]
	v_add_f64 v[37:38], v[41:42], v[37:38]
	v_add_f64 v[39:40], v[49:50], v[37:38]
	v_mul_f64 v[41:42], v[39:40], v[39:40]
	v_fma_f64 v[51:52], v[41:42], s[28:29], v[51:52]
	s_mov_b32 s28, 0xd7f4df2e
	s_mov_b32 s29, 0x3fc7474d
	v_mul_f64 v[53:54], v[39:40], v[41:42]
	v_fma_f64 v[51:52], v[41:42], v[51:52], s[28:29]
	s_mov_b32 s28, 0x16291751
	s_mov_b32 s29, 0x3fcc71c0
	v_fma_f64 v[51:52], v[41:42], v[51:52], s[28:29]
	s_mov_b32 s28, 0x9b27acf1
	s_mov_b32 s29, 0x3fd24924
	;; [unrolled: 3-line block ×3, first 2 shown]
	v_fma_f64 v[51:52], v[41:42], v[51:52], s[28:29]
	v_cmp_nge_f64_e64 s[28:29], -1.0, v[23:24]
	v_fma_f64 v[41:42], v[41:42], v[51:52], s[34:35]
	v_ldexp_f64 v[51:52], v[39:40], 1
	v_add_f64 v[39:40], v[39:40], -v[49:50]
	s_mov_b32 s34, 0
	s_mov_b32 s35, 0x7ff00000
	v_cmp_neq_f64_e64 s[34:35], s[34:35], v[23:24]
	v_mul_f64 v[41:42], v[53:54], v[41:42]
	v_cvt_f64_i32_e32 v[53:54], v67
	v_add_f64 v[37:38], v[37:38], -v[39:40]
	v_mul_f64 v[55:56], v[53:54], s[42:43]
	s_and_b64 s[28:29], s[28:29], s[34:35]
	v_add_f64 v[49:50], v[51:52], v[41:42]
	v_ldexp_f64 v[37:38], v[37:38], 1
	v_add_f64 v[39:40], v[49:50], -v[51:52]
	v_fma_f64 v[51:52], v[53:54], s[42:43], -v[55:56]
	v_add_f64 v[39:40], v[41:42], -v[39:40]
	v_fma_f64 v[41:42], v[53:54], s[44:45], v[51:52]
	v_add_f64 v[37:38], v[37:38], v[39:40]
	v_add_f64 v[39:40], v[55:56], v[41:42]
	;; [unrolled: 1-line block ×3, first 2 shown]
	v_add_f64 v[55:56], v[39:40], -v[55:56]
	v_add_f64 v[53:54], v[39:40], v[51:52]
	v_add_f64 v[49:50], v[51:52], -v[49:50]
	v_add_f64 v[41:42], v[41:42], -v[55:56]
	;; [unrolled: 1-line block ×6, first 2 shown]
	v_add_f64 v[51:52], v[41:42], v[37:38]
	v_add_f64 v[39:40], v[39:40], -v[60:61]
	v_add_f64 v[39:40], v[49:50], v[39:40]
	v_add_f64 v[49:50], v[51:52], -v[41:42]
	;; [unrolled: 2-line block ×3, first 2 shown]
	v_add_f64 v[37:38], v[37:38], -v[49:50]
	v_add_f64 v[55:56], v[53:54], v[39:40]
	v_add_f64 v[41:42], v[41:42], -v[51:52]
	v_add_f64 v[49:50], v[55:56], -v[53:54]
	v_add_f64 v[37:38], v[37:38], v[41:42]
	v_add_f64 v[39:40], v[39:40], -v[49:50]
	v_add_f64 v[37:38], v[37:38], v[39:40]
	v_mov_b32_e32 v39, 0x7ff80000
	v_mov_b32_e32 v40, 0xfff00000
	v_add_f64 v[37:38], v[55:56], v[37:38]
	v_cndmask_b32_e64 v37, 0, v37, s[28:29]
	v_cmp_ngt_f64_e64 s[28:29], -1.0, v[23:24]
	v_cndmask_b32_e64 v38, v66, v38, s[34:35]
	v_cndmask_b32_e64 v38, v39, v38, s[28:29]
	v_cmp_neq_f64_e64 s[28:29], -1.0, v[23:24]
	v_cndmask_b32_e64 v38, v40, v38, s[28:29]
	v_add_f64 v[49:50], v[21:22], v[37:38]
.LBB22_32:
	s_or_b64 exec, exec, s[36:37]
	v_max_f64 v[37:38], v[11:12], v[11:12]
	v_max_f64 v[21:22], v[49:50], v[49:50]
	v_cmp_u_f64_e64 s[34:35], v[49:50], v[49:50]
	v_cmp_u_f64_e64 s[28:29], v[11:12], v[11:12]
	v_min_f64 v[23:24], v[21:22], v[37:38]
	v_max_f64 v[21:22], v[21:22], v[37:38]
	v_cndmask_b32_e64 v23, v23, v49, s[34:35]
	v_cndmask_b32_e64 v24, v24, v50, s[34:35]
	;; [unrolled: 1-line block ×8, first 2 shown]
	v_cmp_neq_f64_e64 s[34:35], v[23:24], v[21:22]
	v_cmp_class_f64_e64 s[36:37], v[23:24], s33
	s_or_b64 s[34:35], s[34:35], s[36:37]
	s_and_saveexec_b64 s[42:43], s[34:35]
	s_cbranch_execz .LBB22_34
; %bb.33:
	v_add_f64 v[23:24], v[23:24], -v[21:22]
	s_mov_b32 s34, 0x652b82fe
	s_mov_b32 s35, 0x3ff71547
	;; [unrolled: 1-line block ×6, first 2 shown]
	v_mov_b32_e32 v49, 0xfca7ab0c
	v_mul_f64 v[39:40], v[23:24], s[34:35]
	s_mov_b32 s34, 0x6a5dcb37
	v_mov_b32_e32 v50, 0x3e928af3
	s_mov_b32 s35, 0x3e5ade15
	s_mov_b32 s36, 0
	;; [unrolled: 1-line block ×3, first 2 shown]
	v_cmp_ngt_f64_e64 s[36:37], s[36:37], v[23:24]
	v_mov_b32_e32 v68, 0x7ff00000
	v_rndne_f64_e32 v[39:40], v[39:40]
	v_fma_f64 v[41:42], v[39:40], s[44:45], v[23:24]
	s_mov_b32 s45, 0x3fe62e42
	v_fma_f64 v[41:42], v[39:40], s[46:47], v[41:42]
	v_cvt_i32_f64_e32 v39, v[39:40]
	s_mov_b32 s47, 0x3c7abc9e
	v_fma_f64 v[49:50], v[41:42], s[34:35], v[49:50]
	s_mov_b32 s34, 0x623fde64
	s_mov_b32 s35, 0x3ec71dee
	v_fma_f64 v[49:50], v[41:42], v[49:50], s[34:35]
	s_mov_b32 s34, 0x7c89e6b0
	;; [unrolled: 3-line block ×9, first 2 shown]
	s_mov_b32 s35, 0x40900000
	v_cmp_nlt_f64_e64 s[34:35], s[34:35], v[23:24]
	v_fma_f64 v[49:50], v[41:42], v[49:50], 1.0
	v_fma_f64 v[41:42], v[41:42], v[49:50], 1.0
	v_ldexp_f64 v[39:40], v[41:42], v39
	v_cndmask_b32_e64 v40, v68, v40, s[34:35]
	s_and_b64 s[34:35], s[36:37], s[34:35]
	v_cndmask_b32_e64 v24, 0, v40, s[36:37]
	v_cndmask_b32_e64 v23, 0, v39, s[34:35]
	v_add_f64 v[39:40], v[23:24], 1.0
	s_mov_b32 s37, 0x3fe55555
	s_mov_b32 s36, 0x55555555
	v_frexp_mant_f64_e32 v[49:50], v[39:40]
	v_frexp_exp_i32_f64_e32 v53, v[39:40]
	v_add_f64 v[41:42], v[39:40], -1.0
	v_cmp_gt_f64_e64 s[34:35], s[36:37], v[49:50]
	s_mov_b32 s36, 0x55555780
	v_add_f64 v[51:52], v[41:42], -v[39:40]
	v_add_f64 v[41:42], v[23:24], -v[41:42]
	v_subbrev_co_u32_e64 v69, s[34:35], 0, v53, s[34:35]
	v_sub_u32_e32 v53, 0, v69
	v_ldexp_f64 v[39:40], v[39:40], v53
	v_add_f64 v[49:50], v[51:52], 1.0
	s_mov_b32 s34, 0xbf559e2b
	s_mov_b32 s35, 0x3fc3ab76
	v_add_f64 v[51:52], v[39:40], 1.0
	v_add_f64 v[41:42], v[41:42], v[49:50]
	v_add_f64 v[58:59], v[39:40], -1.0
	v_add_f64 v[49:50], v[51:52], -1.0
	v_ldexp_f64 v[41:42], v[41:42], v53
	v_add_f64 v[60:61], v[58:59], 1.0
	v_add_f64 v[49:50], v[39:40], -v[49:50]
	v_add_f64 v[39:40], v[39:40], -v[60:61]
	v_add_f64 v[49:50], v[41:42], v[49:50]
	v_add_f64 v[39:40], v[41:42], v[39:40]
	;; [unrolled: 1-line block ×4, first 2 shown]
	v_rcp_f64_e32 v[55:56], v[53:54]
	v_add_f64 v[51:52], v[53:54], -v[51:52]
	v_add_f64 v[58:59], v[60:61], -v[58:59]
	;; [unrolled: 1-line block ×4, first 2 shown]
	v_fma_f64 v[62:63], -v[53:54], v[55:56], 1.0
	v_fma_f64 v[55:56], v[62:63], v[55:56], v[55:56]
	v_fma_f64 v[41:42], -v[53:54], v[55:56], 1.0
	v_fma_f64 v[41:42], v[41:42], v[55:56], v[55:56]
	v_mul_f64 v[55:56], v[60:61], v[41:42]
	v_mul_f64 v[62:63], v[53:54], v[55:56]
	v_fma_f64 v[51:52], v[55:56], v[53:54], -v[62:63]
	v_fma_f64 v[51:52], v[55:56], v[49:50], v[51:52]
	v_add_f64 v[64:65], v[62:63], v[51:52]
	v_add_f64 v[66:67], v[60:61], -v[64:65]
	v_add_f64 v[58:59], v[64:65], -v[62:63]
	;; [unrolled: 1-line block ×5, first 2 shown]
	v_add_f64 v[39:40], v[39:40], v[60:61]
	v_add_f64 v[39:40], v[51:52], v[39:40]
	;; [unrolled: 1-line block ×3, first 2 shown]
	v_mul_f64 v[58:59], v[41:42], v[51:52]
	v_add_f64 v[64:65], v[66:67], -v[51:52]
	v_mul_f64 v[60:61], v[53:54], v[58:59]
	v_add_f64 v[39:40], v[39:40], v[64:65]
	v_fma_f64 v[53:54], v[58:59], v[53:54], -v[60:61]
	v_fma_f64 v[49:50], v[58:59], v[49:50], v[53:54]
	v_add_f64 v[53:54], v[60:61], v[49:50]
	v_add_f64 v[62:63], v[51:52], -v[53:54]
	v_add_f64 v[60:61], v[53:54], -v[60:61]
	;; [unrolled: 1-line block ×5, first 2 shown]
	v_mov_b32_e32 v53, 0x6b47b09a
	v_mov_b32_e32 v54, 0x3fc38538
	v_add_f64 v[39:40], v[39:40], v[51:52]
	v_add_f64 v[51:52], v[55:56], v[58:59]
	;; [unrolled: 1-line block ×3, first 2 shown]
	v_add_f64 v[49:50], v[51:52], -v[55:56]
	v_add_f64 v[39:40], v[62:63], v[39:40]
	v_add_f64 v[49:50], v[58:59], -v[49:50]
	v_mul_f64 v[39:40], v[41:42], v[39:40]
	v_add_f64 v[39:40], v[49:50], v[39:40]
	v_add_f64 v[41:42], v[51:52], v[39:40]
	v_mul_f64 v[49:50], v[41:42], v[41:42]
	v_fma_f64 v[53:54], v[49:50], s[34:35], v[53:54]
	s_mov_b32 s34, 0xd7f4df2e
	s_mov_b32 s35, 0x3fc7474d
	v_mul_f64 v[55:56], v[41:42], v[49:50]
	v_fma_f64 v[53:54], v[49:50], v[53:54], s[34:35]
	s_mov_b32 s34, 0x16291751
	s_mov_b32 s35, 0x3fcc71c0
	v_fma_f64 v[53:54], v[49:50], v[53:54], s[34:35]
	s_mov_b32 s34, 0x9b27acf1
	s_mov_b32 s35, 0x3fd24924
	;; [unrolled: 3-line block ×3, first 2 shown]
	v_fma_f64 v[53:54], v[49:50], v[53:54], s[34:35]
	v_cmp_nge_f64_e64 s[34:35], -1.0, v[23:24]
	v_fma_f64 v[49:50], v[49:50], v[53:54], s[36:37]
	v_ldexp_f64 v[53:54], v[41:42], 1
	v_add_f64 v[41:42], v[41:42], -v[51:52]
	s_mov_b32 s36, 0
	s_mov_b32 s37, 0x7ff00000
	v_cmp_neq_f64_e64 s[36:37], s[36:37], v[23:24]
	v_mul_f64 v[49:50], v[55:56], v[49:50]
	v_cvt_f64_i32_e32 v[55:56], v69
	v_add_f64 v[39:40], v[39:40], -v[41:42]
	v_mul_f64 v[58:59], v[55:56], s[44:45]
	s_and_b64 s[34:35], s[34:35], s[36:37]
	v_add_f64 v[51:52], v[53:54], v[49:50]
	v_ldexp_f64 v[39:40], v[39:40], 1
	v_add_f64 v[41:42], v[51:52], -v[53:54]
	v_fma_f64 v[53:54], v[55:56], s[44:45], -v[58:59]
	v_add_f64 v[41:42], v[49:50], -v[41:42]
	v_fma_f64 v[49:50], v[55:56], s[46:47], v[53:54]
	v_add_f64 v[39:40], v[39:40], v[41:42]
	v_add_f64 v[41:42], v[58:59], v[49:50]
	v_add_f64 v[53:54], v[51:52], v[39:40]
	v_add_f64 v[58:59], v[41:42], -v[58:59]
	v_add_f64 v[55:56], v[41:42], v[53:54]
	v_add_f64 v[51:52], v[53:54], -v[51:52]
	v_add_f64 v[49:50], v[49:50], -v[58:59]
	;; [unrolled: 1-line block ×6, first 2 shown]
	v_add_f64 v[53:54], v[49:50], v[39:40]
	v_add_f64 v[41:42], v[41:42], -v[62:63]
	v_add_f64 v[41:42], v[51:52], v[41:42]
	v_add_f64 v[51:52], v[53:54], -v[49:50]
	;; [unrolled: 2-line block ×3, first 2 shown]
	v_add_f64 v[39:40], v[39:40], -v[51:52]
	v_add_f64 v[58:59], v[55:56], v[41:42]
	v_add_f64 v[49:50], v[49:50], -v[53:54]
	v_add_f64 v[51:52], v[58:59], -v[55:56]
	v_add_f64 v[39:40], v[39:40], v[49:50]
	v_add_f64 v[41:42], v[41:42], -v[51:52]
	v_add_f64 v[39:40], v[39:40], v[41:42]
	v_mov_b32_e32 v41, 0x7ff80000
	v_mov_b32_e32 v42, 0xfff00000
	v_add_f64 v[39:40], v[58:59], v[39:40]
	v_cndmask_b32_e64 v39, 0, v39, s[34:35]
	v_cmp_ngt_f64_e64 s[34:35], -1.0, v[23:24]
	v_cndmask_b32_e64 v40, v68, v40, s[36:37]
	v_cndmask_b32_e64 v40, v41, v40, s[34:35]
	v_cmp_neq_f64_e64 s[34:35], -1.0, v[23:24]
	v_cndmask_b32_e64 v40, v42, v40, s[34:35]
	v_add_f64 v[49:50], v[21:22], v[39:40]
.LBB22_34:
	s_or_b64 exec, exec, s[42:43]
	v_max_f64 v[39:40], v[5:6], v[5:6]
	v_max_f64 v[21:22], v[49:50], v[49:50]
	v_cmp_u_f64_e64 s[34:35], v[49:50], v[49:50]
	v_cmp_u_f64_e64 s[36:37], v[5:6], v[5:6]
	v_min_f64 v[23:24], v[21:22], v[39:40]
	v_max_f64 v[21:22], v[21:22], v[39:40]
	v_cndmask_b32_e64 v23, v23, v49, s[34:35]
	v_cndmask_b32_e64 v24, v24, v50, s[34:35]
	v_cndmask_b32_e64 v21, v21, v49, s[34:35]
	v_cndmask_b32_e64 v22, v22, v50, s[34:35]
	v_cndmask_b32_e64 v24, v24, v6, s[36:37]
	v_cndmask_b32_e64 v23, v23, v5, s[36:37]
	v_cndmask_b32_e64 v22, v22, v6, s[36:37]
	v_cndmask_b32_e64 v21, v21, v5, s[36:37]
	v_cmp_neq_f64_e64 s[34:35], v[23:24], v[21:22]
	v_cmp_class_f64_e64 s[42:43], v[23:24], s33
	s_or_b64 s[34:35], s[34:35], s[42:43]
	s_and_saveexec_b64 s[44:45], s[34:35]
	s_cbranch_execz .LBB22_36
; %bb.35:
	v_add_f64 v[23:24], v[23:24], -v[21:22]
	s_mov_b32 s34, 0x652b82fe
	s_mov_b32 s35, 0x3ff71547
	s_mov_b32 s47, 0xbfe62e42
	s_mov_b32 s46, 0xfefa39ef
	s_mov_b32 s49, 0xbc7abc9e
	s_mov_b32 s48, 0x3b39803f
	v_mov_b32_e32 v51, 0xfca7ab0c
	v_mul_f64 v[41:42], v[23:24], s[34:35]
	s_mov_b32 s34, 0x6a5dcb37
	v_mov_b32_e32 v52, 0x3e928af3
	s_mov_b32 s35, 0x3e5ade15
	s_mov_b32 s42, 0
	;; [unrolled: 1-line block ×3, first 2 shown]
	v_cmp_ngt_f64_e64 s[42:43], s[42:43], v[23:24]
	v_mov_b32_e32 v70, 0x7ff00000
	v_rndne_f64_e32 v[41:42], v[41:42]
	v_fma_f64 v[49:50], v[41:42], s[46:47], v[23:24]
	s_mov_b32 s47, 0x3fe62e42
	v_fma_f64 v[49:50], v[41:42], s[48:49], v[49:50]
	v_cvt_i32_f64_e32 v41, v[41:42]
	s_mov_b32 s49, 0x3c7abc9e
	v_fma_f64 v[51:52], v[49:50], s[34:35], v[51:52]
	s_mov_b32 s34, 0x623fde64
	s_mov_b32 s35, 0x3ec71dee
	v_fma_f64 v[51:52], v[49:50], v[51:52], s[34:35]
	s_mov_b32 s34, 0x7c89e6b0
	;; [unrolled: 3-line block ×9, first 2 shown]
	s_mov_b32 s35, 0x40900000
	v_cmp_nlt_f64_e64 s[34:35], s[34:35], v[23:24]
	v_fma_f64 v[51:52], v[49:50], v[51:52], 1.0
	v_fma_f64 v[49:50], v[49:50], v[51:52], 1.0
	v_ldexp_f64 v[41:42], v[49:50], v41
	v_cndmask_b32_e64 v42, v70, v42, s[34:35]
	s_and_b64 s[34:35], s[42:43], s[34:35]
	v_cndmask_b32_e64 v24, 0, v42, s[42:43]
	v_cndmask_b32_e64 v23, 0, v41, s[34:35]
	v_add_f64 v[41:42], v[23:24], 1.0
	s_mov_b32 s43, 0x3fe55555
	s_mov_b32 s42, 0x55555555
	v_frexp_mant_f64_e32 v[51:52], v[41:42]
	v_frexp_exp_i32_f64_e32 v55, v[41:42]
	v_add_f64 v[49:50], v[41:42], -1.0
	v_cmp_gt_f64_e64 s[34:35], s[42:43], v[51:52]
	s_mov_b32 s42, 0x55555780
	v_add_f64 v[53:54], v[49:50], -v[41:42]
	v_add_f64 v[49:50], v[23:24], -v[49:50]
	v_subbrev_co_u32_e64 v71, s[34:35], 0, v55, s[34:35]
	v_sub_u32_e32 v55, 0, v71
	v_ldexp_f64 v[41:42], v[41:42], v55
	v_add_f64 v[51:52], v[53:54], 1.0
	s_mov_b32 s34, 0xbf559e2b
	s_mov_b32 s35, 0x3fc3ab76
	v_add_f64 v[53:54], v[41:42], 1.0
	v_add_f64 v[49:50], v[49:50], v[51:52]
	v_add_f64 v[60:61], v[41:42], -1.0
	v_add_f64 v[51:52], v[53:54], -1.0
	v_ldexp_f64 v[49:50], v[49:50], v55
	v_add_f64 v[62:63], v[60:61], 1.0
	v_add_f64 v[51:52], v[41:42], -v[51:52]
	v_add_f64 v[41:42], v[41:42], -v[62:63]
	v_add_f64 v[51:52], v[49:50], v[51:52]
	v_add_f64 v[41:42], v[49:50], v[41:42]
	;; [unrolled: 1-line block ×4, first 2 shown]
	v_rcp_f64_e32 v[58:59], v[55:56]
	v_add_f64 v[53:54], v[55:56], -v[53:54]
	v_add_f64 v[60:61], v[62:63], -v[60:61]
	;; [unrolled: 1-line block ×4, first 2 shown]
	v_fma_f64 v[64:65], -v[55:56], v[58:59], 1.0
	v_fma_f64 v[58:59], v[64:65], v[58:59], v[58:59]
	v_fma_f64 v[49:50], -v[55:56], v[58:59], 1.0
	v_fma_f64 v[49:50], v[49:50], v[58:59], v[58:59]
	v_mul_f64 v[58:59], v[62:63], v[49:50]
	v_mul_f64 v[64:65], v[55:56], v[58:59]
	v_fma_f64 v[53:54], v[58:59], v[55:56], -v[64:65]
	v_fma_f64 v[53:54], v[58:59], v[51:52], v[53:54]
	v_add_f64 v[66:67], v[64:65], v[53:54]
	v_add_f64 v[68:69], v[62:63], -v[66:67]
	v_add_f64 v[60:61], v[66:67], -v[64:65]
	;; [unrolled: 1-line block ×5, first 2 shown]
	v_add_f64 v[41:42], v[41:42], v[62:63]
	v_add_f64 v[41:42], v[53:54], v[41:42]
	;; [unrolled: 1-line block ×3, first 2 shown]
	v_mul_f64 v[60:61], v[49:50], v[53:54]
	v_add_f64 v[66:67], v[68:69], -v[53:54]
	v_mul_f64 v[62:63], v[55:56], v[60:61]
	v_add_f64 v[41:42], v[41:42], v[66:67]
	v_fma_f64 v[55:56], v[60:61], v[55:56], -v[62:63]
	v_fma_f64 v[51:52], v[60:61], v[51:52], v[55:56]
	v_add_f64 v[55:56], v[62:63], v[51:52]
	v_add_f64 v[64:65], v[53:54], -v[55:56]
	v_add_f64 v[62:63], v[55:56], -v[62:63]
	;; [unrolled: 1-line block ×5, first 2 shown]
	v_mov_b32_e32 v55, 0x6b47b09a
	v_mov_b32_e32 v56, 0x3fc38538
	v_add_f64 v[41:42], v[41:42], v[53:54]
	v_add_f64 v[53:54], v[58:59], v[60:61]
	;; [unrolled: 1-line block ×3, first 2 shown]
	v_add_f64 v[51:52], v[53:54], -v[58:59]
	v_add_f64 v[41:42], v[64:65], v[41:42]
	v_add_f64 v[51:52], v[60:61], -v[51:52]
	v_mul_f64 v[41:42], v[49:50], v[41:42]
	v_add_f64 v[41:42], v[51:52], v[41:42]
	v_add_f64 v[49:50], v[53:54], v[41:42]
	v_mul_f64 v[51:52], v[49:50], v[49:50]
	v_fma_f64 v[55:56], v[51:52], s[34:35], v[55:56]
	s_mov_b32 s34, 0xd7f4df2e
	s_mov_b32 s35, 0x3fc7474d
	v_mul_f64 v[58:59], v[49:50], v[51:52]
	v_fma_f64 v[55:56], v[51:52], v[55:56], s[34:35]
	s_mov_b32 s34, 0x16291751
	s_mov_b32 s35, 0x3fcc71c0
	v_fma_f64 v[55:56], v[51:52], v[55:56], s[34:35]
	s_mov_b32 s34, 0x9b27acf1
	s_mov_b32 s35, 0x3fd24924
	;; [unrolled: 3-line block ×3, first 2 shown]
	v_fma_f64 v[55:56], v[51:52], v[55:56], s[34:35]
	v_cmp_nge_f64_e64 s[34:35], -1.0, v[23:24]
	v_fma_f64 v[51:52], v[51:52], v[55:56], s[42:43]
	v_ldexp_f64 v[55:56], v[49:50], 1
	v_add_f64 v[49:50], v[49:50], -v[53:54]
	s_mov_b32 s42, 0
	s_mov_b32 s43, 0x7ff00000
	v_cmp_neq_f64_e64 s[42:43], s[42:43], v[23:24]
	v_mul_f64 v[51:52], v[58:59], v[51:52]
	v_cvt_f64_i32_e32 v[58:59], v71
	v_add_f64 v[41:42], v[41:42], -v[49:50]
	v_mul_f64 v[60:61], v[58:59], s[46:47]
	s_and_b64 s[34:35], s[34:35], s[42:43]
	v_add_f64 v[53:54], v[55:56], v[51:52]
	v_ldexp_f64 v[41:42], v[41:42], 1
	v_add_f64 v[49:50], v[53:54], -v[55:56]
	v_fma_f64 v[55:56], v[58:59], s[46:47], -v[60:61]
	v_add_f64 v[49:50], v[51:52], -v[49:50]
	v_fma_f64 v[51:52], v[58:59], s[48:49], v[55:56]
	v_add_f64 v[41:42], v[41:42], v[49:50]
	v_add_f64 v[49:50], v[60:61], v[51:52]
	v_add_f64 v[55:56], v[53:54], v[41:42]
	v_add_f64 v[60:61], v[49:50], -v[60:61]
	v_add_f64 v[58:59], v[49:50], v[55:56]
	v_add_f64 v[53:54], v[55:56], -v[53:54]
	v_add_f64 v[51:52], v[51:52], -v[60:61]
	;; [unrolled: 1-line block ×6, first 2 shown]
	v_add_f64 v[55:56], v[51:52], v[41:42]
	v_add_f64 v[49:50], v[49:50], -v[64:65]
	v_add_f64 v[49:50], v[53:54], v[49:50]
	v_add_f64 v[53:54], v[55:56], -v[51:52]
	;; [unrolled: 2-line block ×3, first 2 shown]
	v_add_f64 v[41:42], v[41:42], -v[53:54]
	v_add_f64 v[60:61], v[58:59], v[49:50]
	v_add_f64 v[51:52], v[51:52], -v[55:56]
	v_add_f64 v[53:54], v[60:61], -v[58:59]
	v_add_f64 v[41:42], v[41:42], v[51:52]
	v_add_f64 v[49:50], v[49:50], -v[53:54]
	v_add_f64 v[41:42], v[41:42], v[49:50]
	v_mov_b32_e32 v49, 0x7ff80000
	v_mov_b32_e32 v50, 0xfff00000
	v_add_f64 v[41:42], v[60:61], v[41:42]
	v_cndmask_b32_e64 v41, 0, v41, s[34:35]
	v_cmp_ngt_f64_e64 s[34:35], -1.0, v[23:24]
	v_cndmask_b32_e64 v42, v70, v42, s[42:43]
	v_cndmask_b32_e64 v42, v49, v42, s[34:35]
	v_cmp_neq_f64_e64 s[34:35], -1.0, v[23:24]
	v_cndmask_b32_e64 v42, v50, v42, s[34:35]
	v_add_f64 v[49:50], v[21:22], v[41:42]
.LBB22_36:
	s_or_b64 exec, exec, s[44:45]
	v_max_f64 v[41:42], v[7:8], v[7:8]
	v_max_f64 v[21:22], v[49:50], v[49:50]
	v_cmp_u_f64_e64 s[42:43], v[49:50], v[49:50]
	v_cmp_u_f64_e64 s[34:35], v[7:8], v[7:8]
	v_min_f64 v[23:24], v[21:22], v[41:42]
	v_max_f64 v[21:22], v[21:22], v[41:42]
	v_cndmask_b32_e64 v23, v23, v49, s[42:43]
	v_cndmask_b32_e64 v24, v24, v50, s[42:43]
	;; [unrolled: 1-line block ×8, first 2 shown]
	v_cmp_neq_f64_e64 s[42:43], v[23:24], v[21:22]
	v_cmp_class_f64_e64 s[44:45], v[23:24], s33
	s_or_b64 s[42:43], s[42:43], s[44:45]
	s_and_saveexec_b64 s[46:47], s[42:43]
	s_cbranch_execz .LBB22_38
; %bb.37:
	v_add_f64 v[23:24], v[23:24], -v[21:22]
	s_mov_b32 s42, 0x652b82fe
	s_mov_b32 s43, 0x3ff71547
	;; [unrolled: 1-line block ×6, first 2 shown]
	v_mov_b32_e32 v53, 0xfca7ab0c
	v_mul_f64 v[49:50], v[23:24], s[42:43]
	s_mov_b32 s42, 0x6a5dcb37
	v_mov_b32_e32 v54, 0x3e928af3
	s_mov_b32 s43, 0x3e5ade15
	s_mov_b32 s44, 0
	;; [unrolled: 1-line block ×3, first 2 shown]
	v_cmp_ngt_f64_e64 s[44:45], s[44:45], v[23:24]
	v_mov_b32_e32 v72, 0x7ff00000
	v_rndne_f64_e32 v[49:50], v[49:50]
	v_fma_f64 v[51:52], v[49:50], s[48:49], v[23:24]
	s_mov_b32 s49, 0x3fe62e42
	v_fma_f64 v[51:52], v[49:50], s[50:51], v[51:52]
	v_cvt_i32_f64_e32 v49, v[49:50]
	s_mov_b32 s51, 0x3c7abc9e
	v_fma_f64 v[53:54], v[51:52], s[42:43], v[53:54]
	s_mov_b32 s42, 0x623fde64
	s_mov_b32 s43, 0x3ec71dee
	v_fma_f64 v[53:54], v[51:52], v[53:54], s[42:43]
	s_mov_b32 s42, 0x7c89e6b0
	;; [unrolled: 3-line block ×9, first 2 shown]
	s_mov_b32 s43, 0x40900000
	v_cmp_nlt_f64_e64 s[42:43], s[42:43], v[23:24]
	v_fma_f64 v[53:54], v[51:52], v[53:54], 1.0
	v_fma_f64 v[51:52], v[51:52], v[53:54], 1.0
	v_ldexp_f64 v[49:50], v[51:52], v49
	v_cndmask_b32_e64 v50, v72, v50, s[42:43]
	s_and_b64 s[42:43], s[44:45], s[42:43]
	v_cndmask_b32_e64 v24, 0, v50, s[44:45]
	v_cndmask_b32_e64 v23, 0, v49, s[42:43]
	v_add_f64 v[49:50], v[23:24], 1.0
	s_mov_b32 s45, 0x3fe55555
	s_mov_b32 s44, 0x55555555
	v_frexp_mant_f64_e32 v[53:54], v[49:50]
	v_frexp_exp_i32_f64_e32 v58, v[49:50]
	v_add_f64 v[51:52], v[49:50], -1.0
	v_cmp_gt_f64_e64 s[42:43], s[44:45], v[53:54]
	s_mov_b32 s44, 0x55555780
	v_add_f64 v[55:56], v[51:52], -v[49:50]
	v_add_f64 v[51:52], v[23:24], -v[51:52]
	v_subbrev_co_u32_e64 v73, s[42:43], 0, v58, s[42:43]
	v_sub_u32_e32 v58, 0, v73
	v_ldexp_f64 v[49:50], v[49:50], v58
	v_add_f64 v[53:54], v[55:56], 1.0
	s_mov_b32 s42, 0xbf559e2b
	s_mov_b32 s43, 0x3fc3ab76
	v_add_f64 v[55:56], v[49:50], 1.0
	v_add_f64 v[51:52], v[51:52], v[53:54]
	v_add_f64 v[62:63], v[49:50], -1.0
	v_add_f64 v[53:54], v[55:56], -1.0
	v_ldexp_f64 v[51:52], v[51:52], v58
	v_add_f64 v[64:65], v[62:63], 1.0
	v_add_f64 v[53:54], v[49:50], -v[53:54]
	v_add_f64 v[49:50], v[49:50], -v[64:65]
	v_add_f64 v[53:54], v[51:52], v[53:54]
	v_add_f64 v[49:50], v[51:52], v[49:50]
	;; [unrolled: 1-line block ×4, first 2 shown]
	v_rcp_f64_e32 v[60:61], v[58:59]
	v_add_f64 v[55:56], v[58:59], -v[55:56]
	v_add_f64 v[62:63], v[64:65], -v[62:63]
	;; [unrolled: 1-line block ×4, first 2 shown]
	v_fma_f64 v[66:67], -v[58:59], v[60:61], 1.0
	v_fma_f64 v[60:61], v[66:67], v[60:61], v[60:61]
	v_fma_f64 v[51:52], -v[58:59], v[60:61], 1.0
	v_fma_f64 v[51:52], v[51:52], v[60:61], v[60:61]
	v_mul_f64 v[60:61], v[64:65], v[51:52]
	v_mul_f64 v[66:67], v[58:59], v[60:61]
	v_fma_f64 v[55:56], v[60:61], v[58:59], -v[66:67]
	v_fma_f64 v[55:56], v[60:61], v[53:54], v[55:56]
	v_add_f64 v[68:69], v[66:67], v[55:56]
	v_add_f64 v[70:71], v[64:65], -v[68:69]
	v_add_f64 v[62:63], v[68:69], -v[66:67]
	v_add_f64 v[64:65], v[64:65], -v[70:71]
	v_add_f64 v[55:56], v[62:63], -v[55:56]
	v_add_f64 v[64:65], v[64:65], -v[68:69]
	v_add_f64 v[49:50], v[49:50], v[64:65]
	v_add_f64 v[49:50], v[55:56], v[49:50]
	;; [unrolled: 1-line block ×3, first 2 shown]
	v_mul_f64 v[62:63], v[51:52], v[55:56]
	v_add_f64 v[68:69], v[70:71], -v[55:56]
	v_mul_f64 v[64:65], v[58:59], v[62:63]
	v_add_f64 v[49:50], v[49:50], v[68:69]
	v_fma_f64 v[58:59], v[62:63], v[58:59], -v[64:65]
	v_fma_f64 v[53:54], v[62:63], v[53:54], v[58:59]
	v_add_f64 v[58:59], v[64:65], v[53:54]
	v_add_f64 v[66:67], v[55:56], -v[58:59]
	v_add_f64 v[64:65], v[58:59], -v[64:65]
	;; [unrolled: 1-line block ×5, first 2 shown]
	v_mov_b32_e32 v58, 0x6b47b09a
	v_mov_b32_e32 v59, 0x3fc38538
	v_add_f64 v[49:50], v[49:50], v[55:56]
	v_add_f64 v[55:56], v[60:61], v[62:63]
	v_add_f64 v[49:50], v[53:54], v[49:50]
	v_add_f64 v[53:54], v[55:56], -v[60:61]
	v_add_f64 v[49:50], v[66:67], v[49:50]
	v_add_f64 v[53:54], v[62:63], -v[53:54]
	v_mul_f64 v[49:50], v[51:52], v[49:50]
	v_add_f64 v[49:50], v[53:54], v[49:50]
	v_add_f64 v[51:52], v[55:56], v[49:50]
	v_mul_f64 v[53:54], v[51:52], v[51:52]
	v_fma_f64 v[58:59], v[53:54], s[42:43], v[58:59]
	s_mov_b32 s42, 0xd7f4df2e
	s_mov_b32 s43, 0x3fc7474d
	v_mul_f64 v[60:61], v[51:52], v[53:54]
	v_fma_f64 v[58:59], v[53:54], v[58:59], s[42:43]
	s_mov_b32 s42, 0x16291751
	s_mov_b32 s43, 0x3fcc71c0
	v_fma_f64 v[58:59], v[53:54], v[58:59], s[42:43]
	s_mov_b32 s42, 0x9b27acf1
	s_mov_b32 s43, 0x3fd24924
	;; [unrolled: 3-line block ×3, first 2 shown]
	v_fma_f64 v[58:59], v[53:54], v[58:59], s[42:43]
	v_cmp_nge_f64_e64 s[42:43], -1.0, v[23:24]
	v_fma_f64 v[53:54], v[53:54], v[58:59], s[44:45]
	v_ldexp_f64 v[58:59], v[51:52], 1
	v_add_f64 v[51:52], v[51:52], -v[55:56]
	s_mov_b32 s44, 0
	s_mov_b32 s45, 0x7ff00000
	v_cmp_neq_f64_e64 s[44:45], s[44:45], v[23:24]
	v_mul_f64 v[53:54], v[60:61], v[53:54]
	v_cvt_f64_i32_e32 v[60:61], v73
	v_add_f64 v[49:50], v[49:50], -v[51:52]
	v_mul_f64 v[62:63], v[60:61], s[48:49]
	s_and_b64 s[42:43], s[42:43], s[44:45]
	v_add_f64 v[55:56], v[58:59], v[53:54]
	v_ldexp_f64 v[49:50], v[49:50], 1
	v_add_f64 v[51:52], v[55:56], -v[58:59]
	v_fma_f64 v[58:59], v[60:61], s[48:49], -v[62:63]
	v_add_f64 v[51:52], v[53:54], -v[51:52]
	v_fma_f64 v[53:54], v[60:61], s[50:51], v[58:59]
	v_add_f64 v[49:50], v[49:50], v[51:52]
	v_add_f64 v[51:52], v[62:63], v[53:54]
	;; [unrolled: 1-line block ×3, first 2 shown]
	v_add_f64 v[62:63], v[51:52], -v[62:63]
	v_add_f64 v[60:61], v[51:52], v[58:59]
	v_add_f64 v[55:56], v[58:59], -v[55:56]
	v_add_f64 v[53:54], v[53:54], -v[62:63]
	;; [unrolled: 1-line block ×6, first 2 shown]
	v_add_f64 v[58:59], v[53:54], v[49:50]
	v_add_f64 v[51:52], v[51:52], -v[66:67]
	v_add_f64 v[51:52], v[55:56], v[51:52]
	v_add_f64 v[55:56], v[58:59], -v[53:54]
	;; [unrolled: 2-line block ×3, first 2 shown]
	v_add_f64 v[49:50], v[49:50], -v[55:56]
	v_add_f64 v[62:63], v[60:61], v[51:52]
	v_add_f64 v[53:54], v[53:54], -v[58:59]
	v_add_f64 v[55:56], v[62:63], -v[60:61]
	v_add_f64 v[49:50], v[49:50], v[53:54]
	v_add_f64 v[51:52], v[51:52], -v[55:56]
	v_add_f64 v[49:50], v[49:50], v[51:52]
	v_mov_b32_e32 v51, 0x7ff80000
	v_mov_b32_e32 v52, 0xfff00000
	v_add_f64 v[49:50], v[62:63], v[49:50]
	v_cndmask_b32_e64 v49, 0, v49, s[42:43]
	v_cmp_ngt_f64_e64 s[42:43], -1.0, v[23:24]
	v_cndmask_b32_e64 v50, v72, v50, s[44:45]
	v_cndmask_b32_e64 v50, v51, v50, s[42:43]
	v_cmp_neq_f64_e64 s[42:43], -1.0, v[23:24]
	v_cndmask_b32_e64 v50, v52, v50, s[42:43]
	v_add_f64 v[49:50], v[21:22], v[49:50]
.LBB22_38:
	s_or_b64 exec, exec, s[46:47]
	s_load_dwordx2 s[46:47], s[4:5], 0x20
	v_lshrrev_b32_e32 v21, 2, v0
	v_and_b32_e32 v21, 24, v21
	v_lshl_add_u32 v21, v0, 3, v21
	v_cmp_gt_u32_e64 s[4:5], 64, v0
	ds_write_b64 v21, v[49:50]
	s_waitcnt lgkmcnt(0)
	s_barrier
	s_and_saveexec_b64 s[48:49], s[4:5]
	s_cbranch_execz .LBB22_70
; %bb.39:
	v_lshrrev_b32_e32 v21, 1, v0
	v_and_b32_e32 v21, 56, v21
	v_lshlrev_b32_e32 v22, 4, v0
	v_add_u32_e32 v58, v21, v22
	ds_read2_b64 v[21:24], v58 offset1:1
	s_waitcnt lgkmcnt(0)
	v_max_f64 v[53:54], v[23:24], v[23:24]
	v_max_f64 v[51:52], v[21:22], v[21:22]
	v_cmp_u_f64_e64 s[4:5], v[21:22], v[21:22]
	v_cmp_u_f64_e64 s[42:43], v[23:24], v[23:24]
	v_min_f64 v[55:56], v[51:52], v[53:54]
	v_max_f64 v[53:54], v[51:52], v[53:54]
	v_cndmask_b32_e64 v55, v55, v21, s[4:5]
	v_cndmask_b32_e64 v56, v56, v22, s[4:5]
	;; [unrolled: 1-line block ×8, first 2 shown]
	v_cmp_neq_f64_e64 s[42:43], v[55:56], v[53:54]
	v_cmp_class_f64_e64 s[44:45], v[55:56], s33
	v_mov_b32_e32 v24, v22
	v_mov_b32_e32 v23, v21
	s_or_b64 s[42:43], s[42:43], s[44:45]
	s_and_saveexec_b64 s[50:51], s[42:43]
	s_cbranch_execz .LBB22_41
; %bb.40:
	v_add_f64 v[23:24], v[55:56], -v[53:54]
	s_mov_b32 s42, 0x652b82fe
	s_mov_b32 s43, 0x3ff71547
	;; [unrolled: 1-line block ×6, first 2 shown]
	v_mov_b32_e32 v61, 0xfca7ab0c
	v_mul_f64 v[55:56], v[23:24], s[42:43]
	s_mov_b32 s42, 0x6a5dcb37
	v_mov_b32_e32 v62, 0x3e928af3
	s_mov_b32 s43, 0x3e5ade15
	s_mov_b32 s44, 0
	;; [unrolled: 1-line block ×3, first 2 shown]
	v_cmp_ngt_f64_e64 s[44:45], s[44:45], v[23:24]
	v_mov_b32_e32 v79, 0x7ff00000
	v_rndne_f64_e32 v[55:56], v[55:56]
	v_fma_f64 v[59:60], v[55:56], s[52:53], v[23:24]
	s_mov_b32 s53, 0x3fe62e42
	v_fma_f64 v[59:60], v[55:56], s[54:55], v[59:60]
	v_cvt_i32_f64_e32 v55, v[55:56]
	s_mov_b32 s55, 0x3c7abc9e
	v_fma_f64 v[61:62], v[59:60], s[42:43], v[61:62]
	s_mov_b32 s42, 0x623fde64
	s_mov_b32 s43, 0x3ec71dee
	v_fma_f64 v[61:62], v[59:60], v[61:62], s[42:43]
	s_mov_b32 s42, 0x7c89e6b0
	s_mov_b32 s43, 0x3efa0199
	v_fma_f64 v[61:62], v[59:60], v[61:62], s[42:43]
	s_mov_b32 s42, 0x14761f6e
	s_mov_b32 s43, 0x3f2a01a0
	v_fma_f64 v[61:62], v[59:60], v[61:62], s[42:43]
	s_mov_b32 s42, 0x1852b7b0
	s_mov_b32 s43, 0x3f56c16c
	v_fma_f64 v[61:62], v[59:60], v[61:62], s[42:43]
	s_mov_b32 s42, 0x11122322
	s_mov_b32 s43, 0x3f811111
	v_fma_f64 v[61:62], v[59:60], v[61:62], s[42:43]
	s_mov_b32 s42, 0x555502a1
	s_mov_b32 s43, 0x3fa55555
	v_fma_f64 v[61:62], v[59:60], v[61:62], s[42:43]
	s_mov_b32 s42, 0x55555511
	s_mov_b32 s43, 0x3fc55555
	v_fma_f64 v[61:62], v[59:60], v[61:62], s[42:43]
	s_mov_b32 s42, 11
	s_mov_b32 s43, 0x3fe00000
	v_fma_f64 v[61:62], v[59:60], v[61:62], s[42:43]
	s_mov_b32 s42, 0
	s_mov_b32 s43, 0x40900000
	v_cmp_nlt_f64_e64 s[42:43], s[42:43], v[23:24]
	v_fma_f64 v[61:62], v[59:60], v[61:62], 1.0
	v_fma_f64 v[59:60], v[59:60], v[61:62], 1.0
	v_ldexp_f64 v[55:56], v[59:60], v55
	v_cndmask_b32_e64 v56, v79, v56, s[42:43]
	s_and_b64 s[42:43], s[44:45], s[42:43]
	v_cndmask_b32_e64 v24, 0, v56, s[44:45]
	v_cndmask_b32_e64 v23, 0, v55, s[42:43]
	v_add_f64 v[55:56], v[23:24], 1.0
	s_mov_b32 s45, 0x3fe55555
	s_mov_b32 s44, 0x55555555
	v_frexp_mant_f64_e32 v[61:62], v[55:56]
	v_frexp_exp_i32_f64_e32 v65, v[55:56]
	v_add_f64 v[59:60], v[55:56], -1.0
	v_cmp_gt_f64_e64 s[42:43], s[44:45], v[61:62]
	s_mov_b32 s44, 0x55555780
	v_add_f64 v[63:64], v[59:60], -v[55:56]
	v_add_f64 v[59:60], v[23:24], -v[59:60]
	v_subbrev_co_u32_e64 v80, s[42:43], 0, v65, s[42:43]
	v_sub_u32_e32 v65, 0, v80
	v_ldexp_f64 v[55:56], v[55:56], v65
	v_add_f64 v[61:62], v[63:64], 1.0
	s_mov_b32 s42, 0xbf559e2b
	s_mov_b32 s43, 0x3fc3ab76
	v_add_f64 v[63:64], v[55:56], 1.0
	v_add_f64 v[59:60], v[59:60], v[61:62]
	v_add_f64 v[69:70], v[55:56], -1.0
	v_add_f64 v[61:62], v[63:64], -1.0
	v_ldexp_f64 v[59:60], v[59:60], v65
	v_add_f64 v[71:72], v[69:70], 1.0
	v_add_f64 v[61:62], v[55:56], -v[61:62]
	v_add_f64 v[55:56], v[55:56], -v[71:72]
	v_add_f64 v[61:62], v[59:60], v[61:62]
	v_add_f64 v[55:56], v[59:60], v[55:56]
	v_add_f64 v[65:66], v[63:64], v[61:62]
	v_add_f64 v[71:72], v[69:70], v[55:56]
	v_rcp_f64_e32 v[67:68], v[65:66]
	v_add_f64 v[63:64], v[65:66], -v[63:64]
	v_add_f64 v[69:70], v[71:72], -v[69:70]
	;; [unrolled: 1-line block ×4, first 2 shown]
	v_fma_f64 v[73:74], -v[65:66], v[67:68], 1.0
	v_fma_f64 v[67:68], v[73:74], v[67:68], v[67:68]
	v_fma_f64 v[59:60], -v[65:66], v[67:68], 1.0
	v_fma_f64 v[59:60], v[59:60], v[67:68], v[67:68]
	v_mul_f64 v[67:68], v[71:72], v[59:60]
	v_mul_f64 v[73:74], v[65:66], v[67:68]
	v_fma_f64 v[63:64], v[67:68], v[65:66], -v[73:74]
	v_fma_f64 v[63:64], v[67:68], v[61:62], v[63:64]
	v_add_f64 v[75:76], v[73:74], v[63:64]
	v_add_f64 v[77:78], v[71:72], -v[75:76]
	v_add_f64 v[69:70], v[75:76], -v[73:74]
	;; [unrolled: 1-line block ×5, first 2 shown]
	v_add_f64 v[55:56], v[55:56], v[71:72]
	v_add_f64 v[55:56], v[63:64], v[55:56]
	;; [unrolled: 1-line block ×3, first 2 shown]
	v_mul_f64 v[69:70], v[59:60], v[63:64]
	v_add_f64 v[75:76], v[77:78], -v[63:64]
	v_mul_f64 v[71:72], v[65:66], v[69:70]
	v_add_f64 v[55:56], v[55:56], v[75:76]
	v_fma_f64 v[65:66], v[69:70], v[65:66], -v[71:72]
	v_fma_f64 v[61:62], v[69:70], v[61:62], v[65:66]
	v_add_f64 v[65:66], v[71:72], v[61:62]
	v_add_f64 v[73:74], v[63:64], -v[65:66]
	v_add_f64 v[71:72], v[65:66], -v[71:72]
	v_add_f64 v[63:64], v[63:64], -v[73:74]
	v_add_f64 v[61:62], v[71:72], -v[61:62]
	v_add_f64 v[63:64], v[63:64], -v[65:66]
	v_mov_b32_e32 v65, 0x6b47b09a
	v_mov_b32_e32 v66, 0x3fc38538
	v_add_f64 v[55:56], v[55:56], v[63:64]
	v_add_f64 v[63:64], v[67:68], v[69:70]
	v_add_f64 v[55:56], v[61:62], v[55:56]
	v_add_f64 v[61:62], v[63:64], -v[67:68]
	v_add_f64 v[55:56], v[73:74], v[55:56]
	v_add_f64 v[61:62], v[69:70], -v[61:62]
	v_mul_f64 v[55:56], v[59:60], v[55:56]
	v_add_f64 v[55:56], v[61:62], v[55:56]
	v_add_f64 v[59:60], v[63:64], v[55:56]
	v_mul_f64 v[61:62], v[59:60], v[59:60]
	v_fma_f64 v[65:66], v[61:62], s[42:43], v[65:66]
	s_mov_b32 s42, 0xd7f4df2e
	s_mov_b32 s43, 0x3fc7474d
	v_mul_f64 v[67:68], v[59:60], v[61:62]
	v_fma_f64 v[65:66], v[61:62], v[65:66], s[42:43]
	s_mov_b32 s42, 0x16291751
	s_mov_b32 s43, 0x3fcc71c0
	v_fma_f64 v[65:66], v[61:62], v[65:66], s[42:43]
	s_mov_b32 s42, 0x9b27acf1
	s_mov_b32 s43, 0x3fd24924
	;; [unrolled: 3-line block ×3, first 2 shown]
	v_fma_f64 v[65:66], v[61:62], v[65:66], s[42:43]
	v_cmp_nge_f64_e64 s[42:43], -1.0, v[23:24]
	v_fma_f64 v[61:62], v[61:62], v[65:66], s[44:45]
	v_ldexp_f64 v[65:66], v[59:60], 1
	v_add_f64 v[59:60], v[59:60], -v[63:64]
	s_mov_b32 s44, 0
	s_mov_b32 s45, 0x7ff00000
	v_cmp_neq_f64_e64 s[44:45], s[44:45], v[23:24]
	v_mul_f64 v[61:62], v[67:68], v[61:62]
	v_cvt_f64_i32_e32 v[67:68], v80
	v_add_f64 v[55:56], v[55:56], -v[59:60]
	v_mul_f64 v[69:70], v[67:68], s[52:53]
	s_and_b64 s[42:43], s[42:43], s[44:45]
	v_add_f64 v[63:64], v[65:66], v[61:62]
	v_ldexp_f64 v[55:56], v[55:56], 1
	v_add_f64 v[59:60], v[63:64], -v[65:66]
	v_fma_f64 v[65:66], v[67:68], s[52:53], -v[69:70]
	v_add_f64 v[59:60], v[61:62], -v[59:60]
	v_fma_f64 v[61:62], v[67:68], s[54:55], v[65:66]
	v_add_f64 v[55:56], v[55:56], v[59:60]
	v_add_f64 v[59:60], v[69:70], v[61:62]
	;; [unrolled: 1-line block ×3, first 2 shown]
	v_add_f64 v[69:70], v[59:60], -v[69:70]
	v_add_f64 v[67:68], v[59:60], v[65:66]
	v_add_f64 v[63:64], v[65:66], -v[63:64]
	v_add_f64 v[61:62], v[61:62], -v[69:70]
	;; [unrolled: 1-line block ×6, first 2 shown]
	v_add_f64 v[65:66], v[61:62], v[55:56]
	v_add_f64 v[59:60], v[59:60], -v[73:74]
	v_add_f64 v[59:60], v[63:64], v[59:60]
	v_add_f64 v[63:64], v[65:66], -v[61:62]
	;; [unrolled: 2-line block ×3, first 2 shown]
	v_add_f64 v[55:56], v[55:56], -v[63:64]
	v_add_f64 v[69:70], v[67:68], v[59:60]
	v_add_f64 v[61:62], v[61:62], -v[65:66]
	v_add_f64 v[63:64], v[69:70], -v[67:68]
	v_add_f64 v[55:56], v[55:56], v[61:62]
	v_add_f64 v[59:60], v[59:60], -v[63:64]
	v_add_f64 v[55:56], v[55:56], v[59:60]
	v_mov_b32_e32 v59, 0x7ff80000
	v_mov_b32_e32 v60, 0xfff00000
	v_add_f64 v[55:56], v[69:70], v[55:56]
	v_cndmask_b32_e64 v55, 0, v55, s[42:43]
	v_cmp_ngt_f64_e64 s[42:43], -1.0, v[23:24]
	v_cndmask_b32_e64 v56, v79, v56, s[44:45]
	v_cndmask_b32_e64 v56, v59, v56, s[42:43]
	v_cmp_neq_f64_e64 s[42:43], -1.0, v[23:24]
	v_cndmask_b32_e64 v56, v60, v56, s[42:43]
	v_add_f64 v[23:24], v[53:54], v[55:56]
.LBB22_41:
	s_or_b64 exec, exec, s[50:51]
	v_mbcnt_lo_u32_b32 v53, -1, 0
	v_mbcnt_hi_u32_b32 v59, -1, v53
	v_and_b32_e32 v60, 15, v59
	v_mov_b32_dpp v53, v23 row_shr:1 row_mask:0xf bank_mask:0xf
	v_mov_b32_dpp v54, v24 row_shr:1 row_mask:0xf bank_mask:0xf
	v_cmp_ne_u32_e64 s[42:43], 0, v60
	v_mov_b32_e32 v55, v23
	v_mov_b32_e32 v56, v24
	s_and_saveexec_b64 s[44:45], s[42:43]
	s_xor_b64 s[50:51], exec, s[44:45]
	s_cbranch_execz .LBB22_45
; %bb.42:
	v_max_f64 v[55:56], v[53:54], v[53:54]
	v_max_f64 v[61:62], v[23:24], v[23:24]
	v_cmp_u_f64_e64 s[42:43], v[53:54], v[53:54]
	v_cmp_u_f64_e64 s[44:45], v[23:24], v[23:24]
	v_min_f64 v[63:64], v[55:56], v[61:62]
	v_max_f64 v[55:56], v[55:56], v[61:62]
	v_cndmask_b32_e64 v61, v64, v54, s[42:43]
	v_cndmask_b32_e64 v62, v63, v53, s[42:43]
	;; [unrolled: 1-line block ×8, first 2 shown]
	v_cmp_neq_f64_e64 s[42:43], v[55:56], v[23:24]
	v_cmp_class_f64_e64 s[44:45], v[55:56], s33
	s_or_b64 s[42:43], s[42:43], s[44:45]
	s_and_saveexec_b64 s[52:53], s[42:43]
	s_cbranch_execz .LBB22_44
; %bb.43:
	v_add_f64 v[53:54], v[55:56], -v[23:24]
	s_mov_b32 s42, 0x652b82fe
	s_mov_b32 s43, 0x3ff71547
	;; [unrolled: 1-line block ×6, first 2 shown]
	v_mov_b32_e32 v63, 0xfca7ab0c
	v_mul_f64 v[55:56], v[53:54], s[42:43]
	s_mov_b32 s42, 0x6a5dcb37
	v_mov_b32_e32 v64, 0x3e928af3
	s_mov_b32 s43, 0x3e5ade15
	s_mov_b32 s44, 0
	;; [unrolled: 1-line block ×3, first 2 shown]
	v_cmp_ngt_f64_e64 s[44:45], s[44:45], v[53:54]
	v_mov_b32_e32 v79, 0x7ff00000
	v_rndne_f64_e32 v[55:56], v[55:56]
	v_fma_f64 v[61:62], v[55:56], s[54:55], v[53:54]
	s_mov_b32 s55, 0x3fe62e42
	v_fma_f64 v[61:62], v[55:56], s[56:57], v[61:62]
	v_cvt_i32_f64_e32 v55, v[55:56]
	s_mov_b32 s57, 0x3c7abc9e
	v_fma_f64 v[63:64], v[61:62], s[42:43], v[63:64]
	s_mov_b32 s42, 0x623fde64
	s_mov_b32 s43, 0x3ec71dee
	v_fma_f64 v[63:64], v[61:62], v[63:64], s[42:43]
	s_mov_b32 s42, 0x7c89e6b0
	;; [unrolled: 3-line block ×9, first 2 shown]
	s_mov_b32 s43, 0x40900000
	v_cmp_nlt_f64_e64 s[42:43], s[42:43], v[53:54]
	v_fma_f64 v[63:64], v[61:62], v[63:64], 1.0
	v_fma_f64 v[61:62], v[61:62], v[63:64], 1.0
	v_ldexp_f64 v[55:56], v[61:62], v55
	v_cndmask_b32_e64 v56, v79, v56, s[42:43]
	s_and_b64 s[42:43], s[44:45], s[42:43]
	v_cndmask_b32_e64 v53, 0, v55, s[42:43]
	v_cndmask_b32_e64 v54, 0, v56, s[44:45]
	v_add_f64 v[55:56], v[53:54], 1.0
	s_mov_b32 s45, 0x3fe55555
	s_mov_b32 s44, 0x55555555
	v_add_f64 v[61:62], v[55:56], -1.0
	v_frexp_exp_i32_f64_e32 v65, v[55:56]
	v_add_f64 v[63:64], v[61:62], -v[55:56]
	v_add_f64 v[61:62], v[53:54], -v[61:62]
	v_add_f64 v[63:64], v[63:64], 1.0
	v_add_f64 v[61:62], v[61:62], v[63:64]
	v_frexp_mant_f64_e32 v[63:64], v[55:56]
	v_cmp_gt_f64_e64 s[42:43], s[44:45], v[63:64]
	s_mov_b32 s44, 0x55555780
	v_subbrev_co_u32_e64 v80, s[42:43], 0, v65, s[42:43]
	v_sub_u32_e32 v63, 0, v80
	v_ldexp_f64 v[55:56], v[55:56], v63
	v_ldexp_f64 v[61:62], v[61:62], v63
	s_mov_b32 s42, 0xbf559e2b
	s_mov_b32 s43, 0x3fc3ab76
	v_add_f64 v[63:64], v[55:56], -1.0
	v_add_f64 v[65:66], v[63:64], 1.0
	v_add_f64 v[65:66], v[55:56], -v[65:66]
	v_add_f64 v[65:66], v[61:62], v[65:66]
	v_add_f64 v[67:68], v[63:64], v[65:66]
	v_add_f64 v[63:64], v[67:68], -v[63:64]
	v_add_f64 v[63:64], v[65:66], -v[63:64]
	v_add_f64 v[65:66], v[55:56], 1.0
	v_add_f64 v[69:70], v[65:66], -1.0
	v_add_f64 v[55:56], v[55:56], -v[69:70]
	v_add_f64 v[55:56], v[61:62], v[55:56]
	v_add_f64 v[61:62], v[65:66], v[55:56]
	v_add_f64 v[65:66], v[61:62], -v[65:66]
	v_add_f64 v[55:56], v[55:56], -v[65:66]
	v_rcp_f64_e32 v[65:66], v[61:62]
	v_fma_f64 v[69:70], -v[61:62], v[65:66], 1.0
	v_fma_f64 v[65:66], v[69:70], v[65:66], v[65:66]
	v_fma_f64 v[69:70], -v[61:62], v[65:66], 1.0
	v_fma_f64 v[65:66], v[69:70], v[65:66], v[65:66]
	v_mul_f64 v[69:70], v[67:68], v[65:66]
	v_mul_f64 v[71:72], v[61:62], v[69:70]
	v_fma_f64 v[73:74], v[69:70], v[61:62], -v[71:72]
	v_fma_f64 v[73:74], v[69:70], v[55:56], v[73:74]
	v_add_f64 v[75:76], v[71:72], v[73:74]
	v_add_f64 v[77:78], v[67:68], -v[75:76]
	v_add_f64 v[71:72], v[75:76], -v[71:72]
	;; [unrolled: 1-line block ×4, first 2 shown]
	v_add_f64 v[63:64], v[63:64], v[67:68]
	v_add_f64 v[67:68], v[71:72], -v[73:74]
	v_add_f64 v[63:64], v[67:68], v[63:64]
	v_add_f64 v[67:68], v[77:78], v[63:64]
	v_add_f64 v[71:72], v[77:78], -v[67:68]
	v_add_f64 v[63:64], v[63:64], v[71:72]
	v_mul_f64 v[71:72], v[65:66], v[67:68]
	v_mul_f64 v[73:74], v[61:62], v[71:72]
	v_fma_f64 v[61:62], v[71:72], v[61:62], -v[73:74]
	v_fma_f64 v[55:56], v[71:72], v[55:56], v[61:62]
	v_add_f64 v[61:62], v[73:74], v[55:56]
	v_add_f64 v[75:76], v[67:68], -v[61:62]
	v_add_f64 v[73:74], v[61:62], -v[73:74]
	;; [unrolled: 1-line block ×5, first 2 shown]
	v_cvt_f64_i32_e32 v[67:68], v80
	v_add_f64 v[61:62], v[63:64], v[61:62]
	v_add_f64 v[55:56], v[55:56], v[61:62]
	;; [unrolled: 1-line block ×4, first 2 shown]
	v_add_f64 v[63:64], v[61:62], -v[69:70]
	v_mul_f64 v[69:70], v[67:68], s[54:55]
	v_mul_f64 v[55:56], v[65:66], v[55:56]
	v_add_f64 v[63:64], v[71:72], -v[63:64]
	v_mov_b32_e32 v65, 0x6b47b09a
	v_mov_b32_e32 v66, 0x3fc38538
	v_fma_f64 v[71:72], v[67:68], s[54:55], -v[69:70]
	v_add_f64 v[55:56], v[63:64], v[55:56]
	v_fma_f64 v[67:68], v[67:68], s[56:57], v[71:72]
	v_add_f64 v[63:64], v[61:62], v[55:56]
	v_add_f64 v[71:72], v[69:70], v[67:68]
	v_add_f64 v[61:62], v[63:64], -v[61:62]
	v_add_f64 v[69:70], v[71:72], -v[69:70]
	;; [unrolled: 1-line block ×3, first 2 shown]
	v_mul_f64 v[61:62], v[63:64], v[63:64]
	v_add_f64 v[67:68], v[67:68], -v[69:70]
	v_ldexp_f64 v[69:70], v[63:64], 1
	v_ldexp_f64 v[55:56], v[55:56], 1
	v_fma_f64 v[65:66], v[61:62], s[42:43], v[65:66]
	s_mov_b32 s42, 0xd7f4df2e
	s_mov_b32 s43, 0x3fc7474d
	v_fma_f64 v[65:66], v[61:62], v[65:66], s[42:43]
	s_mov_b32 s42, 0x16291751
	s_mov_b32 s43, 0x3fcc71c0
	;; [unrolled: 3-line block ×5, first 2 shown]
	v_cmp_neq_f64_e64 s[42:43], s[42:43], v[53:54]
	v_fma_f64 v[65:66], v[61:62], v[65:66], s[44:45]
	v_mul_f64 v[61:62], v[63:64], v[61:62]
	v_cmp_ngt_f64_e64 s[44:45], -1.0, v[53:54]
	v_mul_f64 v[61:62], v[61:62], v[65:66]
	v_add_f64 v[63:64], v[69:70], v[61:62]
	v_add_f64 v[65:66], v[63:64], -v[69:70]
	v_add_f64 v[61:62], v[61:62], -v[65:66]
	v_add_f64 v[55:56], v[55:56], v[61:62]
	v_add_f64 v[61:62], v[63:64], v[55:56]
	v_add_f64 v[63:64], v[61:62], -v[63:64]
	v_add_f64 v[55:56], v[55:56], -v[63:64]
	v_add_f64 v[63:64], v[71:72], v[61:62]
	v_add_f64 v[65:66], v[63:64], -v[71:72]
	v_add_f64 v[69:70], v[63:64], -v[65:66]
	v_add_f64 v[61:62], v[61:62], -v[65:66]
	v_add_f64 v[65:66], v[67:68], v[55:56]
	v_add_f64 v[69:70], v[71:72], -v[69:70]
	v_add_f64 v[61:62], v[61:62], v[69:70]
	v_add_f64 v[69:70], v[65:66], -v[67:68]
	;; [unrolled: 2-line block ×3, first 2 shown]
	v_add_f64 v[55:56], v[55:56], -v[69:70]
	v_add_f64 v[65:66], v[63:64], v[61:62]
	v_add_f64 v[67:68], v[67:68], -v[71:72]
	v_add_f64 v[63:64], v[65:66], -v[63:64]
	v_add_f64 v[55:56], v[55:56], v[67:68]
	v_add_f64 v[61:62], v[61:62], -v[63:64]
	v_add_f64 v[55:56], v[55:56], v[61:62]
	v_mov_b32_e32 v61, 0x7ff80000
	v_add_f64 v[55:56], v[65:66], v[55:56]
	v_cndmask_b32_e64 v56, v79, v56, s[42:43]
	v_cndmask_b32_e64 v56, v61, v56, s[44:45]
	v_cmp_nge_f64_e64 s[44:45], -1.0, v[53:54]
	s_and_b64 s[42:43], s[44:45], s[42:43]
	v_cndmask_b32_e64 v55, 0, v55, s[42:43]
	v_cmp_neq_f64_e64 s[42:43], -1.0, v[53:54]
	v_mov_b32_e32 v53, 0xfff00000
	v_cndmask_b32_e64 v56, v53, v56, s[42:43]
	v_add_f64 v[53:54], v[23:24], v[55:56]
.LBB22_44:
	s_or_b64 exec, exec, s[52:53]
	v_mov_b32_e32 v23, v53
	v_mov_b32_e32 v55, v53
	;; [unrolled: 1-line block ×4, first 2 shown]
.LBB22_45:
	s_or_b64 exec, exec, s[50:51]
	v_mov_b32_dpp v53, v55 row_shr:2 row_mask:0xf bank_mask:0xf
	v_mov_b32_dpp v54, v56 row_shr:2 row_mask:0xf bank_mask:0xf
	v_cmp_lt_u32_e64 s[42:43], 1, v60
	s_and_saveexec_b64 s[50:51], s[42:43]
	s_cbranch_execz .LBB22_49
; %bb.46:
	v_max_f64 v[55:56], v[53:54], v[53:54]
	v_max_f64 v[61:62], v[23:24], v[23:24]
	v_cmp_u_f64_e64 s[42:43], v[53:54], v[53:54]
	v_cmp_u_f64_e64 s[44:45], v[23:24], v[23:24]
	v_min_f64 v[63:64], v[55:56], v[61:62]
	v_max_f64 v[55:56], v[55:56], v[61:62]
	v_cndmask_b32_e64 v61, v64, v54, s[42:43]
	v_cndmask_b32_e64 v62, v63, v53, s[42:43]
	;; [unrolled: 1-line block ×8, first 2 shown]
	v_cmp_neq_f64_e64 s[42:43], v[55:56], v[23:24]
	v_cmp_class_f64_e64 s[44:45], v[55:56], s33
	s_or_b64 s[42:43], s[42:43], s[44:45]
	s_and_saveexec_b64 s[52:53], s[42:43]
	s_cbranch_execz .LBB22_48
; %bb.47:
	v_add_f64 v[53:54], v[55:56], -v[23:24]
	s_mov_b32 s42, 0x652b82fe
	s_mov_b32 s43, 0x3ff71547
	;; [unrolled: 1-line block ×6, first 2 shown]
	v_mov_b32_e32 v63, 0xfca7ab0c
	v_mul_f64 v[55:56], v[53:54], s[42:43]
	s_mov_b32 s42, 0x6a5dcb37
	v_mov_b32_e32 v64, 0x3e928af3
	s_mov_b32 s43, 0x3e5ade15
	s_mov_b32 s44, 0
	;; [unrolled: 1-line block ×3, first 2 shown]
	v_cmp_ngt_f64_e64 s[44:45], s[44:45], v[53:54]
	v_mov_b32_e32 v79, 0x7ff00000
	v_rndne_f64_e32 v[55:56], v[55:56]
	v_fma_f64 v[61:62], v[55:56], s[54:55], v[53:54]
	s_mov_b32 s55, 0x3fe62e42
	v_fma_f64 v[61:62], v[55:56], s[56:57], v[61:62]
	v_cvt_i32_f64_e32 v55, v[55:56]
	s_mov_b32 s57, 0x3c7abc9e
	v_fma_f64 v[63:64], v[61:62], s[42:43], v[63:64]
	s_mov_b32 s42, 0x623fde64
	s_mov_b32 s43, 0x3ec71dee
	v_fma_f64 v[63:64], v[61:62], v[63:64], s[42:43]
	s_mov_b32 s42, 0x7c89e6b0
	s_mov_b32 s43, 0x3efa0199
	v_fma_f64 v[63:64], v[61:62], v[63:64], s[42:43]
	s_mov_b32 s42, 0x14761f6e
	s_mov_b32 s43, 0x3f2a01a0
	v_fma_f64 v[63:64], v[61:62], v[63:64], s[42:43]
	s_mov_b32 s42, 0x1852b7b0
	s_mov_b32 s43, 0x3f56c16c
	v_fma_f64 v[63:64], v[61:62], v[63:64], s[42:43]
	s_mov_b32 s42, 0x11122322
	s_mov_b32 s43, 0x3f811111
	v_fma_f64 v[63:64], v[61:62], v[63:64], s[42:43]
	s_mov_b32 s42, 0x555502a1
	s_mov_b32 s43, 0x3fa55555
	v_fma_f64 v[63:64], v[61:62], v[63:64], s[42:43]
	s_mov_b32 s42, 0x55555511
	s_mov_b32 s43, 0x3fc55555
	v_fma_f64 v[63:64], v[61:62], v[63:64], s[42:43]
	s_mov_b32 s42, 11
	s_mov_b32 s43, 0x3fe00000
	v_fma_f64 v[63:64], v[61:62], v[63:64], s[42:43]
	s_mov_b32 s42, 0
	s_mov_b32 s43, 0x40900000
	v_cmp_nlt_f64_e64 s[42:43], s[42:43], v[53:54]
	v_fma_f64 v[63:64], v[61:62], v[63:64], 1.0
	v_fma_f64 v[61:62], v[61:62], v[63:64], 1.0
	v_ldexp_f64 v[55:56], v[61:62], v55
	v_cndmask_b32_e64 v56, v79, v56, s[42:43]
	s_and_b64 s[42:43], s[44:45], s[42:43]
	v_cndmask_b32_e64 v53, 0, v55, s[42:43]
	v_cndmask_b32_e64 v54, 0, v56, s[44:45]
	v_add_f64 v[55:56], v[53:54], 1.0
	s_mov_b32 s45, 0x3fe55555
	s_mov_b32 s44, 0x55555555
	v_add_f64 v[61:62], v[55:56], -1.0
	v_frexp_exp_i32_f64_e32 v65, v[55:56]
	v_add_f64 v[63:64], v[61:62], -v[55:56]
	v_add_f64 v[61:62], v[53:54], -v[61:62]
	v_add_f64 v[63:64], v[63:64], 1.0
	v_add_f64 v[61:62], v[61:62], v[63:64]
	v_frexp_mant_f64_e32 v[63:64], v[55:56]
	v_cmp_gt_f64_e64 s[42:43], s[44:45], v[63:64]
	s_mov_b32 s44, 0x55555780
	v_subbrev_co_u32_e64 v80, s[42:43], 0, v65, s[42:43]
	v_sub_u32_e32 v63, 0, v80
	v_ldexp_f64 v[55:56], v[55:56], v63
	v_ldexp_f64 v[61:62], v[61:62], v63
	s_mov_b32 s42, 0xbf559e2b
	s_mov_b32 s43, 0x3fc3ab76
	v_add_f64 v[63:64], v[55:56], -1.0
	v_add_f64 v[65:66], v[63:64], 1.0
	v_add_f64 v[65:66], v[55:56], -v[65:66]
	v_add_f64 v[65:66], v[61:62], v[65:66]
	v_add_f64 v[67:68], v[63:64], v[65:66]
	v_add_f64 v[63:64], v[67:68], -v[63:64]
	v_add_f64 v[63:64], v[65:66], -v[63:64]
	v_add_f64 v[65:66], v[55:56], 1.0
	v_add_f64 v[69:70], v[65:66], -1.0
	v_add_f64 v[55:56], v[55:56], -v[69:70]
	v_add_f64 v[55:56], v[61:62], v[55:56]
	v_add_f64 v[61:62], v[65:66], v[55:56]
	v_add_f64 v[65:66], v[61:62], -v[65:66]
	v_add_f64 v[55:56], v[55:56], -v[65:66]
	v_rcp_f64_e32 v[65:66], v[61:62]
	v_fma_f64 v[69:70], -v[61:62], v[65:66], 1.0
	v_fma_f64 v[65:66], v[69:70], v[65:66], v[65:66]
	v_fma_f64 v[69:70], -v[61:62], v[65:66], 1.0
	v_fma_f64 v[65:66], v[69:70], v[65:66], v[65:66]
	v_mul_f64 v[69:70], v[67:68], v[65:66]
	v_mul_f64 v[71:72], v[61:62], v[69:70]
	v_fma_f64 v[73:74], v[69:70], v[61:62], -v[71:72]
	v_fma_f64 v[73:74], v[69:70], v[55:56], v[73:74]
	v_add_f64 v[75:76], v[71:72], v[73:74]
	v_add_f64 v[77:78], v[67:68], -v[75:76]
	v_add_f64 v[71:72], v[75:76], -v[71:72]
	;; [unrolled: 1-line block ×4, first 2 shown]
	v_add_f64 v[63:64], v[63:64], v[67:68]
	v_add_f64 v[67:68], v[71:72], -v[73:74]
	v_add_f64 v[63:64], v[67:68], v[63:64]
	v_add_f64 v[67:68], v[77:78], v[63:64]
	v_add_f64 v[71:72], v[77:78], -v[67:68]
	v_add_f64 v[63:64], v[63:64], v[71:72]
	v_mul_f64 v[71:72], v[65:66], v[67:68]
	v_mul_f64 v[73:74], v[61:62], v[71:72]
	v_fma_f64 v[61:62], v[71:72], v[61:62], -v[73:74]
	v_fma_f64 v[55:56], v[71:72], v[55:56], v[61:62]
	v_add_f64 v[61:62], v[73:74], v[55:56]
	v_add_f64 v[75:76], v[67:68], -v[61:62]
	v_add_f64 v[73:74], v[61:62], -v[73:74]
	;; [unrolled: 1-line block ×5, first 2 shown]
	v_cvt_f64_i32_e32 v[67:68], v80
	v_add_f64 v[61:62], v[63:64], v[61:62]
	v_add_f64 v[55:56], v[55:56], v[61:62]
	;; [unrolled: 1-line block ×4, first 2 shown]
	v_add_f64 v[63:64], v[61:62], -v[69:70]
	v_mul_f64 v[69:70], v[67:68], s[54:55]
	v_mul_f64 v[55:56], v[65:66], v[55:56]
	v_add_f64 v[63:64], v[71:72], -v[63:64]
	v_mov_b32_e32 v65, 0x6b47b09a
	v_mov_b32_e32 v66, 0x3fc38538
	v_fma_f64 v[71:72], v[67:68], s[54:55], -v[69:70]
	v_add_f64 v[55:56], v[63:64], v[55:56]
	v_fma_f64 v[67:68], v[67:68], s[56:57], v[71:72]
	v_add_f64 v[63:64], v[61:62], v[55:56]
	v_add_f64 v[71:72], v[69:70], v[67:68]
	v_add_f64 v[61:62], v[63:64], -v[61:62]
	v_add_f64 v[69:70], v[71:72], -v[69:70]
	;; [unrolled: 1-line block ×3, first 2 shown]
	v_mul_f64 v[61:62], v[63:64], v[63:64]
	v_add_f64 v[67:68], v[67:68], -v[69:70]
	v_ldexp_f64 v[69:70], v[63:64], 1
	v_ldexp_f64 v[55:56], v[55:56], 1
	v_fma_f64 v[65:66], v[61:62], s[42:43], v[65:66]
	s_mov_b32 s42, 0xd7f4df2e
	s_mov_b32 s43, 0x3fc7474d
	v_fma_f64 v[65:66], v[61:62], v[65:66], s[42:43]
	s_mov_b32 s42, 0x16291751
	s_mov_b32 s43, 0x3fcc71c0
	;; [unrolled: 3-line block ×5, first 2 shown]
	v_cmp_neq_f64_e64 s[42:43], s[42:43], v[53:54]
	v_fma_f64 v[65:66], v[61:62], v[65:66], s[44:45]
	v_mul_f64 v[61:62], v[63:64], v[61:62]
	v_cmp_ngt_f64_e64 s[44:45], -1.0, v[53:54]
	v_mul_f64 v[61:62], v[61:62], v[65:66]
	v_add_f64 v[63:64], v[69:70], v[61:62]
	v_add_f64 v[65:66], v[63:64], -v[69:70]
	v_add_f64 v[61:62], v[61:62], -v[65:66]
	v_add_f64 v[55:56], v[55:56], v[61:62]
	v_add_f64 v[61:62], v[63:64], v[55:56]
	v_add_f64 v[63:64], v[61:62], -v[63:64]
	v_add_f64 v[55:56], v[55:56], -v[63:64]
	v_add_f64 v[63:64], v[71:72], v[61:62]
	v_add_f64 v[65:66], v[63:64], -v[71:72]
	v_add_f64 v[69:70], v[63:64], -v[65:66]
	;; [unrolled: 1-line block ×3, first 2 shown]
	v_add_f64 v[65:66], v[67:68], v[55:56]
	v_add_f64 v[69:70], v[71:72], -v[69:70]
	v_add_f64 v[61:62], v[61:62], v[69:70]
	v_add_f64 v[69:70], v[65:66], -v[67:68]
	;; [unrolled: 2-line block ×3, first 2 shown]
	v_add_f64 v[55:56], v[55:56], -v[69:70]
	v_add_f64 v[65:66], v[63:64], v[61:62]
	v_add_f64 v[67:68], v[67:68], -v[71:72]
	v_add_f64 v[63:64], v[65:66], -v[63:64]
	v_add_f64 v[55:56], v[55:56], v[67:68]
	v_add_f64 v[61:62], v[61:62], -v[63:64]
	v_add_f64 v[55:56], v[55:56], v[61:62]
	v_mov_b32_e32 v61, 0x7ff80000
	v_add_f64 v[55:56], v[65:66], v[55:56]
	v_cndmask_b32_e64 v56, v79, v56, s[42:43]
	v_cndmask_b32_e64 v56, v61, v56, s[44:45]
	v_cmp_nge_f64_e64 s[44:45], -1.0, v[53:54]
	s_and_b64 s[42:43], s[44:45], s[42:43]
	v_cndmask_b32_e64 v55, 0, v55, s[42:43]
	v_cmp_neq_f64_e64 s[42:43], -1.0, v[53:54]
	v_mov_b32_e32 v53, 0xfff00000
	v_cndmask_b32_e64 v56, v53, v56, s[42:43]
	v_add_f64 v[53:54], v[23:24], v[55:56]
.LBB22_48:
	s_or_b64 exec, exec, s[52:53]
	v_mov_b32_e32 v23, v53
	v_mov_b32_e32 v24, v54
	;; [unrolled: 1-line block ×4, first 2 shown]
.LBB22_49:
	s_or_b64 exec, exec, s[50:51]
	v_mov_b32_dpp v53, v55 row_shr:4 row_mask:0xf bank_mask:0xf
	v_mov_b32_dpp v54, v56 row_shr:4 row_mask:0xf bank_mask:0xf
	v_cmp_lt_u32_e64 s[42:43], 3, v60
	s_and_saveexec_b64 s[50:51], s[42:43]
	s_cbranch_execz .LBB22_53
; %bb.50:
	v_max_f64 v[55:56], v[53:54], v[53:54]
	v_max_f64 v[61:62], v[23:24], v[23:24]
	v_cmp_u_f64_e64 s[42:43], v[53:54], v[53:54]
	v_cmp_u_f64_e64 s[44:45], v[23:24], v[23:24]
	v_min_f64 v[63:64], v[55:56], v[61:62]
	v_max_f64 v[55:56], v[55:56], v[61:62]
	v_cndmask_b32_e64 v61, v64, v54, s[42:43]
	v_cndmask_b32_e64 v62, v63, v53, s[42:43]
	;; [unrolled: 1-line block ×8, first 2 shown]
	v_cmp_neq_f64_e64 s[42:43], v[55:56], v[23:24]
	v_cmp_class_f64_e64 s[44:45], v[55:56], s33
	s_or_b64 s[42:43], s[42:43], s[44:45]
	s_and_saveexec_b64 s[52:53], s[42:43]
	s_cbranch_execz .LBB22_52
; %bb.51:
	v_add_f64 v[53:54], v[55:56], -v[23:24]
	s_mov_b32 s42, 0x652b82fe
	s_mov_b32 s43, 0x3ff71547
	;; [unrolled: 1-line block ×6, first 2 shown]
	v_mov_b32_e32 v63, 0xfca7ab0c
	v_mul_f64 v[55:56], v[53:54], s[42:43]
	s_mov_b32 s42, 0x6a5dcb37
	v_mov_b32_e32 v64, 0x3e928af3
	s_mov_b32 s43, 0x3e5ade15
	s_mov_b32 s44, 0
	;; [unrolled: 1-line block ×3, first 2 shown]
	v_cmp_ngt_f64_e64 s[44:45], s[44:45], v[53:54]
	v_mov_b32_e32 v79, 0x7ff00000
	v_rndne_f64_e32 v[55:56], v[55:56]
	v_fma_f64 v[61:62], v[55:56], s[54:55], v[53:54]
	s_mov_b32 s55, 0x3fe62e42
	v_fma_f64 v[61:62], v[55:56], s[56:57], v[61:62]
	v_cvt_i32_f64_e32 v55, v[55:56]
	s_mov_b32 s57, 0x3c7abc9e
	v_fma_f64 v[63:64], v[61:62], s[42:43], v[63:64]
	s_mov_b32 s42, 0x623fde64
	s_mov_b32 s43, 0x3ec71dee
	v_fma_f64 v[63:64], v[61:62], v[63:64], s[42:43]
	s_mov_b32 s42, 0x7c89e6b0
	;; [unrolled: 3-line block ×9, first 2 shown]
	s_mov_b32 s43, 0x40900000
	v_cmp_nlt_f64_e64 s[42:43], s[42:43], v[53:54]
	v_fma_f64 v[63:64], v[61:62], v[63:64], 1.0
	v_fma_f64 v[61:62], v[61:62], v[63:64], 1.0
	v_ldexp_f64 v[55:56], v[61:62], v55
	v_cndmask_b32_e64 v56, v79, v56, s[42:43]
	s_and_b64 s[42:43], s[44:45], s[42:43]
	v_cndmask_b32_e64 v53, 0, v55, s[42:43]
	v_cndmask_b32_e64 v54, 0, v56, s[44:45]
	v_add_f64 v[55:56], v[53:54], 1.0
	s_mov_b32 s45, 0x3fe55555
	s_mov_b32 s44, 0x55555555
	v_add_f64 v[61:62], v[55:56], -1.0
	v_frexp_exp_i32_f64_e32 v65, v[55:56]
	v_add_f64 v[63:64], v[61:62], -v[55:56]
	v_add_f64 v[61:62], v[53:54], -v[61:62]
	v_add_f64 v[63:64], v[63:64], 1.0
	v_add_f64 v[61:62], v[61:62], v[63:64]
	v_frexp_mant_f64_e32 v[63:64], v[55:56]
	v_cmp_gt_f64_e64 s[42:43], s[44:45], v[63:64]
	s_mov_b32 s44, 0x55555780
	v_subbrev_co_u32_e64 v80, s[42:43], 0, v65, s[42:43]
	v_sub_u32_e32 v63, 0, v80
	v_ldexp_f64 v[55:56], v[55:56], v63
	v_ldexp_f64 v[61:62], v[61:62], v63
	s_mov_b32 s42, 0xbf559e2b
	s_mov_b32 s43, 0x3fc3ab76
	v_add_f64 v[63:64], v[55:56], -1.0
	v_add_f64 v[65:66], v[63:64], 1.0
	v_add_f64 v[65:66], v[55:56], -v[65:66]
	v_add_f64 v[65:66], v[61:62], v[65:66]
	v_add_f64 v[67:68], v[63:64], v[65:66]
	v_add_f64 v[63:64], v[67:68], -v[63:64]
	v_add_f64 v[63:64], v[65:66], -v[63:64]
	v_add_f64 v[65:66], v[55:56], 1.0
	v_add_f64 v[69:70], v[65:66], -1.0
	v_add_f64 v[55:56], v[55:56], -v[69:70]
	v_add_f64 v[55:56], v[61:62], v[55:56]
	v_add_f64 v[61:62], v[65:66], v[55:56]
	v_add_f64 v[65:66], v[61:62], -v[65:66]
	v_add_f64 v[55:56], v[55:56], -v[65:66]
	v_rcp_f64_e32 v[65:66], v[61:62]
	v_fma_f64 v[69:70], -v[61:62], v[65:66], 1.0
	v_fma_f64 v[65:66], v[69:70], v[65:66], v[65:66]
	v_fma_f64 v[69:70], -v[61:62], v[65:66], 1.0
	v_fma_f64 v[65:66], v[69:70], v[65:66], v[65:66]
	v_mul_f64 v[69:70], v[67:68], v[65:66]
	v_mul_f64 v[71:72], v[61:62], v[69:70]
	v_fma_f64 v[73:74], v[69:70], v[61:62], -v[71:72]
	v_fma_f64 v[73:74], v[69:70], v[55:56], v[73:74]
	v_add_f64 v[75:76], v[71:72], v[73:74]
	v_add_f64 v[77:78], v[67:68], -v[75:76]
	v_add_f64 v[71:72], v[75:76], -v[71:72]
	;; [unrolled: 1-line block ×4, first 2 shown]
	v_add_f64 v[63:64], v[63:64], v[67:68]
	v_add_f64 v[67:68], v[71:72], -v[73:74]
	v_add_f64 v[63:64], v[67:68], v[63:64]
	v_add_f64 v[67:68], v[77:78], v[63:64]
	v_add_f64 v[71:72], v[77:78], -v[67:68]
	v_add_f64 v[63:64], v[63:64], v[71:72]
	v_mul_f64 v[71:72], v[65:66], v[67:68]
	v_mul_f64 v[73:74], v[61:62], v[71:72]
	v_fma_f64 v[61:62], v[71:72], v[61:62], -v[73:74]
	v_fma_f64 v[55:56], v[71:72], v[55:56], v[61:62]
	v_add_f64 v[61:62], v[73:74], v[55:56]
	v_add_f64 v[75:76], v[67:68], -v[61:62]
	v_add_f64 v[73:74], v[61:62], -v[73:74]
	;; [unrolled: 1-line block ×5, first 2 shown]
	v_cvt_f64_i32_e32 v[67:68], v80
	v_add_f64 v[61:62], v[63:64], v[61:62]
	v_add_f64 v[55:56], v[55:56], v[61:62]
	v_add_f64 v[61:62], v[69:70], v[71:72]
	v_add_f64 v[55:56], v[75:76], v[55:56]
	v_add_f64 v[63:64], v[61:62], -v[69:70]
	v_mul_f64 v[69:70], v[67:68], s[54:55]
	v_mul_f64 v[55:56], v[65:66], v[55:56]
	v_add_f64 v[63:64], v[71:72], -v[63:64]
	v_mov_b32_e32 v65, 0x6b47b09a
	v_mov_b32_e32 v66, 0x3fc38538
	v_fma_f64 v[71:72], v[67:68], s[54:55], -v[69:70]
	v_add_f64 v[55:56], v[63:64], v[55:56]
	v_fma_f64 v[67:68], v[67:68], s[56:57], v[71:72]
	v_add_f64 v[63:64], v[61:62], v[55:56]
	v_add_f64 v[71:72], v[69:70], v[67:68]
	v_add_f64 v[61:62], v[63:64], -v[61:62]
	v_add_f64 v[69:70], v[71:72], -v[69:70]
	;; [unrolled: 1-line block ×3, first 2 shown]
	v_mul_f64 v[61:62], v[63:64], v[63:64]
	v_add_f64 v[67:68], v[67:68], -v[69:70]
	v_ldexp_f64 v[69:70], v[63:64], 1
	v_ldexp_f64 v[55:56], v[55:56], 1
	v_fma_f64 v[65:66], v[61:62], s[42:43], v[65:66]
	s_mov_b32 s42, 0xd7f4df2e
	s_mov_b32 s43, 0x3fc7474d
	v_fma_f64 v[65:66], v[61:62], v[65:66], s[42:43]
	s_mov_b32 s42, 0x16291751
	s_mov_b32 s43, 0x3fcc71c0
	;; [unrolled: 3-line block ×5, first 2 shown]
	v_cmp_neq_f64_e64 s[42:43], s[42:43], v[53:54]
	v_fma_f64 v[65:66], v[61:62], v[65:66], s[44:45]
	v_mul_f64 v[61:62], v[63:64], v[61:62]
	v_cmp_ngt_f64_e64 s[44:45], -1.0, v[53:54]
	v_mul_f64 v[61:62], v[61:62], v[65:66]
	v_add_f64 v[63:64], v[69:70], v[61:62]
	v_add_f64 v[65:66], v[63:64], -v[69:70]
	v_add_f64 v[61:62], v[61:62], -v[65:66]
	v_add_f64 v[55:56], v[55:56], v[61:62]
	v_add_f64 v[61:62], v[63:64], v[55:56]
	v_add_f64 v[63:64], v[61:62], -v[63:64]
	v_add_f64 v[55:56], v[55:56], -v[63:64]
	v_add_f64 v[63:64], v[71:72], v[61:62]
	v_add_f64 v[65:66], v[63:64], -v[71:72]
	v_add_f64 v[69:70], v[63:64], -v[65:66]
	;; [unrolled: 1-line block ×3, first 2 shown]
	v_add_f64 v[65:66], v[67:68], v[55:56]
	v_add_f64 v[69:70], v[71:72], -v[69:70]
	v_add_f64 v[61:62], v[61:62], v[69:70]
	v_add_f64 v[69:70], v[65:66], -v[67:68]
	;; [unrolled: 2-line block ×3, first 2 shown]
	v_add_f64 v[55:56], v[55:56], -v[69:70]
	v_add_f64 v[65:66], v[63:64], v[61:62]
	v_add_f64 v[67:68], v[67:68], -v[71:72]
	v_add_f64 v[63:64], v[65:66], -v[63:64]
	v_add_f64 v[55:56], v[55:56], v[67:68]
	v_add_f64 v[61:62], v[61:62], -v[63:64]
	v_add_f64 v[55:56], v[55:56], v[61:62]
	v_mov_b32_e32 v61, 0x7ff80000
	v_add_f64 v[55:56], v[65:66], v[55:56]
	v_cndmask_b32_e64 v56, v79, v56, s[42:43]
	v_cndmask_b32_e64 v56, v61, v56, s[44:45]
	v_cmp_nge_f64_e64 s[44:45], -1.0, v[53:54]
	s_and_b64 s[42:43], s[44:45], s[42:43]
	v_cndmask_b32_e64 v55, 0, v55, s[42:43]
	v_cmp_neq_f64_e64 s[42:43], -1.0, v[53:54]
	v_mov_b32_e32 v53, 0xfff00000
	v_cndmask_b32_e64 v56, v53, v56, s[42:43]
	v_add_f64 v[53:54], v[23:24], v[55:56]
.LBB22_52:
	s_or_b64 exec, exec, s[52:53]
	v_mov_b32_e32 v23, v53
	v_mov_b32_e32 v24, v54
	;; [unrolled: 1-line block ×4, first 2 shown]
.LBB22_53:
	s_or_b64 exec, exec, s[50:51]
	v_mov_b32_dpp v53, v55 row_shr:8 row_mask:0xf bank_mask:0xf
	v_mov_b32_dpp v54, v56 row_shr:8 row_mask:0xf bank_mask:0xf
	v_cmp_lt_u32_e64 s[42:43], 7, v60
	s_and_saveexec_b64 s[50:51], s[42:43]
	s_cbranch_execz .LBB22_57
; %bb.54:
	v_max_f64 v[55:56], v[53:54], v[53:54]
	v_max_f64 v[60:61], v[23:24], v[23:24]
	v_cmp_u_f64_e64 s[42:43], v[53:54], v[53:54]
	v_cmp_u_f64_e64 s[44:45], v[23:24], v[23:24]
	v_min_f64 v[62:63], v[55:56], v[60:61]
	v_max_f64 v[55:56], v[55:56], v[60:61]
	v_cndmask_b32_e64 v60, v63, v54, s[42:43]
	v_cndmask_b32_e64 v61, v62, v53, s[42:43]
	;; [unrolled: 1-line block ×8, first 2 shown]
	v_cmp_neq_f64_e64 s[42:43], v[55:56], v[23:24]
	v_cmp_class_f64_e64 s[44:45], v[55:56], s33
	s_or_b64 s[42:43], s[42:43], s[44:45]
	s_and_saveexec_b64 s[52:53], s[42:43]
	s_cbranch_execz .LBB22_56
; %bb.55:
	v_add_f64 v[53:54], v[55:56], -v[23:24]
	s_mov_b32 s42, 0x652b82fe
	s_mov_b32 s43, 0x3ff71547
	;; [unrolled: 1-line block ×6, first 2 shown]
	v_mov_b32_e32 v62, 0xfca7ab0c
	v_mul_f64 v[55:56], v[53:54], s[42:43]
	s_mov_b32 s42, 0x6a5dcb37
	v_mov_b32_e32 v63, 0x3e928af3
	s_mov_b32 s43, 0x3e5ade15
	s_mov_b32 s44, 0
	;; [unrolled: 1-line block ×3, first 2 shown]
	v_cmp_ngt_f64_e64 s[44:45], s[44:45], v[53:54]
	v_mov_b32_e32 v80, 0x7ff00000
	v_rndne_f64_e32 v[55:56], v[55:56]
	v_fma_f64 v[60:61], v[55:56], s[54:55], v[53:54]
	s_mov_b32 s55, 0x3fe62e42
	v_fma_f64 v[60:61], v[55:56], s[56:57], v[60:61]
	v_cvt_i32_f64_e32 v55, v[55:56]
	s_mov_b32 s57, 0x3c7abc9e
	v_fma_f64 v[62:63], v[60:61], s[42:43], v[62:63]
	s_mov_b32 s42, 0x623fde64
	s_mov_b32 s43, 0x3ec71dee
	v_fma_f64 v[62:63], v[60:61], v[62:63], s[42:43]
	s_mov_b32 s42, 0x7c89e6b0
	;; [unrolled: 3-line block ×9, first 2 shown]
	s_mov_b32 s43, 0x40900000
	v_cmp_nlt_f64_e64 s[42:43], s[42:43], v[53:54]
	v_fma_f64 v[62:63], v[60:61], v[62:63], 1.0
	v_fma_f64 v[60:61], v[60:61], v[62:63], 1.0
	v_ldexp_f64 v[55:56], v[60:61], v55
	v_cndmask_b32_e64 v56, v80, v56, s[42:43]
	s_and_b64 s[42:43], s[44:45], s[42:43]
	v_cndmask_b32_e64 v54, 0, v56, s[44:45]
	v_cndmask_b32_e64 v53, 0, v55, s[42:43]
	v_add_f64 v[55:56], v[53:54], 1.0
	s_mov_b32 s45, 0x3fe55555
	s_mov_b32 s44, 0x55555555
	v_frexp_mant_f64_e32 v[62:63], v[55:56]
	v_frexp_exp_i32_f64_e32 v66, v[55:56]
	v_add_f64 v[60:61], v[55:56], -1.0
	v_cmp_gt_f64_e64 s[42:43], s[44:45], v[62:63]
	s_mov_b32 s44, 0x55555780
	v_add_f64 v[64:65], v[60:61], -v[55:56]
	v_add_f64 v[60:61], v[53:54], -v[60:61]
	v_subbrev_co_u32_e64 v81, s[42:43], 0, v66, s[42:43]
	v_sub_u32_e32 v66, 0, v81
	v_ldexp_f64 v[55:56], v[55:56], v66
	v_add_f64 v[62:63], v[64:65], 1.0
	s_mov_b32 s42, 0xbf559e2b
	s_mov_b32 s43, 0x3fc3ab76
	v_add_f64 v[64:65], v[55:56], 1.0
	v_add_f64 v[60:61], v[60:61], v[62:63]
	v_add_f64 v[70:71], v[55:56], -1.0
	v_add_f64 v[62:63], v[64:65], -1.0
	v_ldexp_f64 v[60:61], v[60:61], v66
	v_add_f64 v[72:73], v[70:71], 1.0
	v_add_f64 v[62:63], v[55:56], -v[62:63]
	v_add_f64 v[55:56], v[55:56], -v[72:73]
	v_add_f64 v[62:63], v[60:61], v[62:63]
	v_add_f64 v[55:56], v[60:61], v[55:56]
	;; [unrolled: 1-line block ×4, first 2 shown]
	v_rcp_f64_e32 v[68:69], v[66:67]
	v_add_f64 v[64:65], v[66:67], -v[64:65]
	v_add_f64 v[70:71], v[72:73], -v[70:71]
	;; [unrolled: 1-line block ×4, first 2 shown]
	v_fma_f64 v[74:75], -v[66:67], v[68:69], 1.0
	v_fma_f64 v[68:69], v[74:75], v[68:69], v[68:69]
	v_fma_f64 v[60:61], -v[66:67], v[68:69], 1.0
	v_fma_f64 v[60:61], v[60:61], v[68:69], v[68:69]
	v_mul_f64 v[68:69], v[72:73], v[60:61]
	v_mul_f64 v[74:75], v[66:67], v[68:69]
	v_fma_f64 v[64:65], v[68:69], v[66:67], -v[74:75]
	v_fma_f64 v[64:65], v[68:69], v[62:63], v[64:65]
	v_add_f64 v[76:77], v[74:75], v[64:65]
	v_add_f64 v[78:79], v[72:73], -v[76:77]
	v_add_f64 v[70:71], v[76:77], -v[74:75]
	;; [unrolled: 1-line block ×5, first 2 shown]
	v_add_f64 v[55:56], v[55:56], v[72:73]
	v_add_f64 v[55:56], v[64:65], v[55:56]
	;; [unrolled: 1-line block ×3, first 2 shown]
	v_mul_f64 v[70:71], v[60:61], v[64:65]
	v_add_f64 v[76:77], v[78:79], -v[64:65]
	v_mul_f64 v[72:73], v[66:67], v[70:71]
	v_add_f64 v[55:56], v[55:56], v[76:77]
	v_fma_f64 v[66:67], v[70:71], v[66:67], -v[72:73]
	v_fma_f64 v[62:63], v[70:71], v[62:63], v[66:67]
	v_add_f64 v[66:67], v[72:73], v[62:63]
	v_add_f64 v[74:75], v[64:65], -v[66:67]
	v_add_f64 v[72:73], v[66:67], -v[72:73]
	;; [unrolled: 1-line block ×5, first 2 shown]
	v_mov_b32_e32 v66, 0x6b47b09a
	v_mov_b32_e32 v67, 0x3fc38538
	v_add_f64 v[55:56], v[55:56], v[64:65]
	v_add_f64 v[64:65], v[68:69], v[70:71]
	;; [unrolled: 1-line block ×3, first 2 shown]
	v_add_f64 v[62:63], v[64:65], -v[68:69]
	v_add_f64 v[55:56], v[74:75], v[55:56]
	v_add_f64 v[62:63], v[70:71], -v[62:63]
	v_mul_f64 v[55:56], v[60:61], v[55:56]
	v_add_f64 v[55:56], v[62:63], v[55:56]
	v_add_f64 v[60:61], v[64:65], v[55:56]
	v_mul_f64 v[62:63], v[60:61], v[60:61]
	v_fma_f64 v[66:67], v[62:63], s[42:43], v[66:67]
	s_mov_b32 s42, 0xd7f4df2e
	s_mov_b32 s43, 0x3fc7474d
	v_mul_f64 v[68:69], v[60:61], v[62:63]
	v_fma_f64 v[66:67], v[62:63], v[66:67], s[42:43]
	s_mov_b32 s42, 0x16291751
	s_mov_b32 s43, 0x3fcc71c0
	v_fma_f64 v[66:67], v[62:63], v[66:67], s[42:43]
	s_mov_b32 s42, 0x9b27acf1
	s_mov_b32 s43, 0x3fd24924
	;; [unrolled: 3-line block ×3, first 2 shown]
	v_fma_f64 v[66:67], v[62:63], v[66:67], s[42:43]
	v_cmp_nge_f64_e64 s[42:43], -1.0, v[53:54]
	v_fma_f64 v[62:63], v[62:63], v[66:67], s[44:45]
	v_ldexp_f64 v[66:67], v[60:61], 1
	v_add_f64 v[60:61], v[60:61], -v[64:65]
	s_mov_b32 s44, 0
	s_mov_b32 s45, 0x7ff00000
	v_cmp_neq_f64_e64 s[44:45], s[44:45], v[53:54]
	v_mul_f64 v[62:63], v[68:69], v[62:63]
	v_cvt_f64_i32_e32 v[68:69], v81
	v_add_f64 v[55:56], v[55:56], -v[60:61]
	v_mul_f64 v[70:71], v[68:69], s[54:55]
	s_and_b64 s[42:43], s[42:43], s[44:45]
	v_add_f64 v[64:65], v[66:67], v[62:63]
	v_ldexp_f64 v[55:56], v[55:56], 1
	v_add_f64 v[60:61], v[64:65], -v[66:67]
	v_fma_f64 v[66:67], v[68:69], s[54:55], -v[70:71]
	v_add_f64 v[60:61], v[62:63], -v[60:61]
	v_fma_f64 v[62:63], v[68:69], s[56:57], v[66:67]
	v_add_f64 v[55:56], v[55:56], v[60:61]
	v_add_f64 v[60:61], v[70:71], v[62:63]
	;; [unrolled: 1-line block ×3, first 2 shown]
	v_add_f64 v[70:71], v[60:61], -v[70:71]
	v_add_f64 v[68:69], v[60:61], v[66:67]
	v_add_f64 v[64:65], v[66:67], -v[64:65]
	v_add_f64 v[62:63], v[62:63], -v[70:71]
	v_add_f64 v[72:73], v[68:69], -v[60:61]
	v_add_f64 v[55:56], v[55:56], -v[64:65]
	v_add_f64 v[74:75], v[68:69], -v[72:73]
	v_add_f64 v[64:65], v[66:67], -v[72:73]
	v_add_f64 v[66:67], v[62:63], v[55:56]
	v_add_f64 v[60:61], v[60:61], -v[74:75]
	v_add_f64 v[60:61], v[64:65], v[60:61]
	v_add_f64 v[64:65], v[66:67], -v[62:63]
	;; [unrolled: 2-line block ×3, first 2 shown]
	v_add_f64 v[55:56], v[55:56], -v[64:65]
	v_add_f64 v[70:71], v[68:69], v[60:61]
	v_add_f64 v[62:63], v[62:63], -v[66:67]
	v_add_f64 v[64:65], v[70:71], -v[68:69]
	v_add_f64 v[55:56], v[55:56], v[62:63]
	v_add_f64 v[60:61], v[60:61], -v[64:65]
	v_add_f64 v[55:56], v[55:56], v[60:61]
	v_mov_b32_e32 v60, 0x7ff80000
	v_mov_b32_e32 v61, 0xfff00000
	v_add_f64 v[55:56], v[70:71], v[55:56]
	v_cndmask_b32_e64 v55, 0, v55, s[42:43]
	v_cmp_ngt_f64_e64 s[42:43], -1.0, v[53:54]
	v_cndmask_b32_e64 v56, v80, v56, s[44:45]
	v_cndmask_b32_e64 v56, v60, v56, s[42:43]
	v_cmp_neq_f64_e64 s[42:43], -1.0, v[53:54]
	v_cndmask_b32_e64 v56, v61, v56, s[42:43]
	v_add_f64 v[53:54], v[23:24], v[55:56]
.LBB22_56:
	s_or_b64 exec, exec, s[52:53]
	v_mov_b32_e32 v23, v53
	v_mov_b32_e32 v24, v54
	;; [unrolled: 1-line block ×4, first 2 shown]
.LBB22_57:
	s_or_b64 exec, exec, s[50:51]
	v_and_b32_e32 v60, 16, v59
	v_mov_b32_dpp v53, v55 row_bcast:15 row_mask:0xf bank_mask:0xf
	v_mov_b32_dpp v54, v56 row_bcast:15 row_mask:0xf bank_mask:0xf
	v_cmp_ne_u32_e64 s[42:43], 0, v60
	s_and_saveexec_b64 s[50:51], s[42:43]
	s_cbranch_execz .LBB22_61
; %bb.58:
	v_max_f64 v[55:56], v[53:54], v[53:54]
	v_max_f64 v[60:61], v[23:24], v[23:24]
	v_cmp_u_f64_e64 s[42:43], v[53:54], v[53:54]
	v_cmp_u_f64_e64 s[44:45], v[23:24], v[23:24]
	v_min_f64 v[62:63], v[55:56], v[60:61]
	v_max_f64 v[55:56], v[55:56], v[60:61]
	v_cndmask_b32_e64 v60, v63, v54, s[42:43]
	v_cndmask_b32_e64 v61, v62, v53, s[42:43]
	;; [unrolled: 1-line block ×8, first 2 shown]
	v_cmp_neq_f64_e64 s[42:43], v[55:56], v[23:24]
	v_cmp_class_f64_e64 s[44:45], v[55:56], s33
	s_or_b64 s[42:43], s[42:43], s[44:45]
	s_and_saveexec_b64 s[52:53], s[42:43]
	s_cbranch_execz .LBB22_60
; %bb.59:
	v_add_f64 v[53:54], v[55:56], -v[23:24]
	s_mov_b32 s42, 0x652b82fe
	s_mov_b32 s43, 0x3ff71547
	;; [unrolled: 1-line block ×6, first 2 shown]
	v_mov_b32_e32 v62, 0xfca7ab0c
	v_mul_f64 v[55:56], v[53:54], s[42:43]
	s_mov_b32 s42, 0x6a5dcb37
	v_mov_b32_e32 v63, 0x3e928af3
	s_mov_b32 s43, 0x3e5ade15
	s_mov_b32 s44, 0
	;; [unrolled: 1-line block ×3, first 2 shown]
	v_cmp_ngt_f64_e64 s[44:45], s[44:45], v[53:54]
	v_mov_b32_e32 v80, 0x7ff00000
	v_rndne_f64_e32 v[55:56], v[55:56]
	v_fma_f64 v[60:61], v[55:56], s[54:55], v[53:54]
	s_mov_b32 s55, 0x3fe62e42
	v_fma_f64 v[60:61], v[55:56], s[56:57], v[60:61]
	v_cvt_i32_f64_e32 v55, v[55:56]
	s_mov_b32 s57, 0x3c7abc9e
	v_fma_f64 v[62:63], v[60:61], s[42:43], v[62:63]
	s_mov_b32 s42, 0x623fde64
	s_mov_b32 s43, 0x3ec71dee
	v_fma_f64 v[62:63], v[60:61], v[62:63], s[42:43]
	s_mov_b32 s42, 0x7c89e6b0
	;; [unrolled: 3-line block ×9, first 2 shown]
	s_mov_b32 s43, 0x40900000
	v_cmp_nlt_f64_e64 s[42:43], s[42:43], v[53:54]
	v_fma_f64 v[62:63], v[60:61], v[62:63], 1.0
	v_fma_f64 v[60:61], v[60:61], v[62:63], 1.0
	v_ldexp_f64 v[55:56], v[60:61], v55
	v_cndmask_b32_e64 v56, v80, v56, s[42:43]
	s_and_b64 s[42:43], s[44:45], s[42:43]
	v_cndmask_b32_e64 v54, 0, v56, s[44:45]
	v_cndmask_b32_e64 v53, 0, v55, s[42:43]
	v_add_f64 v[55:56], v[53:54], 1.0
	s_mov_b32 s45, 0x3fe55555
	s_mov_b32 s44, 0x55555555
	v_frexp_mant_f64_e32 v[62:63], v[55:56]
	v_frexp_exp_i32_f64_e32 v66, v[55:56]
	v_add_f64 v[60:61], v[55:56], -1.0
	v_cmp_gt_f64_e64 s[42:43], s[44:45], v[62:63]
	s_mov_b32 s44, 0x55555780
	v_add_f64 v[64:65], v[60:61], -v[55:56]
	v_add_f64 v[60:61], v[53:54], -v[60:61]
	v_subbrev_co_u32_e64 v81, s[42:43], 0, v66, s[42:43]
	v_sub_u32_e32 v66, 0, v81
	v_ldexp_f64 v[55:56], v[55:56], v66
	v_add_f64 v[62:63], v[64:65], 1.0
	s_mov_b32 s42, 0xbf559e2b
	s_mov_b32 s43, 0x3fc3ab76
	v_add_f64 v[64:65], v[55:56], 1.0
	v_add_f64 v[60:61], v[60:61], v[62:63]
	v_add_f64 v[70:71], v[55:56], -1.0
	v_add_f64 v[62:63], v[64:65], -1.0
	v_ldexp_f64 v[60:61], v[60:61], v66
	v_add_f64 v[72:73], v[70:71], 1.0
	v_add_f64 v[62:63], v[55:56], -v[62:63]
	v_add_f64 v[55:56], v[55:56], -v[72:73]
	v_add_f64 v[62:63], v[60:61], v[62:63]
	v_add_f64 v[55:56], v[60:61], v[55:56]
	;; [unrolled: 1-line block ×4, first 2 shown]
	v_rcp_f64_e32 v[68:69], v[66:67]
	v_add_f64 v[64:65], v[66:67], -v[64:65]
	v_add_f64 v[70:71], v[72:73], -v[70:71]
	v_add_f64 v[62:63], v[62:63], -v[64:65]
	v_add_f64 v[55:56], v[55:56], -v[70:71]
	v_fma_f64 v[74:75], -v[66:67], v[68:69], 1.0
	v_fma_f64 v[68:69], v[74:75], v[68:69], v[68:69]
	v_fma_f64 v[60:61], -v[66:67], v[68:69], 1.0
	v_fma_f64 v[60:61], v[60:61], v[68:69], v[68:69]
	v_mul_f64 v[68:69], v[72:73], v[60:61]
	v_mul_f64 v[74:75], v[66:67], v[68:69]
	v_fma_f64 v[64:65], v[68:69], v[66:67], -v[74:75]
	v_fma_f64 v[64:65], v[68:69], v[62:63], v[64:65]
	v_add_f64 v[76:77], v[74:75], v[64:65]
	v_add_f64 v[78:79], v[72:73], -v[76:77]
	v_add_f64 v[70:71], v[76:77], -v[74:75]
	;; [unrolled: 1-line block ×5, first 2 shown]
	v_add_f64 v[55:56], v[55:56], v[72:73]
	v_add_f64 v[55:56], v[64:65], v[55:56]
	;; [unrolled: 1-line block ×3, first 2 shown]
	v_mul_f64 v[70:71], v[60:61], v[64:65]
	v_add_f64 v[76:77], v[78:79], -v[64:65]
	v_mul_f64 v[72:73], v[66:67], v[70:71]
	v_add_f64 v[55:56], v[55:56], v[76:77]
	v_fma_f64 v[66:67], v[70:71], v[66:67], -v[72:73]
	v_fma_f64 v[62:63], v[70:71], v[62:63], v[66:67]
	v_add_f64 v[66:67], v[72:73], v[62:63]
	v_add_f64 v[74:75], v[64:65], -v[66:67]
	v_add_f64 v[72:73], v[66:67], -v[72:73]
	;; [unrolled: 1-line block ×5, first 2 shown]
	v_mov_b32_e32 v66, 0x6b47b09a
	v_mov_b32_e32 v67, 0x3fc38538
	v_add_f64 v[55:56], v[55:56], v[64:65]
	v_add_f64 v[64:65], v[68:69], v[70:71]
	;; [unrolled: 1-line block ×3, first 2 shown]
	v_add_f64 v[62:63], v[64:65], -v[68:69]
	v_add_f64 v[55:56], v[74:75], v[55:56]
	v_add_f64 v[62:63], v[70:71], -v[62:63]
	v_mul_f64 v[55:56], v[60:61], v[55:56]
	v_add_f64 v[55:56], v[62:63], v[55:56]
	v_add_f64 v[60:61], v[64:65], v[55:56]
	v_mul_f64 v[62:63], v[60:61], v[60:61]
	v_fma_f64 v[66:67], v[62:63], s[42:43], v[66:67]
	s_mov_b32 s42, 0xd7f4df2e
	s_mov_b32 s43, 0x3fc7474d
	v_mul_f64 v[68:69], v[60:61], v[62:63]
	v_fma_f64 v[66:67], v[62:63], v[66:67], s[42:43]
	s_mov_b32 s42, 0x16291751
	s_mov_b32 s43, 0x3fcc71c0
	v_fma_f64 v[66:67], v[62:63], v[66:67], s[42:43]
	s_mov_b32 s42, 0x9b27acf1
	s_mov_b32 s43, 0x3fd24924
	;; [unrolled: 3-line block ×3, first 2 shown]
	v_fma_f64 v[66:67], v[62:63], v[66:67], s[42:43]
	v_cmp_nge_f64_e64 s[42:43], -1.0, v[53:54]
	v_fma_f64 v[62:63], v[62:63], v[66:67], s[44:45]
	v_ldexp_f64 v[66:67], v[60:61], 1
	v_add_f64 v[60:61], v[60:61], -v[64:65]
	s_mov_b32 s44, 0
	s_mov_b32 s45, 0x7ff00000
	v_cmp_neq_f64_e64 s[44:45], s[44:45], v[53:54]
	v_mul_f64 v[62:63], v[68:69], v[62:63]
	v_cvt_f64_i32_e32 v[68:69], v81
	v_add_f64 v[55:56], v[55:56], -v[60:61]
	v_mul_f64 v[70:71], v[68:69], s[54:55]
	s_and_b64 s[42:43], s[42:43], s[44:45]
	v_add_f64 v[64:65], v[66:67], v[62:63]
	v_ldexp_f64 v[55:56], v[55:56], 1
	v_add_f64 v[60:61], v[64:65], -v[66:67]
	v_fma_f64 v[66:67], v[68:69], s[54:55], -v[70:71]
	v_add_f64 v[60:61], v[62:63], -v[60:61]
	v_fma_f64 v[62:63], v[68:69], s[56:57], v[66:67]
	v_add_f64 v[55:56], v[55:56], v[60:61]
	v_add_f64 v[60:61], v[70:71], v[62:63]
	;; [unrolled: 1-line block ×3, first 2 shown]
	v_add_f64 v[70:71], v[60:61], -v[70:71]
	v_add_f64 v[68:69], v[60:61], v[66:67]
	v_add_f64 v[64:65], v[66:67], -v[64:65]
	v_add_f64 v[62:63], v[62:63], -v[70:71]
	;; [unrolled: 1-line block ×6, first 2 shown]
	v_add_f64 v[66:67], v[62:63], v[55:56]
	v_add_f64 v[60:61], v[60:61], -v[74:75]
	v_add_f64 v[60:61], v[64:65], v[60:61]
	v_add_f64 v[64:65], v[66:67], -v[62:63]
	;; [unrolled: 2-line block ×3, first 2 shown]
	v_add_f64 v[55:56], v[55:56], -v[64:65]
	v_add_f64 v[70:71], v[68:69], v[60:61]
	v_add_f64 v[62:63], v[62:63], -v[66:67]
	v_add_f64 v[64:65], v[70:71], -v[68:69]
	v_add_f64 v[55:56], v[55:56], v[62:63]
	v_add_f64 v[60:61], v[60:61], -v[64:65]
	v_add_f64 v[55:56], v[55:56], v[60:61]
	v_mov_b32_e32 v60, 0x7ff80000
	v_mov_b32_e32 v61, 0xfff00000
	v_add_f64 v[55:56], v[70:71], v[55:56]
	v_cndmask_b32_e64 v55, 0, v55, s[42:43]
	v_cmp_ngt_f64_e64 s[42:43], -1.0, v[53:54]
	v_cndmask_b32_e64 v56, v80, v56, s[44:45]
	v_cndmask_b32_e64 v56, v60, v56, s[42:43]
	v_cmp_neq_f64_e64 s[42:43], -1.0, v[53:54]
	v_cndmask_b32_e64 v56, v61, v56, s[42:43]
	v_add_f64 v[53:54], v[23:24], v[55:56]
.LBB22_60:
	s_or_b64 exec, exec, s[52:53]
	v_mov_b32_e32 v23, v53
	v_mov_b32_e32 v55, v53
	;; [unrolled: 1-line block ×4, first 2 shown]
.LBB22_61:
	s_or_b64 exec, exec, s[50:51]
	v_mov_b32_dpp v53, v55 row_bcast:31 row_mask:0xf bank_mask:0xf
	v_mov_b32_dpp v54, v56 row_bcast:31 row_mask:0xf bank_mask:0xf
	v_cmp_lt_u32_e64 s[42:43], 31, v59
	s_and_saveexec_b64 s[50:51], s[42:43]
	s_cbranch_execz .LBB22_65
; %bb.62:
	v_max_f64 v[55:56], v[53:54], v[53:54]
	v_max_f64 v[60:61], v[23:24], v[23:24]
	v_cmp_u_f64_e64 s[42:43], v[53:54], v[53:54]
	v_cmp_u_f64_e64 s[44:45], v[23:24], v[23:24]
	v_min_f64 v[62:63], v[55:56], v[60:61]
	v_max_f64 v[55:56], v[55:56], v[60:61]
	v_cndmask_b32_e64 v60, v63, v54, s[42:43]
	v_cndmask_b32_e64 v61, v62, v53, s[42:43]
	;; [unrolled: 1-line block ×8, first 2 shown]
	v_cmp_neq_f64_e64 s[42:43], v[55:56], v[23:24]
	v_cmp_class_f64_e64 s[44:45], v[55:56], s33
	s_or_b64 s[42:43], s[42:43], s[44:45]
	s_and_saveexec_b64 s[52:53], s[42:43]
	s_cbranch_execz .LBB22_64
; %bb.63:
	v_add_f64 v[53:54], v[55:56], -v[23:24]
	s_mov_b32 s42, 0x652b82fe
	s_mov_b32 s43, 0x3ff71547
	s_mov_b32 s55, 0xbfe62e42
	s_mov_b32 s54, 0xfefa39ef
	s_mov_b32 s57, 0xbc7abc9e
	s_mov_b32 s56, 0x3b39803f
	v_mov_b32_e32 v62, 0xfca7ab0c
	v_mul_f64 v[55:56], v[53:54], s[42:43]
	s_mov_b32 s42, 0x6a5dcb37
	v_mov_b32_e32 v63, 0x3e928af3
	s_mov_b32 s43, 0x3e5ade15
	s_mov_b32 s44, 0
	;; [unrolled: 1-line block ×3, first 2 shown]
	v_cmp_ngt_f64_e64 s[44:45], s[44:45], v[53:54]
	v_mov_b32_e32 v80, 0x7ff00000
	v_rndne_f64_e32 v[55:56], v[55:56]
	v_fma_f64 v[60:61], v[55:56], s[54:55], v[53:54]
	s_mov_b32 s55, 0x3fe62e42
	v_fma_f64 v[60:61], v[55:56], s[56:57], v[60:61]
	v_cvt_i32_f64_e32 v55, v[55:56]
	s_mov_b32 s57, 0x3c7abc9e
	v_fma_f64 v[62:63], v[60:61], s[42:43], v[62:63]
	s_mov_b32 s42, 0x623fde64
	s_mov_b32 s43, 0x3ec71dee
	v_fma_f64 v[62:63], v[60:61], v[62:63], s[42:43]
	s_mov_b32 s42, 0x7c89e6b0
	;; [unrolled: 3-line block ×9, first 2 shown]
	s_mov_b32 s43, 0x40900000
	v_cmp_nlt_f64_e64 s[42:43], s[42:43], v[53:54]
	v_fma_f64 v[62:63], v[60:61], v[62:63], 1.0
	v_fma_f64 v[60:61], v[60:61], v[62:63], 1.0
	v_ldexp_f64 v[55:56], v[60:61], v55
	v_cndmask_b32_e64 v56, v80, v56, s[42:43]
	s_and_b64 s[42:43], s[44:45], s[42:43]
	v_cndmask_b32_e64 v54, 0, v56, s[44:45]
	v_cndmask_b32_e64 v53, 0, v55, s[42:43]
	v_add_f64 v[55:56], v[53:54], 1.0
	s_mov_b32 s45, 0x3fe55555
	s_mov_b32 s44, 0x55555555
	v_frexp_mant_f64_e32 v[62:63], v[55:56]
	v_frexp_exp_i32_f64_e32 v66, v[55:56]
	v_add_f64 v[60:61], v[55:56], -1.0
	v_cmp_gt_f64_e64 s[42:43], s[44:45], v[62:63]
	s_mov_b32 s44, 0x55555780
	v_add_f64 v[64:65], v[60:61], -v[55:56]
	v_add_f64 v[60:61], v[53:54], -v[60:61]
	v_subbrev_co_u32_e64 v81, s[42:43], 0, v66, s[42:43]
	v_sub_u32_e32 v66, 0, v81
	v_ldexp_f64 v[55:56], v[55:56], v66
	v_add_f64 v[62:63], v[64:65], 1.0
	s_mov_b32 s42, 0xbf559e2b
	s_mov_b32 s43, 0x3fc3ab76
	v_add_f64 v[64:65], v[55:56], 1.0
	v_add_f64 v[60:61], v[60:61], v[62:63]
	v_add_f64 v[70:71], v[55:56], -1.0
	v_add_f64 v[62:63], v[64:65], -1.0
	v_ldexp_f64 v[60:61], v[60:61], v66
	v_add_f64 v[72:73], v[70:71], 1.0
	v_add_f64 v[62:63], v[55:56], -v[62:63]
	v_add_f64 v[55:56], v[55:56], -v[72:73]
	v_add_f64 v[62:63], v[60:61], v[62:63]
	v_add_f64 v[55:56], v[60:61], v[55:56]
	v_add_f64 v[66:67], v[64:65], v[62:63]
	v_add_f64 v[72:73], v[70:71], v[55:56]
	v_rcp_f64_e32 v[68:69], v[66:67]
	v_add_f64 v[64:65], v[66:67], -v[64:65]
	v_add_f64 v[70:71], v[72:73], -v[70:71]
	;; [unrolled: 1-line block ×4, first 2 shown]
	v_fma_f64 v[74:75], -v[66:67], v[68:69], 1.0
	v_fma_f64 v[68:69], v[74:75], v[68:69], v[68:69]
	v_fma_f64 v[60:61], -v[66:67], v[68:69], 1.0
	v_fma_f64 v[60:61], v[60:61], v[68:69], v[68:69]
	v_mul_f64 v[68:69], v[72:73], v[60:61]
	v_mul_f64 v[74:75], v[66:67], v[68:69]
	v_fma_f64 v[64:65], v[68:69], v[66:67], -v[74:75]
	v_fma_f64 v[64:65], v[68:69], v[62:63], v[64:65]
	v_add_f64 v[76:77], v[74:75], v[64:65]
	v_add_f64 v[78:79], v[72:73], -v[76:77]
	v_add_f64 v[70:71], v[76:77], -v[74:75]
	v_add_f64 v[72:73], v[72:73], -v[78:79]
	v_add_f64 v[64:65], v[70:71], -v[64:65]
	v_add_f64 v[72:73], v[72:73], -v[76:77]
	v_add_f64 v[55:56], v[55:56], v[72:73]
	v_add_f64 v[55:56], v[64:65], v[55:56]
	;; [unrolled: 1-line block ×3, first 2 shown]
	v_mul_f64 v[70:71], v[60:61], v[64:65]
	v_add_f64 v[76:77], v[78:79], -v[64:65]
	v_mul_f64 v[72:73], v[66:67], v[70:71]
	v_add_f64 v[55:56], v[55:56], v[76:77]
	v_fma_f64 v[66:67], v[70:71], v[66:67], -v[72:73]
	v_fma_f64 v[62:63], v[70:71], v[62:63], v[66:67]
	v_add_f64 v[66:67], v[72:73], v[62:63]
	v_add_f64 v[74:75], v[64:65], -v[66:67]
	v_add_f64 v[72:73], v[66:67], -v[72:73]
	;; [unrolled: 1-line block ×5, first 2 shown]
	v_mov_b32_e32 v66, 0x6b47b09a
	v_mov_b32_e32 v67, 0x3fc38538
	v_add_f64 v[55:56], v[55:56], v[64:65]
	v_add_f64 v[64:65], v[68:69], v[70:71]
	;; [unrolled: 1-line block ×3, first 2 shown]
	v_add_f64 v[62:63], v[64:65], -v[68:69]
	v_add_f64 v[55:56], v[74:75], v[55:56]
	v_add_f64 v[62:63], v[70:71], -v[62:63]
	v_mul_f64 v[55:56], v[60:61], v[55:56]
	v_add_f64 v[55:56], v[62:63], v[55:56]
	v_add_f64 v[60:61], v[64:65], v[55:56]
	v_mul_f64 v[62:63], v[60:61], v[60:61]
	v_fma_f64 v[66:67], v[62:63], s[42:43], v[66:67]
	s_mov_b32 s42, 0xd7f4df2e
	s_mov_b32 s43, 0x3fc7474d
	v_mul_f64 v[68:69], v[60:61], v[62:63]
	v_fma_f64 v[66:67], v[62:63], v[66:67], s[42:43]
	s_mov_b32 s42, 0x16291751
	s_mov_b32 s43, 0x3fcc71c0
	v_fma_f64 v[66:67], v[62:63], v[66:67], s[42:43]
	s_mov_b32 s42, 0x9b27acf1
	s_mov_b32 s43, 0x3fd24924
	v_fma_f64 v[66:67], v[62:63], v[66:67], s[42:43]
	s_mov_b32 s42, 0x998ef7b6
	s_mov_b32 s43, 0x3fd99999
	v_fma_f64 v[66:67], v[62:63], v[66:67], s[42:43]
	v_cmp_nge_f64_e64 s[42:43], -1.0, v[53:54]
	v_fma_f64 v[62:63], v[62:63], v[66:67], s[44:45]
	v_ldexp_f64 v[66:67], v[60:61], 1
	v_add_f64 v[60:61], v[60:61], -v[64:65]
	s_mov_b32 s44, 0
	s_mov_b32 s45, 0x7ff00000
	v_cmp_neq_f64_e64 s[44:45], s[44:45], v[53:54]
	v_mul_f64 v[62:63], v[68:69], v[62:63]
	v_cvt_f64_i32_e32 v[68:69], v81
	v_add_f64 v[55:56], v[55:56], -v[60:61]
	v_mul_f64 v[70:71], v[68:69], s[54:55]
	s_and_b64 s[42:43], s[42:43], s[44:45]
	v_add_f64 v[64:65], v[66:67], v[62:63]
	v_ldexp_f64 v[55:56], v[55:56], 1
	v_add_f64 v[60:61], v[64:65], -v[66:67]
	v_fma_f64 v[66:67], v[68:69], s[54:55], -v[70:71]
	v_add_f64 v[60:61], v[62:63], -v[60:61]
	v_fma_f64 v[62:63], v[68:69], s[56:57], v[66:67]
	v_add_f64 v[55:56], v[55:56], v[60:61]
	v_add_f64 v[60:61], v[70:71], v[62:63]
	;; [unrolled: 1-line block ×3, first 2 shown]
	v_add_f64 v[70:71], v[60:61], -v[70:71]
	v_add_f64 v[68:69], v[60:61], v[66:67]
	v_add_f64 v[64:65], v[66:67], -v[64:65]
	v_add_f64 v[62:63], v[62:63], -v[70:71]
	;; [unrolled: 1-line block ×6, first 2 shown]
	v_add_f64 v[66:67], v[62:63], v[55:56]
	v_add_f64 v[60:61], v[60:61], -v[74:75]
	v_add_f64 v[60:61], v[64:65], v[60:61]
	v_add_f64 v[64:65], v[66:67], -v[62:63]
	;; [unrolled: 2-line block ×3, first 2 shown]
	v_add_f64 v[55:56], v[55:56], -v[64:65]
	v_add_f64 v[70:71], v[68:69], v[60:61]
	v_add_f64 v[62:63], v[62:63], -v[66:67]
	v_add_f64 v[64:65], v[70:71], -v[68:69]
	v_add_f64 v[55:56], v[55:56], v[62:63]
	v_add_f64 v[60:61], v[60:61], -v[64:65]
	v_add_f64 v[55:56], v[55:56], v[60:61]
	v_mov_b32_e32 v60, 0x7ff80000
	v_mov_b32_e32 v61, 0xfff00000
	v_add_f64 v[55:56], v[70:71], v[55:56]
	v_cndmask_b32_e64 v55, 0, v55, s[42:43]
	v_cmp_ngt_f64_e64 s[42:43], -1.0, v[53:54]
	v_cndmask_b32_e64 v56, v80, v56, s[44:45]
	v_cndmask_b32_e64 v56, v60, v56, s[42:43]
	v_cmp_neq_f64_e64 s[42:43], -1.0, v[53:54]
	v_cndmask_b32_e64 v56, v61, v56, s[42:43]
	v_add_f64 v[53:54], v[23:24], v[55:56]
.LBB22_64:
	s_or_b64 exec, exec, s[52:53]
	v_mov_b32_e32 v23, v53
	v_mov_b32_e32 v24, v54
.LBB22_65:
	s_or_b64 exec, exec, s[50:51]
	v_add_u32_e32 v53, -1, v59
	v_and_b32_e32 v54, 64, v59
	v_cmp_lt_i32_e64 s[42:43], v53, v54
	v_cndmask_b32_e64 v53, v53, v59, s[42:43]
	v_lshlrev_b32_e32 v53, 2, v53
	ds_bpermute_b32 v23, v53, v23
	ds_bpermute_b32 v24, v53, v24
	s_waitcnt lgkmcnt(0)
	v_max_f64 v[53:54], v[23:24], v[23:24]
	v_cmp_u_f64_e64 s[42:43], v[23:24], v[23:24]
	v_min_f64 v[55:56], v[53:54], v[51:52]
	v_max_f64 v[51:52], v[53:54], v[51:52]
	v_cndmask_b32_e64 v53, v55, v23, s[42:43]
	v_cndmask_b32_e64 v54, v56, v24, s[42:43]
	;; [unrolled: 1-line block ×8, first 2 shown]
	v_cmp_neq_f64_e64 s[4:5], v[51:52], v[21:22]
	v_cmp_class_f64_e64 s[42:43], v[51:52], s33
	s_or_b64 s[4:5], s[4:5], s[42:43]
	s_and_saveexec_b64 s[44:45], s[4:5]
	s_cbranch_execz .LBB22_67
; %bb.66:
	v_add_f64 v[23:24], v[51:52], -v[21:22]
	s_mov_b32 s4, 0x652b82fe
	s_mov_b32 s5, 0x3ff71547
	;; [unrolled: 1-line block ×6, first 2 shown]
	v_mov_b32_e32 v55, 0xfca7ab0c
	v_mul_f64 v[51:52], v[23:24], s[4:5]
	s_mov_b32 s4, 0x6a5dcb37
	v_mov_b32_e32 v56, 0x3e928af3
	s_mov_b32 s5, 0x3e5ade15
	s_mov_b32 s42, 0
	s_mov_b32 s43, 0xc090cc00
	v_cmp_ngt_f64_e64 s[42:43], s[42:43], v[23:24]
	v_mov_b32_e32 v75, 0x7ff00000
	v_rndne_f64_e32 v[51:52], v[51:52]
	v_fma_f64 v[53:54], v[51:52], s[50:51], v[23:24]
	s_mov_b32 s51, 0x3fe62e42
	v_fma_f64 v[53:54], v[51:52], s[52:53], v[53:54]
	v_cvt_i32_f64_e32 v51, v[51:52]
	s_mov_b32 s53, 0x3c7abc9e
	v_fma_f64 v[55:56], v[53:54], s[4:5], v[55:56]
	s_mov_b32 s4, 0x623fde64
	s_mov_b32 s5, 0x3ec71dee
	v_fma_f64 v[55:56], v[53:54], v[55:56], s[4:5]
	s_mov_b32 s4, 0x7c89e6b0
	;; [unrolled: 3-line block ×9, first 2 shown]
	s_mov_b32 s5, 0x40900000
	v_cmp_nlt_f64_e64 s[4:5], s[4:5], v[23:24]
	v_fma_f64 v[55:56], v[53:54], v[55:56], 1.0
	v_fma_f64 v[53:54], v[53:54], v[55:56], 1.0
	v_ldexp_f64 v[51:52], v[53:54], v51
	v_cndmask_b32_e64 v52, v75, v52, s[4:5]
	s_and_b64 s[4:5], s[42:43], s[4:5]
	v_cndmask_b32_e64 v24, 0, v52, s[42:43]
	v_cndmask_b32_e64 v23, 0, v51, s[4:5]
	v_add_f64 v[51:52], v[23:24], 1.0
	s_mov_b32 s43, 0x3fe55555
	s_mov_b32 s42, 0x55555555
	v_frexp_mant_f64_e32 v[55:56], v[51:52]
	v_frexp_exp_i32_f64_e32 v61, v[51:52]
	v_add_f64 v[53:54], v[51:52], -1.0
	v_cmp_gt_f64_e64 s[4:5], s[42:43], v[55:56]
	s_mov_b32 s42, 0x55555780
	v_add_f64 v[59:60], v[53:54], -v[51:52]
	v_add_f64 v[53:54], v[23:24], -v[53:54]
	v_subbrev_co_u32_e64 v76, s[4:5], 0, v61, s[4:5]
	v_sub_u32_e32 v61, 0, v76
	v_ldexp_f64 v[51:52], v[51:52], v61
	v_add_f64 v[55:56], v[59:60], 1.0
	s_mov_b32 s4, 0xbf559e2b
	s_mov_b32 s5, 0x3fc3ab76
	v_add_f64 v[59:60], v[51:52], 1.0
	v_add_f64 v[53:54], v[53:54], v[55:56]
	v_add_f64 v[65:66], v[51:52], -1.0
	v_add_f64 v[55:56], v[59:60], -1.0
	v_ldexp_f64 v[53:54], v[53:54], v61
	v_add_f64 v[67:68], v[65:66], 1.0
	v_add_f64 v[55:56], v[51:52], -v[55:56]
	v_add_f64 v[51:52], v[51:52], -v[67:68]
	v_add_f64 v[55:56], v[53:54], v[55:56]
	v_add_f64 v[51:52], v[53:54], v[51:52]
	;; [unrolled: 1-line block ×4, first 2 shown]
	v_rcp_f64_e32 v[63:64], v[61:62]
	v_add_f64 v[59:60], v[61:62], -v[59:60]
	v_add_f64 v[65:66], v[67:68], -v[65:66]
	v_add_f64 v[55:56], v[55:56], -v[59:60]
	v_add_f64 v[51:52], v[51:52], -v[65:66]
	v_fma_f64 v[69:70], -v[61:62], v[63:64], 1.0
	v_fma_f64 v[63:64], v[69:70], v[63:64], v[63:64]
	v_fma_f64 v[53:54], -v[61:62], v[63:64], 1.0
	v_fma_f64 v[53:54], v[53:54], v[63:64], v[63:64]
	v_mul_f64 v[63:64], v[67:68], v[53:54]
	v_mul_f64 v[69:70], v[61:62], v[63:64]
	v_fma_f64 v[59:60], v[63:64], v[61:62], -v[69:70]
	v_fma_f64 v[59:60], v[63:64], v[55:56], v[59:60]
	v_add_f64 v[71:72], v[69:70], v[59:60]
	v_add_f64 v[73:74], v[67:68], -v[71:72]
	v_add_f64 v[65:66], v[71:72], -v[69:70]
	;; [unrolled: 1-line block ×5, first 2 shown]
	v_add_f64 v[51:52], v[51:52], v[67:68]
	v_add_f64 v[51:52], v[59:60], v[51:52]
	;; [unrolled: 1-line block ×3, first 2 shown]
	v_mul_f64 v[65:66], v[53:54], v[59:60]
	v_add_f64 v[71:72], v[73:74], -v[59:60]
	v_mul_f64 v[67:68], v[61:62], v[65:66]
	v_add_f64 v[51:52], v[51:52], v[71:72]
	v_fma_f64 v[61:62], v[65:66], v[61:62], -v[67:68]
	v_fma_f64 v[55:56], v[65:66], v[55:56], v[61:62]
	v_add_f64 v[61:62], v[67:68], v[55:56]
	v_add_f64 v[69:70], v[59:60], -v[61:62]
	v_add_f64 v[67:68], v[61:62], -v[67:68]
	;; [unrolled: 1-line block ×5, first 2 shown]
	v_mov_b32_e32 v61, 0x6b47b09a
	v_mov_b32_e32 v62, 0x3fc38538
	v_add_f64 v[51:52], v[51:52], v[59:60]
	v_add_f64 v[59:60], v[63:64], v[65:66]
	;; [unrolled: 1-line block ×3, first 2 shown]
	v_add_f64 v[55:56], v[59:60], -v[63:64]
	v_add_f64 v[51:52], v[69:70], v[51:52]
	v_add_f64 v[55:56], v[65:66], -v[55:56]
	v_mul_f64 v[51:52], v[53:54], v[51:52]
	v_add_f64 v[51:52], v[55:56], v[51:52]
	v_add_f64 v[53:54], v[59:60], v[51:52]
	v_mul_f64 v[55:56], v[53:54], v[53:54]
	v_fma_f64 v[61:62], v[55:56], s[4:5], v[61:62]
	s_mov_b32 s4, 0xd7f4df2e
	s_mov_b32 s5, 0x3fc7474d
	v_mul_f64 v[63:64], v[53:54], v[55:56]
	v_fma_f64 v[61:62], v[55:56], v[61:62], s[4:5]
	s_mov_b32 s4, 0x16291751
	s_mov_b32 s5, 0x3fcc71c0
	v_fma_f64 v[61:62], v[55:56], v[61:62], s[4:5]
	s_mov_b32 s4, 0x9b27acf1
	s_mov_b32 s5, 0x3fd24924
	;; [unrolled: 3-line block ×3, first 2 shown]
	v_fma_f64 v[61:62], v[55:56], v[61:62], s[4:5]
	v_cmp_nge_f64_e64 s[4:5], -1.0, v[23:24]
	v_fma_f64 v[55:56], v[55:56], v[61:62], s[42:43]
	v_ldexp_f64 v[61:62], v[53:54], 1
	v_add_f64 v[53:54], v[53:54], -v[59:60]
	s_mov_b32 s42, 0
	s_mov_b32 s43, 0x7ff00000
	v_cmp_neq_f64_e64 s[42:43], s[42:43], v[23:24]
	v_mul_f64 v[55:56], v[63:64], v[55:56]
	v_cvt_f64_i32_e32 v[63:64], v76
	v_add_f64 v[51:52], v[51:52], -v[53:54]
	v_mul_f64 v[65:66], v[63:64], s[50:51]
	s_and_b64 s[4:5], s[4:5], s[42:43]
	v_add_f64 v[59:60], v[61:62], v[55:56]
	v_ldexp_f64 v[51:52], v[51:52], 1
	v_add_f64 v[53:54], v[59:60], -v[61:62]
	v_fma_f64 v[61:62], v[63:64], s[50:51], -v[65:66]
	v_add_f64 v[53:54], v[55:56], -v[53:54]
	v_fma_f64 v[55:56], v[63:64], s[52:53], v[61:62]
	v_add_f64 v[51:52], v[51:52], v[53:54]
	v_add_f64 v[53:54], v[65:66], v[55:56]
	v_add_f64 v[61:62], v[59:60], v[51:52]
	v_add_f64 v[65:66], v[53:54], -v[65:66]
	v_add_f64 v[63:64], v[53:54], v[61:62]
	v_add_f64 v[59:60], v[61:62], -v[59:60]
	v_add_f64 v[55:56], v[55:56], -v[65:66]
	;; [unrolled: 1-line block ×6, first 2 shown]
	v_add_f64 v[61:62], v[55:56], v[51:52]
	v_add_f64 v[53:54], v[53:54], -v[69:70]
	v_add_f64 v[53:54], v[59:60], v[53:54]
	v_add_f64 v[59:60], v[61:62], -v[55:56]
	;; [unrolled: 2-line block ×3, first 2 shown]
	v_add_f64 v[51:52], v[51:52], -v[59:60]
	v_add_f64 v[65:66], v[63:64], v[53:54]
	v_add_f64 v[55:56], v[55:56], -v[61:62]
	v_add_f64 v[59:60], v[65:66], -v[63:64]
	v_add_f64 v[51:52], v[51:52], v[55:56]
	v_add_f64 v[53:54], v[53:54], -v[59:60]
	v_add_f64 v[51:52], v[51:52], v[53:54]
	v_mov_b32_e32 v53, 0x7ff80000
	v_mov_b32_e32 v54, 0xfff00000
	v_add_f64 v[51:52], v[65:66], v[51:52]
	v_cndmask_b32_e64 v51, 0, v51, s[4:5]
	v_cmp_ngt_f64_e64 s[4:5], -1.0, v[23:24]
	v_cndmask_b32_e64 v52, v75, v52, s[42:43]
	v_cndmask_b32_e64 v52, v53, v52, s[4:5]
	v_cmp_neq_f64_e64 s[4:5], -1.0, v[23:24]
	v_cndmask_b32_e64 v52, v54, v52, s[4:5]
	v_add_f64 v[23:24], v[21:22], v[51:52]
.LBB22_67:
	s_or_b64 exec, exec, s[44:45]
	v_cmp_eq_u32_e64 s[4:5], 0, v0
	v_cndmask_b32_e64 v24, v24, v50, s[4:5]
	v_cndmask_b32_e64 v23, v23, v49, s[4:5]
	; wave barrier
	ds_write_b64 v58, v[23:24]
	; wave barrier
	ds_read_b64 v[21:22], v58 offset:8
	v_max_f64 v[49:50], v[23:24], v[23:24]
	v_cmp_u_f64_e64 s[4:5], v[23:24], v[23:24]
	s_waitcnt lgkmcnt(0)
	v_max_f64 v[51:52], v[21:22], v[21:22]
	v_cmp_u_f64_e64 s[42:43], v[21:22], v[21:22]
	v_min_f64 v[53:54], v[49:50], v[51:52]
	v_max_f64 v[49:50], v[49:50], v[51:52]
	v_cndmask_b32_e64 v51, v53, v23, s[4:5]
	v_cndmask_b32_e64 v52, v54, v24, s[4:5]
	;; [unrolled: 1-line block ×8, first 2 shown]
	v_cmp_neq_f64_e64 s[4:5], v[49:50], v[21:22]
	v_cmp_class_f64_e64 s[42:43], v[49:50], s33
	s_or_b64 s[4:5], s[4:5], s[42:43]
	s_and_saveexec_b64 s[44:45], s[4:5]
	s_cbranch_execz .LBB22_69
; %bb.68:
	v_add_f64 v[23:24], v[49:50], -v[21:22]
	s_mov_b32 s4, 0x652b82fe
	s_mov_b32 s5, 0x3ff71547
	;; [unrolled: 1-line block ×6, first 2 shown]
	v_mov_b32_e32 v53, 0xfca7ab0c
	v_mul_f64 v[49:50], v[23:24], s[4:5]
	s_mov_b32 s4, 0x6a5dcb37
	v_mov_b32_e32 v54, 0x3e928af3
	s_mov_b32 s5, 0x3e5ade15
	s_mov_b32 s42, 0
	;; [unrolled: 1-line block ×3, first 2 shown]
	v_cmp_ngt_f64_e64 s[42:43], s[42:43], v[23:24]
	v_mov_b32_e32 v73, 0x7ff00000
	v_rndne_f64_e32 v[49:50], v[49:50]
	v_fma_f64 v[51:52], v[49:50], s[50:51], v[23:24]
	s_mov_b32 s51, 0x3fe62e42
	v_fma_f64 v[51:52], v[49:50], s[52:53], v[51:52]
	v_cvt_i32_f64_e32 v49, v[49:50]
	s_mov_b32 s53, 0x3c7abc9e
	v_fma_f64 v[53:54], v[51:52], s[4:5], v[53:54]
	s_mov_b32 s4, 0x623fde64
	s_mov_b32 s5, 0x3ec71dee
	v_fma_f64 v[53:54], v[51:52], v[53:54], s[4:5]
	s_mov_b32 s4, 0x7c89e6b0
	;; [unrolled: 3-line block ×9, first 2 shown]
	s_mov_b32 s5, 0x40900000
	v_cmp_nlt_f64_e64 s[4:5], s[4:5], v[23:24]
	v_fma_f64 v[53:54], v[51:52], v[53:54], 1.0
	v_fma_f64 v[51:52], v[51:52], v[53:54], 1.0
	v_ldexp_f64 v[49:50], v[51:52], v49
	v_cndmask_b32_e64 v50, v73, v50, s[4:5]
	s_and_b64 s[4:5], s[42:43], s[4:5]
	v_cndmask_b32_e64 v24, 0, v50, s[42:43]
	v_cndmask_b32_e64 v23, 0, v49, s[4:5]
	v_add_f64 v[49:50], v[23:24], 1.0
	s_mov_b32 s43, 0x3fe55555
	s_mov_b32 s42, 0x55555555
	v_frexp_mant_f64_e32 v[53:54], v[49:50]
	v_frexp_exp_i32_f64_e32 v59, v[49:50]
	v_add_f64 v[51:52], v[49:50], -1.0
	v_cmp_gt_f64_e64 s[4:5], s[42:43], v[53:54]
	s_mov_b32 s42, 0x55555780
	v_add_f64 v[55:56], v[51:52], -v[49:50]
	v_add_f64 v[51:52], v[23:24], -v[51:52]
	v_subbrev_co_u32_e64 v74, s[4:5], 0, v59, s[4:5]
	v_sub_u32_e32 v59, 0, v74
	v_ldexp_f64 v[49:50], v[49:50], v59
	v_add_f64 v[53:54], v[55:56], 1.0
	s_mov_b32 s4, 0xbf559e2b
	s_mov_b32 s5, 0x3fc3ab76
	v_add_f64 v[55:56], v[49:50], 1.0
	v_add_f64 v[51:52], v[51:52], v[53:54]
	v_add_f64 v[63:64], v[49:50], -1.0
	v_add_f64 v[53:54], v[55:56], -1.0
	v_ldexp_f64 v[51:52], v[51:52], v59
	v_add_f64 v[65:66], v[63:64], 1.0
	v_add_f64 v[53:54], v[49:50], -v[53:54]
	v_add_f64 v[49:50], v[49:50], -v[65:66]
	v_add_f64 v[53:54], v[51:52], v[53:54]
	v_add_f64 v[49:50], v[51:52], v[49:50]
	;; [unrolled: 1-line block ×4, first 2 shown]
	v_rcp_f64_e32 v[61:62], v[59:60]
	v_add_f64 v[55:56], v[59:60], -v[55:56]
	v_add_f64 v[63:64], v[65:66], -v[63:64]
	;; [unrolled: 1-line block ×4, first 2 shown]
	v_fma_f64 v[67:68], -v[59:60], v[61:62], 1.0
	v_fma_f64 v[61:62], v[67:68], v[61:62], v[61:62]
	v_fma_f64 v[51:52], -v[59:60], v[61:62], 1.0
	v_fma_f64 v[51:52], v[51:52], v[61:62], v[61:62]
	v_mul_f64 v[61:62], v[65:66], v[51:52]
	v_mul_f64 v[67:68], v[59:60], v[61:62]
	v_fma_f64 v[55:56], v[61:62], v[59:60], -v[67:68]
	v_fma_f64 v[55:56], v[61:62], v[53:54], v[55:56]
	v_add_f64 v[69:70], v[67:68], v[55:56]
	v_add_f64 v[71:72], v[65:66], -v[69:70]
	v_add_f64 v[63:64], v[69:70], -v[67:68]
	v_add_f64 v[65:66], v[65:66], -v[71:72]
	v_add_f64 v[55:56], v[63:64], -v[55:56]
	v_add_f64 v[65:66], v[65:66], -v[69:70]
	v_add_f64 v[49:50], v[49:50], v[65:66]
	v_add_f64 v[49:50], v[55:56], v[49:50]
	;; [unrolled: 1-line block ×3, first 2 shown]
	v_mul_f64 v[63:64], v[51:52], v[55:56]
	v_add_f64 v[69:70], v[71:72], -v[55:56]
	v_mul_f64 v[65:66], v[59:60], v[63:64]
	v_add_f64 v[49:50], v[49:50], v[69:70]
	v_fma_f64 v[59:60], v[63:64], v[59:60], -v[65:66]
	v_fma_f64 v[53:54], v[63:64], v[53:54], v[59:60]
	v_add_f64 v[59:60], v[65:66], v[53:54]
	v_add_f64 v[67:68], v[55:56], -v[59:60]
	v_add_f64 v[65:66], v[59:60], -v[65:66]
	;; [unrolled: 1-line block ×5, first 2 shown]
	v_mov_b32_e32 v59, 0x6b47b09a
	v_mov_b32_e32 v60, 0x3fc38538
	v_add_f64 v[49:50], v[49:50], v[55:56]
	v_add_f64 v[55:56], v[61:62], v[63:64]
	;; [unrolled: 1-line block ×3, first 2 shown]
	v_add_f64 v[53:54], v[55:56], -v[61:62]
	v_add_f64 v[49:50], v[67:68], v[49:50]
	v_add_f64 v[53:54], v[63:64], -v[53:54]
	v_mul_f64 v[49:50], v[51:52], v[49:50]
	v_add_f64 v[49:50], v[53:54], v[49:50]
	v_add_f64 v[51:52], v[55:56], v[49:50]
	v_mul_f64 v[53:54], v[51:52], v[51:52]
	v_fma_f64 v[59:60], v[53:54], s[4:5], v[59:60]
	s_mov_b32 s4, 0xd7f4df2e
	s_mov_b32 s5, 0x3fc7474d
	v_mul_f64 v[61:62], v[51:52], v[53:54]
	v_fma_f64 v[59:60], v[53:54], v[59:60], s[4:5]
	s_mov_b32 s4, 0x16291751
	s_mov_b32 s5, 0x3fcc71c0
	v_fma_f64 v[59:60], v[53:54], v[59:60], s[4:5]
	s_mov_b32 s4, 0x9b27acf1
	s_mov_b32 s5, 0x3fd24924
	;; [unrolled: 3-line block ×3, first 2 shown]
	v_fma_f64 v[59:60], v[53:54], v[59:60], s[4:5]
	v_cmp_nge_f64_e64 s[4:5], -1.0, v[23:24]
	v_fma_f64 v[53:54], v[53:54], v[59:60], s[42:43]
	v_ldexp_f64 v[59:60], v[51:52], 1
	v_add_f64 v[51:52], v[51:52], -v[55:56]
	s_mov_b32 s42, 0
	s_mov_b32 s43, 0x7ff00000
	v_cmp_neq_f64_e64 s[42:43], s[42:43], v[23:24]
	v_mul_f64 v[53:54], v[61:62], v[53:54]
	v_cvt_f64_i32_e32 v[61:62], v74
	v_add_f64 v[49:50], v[49:50], -v[51:52]
	v_mul_f64 v[63:64], v[61:62], s[50:51]
	s_and_b64 s[4:5], s[4:5], s[42:43]
	v_add_f64 v[55:56], v[59:60], v[53:54]
	v_ldexp_f64 v[49:50], v[49:50], 1
	v_add_f64 v[51:52], v[55:56], -v[59:60]
	v_fma_f64 v[59:60], v[61:62], s[50:51], -v[63:64]
	v_add_f64 v[51:52], v[53:54], -v[51:52]
	v_fma_f64 v[53:54], v[61:62], s[52:53], v[59:60]
	v_add_f64 v[49:50], v[49:50], v[51:52]
	v_add_f64 v[51:52], v[63:64], v[53:54]
	;; [unrolled: 1-line block ×3, first 2 shown]
	v_add_f64 v[63:64], v[51:52], -v[63:64]
	v_add_f64 v[61:62], v[51:52], v[59:60]
	v_add_f64 v[55:56], v[59:60], -v[55:56]
	v_add_f64 v[53:54], v[53:54], -v[63:64]
	;; [unrolled: 1-line block ×6, first 2 shown]
	v_add_f64 v[59:60], v[53:54], v[49:50]
	v_add_f64 v[51:52], v[51:52], -v[67:68]
	v_add_f64 v[51:52], v[55:56], v[51:52]
	v_add_f64 v[55:56], v[59:60], -v[53:54]
	;; [unrolled: 2-line block ×3, first 2 shown]
	v_add_f64 v[49:50], v[49:50], -v[55:56]
	v_add_f64 v[63:64], v[61:62], v[51:52]
	v_add_f64 v[53:54], v[53:54], -v[59:60]
	v_add_f64 v[55:56], v[63:64], -v[61:62]
	v_add_f64 v[49:50], v[49:50], v[53:54]
	v_add_f64 v[51:52], v[51:52], -v[55:56]
	v_add_f64 v[49:50], v[49:50], v[51:52]
	v_mov_b32_e32 v51, 0x7ff80000
	v_mov_b32_e32 v52, 0xfff00000
	v_add_f64 v[49:50], v[63:64], v[49:50]
	v_cndmask_b32_e64 v49, 0, v49, s[4:5]
	v_cmp_ngt_f64_e64 s[4:5], -1.0, v[23:24]
	v_cndmask_b32_e64 v50, v73, v50, s[42:43]
	v_cndmask_b32_e64 v50, v51, v50, s[4:5]
	v_cmp_neq_f64_e64 s[4:5], -1.0, v[23:24]
	v_cndmask_b32_e64 v50, v52, v50, s[4:5]
	v_add_f64 v[23:24], v[21:22], v[49:50]
.LBB22_69:
	s_or_b64 exec, exec, s[44:45]
	ds_write_b64 v58, v[23:24] offset:8
.LBB22_70:
	s_or_b64 exec, exec, s[48:49]
	v_mul_u32_u24_e32 v49, 0x48, v0
	v_cmp_ne_u32_e64 s[4:5], 0, v0
	s_waitcnt lgkmcnt(0)
	s_barrier
	s_and_saveexec_b64 s[42:43], s[4:5]
	s_cbranch_execz .LBB22_74
; %bb.71:
	v_add_u32_e32 v0, -1, v0
	v_lshrrev_b32_e32 v21, 2, v0
	v_and_b32_e32 v21, 0x3ffffff8, v21
	v_lshl_add_u32 v0, v0, 3, v21
	ds_read_b64 v[21:22], v0
	s_waitcnt lgkmcnt(0)
	v_max_f64 v[23:24], v[21:22], v[21:22]
	v_cmp_u_f64_e64 s[4:5], v[21:22], v[21:22]
	v_min_f64 v[43:44], v[23:24], v[47:48]
	v_max_f64 v[23:24], v[23:24], v[47:48]
	v_cndmask_b32_e64 v0, v43, v21, s[4:5]
	v_cndmask_b32_e64 v43, v44, v22, s[4:5]
	;; [unrolled: 1-line block ×8, first 2 shown]
	v_cmp_neq_f64_e64 s[4:5], v[23:24], v[1:2]
	v_cmp_class_f64_e64 s[38:39], v[23:24], s33
	s_or_b64 s[4:5], s[4:5], s[38:39]
	s_and_saveexec_b64 s[44:45], s[4:5]
	s_cbranch_execz .LBB22_73
; %bb.72:
	v_add_f64 v[21:22], v[23:24], -v[1:2]
	s_mov_b32 s4, 0x652b82fe
	s_mov_b32 s5, 0x3ff71547
	;; [unrolled: 1-line block ×6, first 2 shown]
	v_mov_b32_e32 v45, 0xfca7ab0c
	v_mul_f64 v[23:24], v[21:22], s[4:5]
	s_mov_b32 s4, 0x6a5dcb37
	v_mov_b32_e32 v46, 0x3e928af3
	s_mov_b32 s5, 0x3e5ade15
	s_mov_b32 s38, 0
	;; [unrolled: 1-line block ×3, first 2 shown]
	v_cmp_ngt_f64_e64 s[38:39], s[38:39], v[21:22]
	v_rndne_f64_e32 v[23:24], v[23:24]
	v_fma_f64 v[43:44], v[23:24], s[48:49], v[21:22]
	v_cvt_i32_f64_e32 v0, v[23:24]
	s_mov_b32 s49, 0x3fe62e42
	v_fma_f64 v[43:44], v[23:24], s[50:51], v[43:44]
	s_mov_b32 s51, 0x3c7abc9e
	v_fma_f64 v[45:46], v[43:44], s[4:5], v[45:46]
	s_mov_b32 s4, 0x623fde64
	s_mov_b32 s5, 0x3ec71dee
	v_fma_f64 v[45:46], v[43:44], v[45:46], s[4:5]
	s_mov_b32 s4, 0x7c89e6b0
	;; [unrolled: 3-line block ×9, first 2 shown]
	s_mov_b32 s5, 0x40900000
	v_cmp_nlt_f64_e64 s[4:5], s[4:5], v[21:22]
	v_fma_f64 v[45:46], v[43:44], v[45:46], 1.0
	v_fma_f64 v[43:44], v[43:44], v[45:46], 1.0
	v_ldexp_f64 v[23:24], v[43:44], v0
	v_mov_b32_e32 v0, 0x7ff00000
	v_cndmask_b32_e64 v24, v0, v24, s[4:5]
	s_and_b64 s[4:5], s[38:39], s[4:5]
	v_cndmask_b32_e64 v22, 0, v24, s[38:39]
	v_cndmask_b32_e64 v21, 0, v23, s[4:5]
	v_add_f64 v[23:24], v[21:22], 1.0
	s_mov_b32 s39, 0x3fe55555
	s_mov_b32 s38, 0x55555555
	v_frexp_mant_f64_e32 v[45:46], v[23:24]
	v_frexp_exp_i32_f64_e32 v50, v[23:24]
	v_add_f64 v[43:44], v[23:24], -1.0
	v_cmp_gt_f64_e64 s[4:5], s[38:39], v[45:46]
	s_mov_b32 s38, 0x55555780
	v_add_f64 v[47:48], v[43:44], -v[23:24]
	v_add_f64 v[43:44], v[21:22], -v[43:44]
	v_subbrev_co_u32_e64 v56, s[4:5], 0, v50, s[4:5]
	v_sub_u32_e32 v50, 0, v56
	v_ldexp_f64 v[23:24], v[23:24], v50
	v_add_f64 v[45:46], v[47:48], 1.0
	s_mov_b32 s4, 0xbf559e2b
	s_mov_b32 s5, 0x3fc3ab76
	v_add_f64 v[47:48], v[23:24], 1.0
	v_add_f64 v[43:44], v[43:44], v[45:46]
	v_add_f64 v[54:55], v[23:24], -1.0
	v_add_f64 v[45:46], v[47:48], -1.0
	v_ldexp_f64 v[43:44], v[43:44], v50
	v_add_f64 v[58:59], v[54:55], 1.0
	v_add_f64 v[45:46], v[23:24], -v[45:46]
	v_add_f64 v[23:24], v[23:24], -v[58:59]
	v_add_f64 v[45:46], v[43:44], v[45:46]
	v_add_f64 v[23:24], v[43:44], v[23:24]
	;; [unrolled: 1-line block ×4, first 2 shown]
	v_rcp_f64_e32 v[52:53], v[50:51]
	v_add_f64 v[47:48], v[50:51], -v[47:48]
	v_add_f64 v[54:55], v[58:59], -v[54:55]
	;; [unrolled: 1-line block ×4, first 2 shown]
	v_fma_f64 v[60:61], -v[50:51], v[52:53], 1.0
	v_fma_f64 v[52:53], v[60:61], v[52:53], v[52:53]
	v_fma_f64 v[43:44], -v[50:51], v[52:53], 1.0
	v_fma_f64 v[43:44], v[43:44], v[52:53], v[52:53]
	v_mul_f64 v[52:53], v[58:59], v[43:44]
	v_mul_f64 v[60:61], v[50:51], v[52:53]
	v_fma_f64 v[47:48], v[52:53], v[50:51], -v[60:61]
	v_fma_f64 v[47:48], v[52:53], v[45:46], v[47:48]
	v_add_f64 v[62:63], v[60:61], v[47:48]
	v_add_f64 v[64:65], v[58:59], -v[62:63]
	v_add_f64 v[54:55], v[62:63], -v[60:61]
	;; [unrolled: 1-line block ×5, first 2 shown]
	v_add_f64 v[23:24], v[23:24], v[58:59]
	v_add_f64 v[23:24], v[47:48], v[23:24]
	v_add_f64 v[47:48], v[64:65], v[23:24]
	v_mul_f64 v[54:55], v[43:44], v[47:48]
	v_add_f64 v[62:63], v[64:65], -v[47:48]
	v_mul_f64 v[58:59], v[50:51], v[54:55]
	v_add_f64 v[23:24], v[23:24], v[62:63]
	v_fma_f64 v[50:51], v[54:55], v[50:51], -v[58:59]
	v_fma_f64 v[45:46], v[54:55], v[45:46], v[50:51]
	v_add_f64 v[50:51], v[58:59], v[45:46]
	v_add_f64 v[60:61], v[47:48], -v[50:51]
	v_add_f64 v[58:59], v[50:51], -v[58:59]
	;; [unrolled: 1-line block ×5, first 2 shown]
	v_mov_b32_e32 v50, 0x6b47b09a
	v_mov_b32_e32 v51, 0x3fc38538
	v_add_f64 v[23:24], v[23:24], v[47:48]
	v_add_f64 v[47:48], v[52:53], v[54:55]
	;; [unrolled: 1-line block ×3, first 2 shown]
	v_add_f64 v[45:46], v[47:48], -v[52:53]
	v_add_f64 v[23:24], v[60:61], v[23:24]
	v_add_f64 v[45:46], v[54:55], -v[45:46]
	v_mul_f64 v[23:24], v[43:44], v[23:24]
	v_add_f64 v[23:24], v[45:46], v[23:24]
	v_add_f64 v[43:44], v[47:48], v[23:24]
	v_mul_f64 v[45:46], v[43:44], v[43:44]
	v_fma_f64 v[50:51], v[45:46], s[4:5], v[50:51]
	s_mov_b32 s4, 0xd7f4df2e
	s_mov_b32 s5, 0x3fc7474d
	v_mul_f64 v[52:53], v[43:44], v[45:46]
	v_fma_f64 v[50:51], v[45:46], v[50:51], s[4:5]
	s_mov_b32 s4, 0x16291751
	s_mov_b32 s5, 0x3fcc71c0
	v_fma_f64 v[50:51], v[45:46], v[50:51], s[4:5]
	s_mov_b32 s4, 0x9b27acf1
	s_mov_b32 s5, 0x3fd24924
	;; [unrolled: 3-line block ×3, first 2 shown]
	v_fma_f64 v[50:51], v[45:46], v[50:51], s[4:5]
	v_cmp_nge_f64_e64 s[4:5], -1.0, v[21:22]
	v_fma_f64 v[45:46], v[45:46], v[50:51], s[38:39]
	v_ldexp_f64 v[50:51], v[43:44], 1
	v_add_f64 v[43:44], v[43:44], -v[47:48]
	s_mov_b32 s38, 0
	s_mov_b32 s39, 0x7ff00000
	v_cmp_neq_f64_e64 s[38:39], s[38:39], v[21:22]
	v_mul_f64 v[45:46], v[52:53], v[45:46]
	v_cvt_f64_i32_e32 v[52:53], v56
	v_add_f64 v[23:24], v[23:24], -v[43:44]
	v_mul_f64 v[54:55], v[52:53], s[48:49]
	s_and_b64 s[4:5], s[4:5], s[38:39]
	v_add_f64 v[47:48], v[50:51], v[45:46]
	v_ldexp_f64 v[23:24], v[23:24], 1
	v_add_f64 v[43:44], v[47:48], -v[50:51]
	v_fma_f64 v[50:51], v[52:53], s[48:49], -v[54:55]
	v_add_f64 v[43:44], v[45:46], -v[43:44]
	v_fma_f64 v[45:46], v[52:53], s[50:51], v[50:51]
	v_add_f64 v[23:24], v[23:24], v[43:44]
	v_add_f64 v[43:44], v[54:55], v[45:46]
	;; [unrolled: 1-line block ×3, first 2 shown]
	v_add_f64 v[54:55], v[43:44], -v[54:55]
	v_add_f64 v[52:53], v[43:44], v[50:51]
	v_add_f64 v[47:48], v[50:51], -v[47:48]
	v_add_f64 v[45:46], v[45:46], -v[54:55]
	;; [unrolled: 1-line block ×6, first 2 shown]
	v_add_f64 v[50:51], v[45:46], v[23:24]
	v_add_f64 v[43:44], v[43:44], -v[60:61]
	v_add_f64 v[43:44], v[47:48], v[43:44]
	v_add_f64 v[47:48], v[50:51], -v[45:46]
	;; [unrolled: 2-line block ×3, first 2 shown]
	v_add_f64 v[23:24], v[23:24], -v[47:48]
	v_add_f64 v[54:55], v[52:53], v[43:44]
	v_add_f64 v[45:46], v[45:46], -v[50:51]
	v_add_f64 v[47:48], v[54:55], -v[52:53]
	v_add_f64 v[23:24], v[23:24], v[45:46]
	v_add_f64 v[43:44], v[43:44], -v[47:48]
	v_add_f64 v[23:24], v[23:24], v[43:44]
	v_mov_b32_e32 v43, 0x7ff80000
	v_mov_b32_e32 v44, 0xfff00000
	v_add_f64 v[23:24], v[54:55], v[23:24]
	v_cndmask_b32_e64 v23, 0, v23, s[4:5]
	v_cmp_ngt_f64_e64 s[4:5], -1.0, v[21:22]
	v_cndmask_b32_e64 v0, v0, v24, s[38:39]
	v_cndmask_b32_e64 v0, v43, v0, s[4:5]
	v_cmp_neq_f64_e64 s[4:5], -1.0, v[21:22]
	v_cndmask_b32_e64 v24, v44, v0, s[4:5]
	v_add_f64 v[21:22], v[1:2], v[23:24]
.LBB22_73:
	s_or_b64 exec, exec, s[44:45]
	v_max_f64 v[0:1], v[21:22], v[21:22]
	;;#ASMSTART
	;;#ASMEND
	v_min_f64 v[43:44], v[0:1], v[29:30]
	v_max_f64 v[45:46], v[0:1], v[29:30]
	v_mov_b32_e32 v1, v21
	v_mov_b32_e32 v2, v22
.LBB22_74:
	s_or_b64 exec, exec, s[42:43]
	v_cmp_u_f64_e64 s[4:5], v[1:2], v[1:2]
	v_cndmask_b32_e64 v0, v43, v1, s[4:5]
	v_cndmask_b32_e64 v23, v0, v3, s[18:19]
	;; [unrolled: 1-line block ×8, first 2 shown]
	v_cmp_neq_f64_e64 s[4:5], v[23:24], v[21:22]
	v_cmp_class_f64_e64 s[18:19], v[23:24], s33
	v_mov_b32_e32 v4, v2
	v_mov_b32_e32 v3, v1
	s_or_b64 s[4:5], s[4:5], s[18:19]
	s_and_saveexec_b64 s[38:39], s[4:5]
	s_cbranch_execz .LBB22_76
; %bb.75:
	v_add_f64 v[3:4], v[23:24], -v[21:22]
	s_mov_b32 s4, 0x652b82fe
	s_mov_b32 s5, 0x3ff71547
	;; [unrolled: 1-line block ×6, first 2 shown]
	v_mov_b32_e32 v43, 0xfca7ab0c
	v_mul_f64 v[23:24], v[3:4], s[4:5]
	s_mov_b32 s4, 0x6a5dcb37
	v_mov_b32_e32 v44, 0x3e928af3
	s_mov_b32 s5, 0x3e5ade15
	s_mov_b32 s18, 0
	;; [unrolled: 1-line block ×3, first 2 shown]
	v_cmp_ngt_f64_e64 s[18:19], s[18:19], v[3:4]
	v_rndne_f64_e32 v[23:24], v[23:24]
	v_fma_f64 v[29:30], v[23:24], s[42:43], v[3:4]
	v_cvt_i32_f64_e32 v0, v[23:24]
	s_mov_b32 s43, 0x3fe62e42
	v_fma_f64 v[29:30], v[23:24], s[44:45], v[29:30]
	s_mov_b32 s45, 0x3c7abc9e
	v_fma_f64 v[43:44], v[29:30], s[4:5], v[43:44]
	s_mov_b32 s4, 0x623fde64
	s_mov_b32 s5, 0x3ec71dee
	v_fma_f64 v[43:44], v[29:30], v[43:44], s[4:5]
	s_mov_b32 s4, 0x7c89e6b0
	;; [unrolled: 3-line block ×9, first 2 shown]
	s_mov_b32 s5, 0x40900000
	v_cmp_nlt_f64_e64 s[4:5], s[4:5], v[3:4]
	v_fma_f64 v[43:44], v[29:30], v[43:44], 1.0
	v_fma_f64 v[29:30], v[29:30], v[43:44], 1.0
	v_ldexp_f64 v[23:24], v[29:30], v0
	v_mov_b32_e32 v0, 0x7ff00000
	v_cndmask_b32_e64 v24, v0, v24, s[4:5]
	s_and_b64 s[4:5], s[18:19], s[4:5]
	v_cndmask_b32_e64 v4, 0, v24, s[18:19]
	v_cndmask_b32_e64 v3, 0, v23, s[4:5]
	v_add_f64 v[23:24], v[3:4], 1.0
	s_mov_b32 s19, 0x3fe55555
	s_mov_b32 s18, 0x55555555
	v_frexp_mant_f64_e32 v[43:44], v[23:24]
	v_frexp_exp_i32_f64_e32 v47, v[23:24]
	v_add_f64 v[29:30], v[23:24], -1.0
	v_cmp_gt_f64_e64 s[4:5], s[18:19], v[43:44]
	s_mov_b32 s18, 0x55555780
	v_add_f64 v[45:46], v[29:30], -v[23:24]
	v_add_f64 v[29:30], v[3:4], -v[29:30]
	v_subbrev_co_u32_e64 v56, s[4:5], 0, v47, s[4:5]
	v_sub_u32_e32 v47, 0, v56
	v_ldexp_f64 v[23:24], v[23:24], v47
	v_add_f64 v[43:44], v[45:46], 1.0
	s_mov_b32 s4, 0xbf559e2b
	s_mov_b32 s5, 0x3fc3ab76
	v_add_f64 v[45:46], v[23:24], 1.0
	v_add_f64 v[29:30], v[29:30], v[43:44]
	v_add_f64 v[52:53], v[23:24], -1.0
	v_add_f64 v[43:44], v[45:46], -1.0
	v_ldexp_f64 v[29:30], v[29:30], v47
	v_add_f64 v[54:55], v[52:53], 1.0
	v_add_f64 v[43:44], v[23:24], -v[43:44]
	v_add_f64 v[23:24], v[23:24], -v[54:55]
	v_add_f64 v[43:44], v[29:30], v[43:44]
	v_add_f64 v[23:24], v[29:30], v[23:24]
	;; [unrolled: 1-line block ×4, first 2 shown]
	v_rcp_f64_e32 v[50:51], v[47:48]
	v_add_f64 v[45:46], v[47:48], -v[45:46]
	v_add_f64 v[52:53], v[54:55], -v[52:53]
	;; [unrolled: 1-line block ×4, first 2 shown]
	v_fma_f64 v[58:59], -v[47:48], v[50:51], 1.0
	v_fma_f64 v[50:51], v[58:59], v[50:51], v[50:51]
	v_fma_f64 v[29:30], -v[47:48], v[50:51], 1.0
	v_fma_f64 v[29:30], v[29:30], v[50:51], v[50:51]
	v_mul_f64 v[50:51], v[54:55], v[29:30]
	v_mul_f64 v[58:59], v[47:48], v[50:51]
	v_fma_f64 v[45:46], v[50:51], v[47:48], -v[58:59]
	v_fma_f64 v[45:46], v[50:51], v[43:44], v[45:46]
	v_add_f64 v[60:61], v[58:59], v[45:46]
	v_add_f64 v[62:63], v[54:55], -v[60:61]
	v_add_f64 v[52:53], v[60:61], -v[58:59]
	;; [unrolled: 1-line block ×5, first 2 shown]
	v_add_f64 v[23:24], v[23:24], v[54:55]
	v_add_f64 v[23:24], v[45:46], v[23:24]
	;; [unrolled: 1-line block ×3, first 2 shown]
	v_mul_f64 v[52:53], v[29:30], v[45:46]
	v_add_f64 v[60:61], v[62:63], -v[45:46]
	v_mul_f64 v[54:55], v[47:48], v[52:53]
	v_add_f64 v[23:24], v[23:24], v[60:61]
	v_fma_f64 v[47:48], v[52:53], v[47:48], -v[54:55]
	v_fma_f64 v[43:44], v[52:53], v[43:44], v[47:48]
	v_add_f64 v[47:48], v[54:55], v[43:44]
	v_add_f64 v[58:59], v[45:46], -v[47:48]
	v_add_f64 v[54:55], v[47:48], -v[54:55]
	;; [unrolled: 1-line block ×5, first 2 shown]
	v_mov_b32_e32 v47, 0x6b47b09a
	v_mov_b32_e32 v48, 0x3fc38538
	v_add_f64 v[23:24], v[23:24], v[45:46]
	v_add_f64 v[45:46], v[50:51], v[52:53]
	;; [unrolled: 1-line block ×3, first 2 shown]
	v_add_f64 v[43:44], v[45:46], -v[50:51]
	v_add_f64 v[23:24], v[58:59], v[23:24]
	v_add_f64 v[43:44], v[52:53], -v[43:44]
	v_mul_f64 v[23:24], v[29:30], v[23:24]
	v_add_f64 v[23:24], v[43:44], v[23:24]
	v_add_f64 v[29:30], v[45:46], v[23:24]
	v_mul_f64 v[43:44], v[29:30], v[29:30]
	v_fma_f64 v[47:48], v[43:44], s[4:5], v[47:48]
	s_mov_b32 s4, 0xd7f4df2e
	s_mov_b32 s5, 0x3fc7474d
	v_mul_f64 v[50:51], v[29:30], v[43:44]
	v_fma_f64 v[47:48], v[43:44], v[47:48], s[4:5]
	s_mov_b32 s4, 0x16291751
	s_mov_b32 s5, 0x3fcc71c0
	v_fma_f64 v[47:48], v[43:44], v[47:48], s[4:5]
	s_mov_b32 s4, 0x9b27acf1
	s_mov_b32 s5, 0x3fd24924
	;; [unrolled: 3-line block ×3, first 2 shown]
	v_fma_f64 v[47:48], v[43:44], v[47:48], s[4:5]
	v_cmp_nge_f64_e64 s[4:5], -1.0, v[3:4]
	v_fma_f64 v[43:44], v[43:44], v[47:48], s[18:19]
	v_ldexp_f64 v[47:48], v[29:30], 1
	v_add_f64 v[29:30], v[29:30], -v[45:46]
	s_mov_b32 s18, 0
	s_mov_b32 s19, 0x7ff00000
	v_cmp_neq_f64_e64 s[18:19], s[18:19], v[3:4]
	v_mul_f64 v[43:44], v[50:51], v[43:44]
	v_cvt_f64_i32_e32 v[50:51], v56
	v_add_f64 v[23:24], v[23:24], -v[29:30]
	v_mul_f64 v[52:53], v[50:51], s[42:43]
	s_and_b64 s[4:5], s[4:5], s[18:19]
	v_add_f64 v[45:46], v[47:48], v[43:44]
	v_ldexp_f64 v[23:24], v[23:24], 1
	v_add_f64 v[29:30], v[45:46], -v[47:48]
	v_fma_f64 v[47:48], v[50:51], s[42:43], -v[52:53]
	v_add_f64 v[29:30], v[43:44], -v[29:30]
	v_fma_f64 v[43:44], v[50:51], s[44:45], v[47:48]
	v_add_f64 v[23:24], v[23:24], v[29:30]
	v_add_f64 v[29:30], v[52:53], v[43:44]
	;; [unrolled: 1-line block ×3, first 2 shown]
	v_add_f64 v[52:53], v[29:30], -v[52:53]
	v_add_f64 v[50:51], v[29:30], v[47:48]
	v_add_f64 v[45:46], v[47:48], -v[45:46]
	v_add_f64 v[43:44], v[43:44], -v[52:53]
	;; [unrolled: 1-line block ×6, first 2 shown]
	v_add_f64 v[47:48], v[43:44], v[23:24]
	v_add_f64 v[29:30], v[29:30], -v[58:59]
	v_add_f64 v[29:30], v[45:46], v[29:30]
	v_add_f64 v[45:46], v[47:48], -v[43:44]
	;; [unrolled: 2-line block ×3, first 2 shown]
	v_add_f64 v[23:24], v[23:24], -v[45:46]
	v_add_f64 v[52:53], v[50:51], v[29:30]
	v_add_f64 v[43:44], v[43:44], -v[47:48]
	v_add_f64 v[45:46], v[52:53], -v[50:51]
	v_add_f64 v[23:24], v[23:24], v[43:44]
	v_add_f64 v[29:30], v[29:30], -v[45:46]
	v_add_f64 v[23:24], v[23:24], v[29:30]
	v_mov_b32_e32 v29, 0x7ff80000
	v_mov_b32_e32 v30, 0xfff00000
	v_add_f64 v[23:24], v[52:53], v[23:24]
	v_cndmask_b32_e64 v23, 0, v23, s[4:5]
	v_cmp_ngt_f64_e64 s[4:5], -1.0, v[3:4]
	v_cndmask_b32_e64 v0, v0, v24, s[18:19]
	v_cndmask_b32_e64 v0, v29, v0, s[4:5]
	v_cmp_neq_f64_e64 s[4:5], -1.0, v[3:4]
	v_cndmask_b32_e64 v24, v30, v0, s[4:5]
	v_add_f64 v[3:4], v[21:22], v[23:24]
.LBB22_76:
	s_or_b64 exec, exec, s[38:39]
	v_max_f64 v[21:22], v[3:4], v[3:4]
	v_cmp_u_f64_e64 s[4:5], v[3:4], v[3:4]
	v_min_f64 v[23:24], v[21:22], v[25:26]
	v_max_f64 v[21:22], v[21:22], v[25:26]
	v_cndmask_b32_e64 v0, v23, v3, s[4:5]
	v_cndmask_b32_e64 v23, v24, v4, s[4:5]
	;; [unrolled: 1-line block ×8, first 2 shown]
	v_cmp_neq_f64_e64 s[4:5], v[23:24], v[21:22]
	v_cmp_class_f64_e64 s[18:19], v[23:24], s33
	v_mov_b32_e32 v18, v4
	v_mov_b32_e32 v17, v3
	s_or_b64 s[4:5], s[4:5], s[18:19]
	s_and_saveexec_b64 s[22:23], s[4:5]
	s_cbranch_execz .LBB22_78
; %bb.77:
	v_add_f64 v[17:18], v[23:24], -v[21:22]
	s_mov_b32 s4, 0x652b82fe
	s_mov_b32 s5, 0x3ff71547
	;; [unrolled: 1-line block ×6, first 2 shown]
	v_mov_b32_e32 v29, 0xfca7ab0c
	v_mul_f64 v[23:24], v[17:18], s[4:5]
	s_mov_b32 s4, 0x6a5dcb37
	v_mov_b32_e32 v30, 0x3e928af3
	s_mov_b32 s5, 0x3e5ade15
	s_mov_b32 s18, 0
	s_mov_b32 s19, 0xc090cc00
	v_cmp_ngt_f64_e64 s[18:19], s[18:19], v[17:18]
	v_rndne_f64_e32 v[23:24], v[23:24]
	v_fma_f64 v[25:26], v[23:24], s[38:39], v[17:18]
	v_cvt_i32_f64_e32 v0, v[23:24]
	s_mov_b32 s39, 0x3fe62e42
	v_fma_f64 v[25:26], v[23:24], s[42:43], v[25:26]
	s_mov_b32 s43, 0x3c7abc9e
	v_fma_f64 v[29:30], v[25:26], s[4:5], v[29:30]
	s_mov_b32 s4, 0x623fde64
	s_mov_b32 s5, 0x3ec71dee
	v_fma_f64 v[29:30], v[25:26], v[29:30], s[4:5]
	s_mov_b32 s4, 0x7c89e6b0
	;; [unrolled: 3-line block ×9, first 2 shown]
	s_mov_b32 s5, 0x40900000
	v_cmp_nlt_f64_e64 s[4:5], s[4:5], v[17:18]
	v_fma_f64 v[29:30], v[25:26], v[29:30], 1.0
	v_fma_f64 v[25:26], v[25:26], v[29:30], 1.0
	v_ldexp_f64 v[23:24], v[25:26], v0
	v_mov_b32_e32 v0, 0x7ff00000
	v_cndmask_b32_e64 v24, v0, v24, s[4:5]
	s_and_b64 s[4:5], s[18:19], s[4:5]
	v_cndmask_b32_e64 v18, 0, v24, s[18:19]
	v_cndmask_b32_e64 v17, 0, v23, s[4:5]
	v_add_f64 v[23:24], v[17:18], 1.0
	s_mov_b32 s19, 0x3fe55555
	s_mov_b32 s18, 0x55555555
	v_frexp_mant_f64_e32 v[29:30], v[23:24]
	v_frexp_exp_i32_f64_e32 v45, v[23:24]
	v_add_f64 v[25:26], v[23:24], -1.0
	v_cmp_gt_f64_e64 s[4:5], s[18:19], v[29:30]
	s_mov_b32 s18, 0x55555780
	v_add_f64 v[43:44], v[25:26], -v[23:24]
	v_add_f64 v[25:26], v[17:18], -v[25:26]
	v_subbrev_co_u32_e64 v56, s[4:5], 0, v45, s[4:5]
	v_sub_u32_e32 v45, 0, v56
	v_ldexp_f64 v[23:24], v[23:24], v45
	v_add_f64 v[29:30], v[43:44], 1.0
	s_mov_b32 s4, 0xbf559e2b
	s_mov_b32 s5, 0x3fc3ab76
	v_add_f64 v[43:44], v[23:24], 1.0
	v_add_f64 v[25:26], v[25:26], v[29:30]
	v_add_f64 v[50:51], v[23:24], -1.0
	v_add_f64 v[29:30], v[43:44], -1.0
	v_ldexp_f64 v[25:26], v[25:26], v45
	v_add_f64 v[52:53], v[50:51], 1.0
	v_add_f64 v[29:30], v[23:24], -v[29:30]
	v_add_f64 v[23:24], v[23:24], -v[52:53]
	v_add_f64 v[29:30], v[25:26], v[29:30]
	v_add_f64 v[23:24], v[25:26], v[23:24]
	;; [unrolled: 1-line block ×4, first 2 shown]
	v_rcp_f64_e32 v[47:48], v[45:46]
	v_add_f64 v[43:44], v[45:46], -v[43:44]
	v_add_f64 v[50:51], v[52:53], -v[50:51]
	;; [unrolled: 1-line block ×4, first 2 shown]
	v_fma_f64 v[54:55], -v[45:46], v[47:48], 1.0
	v_fma_f64 v[47:48], v[54:55], v[47:48], v[47:48]
	v_fma_f64 v[25:26], -v[45:46], v[47:48], 1.0
	v_fma_f64 v[25:26], v[25:26], v[47:48], v[47:48]
	v_mul_f64 v[47:48], v[52:53], v[25:26]
	v_mul_f64 v[54:55], v[45:46], v[47:48]
	v_fma_f64 v[43:44], v[47:48], v[45:46], -v[54:55]
	v_fma_f64 v[43:44], v[47:48], v[29:30], v[43:44]
	v_add_f64 v[58:59], v[54:55], v[43:44]
	v_add_f64 v[60:61], v[52:53], -v[58:59]
	v_add_f64 v[50:51], v[58:59], -v[54:55]
	;; [unrolled: 1-line block ×5, first 2 shown]
	v_add_f64 v[23:24], v[23:24], v[52:53]
	v_add_f64 v[23:24], v[43:44], v[23:24]
	;; [unrolled: 1-line block ×3, first 2 shown]
	v_mul_f64 v[50:51], v[25:26], v[43:44]
	v_add_f64 v[58:59], v[60:61], -v[43:44]
	v_mul_f64 v[52:53], v[45:46], v[50:51]
	v_add_f64 v[23:24], v[23:24], v[58:59]
	v_fma_f64 v[45:46], v[50:51], v[45:46], -v[52:53]
	v_fma_f64 v[29:30], v[50:51], v[29:30], v[45:46]
	v_add_f64 v[45:46], v[52:53], v[29:30]
	v_add_f64 v[54:55], v[43:44], -v[45:46]
	v_add_f64 v[52:53], v[45:46], -v[52:53]
	;; [unrolled: 1-line block ×5, first 2 shown]
	v_mov_b32_e32 v45, 0x6b47b09a
	v_mov_b32_e32 v46, 0x3fc38538
	v_add_f64 v[23:24], v[23:24], v[43:44]
	v_add_f64 v[43:44], v[47:48], v[50:51]
	;; [unrolled: 1-line block ×3, first 2 shown]
	v_add_f64 v[29:30], v[43:44], -v[47:48]
	v_add_f64 v[23:24], v[54:55], v[23:24]
	v_add_f64 v[29:30], v[50:51], -v[29:30]
	v_mul_f64 v[23:24], v[25:26], v[23:24]
	v_add_f64 v[23:24], v[29:30], v[23:24]
	v_add_f64 v[25:26], v[43:44], v[23:24]
	v_mul_f64 v[29:30], v[25:26], v[25:26]
	v_fma_f64 v[45:46], v[29:30], s[4:5], v[45:46]
	s_mov_b32 s4, 0xd7f4df2e
	s_mov_b32 s5, 0x3fc7474d
	v_mul_f64 v[47:48], v[25:26], v[29:30]
	v_fma_f64 v[45:46], v[29:30], v[45:46], s[4:5]
	s_mov_b32 s4, 0x16291751
	s_mov_b32 s5, 0x3fcc71c0
	v_fma_f64 v[45:46], v[29:30], v[45:46], s[4:5]
	s_mov_b32 s4, 0x9b27acf1
	s_mov_b32 s5, 0x3fd24924
	v_fma_f64 v[45:46], v[29:30], v[45:46], s[4:5]
	s_mov_b32 s4, 0x998ef7b6
	s_mov_b32 s5, 0x3fd99999
	v_fma_f64 v[45:46], v[29:30], v[45:46], s[4:5]
	v_cmp_nge_f64_e64 s[4:5], -1.0, v[17:18]
	v_fma_f64 v[29:30], v[29:30], v[45:46], s[18:19]
	v_ldexp_f64 v[45:46], v[25:26], 1
	v_add_f64 v[25:26], v[25:26], -v[43:44]
	s_mov_b32 s18, 0
	s_mov_b32 s19, 0x7ff00000
	v_cmp_neq_f64_e64 s[18:19], s[18:19], v[17:18]
	v_mul_f64 v[29:30], v[47:48], v[29:30]
	v_cvt_f64_i32_e32 v[47:48], v56
	v_add_f64 v[23:24], v[23:24], -v[25:26]
	v_mul_f64 v[50:51], v[47:48], s[38:39]
	s_and_b64 s[4:5], s[4:5], s[18:19]
	v_add_f64 v[43:44], v[45:46], v[29:30]
	v_ldexp_f64 v[23:24], v[23:24], 1
	v_add_f64 v[25:26], v[43:44], -v[45:46]
	v_fma_f64 v[45:46], v[47:48], s[38:39], -v[50:51]
	v_add_f64 v[25:26], v[29:30], -v[25:26]
	v_fma_f64 v[29:30], v[47:48], s[42:43], v[45:46]
	v_add_f64 v[23:24], v[23:24], v[25:26]
	v_add_f64 v[25:26], v[50:51], v[29:30]
	;; [unrolled: 1-line block ×3, first 2 shown]
	v_add_f64 v[50:51], v[25:26], -v[50:51]
	v_add_f64 v[47:48], v[25:26], v[45:46]
	v_add_f64 v[43:44], v[45:46], -v[43:44]
	v_add_f64 v[29:30], v[29:30], -v[50:51]
	;; [unrolled: 1-line block ×6, first 2 shown]
	v_add_f64 v[45:46], v[29:30], v[23:24]
	v_add_f64 v[25:26], v[25:26], -v[54:55]
	v_add_f64 v[25:26], v[43:44], v[25:26]
	v_add_f64 v[43:44], v[45:46], -v[29:30]
	;; [unrolled: 2-line block ×3, first 2 shown]
	v_add_f64 v[23:24], v[23:24], -v[43:44]
	v_add_f64 v[50:51], v[47:48], v[25:26]
	v_add_f64 v[29:30], v[29:30], -v[45:46]
	v_add_f64 v[43:44], v[50:51], -v[47:48]
	v_add_f64 v[23:24], v[23:24], v[29:30]
	v_add_f64 v[25:26], v[25:26], -v[43:44]
	v_add_f64 v[23:24], v[23:24], v[25:26]
	v_mov_b32_e32 v25, 0x7ff80000
	v_mov_b32_e32 v26, 0xfff00000
	v_add_f64 v[23:24], v[50:51], v[23:24]
	v_cndmask_b32_e64 v23, 0, v23, s[4:5]
	v_cmp_ngt_f64_e64 s[4:5], -1.0, v[17:18]
	v_cndmask_b32_e64 v0, v0, v24, s[18:19]
	v_cndmask_b32_e64 v0, v25, v0, s[4:5]
	v_cmp_neq_f64_e64 s[4:5], -1.0, v[17:18]
	v_cndmask_b32_e64 v24, v26, v0, s[4:5]
	v_add_f64 v[17:18], v[21:22], v[23:24]
.LBB22_78:
	s_or_b64 exec, exec, s[22:23]
	v_max_f64 v[21:22], v[17:18], v[17:18]
	v_cmp_u_f64_e64 s[4:5], v[17:18], v[17:18]
	v_min_f64 v[23:24], v[21:22], v[27:28]
	v_max_f64 v[21:22], v[21:22], v[27:28]
	v_cndmask_b32_e64 v0, v23, v17, s[4:5]
	v_cndmask_b32_e64 v23, v24, v18, s[4:5]
	;; [unrolled: 1-line block ×8, first 2 shown]
	v_cmp_neq_f64_e64 s[4:5], v[23:24], v[21:22]
	v_cmp_class_f64_e64 s[18:19], v[23:24], s33
	v_mov_b32_e32 v20, v18
	v_mov_b32_e32 v19, v17
	s_or_b64 s[4:5], s[4:5], s[18:19]
	s_and_saveexec_b64 s[20:21], s[4:5]
	s_cbranch_execz .LBB22_80
; %bb.79:
	v_add_f64 v[19:20], v[23:24], -v[21:22]
	s_mov_b32 s4, 0x652b82fe
	s_mov_b32 s5, 0x3ff71547
	;; [unrolled: 1-line block ×6, first 2 shown]
	v_mov_b32_e32 v27, 0xfca7ab0c
	v_mul_f64 v[23:24], v[19:20], s[4:5]
	s_mov_b32 s4, 0x6a5dcb37
	v_mov_b32_e32 v28, 0x3e928af3
	s_mov_b32 s5, 0x3e5ade15
	s_mov_b32 s18, 0
	;; [unrolled: 1-line block ×3, first 2 shown]
	v_cmp_ngt_f64_e64 s[18:19], s[18:19], v[19:20]
	v_rndne_f64_e32 v[23:24], v[23:24]
	v_fma_f64 v[25:26], v[23:24], s[22:23], v[19:20]
	v_cvt_i32_f64_e32 v0, v[23:24]
	s_mov_b32 s23, 0x3fe62e42
	v_fma_f64 v[25:26], v[23:24], s[38:39], v[25:26]
	s_mov_b32 s39, 0x3c7abc9e
	v_fma_f64 v[27:28], v[25:26], s[4:5], v[27:28]
	s_mov_b32 s4, 0x623fde64
	s_mov_b32 s5, 0x3ec71dee
	v_fma_f64 v[27:28], v[25:26], v[27:28], s[4:5]
	s_mov_b32 s4, 0x7c89e6b0
	s_mov_b32 s5, 0x3efa0199
	v_fma_f64 v[27:28], v[25:26], v[27:28], s[4:5]
	s_mov_b32 s4, 0x14761f6e
	s_mov_b32 s5, 0x3f2a01a0
	v_fma_f64 v[27:28], v[25:26], v[27:28], s[4:5]
	s_mov_b32 s4, 0x1852b7b0
	s_mov_b32 s5, 0x3f56c16c
	v_fma_f64 v[27:28], v[25:26], v[27:28], s[4:5]
	s_mov_b32 s4, 0x11122322
	s_mov_b32 s5, 0x3f811111
	v_fma_f64 v[27:28], v[25:26], v[27:28], s[4:5]
	s_mov_b32 s4, 0x555502a1
	s_mov_b32 s5, 0x3fa55555
	v_fma_f64 v[27:28], v[25:26], v[27:28], s[4:5]
	s_mov_b32 s4, 0x55555511
	s_mov_b32 s5, 0x3fc55555
	v_fma_f64 v[27:28], v[25:26], v[27:28], s[4:5]
	s_mov_b32 s4, 11
	s_mov_b32 s5, 0x3fe00000
	v_fma_f64 v[27:28], v[25:26], v[27:28], s[4:5]
	s_mov_b32 s4, 0
	s_mov_b32 s5, 0x40900000
	v_cmp_nlt_f64_e64 s[4:5], s[4:5], v[19:20]
	v_fma_f64 v[27:28], v[25:26], v[27:28], 1.0
	v_fma_f64 v[25:26], v[25:26], v[27:28], 1.0
	v_ldexp_f64 v[23:24], v[25:26], v0
	v_mov_b32_e32 v0, 0x7ff00000
	v_cndmask_b32_e64 v24, v0, v24, s[4:5]
	s_and_b64 s[4:5], s[18:19], s[4:5]
	v_cndmask_b32_e64 v20, 0, v24, s[18:19]
	v_cndmask_b32_e64 v19, 0, v23, s[4:5]
	v_add_f64 v[23:24], v[19:20], 1.0
	s_mov_b32 s19, 0x3fe55555
	s_mov_b32 s18, 0x55555555
	v_frexp_mant_f64_e32 v[27:28], v[23:24]
	v_frexp_exp_i32_f64_e32 v43, v[23:24]
	v_add_f64 v[25:26], v[23:24], -1.0
	v_cmp_gt_f64_e64 s[4:5], s[18:19], v[27:28]
	s_mov_b32 s18, 0x55555780
	v_add_f64 v[29:30], v[25:26], -v[23:24]
	v_add_f64 v[25:26], v[19:20], -v[25:26]
	v_subbrev_co_u32_e64 v56, s[4:5], 0, v43, s[4:5]
	v_sub_u32_e32 v43, 0, v56
	v_ldexp_f64 v[23:24], v[23:24], v43
	v_add_f64 v[27:28], v[29:30], 1.0
	s_mov_b32 s4, 0xbf559e2b
	s_mov_b32 s5, 0x3fc3ab76
	v_add_f64 v[29:30], v[23:24], 1.0
	v_add_f64 v[25:26], v[25:26], v[27:28]
	v_add_f64 v[47:48], v[23:24], -1.0
	v_add_f64 v[27:28], v[29:30], -1.0
	v_ldexp_f64 v[25:26], v[25:26], v43
	v_add_f64 v[50:51], v[47:48], 1.0
	v_add_f64 v[27:28], v[23:24], -v[27:28]
	v_add_f64 v[23:24], v[23:24], -v[50:51]
	v_add_f64 v[27:28], v[25:26], v[27:28]
	v_add_f64 v[23:24], v[25:26], v[23:24]
	;; [unrolled: 1-line block ×4, first 2 shown]
	v_rcp_f64_e32 v[45:46], v[43:44]
	v_add_f64 v[29:30], v[43:44], -v[29:30]
	v_add_f64 v[47:48], v[50:51], -v[47:48]
	;; [unrolled: 1-line block ×4, first 2 shown]
	v_fma_f64 v[52:53], -v[43:44], v[45:46], 1.0
	v_fma_f64 v[45:46], v[52:53], v[45:46], v[45:46]
	v_fma_f64 v[25:26], -v[43:44], v[45:46], 1.0
	v_fma_f64 v[25:26], v[25:26], v[45:46], v[45:46]
	v_mul_f64 v[45:46], v[50:51], v[25:26]
	v_mul_f64 v[52:53], v[43:44], v[45:46]
	v_fma_f64 v[29:30], v[45:46], v[43:44], -v[52:53]
	v_fma_f64 v[29:30], v[45:46], v[27:28], v[29:30]
	v_add_f64 v[54:55], v[52:53], v[29:30]
	v_add_f64 v[58:59], v[50:51], -v[54:55]
	v_add_f64 v[47:48], v[54:55], -v[52:53]
	;; [unrolled: 1-line block ×5, first 2 shown]
	v_add_f64 v[23:24], v[23:24], v[50:51]
	v_add_f64 v[23:24], v[29:30], v[23:24]
	;; [unrolled: 1-line block ×3, first 2 shown]
	v_mul_f64 v[47:48], v[25:26], v[29:30]
	v_add_f64 v[54:55], v[58:59], -v[29:30]
	v_mul_f64 v[50:51], v[43:44], v[47:48]
	v_add_f64 v[23:24], v[23:24], v[54:55]
	v_fma_f64 v[43:44], v[47:48], v[43:44], -v[50:51]
	v_fma_f64 v[27:28], v[47:48], v[27:28], v[43:44]
	v_add_f64 v[43:44], v[50:51], v[27:28]
	v_add_f64 v[52:53], v[29:30], -v[43:44]
	v_add_f64 v[50:51], v[43:44], -v[50:51]
	;; [unrolled: 1-line block ×5, first 2 shown]
	v_mov_b32_e32 v43, 0x6b47b09a
	v_mov_b32_e32 v44, 0x3fc38538
	v_add_f64 v[23:24], v[23:24], v[29:30]
	v_add_f64 v[29:30], v[45:46], v[47:48]
	v_add_f64 v[23:24], v[27:28], v[23:24]
	v_add_f64 v[27:28], v[29:30], -v[45:46]
	v_add_f64 v[23:24], v[52:53], v[23:24]
	v_add_f64 v[27:28], v[47:48], -v[27:28]
	v_mul_f64 v[23:24], v[25:26], v[23:24]
	v_add_f64 v[23:24], v[27:28], v[23:24]
	v_add_f64 v[25:26], v[29:30], v[23:24]
	v_mul_f64 v[27:28], v[25:26], v[25:26]
	v_fma_f64 v[43:44], v[27:28], s[4:5], v[43:44]
	s_mov_b32 s4, 0xd7f4df2e
	s_mov_b32 s5, 0x3fc7474d
	v_mul_f64 v[45:46], v[25:26], v[27:28]
	v_fma_f64 v[43:44], v[27:28], v[43:44], s[4:5]
	s_mov_b32 s4, 0x16291751
	s_mov_b32 s5, 0x3fcc71c0
	v_fma_f64 v[43:44], v[27:28], v[43:44], s[4:5]
	s_mov_b32 s4, 0x9b27acf1
	s_mov_b32 s5, 0x3fd24924
	;; [unrolled: 3-line block ×3, first 2 shown]
	v_fma_f64 v[43:44], v[27:28], v[43:44], s[4:5]
	v_cmp_nge_f64_e64 s[4:5], -1.0, v[19:20]
	v_fma_f64 v[27:28], v[27:28], v[43:44], s[18:19]
	v_ldexp_f64 v[43:44], v[25:26], 1
	v_add_f64 v[25:26], v[25:26], -v[29:30]
	s_mov_b32 s18, 0
	s_mov_b32 s19, 0x7ff00000
	v_cmp_neq_f64_e64 s[18:19], s[18:19], v[19:20]
	v_mul_f64 v[27:28], v[45:46], v[27:28]
	v_cvt_f64_i32_e32 v[45:46], v56
	v_add_f64 v[23:24], v[23:24], -v[25:26]
	v_mul_f64 v[47:48], v[45:46], s[22:23]
	s_and_b64 s[4:5], s[4:5], s[18:19]
	v_add_f64 v[29:30], v[43:44], v[27:28]
	v_ldexp_f64 v[23:24], v[23:24], 1
	v_add_f64 v[25:26], v[29:30], -v[43:44]
	v_fma_f64 v[43:44], v[45:46], s[22:23], -v[47:48]
	v_add_f64 v[25:26], v[27:28], -v[25:26]
	v_fma_f64 v[27:28], v[45:46], s[38:39], v[43:44]
	v_add_f64 v[23:24], v[23:24], v[25:26]
	v_add_f64 v[25:26], v[47:48], v[27:28]
	;; [unrolled: 1-line block ×3, first 2 shown]
	v_add_f64 v[47:48], v[25:26], -v[47:48]
	v_add_f64 v[45:46], v[25:26], v[43:44]
	v_add_f64 v[29:30], v[43:44], -v[29:30]
	v_add_f64 v[27:28], v[27:28], -v[47:48]
	;; [unrolled: 1-line block ×6, first 2 shown]
	v_add_f64 v[43:44], v[27:28], v[23:24]
	v_add_f64 v[25:26], v[25:26], -v[52:53]
	v_add_f64 v[25:26], v[29:30], v[25:26]
	v_add_f64 v[29:30], v[43:44], -v[27:28]
	;; [unrolled: 2-line block ×3, first 2 shown]
	v_add_f64 v[23:24], v[23:24], -v[29:30]
	v_add_f64 v[47:48], v[45:46], v[25:26]
	v_add_f64 v[27:28], v[27:28], -v[43:44]
	v_add_f64 v[29:30], v[47:48], -v[45:46]
	v_add_f64 v[23:24], v[23:24], v[27:28]
	v_add_f64 v[25:26], v[25:26], -v[29:30]
	v_add_f64 v[23:24], v[23:24], v[25:26]
	v_mov_b32_e32 v25, 0x7ff80000
	v_mov_b32_e32 v26, 0xfff00000
	v_add_f64 v[23:24], v[47:48], v[23:24]
	v_cndmask_b32_e64 v23, 0, v23, s[4:5]
	v_cmp_ngt_f64_e64 s[4:5], -1.0, v[19:20]
	v_cndmask_b32_e64 v0, v0, v24, s[18:19]
	v_cndmask_b32_e64 v0, v25, v0, s[4:5]
	v_cmp_neq_f64_e64 s[4:5], -1.0, v[19:20]
	v_cndmask_b32_e64 v24, v26, v0, s[4:5]
	v_add_f64 v[19:20], v[21:22], v[23:24]
.LBB22_80:
	s_or_b64 exec, exec, s[20:21]
	v_max_f64 v[21:22], v[19:20], v[19:20]
	v_cmp_u_f64_e64 s[4:5], v[19:20], v[19:20]
	v_min_f64 v[23:24], v[21:22], v[31:32]
	v_max_f64 v[21:22], v[21:22], v[31:32]
	v_cndmask_b32_e64 v0, v23, v19, s[4:5]
	v_cndmask_b32_e64 v23, v24, v20, s[4:5]
	;; [unrolled: 1-line block ×8, first 2 shown]
	v_cmp_neq_f64_e64 s[4:5], v[23:24], v[21:22]
	v_cmp_class_f64_e64 s[18:19], v[23:24], s33
	v_mov_b32_e32 v13, v19
	v_mov_b32_e32 v14, v20
	s_or_b64 s[4:5], s[4:5], s[18:19]
	s_and_saveexec_b64 s[20:21], s[4:5]
	s_cbranch_execz .LBB22_82
; %bb.81:
	v_add_f64 v[13:14], v[23:24], -v[21:22]
	s_mov_b32 s4, 0x652b82fe
	s_mov_b32 s5, 0x3ff71547
	s_mov_b32 s23, 0xbfe62e42
	s_mov_b32 s22, 0xfefa39ef
	s_mov_b32 s27, 0xbc7abc9e
	s_mov_b32 s26, 0x3b39803f
	v_mov_b32_e32 v27, 0xfca7ab0c
	v_mul_f64 v[23:24], v[13:14], s[4:5]
	s_mov_b32 s4, 0x6a5dcb37
	v_mov_b32_e32 v28, 0x3e928af3
	s_mov_b32 s5, 0x3e5ade15
	s_mov_b32 s18, 0
	;; [unrolled: 1-line block ×3, first 2 shown]
	v_cmp_ngt_f64_e64 s[18:19], s[18:19], v[13:14]
	v_rndne_f64_e32 v[23:24], v[23:24]
	v_fma_f64 v[25:26], v[23:24], s[22:23], v[13:14]
	v_cvt_i32_f64_e32 v0, v[23:24]
	s_mov_b32 s23, 0x3fe62e42
	v_fma_f64 v[25:26], v[23:24], s[26:27], v[25:26]
	s_mov_b32 s27, 0x3c7abc9e
	v_fma_f64 v[27:28], v[25:26], s[4:5], v[27:28]
	s_mov_b32 s4, 0x623fde64
	s_mov_b32 s5, 0x3ec71dee
	v_fma_f64 v[27:28], v[25:26], v[27:28], s[4:5]
	s_mov_b32 s4, 0x7c89e6b0
	;; [unrolled: 3-line block ×9, first 2 shown]
	s_mov_b32 s5, 0x40900000
	v_cmp_nlt_f64_e64 s[4:5], s[4:5], v[13:14]
	v_fma_f64 v[27:28], v[25:26], v[27:28], 1.0
	v_fma_f64 v[25:26], v[25:26], v[27:28], 1.0
	v_ldexp_f64 v[23:24], v[25:26], v0
	v_mov_b32_e32 v0, 0x7ff00000
	v_cndmask_b32_e64 v24, v0, v24, s[4:5]
	s_and_b64 s[4:5], s[18:19], s[4:5]
	v_cndmask_b32_e64 v14, 0, v24, s[18:19]
	v_cndmask_b32_e64 v13, 0, v23, s[4:5]
	v_add_f64 v[23:24], v[13:14], 1.0
	s_mov_b32 s19, 0x3fe55555
	s_mov_b32 s18, 0x55555555
	v_frexp_mant_f64_e32 v[27:28], v[23:24]
	v_frexp_exp_i32_f64_e32 v31, v[23:24]
	v_add_f64 v[25:26], v[23:24], -1.0
	v_cmp_gt_f64_e64 s[4:5], s[18:19], v[27:28]
	s_mov_b32 s18, 0x55555780
	v_add_f64 v[29:30], v[25:26], -v[23:24]
	v_add_f64 v[25:26], v[13:14], -v[25:26]
	v_subbrev_co_u32_e64 v56, s[4:5], 0, v31, s[4:5]
	v_sub_u32_e32 v31, 0, v56
	v_ldexp_f64 v[23:24], v[23:24], v31
	v_add_f64 v[27:28], v[29:30], 1.0
	s_mov_b32 s4, 0xbf559e2b
	s_mov_b32 s5, 0x3fc3ab76
	v_add_f64 v[29:30], v[23:24], 1.0
	v_add_f64 v[25:26], v[25:26], v[27:28]
	v_add_f64 v[45:46], v[23:24], -1.0
	v_add_f64 v[27:28], v[29:30], -1.0
	v_ldexp_f64 v[25:26], v[25:26], v31
	v_add_f64 v[47:48], v[45:46], 1.0
	v_add_f64 v[27:28], v[23:24], -v[27:28]
	v_add_f64 v[23:24], v[23:24], -v[47:48]
	v_add_f64 v[27:28], v[25:26], v[27:28]
	v_add_f64 v[23:24], v[25:26], v[23:24]
	;; [unrolled: 1-line block ×4, first 2 shown]
	v_rcp_f64_e32 v[43:44], v[31:32]
	v_add_f64 v[29:30], v[31:32], -v[29:30]
	v_add_f64 v[45:46], v[47:48], -v[45:46]
	;; [unrolled: 1-line block ×4, first 2 shown]
	v_fma_f64 v[50:51], -v[31:32], v[43:44], 1.0
	v_fma_f64 v[43:44], v[50:51], v[43:44], v[43:44]
	v_fma_f64 v[25:26], -v[31:32], v[43:44], 1.0
	v_fma_f64 v[25:26], v[25:26], v[43:44], v[43:44]
	v_mul_f64 v[43:44], v[47:48], v[25:26]
	v_mul_f64 v[50:51], v[31:32], v[43:44]
	v_fma_f64 v[29:30], v[43:44], v[31:32], -v[50:51]
	v_fma_f64 v[29:30], v[43:44], v[27:28], v[29:30]
	v_add_f64 v[52:53], v[50:51], v[29:30]
	v_add_f64 v[54:55], v[47:48], -v[52:53]
	v_add_f64 v[45:46], v[52:53], -v[50:51]
	;; [unrolled: 1-line block ×5, first 2 shown]
	v_add_f64 v[23:24], v[23:24], v[47:48]
	v_add_f64 v[23:24], v[29:30], v[23:24]
	;; [unrolled: 1-line block ×3, first 2 shown]
	v_mul_f64 v[45:46], v[25:26], v[29:30]
	v_add_f64 v[52:53], v[54:55], -v[29:30]
	v_mul_f64 v[47:48], v[31:32], v[45:46]
	v_add_f64 v[23:24], v[23:24], v[52:53]
	v_fma_f64 v[31:32], v[45:46], v[31:32], -v[47:48]
	v_fma_f64 v[27:28], v[45:46], v[27:28], v[31:32]
	v_add_f64 v[31:32], v[47:48], v[27:28]
	v_add_f64 v[50:51], v[29:30], -v[31:32]
	v_add_f64 v[47:48], v[31:32], -v[47:48]
	;; [unrolled: 1-line block ×5, first 2 shown]
	v_mov_b32_e32 v31, 0x6b47b09a
	v_mov_b32_e32 v32, 0x3fc38538
	v_add_f64 v[23:24], v[23:24], v[29:30]
	v_add_f64 v[29:30], v[43:44], v[45:46]
	;; [unrolled: 1-line block ×3, first 2 shown]
	v_add_f64 v[27:28], v[29:30], -v[43:44]
	v_add_f64 v[23:24], v[50:51], v[23:24]
	v_add_f64 v[27:28], v[45:46], -v[27:28]
	v_mul_f64 v[23:24], v[25:26], v[23:24]
	v_add_f64 v[23:24], v[27:28], v[23:24]
	v_add_f64 v[25:26], v[29:30], v[23:24]
	v_mul_f64 v[27:28], v[25:26], v[25:26]
	v_fma_f64 v[31:32], v[27:28], s[4:5], v[31:32]
	s_mov_b32 s4, 0xd7f4df2e
	s_mov_b32 s5, 0x3fc7474d
	v_mul_f64 v[43:44], v[25:26], v[27:28]
	v_fma_f64 v[31:32], v[27:28], v[31:32], s[4:5]
	s_mov_b32 s4, 0x16291751
	s_mov_b32 s5, 0x3fcc71c0
	v_fma_f64 v[31:32], v[27:28], v[31:32], s[4:5]
	s_mov_b32 s4, 0x9b27acf1
	s_mov_b32 s5, 0x3fd24924
	;; [unrolled: 3-line block ×3, first 2 shown]
	v_fma_f64 v[31:32], v[27:28], v[31:32], s[4:5]
	v_cmp_nge_f64_e64 s[4:5], -1.0, v[13:14]
	v_fma_f64 v[27:28], v[27:28], v[31:32], s[18:19]
	v_ldexp_f64 v[31:32], v[25:26], 1
	v_add_f64 v[25:26], v[25:26], -v[29:30]
	s_mov_b32 s18, 0
	s_mov_b32 s19, 0x7ff00000
	v_cmp_neq_f64_e64 s[18:19], s[18:19], v[13:14]
	v_mul_f64 v[27:28], v[43:44], v[27:28]
	v_cvt_f64_i32_e32 v[43:44], v56
	v_add_f64 v[23:24], v[23:24], -v[25:26]
	v_mul_f64 v[45:46], v[43:44], s[22:23]
	s_and_b64 s[4:5], s[4:5], s[18:19]
	v_add_f64 v[29:30], v[31:32], v[27:28]
	v_ldexp_f64 v[23:24], v[23:24], 1
	v_add_f64 v[25:26], v[29:30], -v[31:32]
	v_fma_f64 v[31:32], v[43:44], s[22:23], -v[45:46]
	v_add_f64 v[25:26], v[27:28], -v[25:26]
	v_fma_f64 v[27:28], v[43:44], s[26:27], v[31:32]
	v_add_f64 v[23:24], v[23:24], v[25:26]
	v_add_f64 v[25:26], v[45:46], v[27:28]
	;; [unrolled: 1-line block ×3, first 2 shown]
	v_add_f64 v[45:46], v[25:26], -v[45:46]
	v_add_f64 v[43:44], v[25:26], v[31:32]
	v_add_f64 v[29:30], v[31:32], -v[29:30]
	v_add_f64 v[27:28], v[27:28], -v[45:46]
	;; [unrolled: 1-line block ×6, first 2 shown]
	v_add_f64 v[31:32], v[27:28], v[23:24]
	v_add_f64 v[25:26], v[25:26], -v[50:51]
	v_add_f64 v[25:26], v[29:30], v[25:26]
	v_add_f64 v[29:30], v[31:32], -v[27:28]
	;; [unrolled: 2-line block ×3, first 2 shown]
	v_add_f64 v[23:24], v[23:24], -v[29:30]
	v_add_f64 v[45:46], v[43:44], v[25:26]
	v_add_f64 v[27:28], v[27:28], -v[31:32]
	v_add_f64 v[29:30], v[45:46], -v[43:44]
	v_add_f64 v[23:24], v[23:24], v[27:28]
	v_add_f64 v[25:26], v[25:26], -v[29:30]
	v_add_f64 v[23:24], v[23:24], v[25:26]
	v_mov_b32_e32 v25, 0x7ff80000
	v_mov_b32_e32 v26, 0xfff00000
	v_add_f64 v[23:24], v[45:46], v[23:24]
	v_cndmask_b32_e64 v23, 0, v23, s[4:5]
	v_cmp_ngt_f64_e64 s[4:5], -1.0, v[13:14]
	v_cndmask_b32_e64 v0, v0, v24, s[18:19]
	v_cndmask_b32_e64 v0, v25, v0, s[4:5]
	v_cmp_neq_f64_e64 s[4:5], -1.0, v[13:14]
	v_cndmask_b32_e64 v24, v26, v0, s[4:5]
	v_add_f64 v[13:14], v[21:22], v[23:24]
.LBB22_82:
	s_or_b64 exec, exec, s[20:21]
	v_max_f64 v[21:22], v[13:14], v[13:14]
	v_cmp_u_f64_e64 s[4:5], v[13:14], v[13:14]
	s_movk_i32 s26, 0x1f8
	v_min_f64 v[23:24], v[21:22], v[33:34]
	v_max_f64 v[21:22], v[21:22], v[33:34]
	v_cndmask_b32_e64 v0, v23, v13, s[4:5]
	v_cndmask_b32_e64 v23, v24, v14, s[4:5]
	;; [unrolled: 1-line block ×8, first 2 shown]
	v_cmp_neq_f64_e64 s[4:5], v[23:24], v[21:22]
	v_cmp_class_f64_e64 s[18:19], v[23:24], s26
	v_mov_b32_e32 v16, v14
	v_mov_b32_e32 v15, v13
	s_or_b64 s[4:5], s[4:5], s[18:19]
	s_and_saveexec_b64 s[20:21], s[4:5]
	s_cbranch_execz .LBB22_84
; %bb.83:
	v_add_f64 v[15:16], v[23:24], -v[21:22]
	s_mov_b32 s4, 0x652b82fe
	s_mov_b32 s5, 0x3ff71547
	;; [unrolled: 1-line block ×6, first 2 shown]
	v_mov_b32_e32 v27, 0xfca7ab0c
	v_mul_f64 v[23:24], v[15:16], s[4:5]
	s_mov_b32 s4, 0x6a5dcb37
	v_mov_b32_e32 v28, 0x3e928af3
	s_mov_b32 s5, 0x3e5ade15
	s_mov_b32 s18, 0
	;; [unrolled: 1-line block ×3, first 2 shown]
	v_cmp_ngt_f64_e64 s[18:19], s[18:19], v[15:16]
	v_rndne_f64_e32 v[23:24], v[23:24]
	v_fma_f64 v[25:26], v[23:24], s[22:23], v[15:16]
	v_cvt_i32_f64_e32 v0, v[23:24]
	s_mov_b32 s23, 0x3fe62e42
	v_fma_f64 v[25:26], v[23:24], s[24:25], v[25:26]
	s_mov_b32 s25, 0x3c7abc9e
	v_fma_f64 v[27:28], v[25:26], s[4:5], v[27:28]
	s_mov_b32 s4, 0x623fde64
	s_mov_b32 s5, 0x3ec71dee
	v_fma_f64 v[27:28], v[25:26], v[27:28], s[4:5]
	s_mov_b32 s4, 0x7c89e6b0
	;; [unrolled: 3-line block ×9, first 2 shown]
	s_mov_b32 s5, 0x40900000
	v_cmp_nlt_f64_e64 s[4:5], s[4:5], v[15:16]
	v_fma_f64 v[27:28], v[25:26], v[27:28], 1.0
	v_fma_f64 v[25:26], v[25:26], v[27:28], 1.0
	v_ldexp_f64 v[23:24], v[25:26], v0
	v_mov_b32_e32 v0, 0x7ff00000
	v_cndmask_b32_e64 v24, v0, v24, s[4:5]
	s_and_b64 s[4:5], s[18:19], s[4:5]
	v_cndmask_b32_e64 v16, 0, v24, s[18:19]
	v_cndmask_b32_e64 v15, 0, v23, s[4:5]
	v_add_f64 v[23:24], v[15:16], 1.0
	s_mov_b32 s19, 0x3fe55555
	s_mov_b32 s18, 0x55555555
	v_frexp_mant_f64_e32 v[27:28], v[23:24]
	v_frexp_exp_i32_f64_e32 v31, v[23:24]
	v_add_f64 v[25:26], v[23:24], -1.0
	v_cmp_gt_f64_e64 s[4:5], s[18:19], v[27:28]
	s_mov_b32 s18, 0x55555780
	v_add_f64 v[29:30], v[25:26], -v[23:24]
	v_add_f64 v[25:26], v[15:16], -v[25:26]
	v_subbrev_co_u32_e64 v54, s[4:5], 0, v31, s[4:5]
	v_sub_u32_e32 v31, 0, v54
	v_ldexp_f64 v[23:24], v[23:24], v31
	v_add_f64 v[27:28], v[29:30], 1.0
	s_mov_b32 s4, 0xbf559e2b
	s_mov_b32 s5, 0x3fc3ab76
	v_add_f64 v[29:30], v[23:24], 1.0
	v_add_f64 v[25:26], v[25:26], v[27:28]
	v_add_f64 v[43:44], v[23:24], -1.0
	v_add_f64 v[27:28], v[29:30], -1.0
	v_ldexp_f64 v[25:26], v[25:26], v31
	v_add_f64 v[45:46], v[43:44], 1.0
	v_add_f64 v[27:28], v[23:24], -v[27:28]
	v_add_f64 v[23:24], v[23:24], -v[45:46]
	v_add_f64 v[27:28], v[25:26], v[27:28]
	v_add_f64 v[23:24], v[25:26], v[23:24]
	;; [unrolled: 1-line block ×4, first 2 shown]
	v_rcp_f64_e32 v[33:34], v[31:32]
	v_add_f64 v[29:30], v[31:32], -v[29:30]
	v_add_f64 v[43:44], v[45:46], -v[43:44]
	;; [unrolled: 1-line block ×4, first 2 shown]
	v_fma_f64 v[47:48], -v[31:32], v[33:34], 1.0
	v_fma_f64 v[33:34], v[47:48], v[33:34], v[33:34]
	v_fma_f64 v[25:26], -v[31:32], v[33:34], 1.0
	v_fma_f64 v[25:26], v[25:26], v[33:34], v[33:34]
	v_mul_f64 v[33:34], v[45:46], v[25:26]
	v_mul_f64 v[47:48], v[31:32], v[33:34]
	v_fma_f64 v[29:30], v[33:34], v[31:32], -v[47:48]
	v_fma_f64 v[29:30], v[33:34], v[27:28], v[29:30]
	v_add_f64 v[50:51], v[47:48], v[29:30]
	v_add_f64 v[52:53], v[45:46], -v[50:51]
	v_add_f64 v[43:44], v[50:51], -v[47:48]
	v_add_f64 v[45:46], v[45:46], -v[52:53]
	v_add_f64 v[29:30], v[43:44], -v[29:30]
	v_add_f64 v[45:46], v[45:46], -v[50:51]
	v_add_f64 v[23:24], v[23:24], v[45:46]
	v_add_f64 v[23:24], v[29:30], v[23:24]
	v_add_f64 v[29:30], v[52:53], v[23:24]
	v_mul_f64 v[43:44], v[25:26], v[29:30]
	v_add_f64 v[50:51], v[52:53], -v[29:30]
	v_mul_f64 v[45:46], v[31:32], v[43:44]
	v_add_f64 v[23:24], v[23:24], v[50:51]
	v_fma_f64 v[31:32], v[43:44], v[31:32], -v[45:46]
	v_fma_f64 v[27:28], v[43:44], v[27:28], v[31:32]
	v_add_f64 v[31:32], v[45:46], v[27:28]
	v_add_f64 v[47:48], v[29:30], -v[31:32]
	v_add_f64 v[45:46], v[31:32], -v[45:46]
	v_add_f64 v[29:30], v[29:30], -v[47:48]
	v_add_f64 v[27:28], v[45:46], -v[27:28]
	v_add_f64 v[29:30], v[29:30], -v[31:32]
	v_mov_b32_e32 v31, 0x6b47b09a
	v_mov_b32_e32 v32, 0x3fc38538
	v_add_f64 v[23:24], v[23:24], v[29:30]
	v_add_f64 v[29:30], v[33:34], v[43:44]
	v_add_f64 v[23:24], v[27:28], v[23:24]
	v_add_f64 v[27:28], v[29:30], -v[33:34]
	v_add_f64 v[23:24], v[47:48], v[23:24]
	v_add_f64 v[27:28], v[43:44], -v[27:28]
	v_mul_f64 v[23:24], v[25:26], v[23:24]
	v_add_f64 v[23:24], v[27:28], v[23:24]
	v_add_f64 v[25:26], v[29:30], v[23:24]
	v_mul_f64 v[27:28], v[25:26], v[25:26]
	v_fma_f64 v[31:32], v[27:28], s[4:5], v[31:32]
	s_mov_b32 s4, 0xd7f4df2e
	s_mov_b32 s5, 0x3fc7474d
	v_mul_f64 v[33:34], v[25:26], v[27:28]
	v_fma_f64 v[31:32], v[27:28], v[31:32], s[4:5]
	s_mov_b32 s4, 0x16291751
	s_mov_b32 s5, 0x3fcc71c0
	v_fma_f64 v[31:32], v[27:28], v[31:32], s[4:5]
	s_mov_b32 s4, 0x9b27acf1
	s_mov_b32 s5, 0x3fd24924
	;; [unrolled: 3-line block ×3, first 2 shown]
	v_fma_f64 v[31:32], v[27:28], v[31:32], s[4:5]
	v_cmp_nge_f64_e64 s[4:5], -1.0, v[15:16]
	v_fma_f64 v[27:28], v[27:28], v[31:32], s[18:19]
	v_ldexp_f64 v[31:32], v[25:26], 1
	v_add_f64 v[25:26], v[25:26], -v[29:30]
	s_mov_b32 s18, 0
	s_mov_b32 s19, 0x7ff00000
	v_cmp_neq_f64_e64 s[18:19], s[18:19], v[15:16]
	v_mul_f64 v[27:28], v[33:34], v[27:28]
	v_cvt_f64_i32_e32 v[33:34], v54
	v_add_f64 v[23:24], v[23:24], -v[25:26]
	v_mul_f64 v[43:44], v[33:34], s[22:23]
	s_and_b64 s[4:5], s[4:5], s[18:19]
	v_add_f64 v[29:30], v[31:32], v[27:28]
	v_ldexp_f64 v[23:24], v[23:24], 1
	v_add_f64 v[25:26], v[29:30], -v[31:32]
	v_fma_f64 v[31:32], v[33:34], s[22:23], -v[43:44]
	v_add_f64 v[25:26], v[27:28], -v[25:26]
	v_fma_f64 v[27:28], v[33:34], s[24:25], v[31:32]
	v_add_f64 v[23:24], v[23:24], v[25:26]
	v_add_f64 v[25:26], v[43:44], v[27:28]
	;; [unrolled: 1-line block ×3, first 2 shown]
	v_add_f64 v[43:44], v[25:26], -v[43:44]
	v_add_f64 v[33:34], v[25:26], v[31:32]
	v_add_f64 v[29:30], v[31:32], -v[29:30]
	v_add_f64 v[27:28], v[27:28], -v[43:44]
	v_add_f64 v[45:46], v[33:34], -v[25:26]
	v_add_f64 v[23:24], v[23:24], -v[29:30]
	v_add_f64 v[47:48], v[33:34], -v[45:46]
	v_add_f64 v[29:30], v[31:32], -v[45:46]
	v_add_f64 v[31:32], v[27:28], v[23:24]
	v_add_f64 v[25:26], v[25:26], -v[47:48]
	v_add_f64 v[25:26], v[29:30], v[25:26]
	v_add_f64 v[29:30], v[31:32], -v[27:28]
	;; [unrolled: 2-line block ×3, first 2 shown]
	v_add_f64 v[23:24], v[23:24], -v[29:30]
	v_add_f64 v[43:44], v[33:34], v[25:26]
	v_add_f64 v[27:28], v[27:28], -v[31:32]
	v_add_f64 v[29:30], v[43:44], -v[33:34]
	v_add_f64 v[23:24], v[23:24], v[27:28]
	v_add_f64 v[25:26], v[25:26], -v[29:30]
	v_add_f64 v[23:24], v[23:24], v[25:26]
	v_mov_b32_e32 v25, 0x7ff80000
	v_mov_b32_e32 v26, 0xfff00000
	v_add_f64 v[23:24], v[43:44], v[23:24]
	v_cndmask_b32_e64 v23, 0, v23, s[4:5]
	v_cmp_ngt_f64_e64 s[4:5], -1.0, v[15:16]
	v_cndmask_b32_e64 v0, v0, v24, s[18:19]
	v_cndmask_b32_e64 v0, v25, v0, s[4:5]
	v_cmp_neq_f64_e64 s[4:5], -1.0, v[15:16]
	v_cndmask_b32_e64 v24, v26, v0, s[4:5]
	v_add_f64 v[15:16], v[21:22], v[23:24]
.LBB22_84:
	s_or_b64 exec, exec, s[20:21]
	v_max_f64 v[21:22], v[15:16], v[15:16]
	v_cmp_u_f64_e64 s[4:5], v[15:16], v[15:16]
	v_min_f64 v[23:24], v[21:22], v[35:36]
	v_max_f64 v[21:22], v[21:22], v[35:36]
	v_cndmask_b32_e64 v0, v23, v15, s[4:5]
	v_cndmask_b32_e64 v23, v24, v16, s[4:5]
	;; [unrolled: 1-line block ×8, first 2 shown]
	v_cmp_neq_f64_e64 s[4:5], v[23:24], v[21:22]
	v_cmp_class_f64_e64 s[18:19], v[23:24], s26
	v_mov_b32_e32 v9, v15
	v_mov_b32_e32 v10, v16
	s_or_b64 s[4:5], s[4:5], s[18:19]
	s_and_saveexec_b64 s[20:21], s[4:5]
	s_cbranch_execz .LBB22_86
; %bb.85:
	v_add_f64 v[9:10], v[23:24], -v[21:22]
	s_mov_b32 s4, 0x652b82fe
	s_mov_b32 s5, 0x3ff71547
	;; [unrolled: 1-line block ×6, first 2 shown]
	v_mov_b32_e32 v27, 0xfca7ab0c
	v_mul_f64 v[23:24], v[9:10], s[4:5]
	s_mov_b32 s4, 0x6a5dcb37
	v_mov_b32_e32 v28, 0x3e928af3
	s_mov_b32 s5, 0x3e5ade15
	s_mov_b32 s18, 0
	;; [unrolled: 1-line block ×3, first 2 shown]
	v_cmp_ngt_f64_e64 s[18:19], s[18:19], v[9:10]
	v_rndne_f64_e32 v[23:24], v[23:24]
	v_fma_f64 v[25:26], v[23:24], s[22:23], v[9:10]
	v_cvt_i32_f64_e32 v0, v[23:24]
	s_mov_b32 s23, 0x3fe62e42
	v_fma_f64 v[25:26], v[23:24], s[24:25], v[25:26]
	s_mov_b32 s25, 0x3c7abc9e
	v_fma_f64 v[27:28], v[25:26], s[4:5], v[27:28]
	s_mov_b32 s4, 0x623fde64
	s_mov_b32 s5, 0x3ec71dee
	v_fma_f64 v[27:28], v[25:26], v[27:28], s[4:5]
	s_mov_b32 s4, 0x7c89e6b0
	;; [unrolled: 3-line block ×9, first 2 shown]
	s_mov_b32 s5, 0x40900000
	v_cmp_nlt_f64_e64 s[4:5], s[4:5], v[9:10]
	v_fma_f64 v[27:28], v[25:26], v[27:28], 1.0
	v_fma_f64 v[25:26], v[25:26], v[27:28], 1.0
	v_ldexp_f64 v[23:24], v[25:26], v0
	v_mov_b32_e32 v0, 0x7ff00000
	v_cndmask_b32_e64 v24, v0, v24, s[4:5]
	s_and_b64 s[4:5], s[18:19], s[4:5]
	v_cndmask_b32_e64 v10, 0, v24, s[18:19]
	v_cndmask_b32_e64 v9, 0, v23, s[4:5]
	v_add_f64 v[23:24], v[9:10], 1.0
	s_mov_b32 s19, 0x3fe55555
	s_mov_b32 s18, 0x55555555
	v_frexp_mant_f64_e32 v[27:28], v[23:24]
	v_frexp_exp_i32_f64_e32 v31, v[23:24]
	v_add_f64 v[25:26], v[23:24], -1.0
	v_cmp_gt_f64_e64 s[4:5], s[18:19], v[27:28]
	s_mov_b32 s18, 0x55555780
	v_add_f64 v[29:30], v[25:26], -v[23:24]
	v_add_f64 v[25:26], v[9:10], -v[25:26]
	v_subbrev_co_u32_e64 v52, s[4:5], 0, v31, s[4:5]
	v_sub_u32_e32 v31, 0, v52
	v_ldexp_f64 v[23:24], v[23:24], v31
	v_add_f64 v[27:28], v[29:30], 1.0
	s_mov_b32 s4, 0xbf559e2b
	s_mov_b32 s5, 0x3fc3ab76
	v_add_f64 v[29:30], v[23:24], 1.0
	v_add_f64 v[25:26], v[25:26], v[27:28]
	v_add_f64 v[35:36], v[23:24], -1.0
	v_add_f64 v[27:28], v[29:30], -1.0
	v_ldexp_f64 v[25:26], v[25:26], v31
	v_add_f64 v[43:44], v[35:36], 1.0
	v_add_f64 v[27:28], v[23:24], -v[27:28]
	v_add_f64 v[23:24], v[23:24], -v[43:44]
	v_add_f64 v[27:28], v[25:26], v[27:28]
	v_add_f64 v[23:24], v[25:26], v[23:24]
	;; [unrolled: 1-line block ×4, first 2 shown]
	v_rcp_f64_e32 v[33:34], v[31:32]
	v_add_f64 v[29:30], v[31:32], -v[29:30]
	v_add_f64 v[35:36], v[43:44], -v[35:36]
	;; [unrolled: 1-line block ×4, first 2 shown]
	v_fma_f64 v[45:46], -v[31:32], v[33:34], 1.0
	v_fma_f64 v[33:34], v[45:46], v[33:34], v[33:34]
	v_fma_f64 v[25:26], -v[31:32], v[33:34], 1.0
	v_fma_f64 v[25:26], v[25:26], v[33:34], v[33:34]
	v_mul_f64 v[33:34], v[43:44], v[25:26]
	v_mul_f64 v[45:46], v[31:32], v[33:34]
	v_fma_f64 v[29:30], v[33:34], v[31:32], -v[45:46]
	v_fma_f64 v[29:30], v[33:34], v[27:28], v[29:30]
	v_add_f64 v[47:48], v[45:46], v[29:30]
	v_add_f64 v[50:51], v[43:44], -v[47:48]
	v_add_f64 v[35:36], v[47:48], -v[45:46]
	;; [unrolled: 1-line block ×5, first 2 shown]
	v_add_f64 v[23:24], v[23:24], v[43:44]
	v_add_f64 v[23:24], v[29:30], v[23:24]
	;; [unrolled: 1-line block ×3, first 2 shown]
	v_mul_f64 v[35:36], v[25:26], v[29:30]
	v_add_f64 v[47:48], v[50:51], -v[29:30]
	v_mul_f64 v[43:44], v[31:32], v[35:36]
	v_add_f64 v[23:24], v[23:24], v[47:48]
	v_fma_f64 v[31:32], v[35:36], v[31:32], -v[43:44]
	v_fma_f64 v[27:28], v[35:36], v[27:28], v[31:32]
	v_add_f64 v[31:32], v[43:44], v[27:28]
	v_add_f64 v[45:46], v[29:30], -v[31:32]
	v_add_f64 v[43:44], v[31:32], -v[43:44]
	;; [unrolled: 1-line block ×5, first 2 shown]
	v_mov_b32_e32 v31, 0x6b47b09a
	v_mov_b32_e32 v32, 0x3fc38538
	v_add_f64 v[23:24], v[23:24], v[29:30]
	v_add_f64 v[29:30], v[33:34], v[35:36]
	;; [unrolled: 1-line block ×3, first 2 shown]
	v_add_f64 v[27:28], v[29:30], -v[33:34]
	v_add_f64 v[23:24], v[45:46], v[23:24]
	v_add_f64 v[27:28], v[35:36], -v[27:28]
	v_mul_f64 v[23:24], v[25:26], v[23:24]
	v_add_f64 v[23:24], v[27:28], v[23:24]
	v_add_f64 v[25:26], v[29:30], v[23:24]
	v_mul_f64 v[27:28], v[25:26], v[25:26]
	v_fma_f64 v[31:32], v[27:28], s[4:5], v[31:32]
	s_mov_b32 s4, 0xd7f4df2e
	s_mov_b32 s5, 0x3fc7474d
	v_mul_f64 v[33:34], v[25:26], v[27:28]
	v_fma_f64 v[31:32], v[27:28], v[31:32], s[4:5]
	s_mov_b32 s4, 0x16291751
	s_mov_b32 s5, 0x3fcc71c0
	v_fma_f64 v[31:32], v[27:28], v[31:32], s[4:5]
	s_mov_b32 s4, 0x9b27acf1
	s_mov_b32 s5, 0x3fd24924
	;; [unrolled: 3-line block ×3, first 2 shown]
	v_fma_f64 v[31:32], v[27:28], v[31:32], s[4:5]
	v_cmp_nge_f64_e64 s[4:5], -1.0, v[9:10]
	v_fma_f64 v[27:28], v[27:28], v[31:32], s[18:19]
	v_ldexp_f64 v[31:32], v[25:26], 1
	v_add_f64 v[25:26], v[25:26], -v[29:30]
	s_mov_b32 s18, 0
	s_mov_b32 s19, 0x7ff00000
	v_cmp_neq_f64_e64 s[18:19], s[18:19], v[9:10]
	v_mul_f64 v[27:28], v[33:34], v[27:28]
	v_cvt_f64_i32_e32 v[33:34], v52
	v_add_f64 v[23:24], v[23:24], -v[25:26]
	v_mul_f64 v[35:36], v[33:34], s[22:23]
	s_and_b64 s[4:5], s[4:5], s[18:19]
	v_add_f64 v[29:30], v[31:32], v[27:28]
	v_ldexp_f64 v[23:24], v[23:24], 1
	v_add_f64 v[25:26], v[29:30], -v[31:32]
	v_fma_f64 v[31:32], v[33:34], s[22:23], -v[35:36]
	v_add_f64 v[25:26], v[27:28], -v[25:26]
	v_fma_f64 v[27:28], v[33:34], s[24:25], v[31:32]
	v_add_f64 v[23:24], v[23:24], v[25:26]
	v_add_f64 v[25:26], v[35:36], v[27:28]
	;; [unrolled: 1-line block ×3, first 2 shown]
	v_add_f64 v[35:36], v[25:26], -v[35:36]
	v_add_f64 v[33:34], v[25:26], v[31:32]
	v_add_f64 v[29:30], v[31:32], -v[29:30]
	v_add_f64 v[27:28], v[27:28], -v[35:36]
	;; [unrolled: 1-line block ×6, first 2 shown]
	v_add_f64 v[31:32], v[27:28], v[23:24]
	v_add_f64 v[25:26], v[25:26], -v[45:46]
	v_add_f64 v[25:26], v[29:30], v[25:26]
	v_add_f64 v[29:30], v[31:32], -v[27:28]
	;; [unrolled: 2-line block ×3, first 2 shown]
	v_add_f64 v[23:24], v[23:24], -v[29:30]
	v_add_f64 v[35:36], v[33:34], v[25:26]
	v_add_f64 v[27:28], v[27:28], -v[31:32]
	v_add_f64 v[29:30], v[35:36], -v[33:34]
	v_add_f64 v[23:24], v[23:24], v[27:28]
	v_add_f64 v[25:26], v[25:26], -v[29:30]
	v_add_f64 v[23:24], v[23:24], v[25:26]
	v_mov_b32_e32 v25, 0x7ff80000
	v_mov_b32_e32 v26, 0xfff00000
	v_add_f64 v[23:24], v[35:36], v[23:24]
	v_cndmask_b32_e64 v23, 0, v23, s[4:5]
	v_cmp_ngt_f64_e64 s[4:5], -1.0, v[9:10]
	v_cndmask_b32_e64 v0, v0, v24, s[18:19]
	v_cndmask_b32_e64 v0, v25, v0, s[4:5]
	v_cmp_neq_f64_e64 s[4:5], -1.0, v[9:10]
	v_cndmask_b32_e64 v24, v26, v0, s[4:5]
	v_add_f64 v[9:10], v[21:22], v[23:24]
.LBB22_86:
	s_or_b64 exec, exec, s[20:21]
	v_max_f64 v[21:22], v[9:10], v[9:10]
	v_cmp_u_f64_e64 s[4:5], v[9:10], v[9:10]
	v_min_f64 v[23:24], v[21:22], v[37:38]
	v_max_f64 v[21:22], v[21:22], v[37:38]
	v_cndmask_b32_e64 v0, v23, v9, s[4:5]
	v_cndmask_b32_e64 v23, v24, v10, s[4:5]
	;; [unrolled: 1-line block ×8, first 2 shown]
	v_cmp_neq_f64_e64 s[4:5], v[23:24], v[21:22]
	v_cmp_class_f64_e64 s[18:19], v[23:24], s26
	v_mov_b32_e32 v12, v10
	v_mov_b32_e32 v11, v9
	s_or_b64 s[4:5], s[4:5], s[18:19]
	s_and_saveexec_b64 s[20:21], s[4:5]
	s_cbranch_execz .LBB22_88
; %bb.87:
	v_add_f64 v[11:12], v[23:24], -v[21:22]
	s_mov_b32 s4, 0x652b82fe
	s_mov_b32 s5, 0x3ff71547
	;; [unrolled: 1-line block ×6, first 2 shown]
	v_mov_b32_e32 v27, 0xfca7ab0c
	v_mul_f64 v[23:24], v[11:12], s[4:5]
	s_mov_b32 s4, 0x6a5dcb37
	v_mov_b32_e32 v28, 0x3e928af3
	s_mov_b32 s5, 0x3e5ade15
	s_mov_b32 s18, 0
	;; [unrolled: 1-line block ×3, first 2 shown]
	v_cmp_ngt_f64_e64 s[18:19], s[18:19], v[11:12]
	v_rndne_f64_e32 v[23:24], v[23:24]
	v_fma_f64 v[25:26], v[23:24], s[22:23], v[11:12]
	v_cvt_i32_f64_e32 v0, v[23:24]
	s_mov_b32 s23, 0x3fe62e42
	v_fma_f64 v[25:26], v[23:24], s[24:25], v[25:26]
	s_mov_b32 s25, 0x3c7abc9e
	v_fma_f64 v[27:28], v[25:26], s[4:5], v[27:28]
	s_mov_b32 s4, 0x623fde64
	s_mov_b32 s5, 0x3ec71dee
	v_fma_f64 v[27:28], v[25:26], v[27:28], s[4:5]
	s_mov_b32 s4, 0x7c89e6b0
	;; [unrolled: 3-line block ×9, first 2 shown]
	s_mov_b32 s5, 0x40900000
	v_cmp_nlt_f64_e64 s[4:5], s[4:5], v[11:12]
	v_fma_f64 v[27:28], v[25:26], v[27:28], 1.0
	v_fma_f64 v[25:26], v[25:26], v[27:28], 1.0
	v_ldexp_f64 v[23:24], v[25:26], v0
	v_mov_b32_e32 v0, 0x7ff00000
	v_cndmask_b32_e64 v24, v0, v24, s[4:5]
	s_and_b64 s[4:5], s[18:19], s[4:5]
	v_cndmask_b32_e64 v12, 0, v24, s[18:19]
	v_cndmask_b32_e64 v11, 0, v23, s[4:5]
	v_add_f64 v[23:24], v[11:12], 1.0
	s_mov_b32 s19, 0x3fe55555
	s_mov_b32 s18, 0x55555555
	v_frexp_mant_f64_e32 v[27:28], v[23:24]
	v_frexp_exp_i32_f64_e32 v31, v[23:24]
	v_add_f64 v[25:26], v[23:24], -1.0
	v_cmp_gt_f64_e64 s[4:5], s[18:19], v[27:28]
	s_mov_b32 s18, 0x55555780
	v_add_f64 v[29:30], v[25:26], -v[23:24]
	v_add_f64 v[25:26], v[11:12], -v[25:26]
	v_subbrev_co_u32_e64 v50, s[4:5], 0, v31, s[4:5]
	v_sub_u32_e32 v31, 0, v50
	v_ldexp_f64 v[23:24], v[23:24], v31
	v_add_f64 v[27:28], v[29:30], 1.0
	s_mov_b32 s4, 0xbf559e2b
	s_mov_b32 s5, 0x3fc3ab76
	v_add_f64 v[29:30], v[23:24], 1.0
	v_add_f64 v[25:26], v[25:26], v[27:28]
	v_add_f64 v[35:36], v[23:24], -1.0
	v_add_f64 v[27:28], v[29:30], -1.0
	v_ldexp_f64 v[25:26], v[25:26], v31
	v_add_f64 v[37:38], v[35:36], 1.0
	v_add_f64 v[27:28], v[23:24], -v[27:28]
	v_add_f64 v[23:24], v[23:24], -v[37:38]
	v_add_f64 v[27:28], v[25:26], v[27:28]
	v_add_f64 v[23:24], v[25:26], v[23:24]
	v_add_f64 v[31:32], v[29:30], v[27:28]
	v_add_f64 v[37:38], v[35:36], v[23:24]
	v_rcp_f64_e32 v[33:34], v[31:32]
	v_add_f64 v[29:30], v[31:32], -v[29:30]
	v_add_f64 v[35:36], v[37:38], -v[35:36]
	;; [unrolled: 1-line block ×4, first 2 shown]
	v_fma_f64 v[43:44], -v[31:32], v[33:34], 1.0
	v_fma_f64 v[33:34], v[43:44], v[33:34], v[33:34]
	v_fma_f64 v[25:26], -v[31:32], v[33:34], 1.0
	v_fma_f64 v[25:26], v[25:26], v[33:34], v[33:34]
	v_mul_f64 v[33:34], v[37:38], v[25:26]
	v_mul_f64 v[43:44], v[31:32], v[33:34]
	v_fma_f64 v[29:30], v[33:34], v[31:32], -v[43:44]
	v_fma_f64 v[29:30], v[33:34], v[27:28], v[29:30]
	v_add_f64 v[45:46], v[43:44], v[29:30]
	v_add_f64 v[47:48], v[37:38], -v[45:46]
	v_add_f64 v[35:36], v[45:46], -v[43:44]
	;; [unrolled: 1-line block ×5, first 2 shown]
	v_add_f64 v[23:24], v[23:24], v[37:38]
	v_add_f64 v[23:24], v[29:30], v[23:24]
	v_add_f64 v[29:30], v[47:48], v[23:24]
	v_mul_f64 v[35:36], v[25:26], v[29:30]
	v_add_f64 v[45:46], v[47:48], -v[29:30]
	v_mul_f64 v[37:38], v[31:32], v[35:36]
	v_add_f64 v[23:24], v[23:24], v[45:46]
	v_fma_f64 v[31:32], v[35:36], v[31:32], -v[37:38]
	v_fma_f64 v[27:28], v[35:36], v[27:28], v[31:32]
	v_add_f64 v[31:32], v[37:38], v[27:28]
	v_add_f64 v[43:44], v[29:30], -v[31:32]
	v_add_f64 v[37:38], v[31:32], -v[37:38]
	;; [unrolled: 1-line block ×5, first 2 shown]
	v_mov_b32_e32 v31, 0x6b47b09a
	v_mov_b32_e32 v32, 0x3fc38538
	v_add_f64 v[23:24], v[23:24], v[29:30]
	v_add_f64 v[29:30], v[33:34], v[35:36]
	;; [unrolled: 1-line block ×3, first 2 shown]
	v_add_f64 v[27:28], v[29:30], -v[33:34]
	v_add_f64 v[23:24], v[43:44], v[23:24]
	v_add_f64 v[27:28], v[35:36], -v[27:28]
	v_mul_f64 v[23:24], v[25:26], v[23:24]
	v_add_f64 v[23:24], v[27:28], v[23:24]
	v_add_f64 v[25:26], v[29:30], v[23:24]
	v_mul_f64 v[27:28], v[25:26], v[25:26]
	v_fma_f64 v[31:32], v[27:28], s[4:5], v[31:32]
	s_mov_b32 s4, 0xd7f4df2e
	s_mov_b32 s5, 0x3fc7474d
	v_mul_f64 v[33:34], v[25:26], v[27:28]
	v_fma_f64 v[31:32], v[27:28], v[31:32], s[4:5]
	s_mov_b32 s4, 0x16291751
	s_mov_b32 s5, 0x3fcc71c0
	v_fma_f64 v[31:32], v[27:28], v[31:32], s[4:5]
	s_mov_b32 s4, 0x9b27acf1
	s_mov_b32 s5, 0x3fd24924
	;; [unrolled: 3-line block ×3, first 2 shown]
	v_fma_f64 v[31:32], v[27:28], v[31:32], s[4:5]
	v_cmp_nge_f64_e64 s[4:5], -1.0, v[11:12]
	v_fma_f64 v[27:28], v[27:28], v[31:32], s[18:19]
	v_ldexp_f64 v[31:32], v[25:26], 1
	v_add_f64 v[25:26], v[25:26], -v[29:30]
	s_mov_b32 s18, 0
	s_mov_b32 s19, 0x7ff00000
	v_cmp_neq_f64_e64 s[18:19], s[18:19], v[11:12]
	v_mul_f64 v[27:28], v[33:34], v[27:28]
	v_cvt_f64_i32_e32 v[33:34], v50
	v_add_f64 v[23:24], v[23:24], -v[25:26]
	v_mul_f64 v[35:36], v[33:34], s[22:23]
	s_and_b64 s[4:5], s[4:5], s[18:19]
	v_add_f64 v[29:30], v[31:32], v[27:28]
	v_ldexp_f64 v[23:24], v[23:24], 1
	v_add_f64 v[25:26], v[29:30], -v[31:32]
	v_fma_f64 v[31:32], v[33:34], s[22:23], -v[35:36]
	v_add_f64 v[25:26], v[27:28], -v[25:26]
	v_fma_f64 v[27:28], v[33:34], s[24:25], v[31:32]
	v_add_f64 v[23:24], v[23:24], v[25:26]
	v_add_f64 v[25:26], v[35:36], v[27:28]
	;; [unrolled: 1-line block ×3, first 2 shown]
	v_add_f64 v[35:36], v[25:26], -v[35:36]
	v_add_f64 v[33:34], v[25:26], v[31:32]
	v_add_f64 v[29:30], v[31:32], -v[29:30]
	v_add_f64 v[27:28], v[27:28], -v[35:36]
	;; [unrolled: 1-line block ×6, first 2 shown]
	v_add_f64 v[31:32], v[27:28], v[23:24]
	v_add_f64 v[25:26], v[25:26], -v[43:44]
	v_add_f64 v[25:26], v[29:30], v[25:26]
	v_add_f64 v[29:30], v[31:32], -v[27:28]
	;; [unrolled: 2-line block ×3, first 2 shown]
	v_add_f64 v[23:24], v[23:24], -v[29:30]
	v_add_f64 v[35:36], v[33:34], v[25:26]
	v_add_f64 v[27:28], v[27:28], -v[31:32]
	v_add_f64 v[29:30], v[35:36], -v[33:34]
	v_add_f64 v[23:24], v[23:24], v[27:28]
	v_add_f64 v[25:26], v[25:26], -v[29:30]
	v_add_f64 v[23:24], v[23:24], v[25:26]
	v_mov_b32_e32 v25, 0x7ff80000
	v_mov_b32_e32 v26, 0xfff00000
	v_add_f64 v[23:24], v[35:36], v[23:24]
	v_cndmask_b32_e64 v23, 0, v23, s[4:5]
	v_cmp_ngt_f64_e64 s[4:5], -1.0, v[11:12]
	v_cndmask_b32_e64 v0, v0, v24, s[18:19]
	v_cndmask_b32_e64 v0, v25, v0, s[4:5]
	v_cmp_neq_f64_e64 s[4:5], -1.0, v[11:12]
	v_cndmask_b32_e64 v24, v26, v0, s[4:5]
	v_add_f64 v[11:12], v[21:22], v[23:24]
.LBB22_88:
	s_or_b64 exec, exec, s[20:21]
	v_max_f64 v[21:22], v[11:12], v[11:12]
	v_cmp_u_f64_e64 s[4:5], v[11:12], v[11:12]
	v_min_f64 v[23:24], v[21:22], v[39:40]
	v_max_f64 v[21:22], v[21:22], v[39:40]
	v_cndmask_b32_e64 v0, v23, v11, s[4:5]
	v_cndmask_b32_e64 v23, v24, v12, s[4:5]
	;; [unrolled: 1-line block ×8, first 2 shown]
	v_cmp_neq_f64_e64 s[4:5], v[23:24], v[21:22]
	v_cmp_class_f64_e64 s[18:19], v[23:24], s26
	v_mov_b32_e32 v5, v11
	v_mov_b32_e32 v6, v12
	s_or_b64 s[4:5], s[4:5], s[18:19]
	s_and_saveexec_b64 s[20:21], s[4:5]
	s_cbranch_execz .LBB22_90
; %bb.89:
	v_add_f64 v[5:6], v[23:24], -v[21:22]
	s_mov_b32 s4, 0x652b82fe
	s_mov_b32 s5, 0x3ff71547
	;; [unrolled: 1-line block ×6, first 2 shown]
	v_mov_b32_e32 v27, 0xfca7ab0c
	v_mul_f64 v[23:24], v[5:6], s[4:5]
	s_mov_b32 s4, 0x6a5dcb37
	v_mov_b32_e32 v28, 0x3e928af3
	s_mov_b32 s5, 0x3e5ade15
	s_mov_b32 s18, 0
	;; [unrolled: 1-line block ×3, first 2 shown]
	v_cmp_ngt_f64_e64 s[18:19], s[18:19], v[5:6]
	v_rndne_f64_e32 v[23:24], v[23:24]
	v_fma_f64 v[25:26], v[23:24], s[22:23], v[5:6]
	v_cvt_i32_f64_e32 v0, v[23:24]
	s_mov_b32 s23, 0x3fe62e42
	v_fma_f64 v[25:26], v[23:24], s[24:25], v[25:26]
	s_mov_b32 s25, 0x3c7abc9e
	v_fma_f64 v[27:28], v[25:26], s[4:5], v[27:28]
	s_mov_b32 s4, 0x623fde64
	s_mov_b32 s5, 0x3ec71dee
	v_fma_f64 v[27:28], v[25:26], v[27:28], s[4:5]
	s_mov_b32 s4, 0x7c89e6b0
	;; [unrolled: 3-line block ×9, first 2 shown]
	s_mov_b32 s5, 0x40900000
	v_cmp_nlt_f64_e64 s[4:5], s[4:5], v[5:6]
	v_fma_f64 v[27:28], v[25:26], v[27:28], 1.0
	v_fma_f64 v[25:26], v[25:26], v[27:28], 1.0
	v_ldexp_f64 v[23:24], v[25:26], v0
	v_mov_b32_e32 v0, 0x7ff00000
	v_cndmask_b32_e64 v24, v0, v24, s[4:5]
	s_and_b64 s[4:5], s[18:19], s[4:5]
	v_cndmask_b32_e64 v6, 0, v24, s[18:19]
	v_cndmask_b32_e64 v5, 0, v23, s[4:5]
	v_add_f64 v[23:24], v[5:6], 1.0
	s_mov_b32 s19, 0x3fe55555
	s_mov_b32 s18, 0x55555555
	v_frexp_mant_f64_e32 v[27:28], v[23:24]
	v_frexp_exp_i32_f64_e32 v31, v[23:24]
	v_add_f64 v[25:26], v[23:24], -1.0
	v_cmp_gt_f64_e64 s[4:5], s[18:19], v[27:28]
	s_mov_b32 s18, 0x55555780
	v_add_f64 v[29:30], v[25:26], -v[23:24]
	v_add_f64 v[25:26], v[5:6], -v[25:26]
	v_subbrev_co_u32_e64 v47, s[4:5], 0, v31, s[4:5]
	v_sub_u32_e32 v31, 0, v47
	v_ldexp_f64 v[23:24], v[23:24], v31
	v_add_f64 v[27:28], v[29:30], 1.0
	s_mov_b32 s4, 0xbf559e2b
	s_mov_b32 s5, 0x3fc3ab76
	v_add_f64 v[29:30], v[23:24], 1.0
	v_add_f64 v[25:26], v[25:26], v[27:28]
	v_add_f64 v[35:36], v[23:24], -1.0
	v_add_f64 v[27:28], v[29:30], -1.0
	v_ldexp_f64 v[25:26], v[25:26], v31
	v_add_f64 v[37:38], v[35:36], 1.0
	v_add_f64 v[27:28], v[23:24], -v[27:28]
	v_add_f64 v[23:24], v[23:24], -v[37:38]
	v_add_f64 v[27:28], v[25:26], v[27:28]
	v_add_f64 v[23:24], v[25:26], v[23:24]
	;; [unrolled: 1-line block ×4, first 2 shown]
	v_rcp_f64_e32 v[33:34], v[31:32]
	v_add_f64 v[29:30], v[31:32], -v[29:30]
	v_add_f64 v[35:36], v[37:38], -v[35:36]
	;; [unrolled: 1-line block ×4, first 2 shown]
	v_fma_f64 v[39:40], -v[31:32], v[33:34], 1.0
	v_fma_f64 v[33:34], v[39:40], v[33:34], v[33:34]
	v_fma_f64 v[25:26], -v[31:32], v[33:34], 1.0
	v_fma_f64 v[25:26], v[25:26], v[33:34], v[33:34]
	v_mul_f64 v[33:34], v[37:38], v[25:26]
	v_mul_f64 v[39:40], v[31:32], v[33:34]
	v_fma_f64 v[29:30], v[33:34], v[31:32], -v[39:40]
	v_fma_f64 v[29:30], v[33:34], v[27:28], v[29:30]
	v_add_f64 v[43:44], v[39:40], v[29:30]
	v_add_f64 v[45:46], v[37:38], -v[43:44]
	v_add_f64 v[35:36], v[43:44], -v[39:40]
	;; [unrolled: 1-line block ×5, first 2 shown]
	v_add_f64 v[23:24], v[23:24], v[37:38]
	v_add_f64 v[23:24], v[29:30], v[23:24]
	;; [unrolled: 1-line block ×3, first 2 shown]
	v_mul_f64 v[35:36], v[25:26], v[29:30]
	v_add_f64 v[43:44], v[45:46], -v[29:30]
	v_mul_f64 v[37:38], v[31:32], v[35:36]
	v_add_f64 v[23:24], v[23:24], v[43:44]
	v_fma_f64 v[31:32], v[35:36], v[31:32], -v[37:38]
	v_fma_f64 v[27:28], v[35:36], v[27:28], v[31:32]
	v_add_f64 v[31:32], v[37:38], v[27:28]
	v_add_f64 v[39:40], v[29:30], -v[31:32]
	v_add_f64 v[37:38], v[31:32], -v[37:38]
	;; [unrolled: 1-line block ×5, first 2 shown]
	v_mov_b32_e32 v31, 0x6b47b09a
	v_mov_b32_e32 v32, 0x3fc38538
	v_add_f64 v[23:24], v[23:24], v[29:30]
	v_add_f64 v[29:30], v[33:34], v[35:36]
	;; [unrolled: 1-line block ×3, first 2 shown]
	v_add_f64 v[27:28], v[29:30], -v[33:34]
	v_add_f64 v[23:24], v[39:40], v[23:24]
	v_add_f64 v[27:28], v[35:36], -v[27:28]
	v_mul_f64 v[23:24], v[25:26], v[23:24]
	v_add_f64 v[23:24], v[27:28], v[23:24]
	v_add_f64 v[25:26], v[29:30], v[23:24]
	v_mul_f64 v[27:28], v[25:26], v[25:26]
	v_fma_f64 v[31:32], v[27:28], s[4:5], v[31:32]
	s_mov_b32 s4, 0xd7f4df2e
	s_mov_b32 s5, 0x3fc7474d
	v_mul_f64 v[33:34], v[25:26], v[27:28]
	v_fma_f64 v[31:32], v[27:28], v[31:32], s[4:5]
	s_mov_b32 s4, 0x16291751
	s_mov_b32 s5, 0x3fcc71c0
	v_fma_f64 v[31:32], v[27:28], v[31:32], s[4:5]
	s_mov_b32 s4, 0x9b27acf1
	s_mov_b32 s5, 0x3fd24924
	;; [unrolled: 3-line block ×3, first 2 shown]
	v_fma_f64 v[31:32], v[27:28], v[31:32], s[4:5]
	v_cmp_nge_f64_e64 s[4:5], -1.0, v[5:6]
	v_fma_f64 v[27:28], v[27:28], v[31:32], s[18:19]
	v_ldexp_f64 v[31:32], v[25:26], 1
	v_add_f64 v[25:26], v[25:26], -v[29:30]
	s_mov_b32 s18, 0
	s_mov_b32 s19, 0x7ff00000
	v_cmp_neq_f64_e64 s[18:19], s[18:19], v[5:6]
	v_mul_f64 v[27:28], v[33:34], v[27:28]
	v_cvt_f64_i32_e32 v[33:34], v47
	v_add_f64 v[23:24], v[23:24], -v[25:26]
	v_mul_f64 v[35:36], v[33:34], s[22:23]
	s_and_b64 s[4:5], s[4:5], s[18:19]
	v_add_f64 v[29:30], v[31:32], v[27:28]
	v_ldexp_f64 v[23:24], v[23:24], 1
	v_add_f64 v[25:26], v[29:30], -v[31:32]
	v_fma_f64 v[31:32], v[33:34], s[22:23], -v[35:36]
	v_add_f64 v[25:26], v[27:28], -v[25:26]
	v_fma_f64 v[27:28], v[33:34], s[24:25], v[31:32]
	v_add_f64 v[23:24], v[23:24], v[25:26]
	v_add_f64 v[25:26], v[35:36], v[27:28]
	;; [unrolled: 1-line block ×3, first 2 shown]
	v_add_f64 v[35:36], v[25:26], -v[35:36]
	v_add_f64 v[33:34], v[25:26], v[31:32]
	v_add_f64 v[29:30], v[31:32], -v[29:30]
	v_add_f64 v[27:28], v[27:28], -v[35:36]
	;; [unrolled: 1-line block ×6, first 2 shown]
	v_add_f64 v[31:32], v[27:28], v[23:24]
	v_add_f64 v[25:26], v[25:26], -v[39:40]
	v_add_f64 v[25:26], v[29:30], v[25:26]
	v_add_f64 v[29:30], v[31:32], -v[27:28]
	;; [unrolled: 2-line block ×3, first 2 shown]
	v_add_f64 v[23:24], v[23:24], -v[29:30]
	v_add_f64 v[35:36], v[33:34], v[25:26]
	v_add_f64 v[27:28], v[27:28], -v[31:32]
	v_add_f64 v[29:30], v[35:36], -v[33:34]
	v_add_f64 v[23:24], v[23:24], v[27:28]
	v_add_f64 v[25:26], v[25:26], -v[29:30]
	v_add_f64 v[23:24], v[23:24], v[25:26]
	v_mov_b32_e32 v25, 0x7ff80000
	v_mov_b32_e32 v26, 0xfff00000
	v_add_f64 v[23:24], v[35:36], v[23:24]
	v_cndmask_b32_e64 v23, 0, v23, s[4:5]
	v_cmp_ngt_f64_e64 s[4:5], -1.0, v[5:6]
	v_cndmask_b32_e64 v0, v0, v24, s[18:19]
	v_cndmask_b32_e64 v0, v25, v0, s[4:5]
	v_cmp_neq_f64_e64 s[4:5], -1.0, v[5:6]
	v_cndmask_b32_e64 v24, v26, v0, s[4:5]
	v_add_f64 v[5:6], v[21:22], v[23:24]
.LBB22_90:
	s_or_b64 exec, exec, s[20:21]
	v_max_f64 v[21:22], v[5:6], v[5:6]
	v_cmp_u_f64_e64 s[4:5], v[5:6], v[5:6]
	s_movk_i32 s18, 0x1f8
	v_min_f64 v[23:24], v[21:22], v[41:42]
	v_max_f64 v[21:22], v[21:22], v[41:42]
	v_cndmask_b32_e64 v0, v23, v5, s[4:5]
	v_cndmask_b32_e64 v23, v24, v6, s[4:5]
	;; [unrolled: 1-line block ×8, first 2 shown]
	v_cmp_neq_f64_e64 s[4:5], v[23:24], v[21:22]
	v_cmp_class_f64_e64 s[18:19], v[23:24], s18
	v_mov_b32_e32 v8, v6
	v_mov_b32_e32 v7, v5
	s_or_b64 s[4:5], s[4:5], s[18:19]
	s_and_saveexec_b64 s[20:21], s[4:5]
	s_cbranch_execz .LBB22_92
; %bb.91:
	v_add_f64 v[7:8], v[23:24], -v[21:22]
	s_mov_b32 s4, 0x652b82fe
	s_mov_b32 s5, 0x3ff71547
	;; [unrolled: 1-line block ×6, first 2 shown]
	v_mov_b32_e32 v27, 0xfca7ab0c
	v_mul_f64 v[23:24], v[7:8], s[4:5]
	s_mov_b32 s4, 0x6a5dcb37
	v_mov_b32_e32 v28, 0x3e928af3
	s_mov_b32 s5, 0x3e5ade15
	s_mov_b32 s18, 0
	;; [unrolled: 1-line block ×3, first 2 shown]
	v_cmp_ngt_f64_e64 s[18:19], s[18:19], v[7:8]
	v_rndne_f64_e32 v[23:24], v[23:24]
	v_fma_f64 v[25:26], v[23:24], s[22:23], v[7:8]
	v_cvt_i32_f64_e32 v0, v[23:24]
	s_mov_b32 s23, 0x3fe62e42
	v_fma_f64 v[25:26], v[23:24], s[24:25], v[25:26]
	s_mov_b32 s25, 0x3c7abc9e
	v_fma_f64 v[27:28], v[25:26], s[4:5], v[27:28]
	s_mov_b32 s4, 0x623fde64
	s_mov_b32 s5, 0x3ec71dee
	v_fma_f64 v[27:28], v[25:26], v[27:28], s[4:5]
	s_mov_b32 s4, 0x7c89e6b0
	;; [unrolled: 3-line block ×9, first 2 shown]
	s_mov_b32 s5, 0x40900000
	v_cmp_nlt_f64_e64 s[4:5], s[4:5], v[7:8]
	v_fma_f64 v[27:28], v[25:26], v[27:28], 1.0
	v_fma_f64 v[25:26], v[25:26], v[27:28], 1.0
	v_ldexp_f64 v[23:24], v[25:26], v0
	v_mov_b32_e32 v0, 0x7ff00000
	v_cndmask_b32_e64 v24, v0, v24, s[4:5]
	s_and_b64 s[4:5], s[18:19], s[4:5]
	v_cndmask_b32_e64 v8, 0, v24, s[18:19]
	v_cndmask_b32_e64 v7, 0, v23, s[4:5]
	v_add_f64 v[23:24], v[7:8], 1.0
	s_mov_b32 s19, 0x3fe55555
	s_mov_b32 s18, 0x55555555
	v_frexp_mant_f64_e32 v[27:28], v[23:24]
	v_frexp_exp_i32_f64_e32 v31, v[23:24]
	v_add_f64 v[25:26], v[23:24], -1.0
	v_cmp_gt_f64_e64 s[4:5], s[18:19], v[27:28]
	s_mov_b32 s18, 0x55555780
	v_add_f64 v[29:30], v[25:26], -v[23:24]
	v_add_f64 v[25:26], v[7:8], -v[25:26]
	v_subbrev_co_u32_e64 v45, s[4:5], 0, v31, s[4:5]
	v_sub_u32_e32 v31, 0, v45
	v_ldexp_f64 v[23:24], v[23:24], v31
	v_add_f64 v[27:28], v[29:30], 1.0
	s_mov_b32 s4, 0xbf559e2b
	s_mov_b32 s5, 0x3fc3ab76
	v_add_f64 v[29:30], v[23:24], 1.0
	v_add_f64 v[25:26], v[25:26], v[27:28]
	v_add_f64 v[35:36], v[23:24], -1.0
	v_add_f64 v[27:28], v[29:30], -1.0
	v_ldexp_f64 v[25:26], v[25:26], v31
	v_add_f64 v[37:38], v[35:36], 1.0
	v_add_f64 v[27:28], v[23:24], -v[27:28]
	v_add_f64 v[23:24], v[23:24], -v[37:38]
	v_add_f64 v[27:28], v[25:26], v[27:28]
	v_add_f64 v[23:24], v[25:26], v[23:24]
	;; [unrolled: 1-line block ×4, first 2 shown]
	v_rcp_f64_e32 v[33:34], v[31:32]
	v_add_f64 v[29:30], v[31:32], -v[29:30]
	v_add_f64 v[35:36], v[37:38], -v[35:36]
	;; [unrolled: 1-line block ×4, first 2 shown]
	v_fma_f64 v[39:40], -v[31:32], v[33:34], 1.0
	v_fma_f64 v[33:34], v[39:40], v[33:34], v[33:34]
	v_fma_f64 v[25:26], -v[31:32], v[33:34], 1.0
	v_fma_f64 v[25:26], v[25:26], v[33:34], v[33:34]
	v_mul_f64 v[33:34], v[37:38], v[25:26]
	v_mul_f64 v[39:40], v[31:32], v[33:34]
	v_fma_f64 v[29:30], v[33:34], v[31:32], -v[39:40]
	v_fma_f64 v[29:30], v[33:34], v[27:28], v[29:30]
	v_add_f64 v[41:42], v[39:40], v[29:30]
	v_add_f64 v[43:44], v[37:38], -v[41:42]
	v_add_f64 v[35:36], v[41:42], -v[39:40]
	;; [unrolled: 1-line block ×5, first 2 shown]
	v_add_f64 v[23:24], v[23:24], v[37:38]
	v_add_f64 v[23:24], v[29:30], v[23:24]
	v_add_f64 v[29:30], v[43:44], v[23:24]
	v_mul_f64 v[35:36], v[25:26], v[29:30]
	v_add_f64 v[41:42], v[43:44], -v[29:30]
	v_mul_f64 v[37:38], v[31:32], v[35:36]
	v_add_f64 v[23:24], v[23:24], v[41:42]
	v_fma_f64 v[31:32], v[35:36], v[31:32], -v[37:38]
	v_fma_f64 v[27:28], v[35:36], v[27:28], v[31:32]
	v_add_f64 v[31:32], v[37:38], v[27:28]
	v_add_f64 v[39:40], v[29:30], -v[31:32]
	v_add_f64 v[37:38], v[31:32], -v[37:38]
	v_add_f64 v[29:30], v[29:30], -v[39:40]
	v_add_f64 v[27:28], v[37:38], -v[27:28]
	v_add_f64 v[29:30], v[29:30], -v[31:32]
	v_mov_b32_e32 v31, 0x6b47b09a
	v_mov_b32_e32 v32, 0x3fc38538
	v_add_f64 v[23:24], v[23:24], v[29:30]
	v_add_f64 v[29:30], v[33:34], v[35:36]
	;; [unrolled: 1-line block ×3, first 2 shown]
	v_add_f64 v[27:28], v[29:30], -v[33:34]
	v_add_f64 v[23:24], v[39:40], v[23:24]
	v_add_f64 v[27:28], v[35:36], -v[27:28]
	v_mul_f64 v[23:24], v[25:26], v[23:24]
	v_add_f64 v[23:24], v[27:28], v[23:24]
	v_add_f64 v[25:26], v[29:30], v[23:24]
	v_mul_f64 v[27:28], v[25:26], v[25:26]
	v_fma_f64 v[31:32], v[27:28], s[4:5], v[31:32]
	s_mov_b32 s4, 0xd7f4df2e
	s_mov_b32 s5, 0x3fc7474d
	v_mul_f64 v[33:34], v[25:26], v[27:28]
	v_fma_f64 v[31:32], v[27:28], v[31:32], s[4:5]
	s_mov_b32 s4, 0x16291751
	s_mov_b32 s5, 0x3fcc71c0
	v_fma_f64 v[31:32], v[27:28], v[31:32], s[4:5]
	s_mov_b32 s4, 0x9b27acf1
	s_mov_b32 s5, 0x3fd24924
	;; [unrolled: 3-line block ×3, first 2 shown]
	v_fma_f64 v[31:32], v[27:28], v[31:32], s[4:5]
	v_cmp_nge_f64_e64 s[4:5], -1.0, v[7:8]
	v_fma_f64 v[27:28], v[27:28], v[31:32], s[18:19]
	v_ldexp_f64 v[31:32], v[25:26], 1
	v_add_f64 v[25:26], v[25:26], -v[29:30]
	s_mov_b32 s18, 0
	s_mov_b32 s19, 0x7ff00000
	v_cmp_neq_f64_e64 s[18:19], s[18:19], v[7:8]
	v_mul_f64 v[27:28], v[33:34], v[27:28]
	v_cvt_f64_i32_e32 v[33:34], v45
	v_add_f64 v[23:24], v[23:24], -v[25:26]
	v_mul_f64 v[35:36], v[33:34], s[22:23]
	s_and_b64 s[4:5], s[4:5], s[18:19]
	v_add_f64 v[29:30], v[31:32], v[27:28]
	v_ldexp_f64 v[23:24], v[23:24], 1
	v_add_f64 v[25:26], v[29:30], -v[31:32]
	v_fma_f64 v[31:32], v[33:34], s[22:23], -v[35:36]
	v_add_f64 v[25:26], v[27:28], -v[25:26]
	v_fma_f64 v[27:28], v[33:34], s[24:25], v[31:32]
	v_add_f64 v[23:24], v[23:24], v[25:26]
	v_add_f64 v[25:26], v[35:36], v[27:28]
	v_add_f64 v[31:32], v[29:30], v[23:24]
	v_add_f64 v[35:36], v[25:26], -v[35:36]
	v_add_f64 v[33:34], v[25:26], v[31:32]
	v_add_f64 v[29:30], v[31:32], -v[29:30]
	v_add_f64 v[27:28], v[27:28], -v[35:36]
	;; [unrolled: 1-line block ×6, first 2 shown]
	v_add_f64 v[31:32], v[27:28], v[23:24]
	v_add_f64 v[25:26], v[25:26], -v[39:40]
	v_add_f64 v[25:26], v[29:30], v[25:26]
	v_add_f64 v[29:30], v[31:32], -v[27:28]
	;; [unrolled: 2-line block ×3, first 2 shown]
	v_add_f64 v[23:24], v[23:24], -v[29:30]
	v_add_f64 v[35:36], v[33:34], v[25:26]
	v_add_f64 v[27:28], v[27:28], -v[31:32]
	v_add_f64 v[29:30], v[35:36], -v[33:34]
	v_add_f64 v[23:24], v[23:24], v[27:28]
	v_add_f64 v[25:26], v[25:26], -v[29:30]
	v_add_f64 v[23:24], v[23:24], v[25:26]
	v_mov_b32_e32 v25, 0x7ff80000
	v_mov_b32_e32 v26, 0xfff00000
	v_add_f64 v[23:24], v[35:36], v[23:24]
	v_cndmask_b32_e64 v23, 0, v23, s[4:5]
	v_cmp_ngt_f64_e64 s[4:5], -1.0, v[7:8]
	v_cndmask_b32_e64 v0, v0, v24, s[18:19]
	v_cndmask_b32_e64 v0, v25, v0, s[4:5]
	v_cmp_neq_f64_e64 s[4:5], -1.0, v[7:8]
	v_cndmask_b32_e64 v24, v26, v0, s[4:5]
	v_add_f64 v[7:8], v[21:22], v[23:24]
.LBB22_92:
	s_or_b64 exec, exec, s[20:21]
	v_add_u32_e32 v0, v57, v49
	s_barrier
	ds_write_b128 v0, v[1:4]
	ds_write_b128 v0, v[17:20] offset:16
	ds_write_b128 v0, v[13:16] offset:32
	;; [unrolled: 1-line block ×4, first 2 shown]
	s_waitcnt lgkmcnt(0)
	s_barrier
	ds_read2st64_b64 v[12:15], v57 offset0:2 offset1:4
	ds_read2st64_b64 v[8:11], v57 offset0:6 offset1:8
	;; [unrolled: 1-line block ×4, first 2 shown]
	ds_read_b64 v[16:17], v57 offset:9216
	v_mov_b32_e32 v19, s47
	v_add_co_u32_e64 v18, s[4:5], s46, v57
	v_addc_co_u32_e64 v19, s[4:5], 0, v19, s[4:5]
	s_and_saveexec_b64 s[4:5], vcc
	s_cbranch_execnz .LBB22_103
; %bb.93:
	s_or_b64 exec, exec, s[4:5]
	s_and_saveexec_b64 s[4:5], s[0:1]
	s_cbranch_execnz .LBB22_104
.LBB22_94:
	s_or_b64 exec, exec, s[4:5]
	s_and_saveexec_b64 s[0:1], s[2:3]
	s_cbranch_execnz .LBB22_105
.LBB22_95:
	s_or_b64 exec, exec, s[0:1]
	s_and_saveexec_b64 s[0:1], s[40:41]
	s_cbranch_execnz .LBB22_106
.LBB22_96:
	s_or_b64 exec, exec, s[0:1]
	s_and_saveexec_b64 s[0:1], s[6:7]
	s_cbranch_execnz .LBB22_107
.LBB22_97:
	s_or_b64 exec, exec, s[0:1]
	s_and_saveexec_b64 s[0:1], s[8:9]
	s_cbranch_execnz .LBB22_108
.LBB22_98:
	s_or_b64 exec, exec, s[0:1]
	s_and_saveexec_b64 s[0:1], s[10:11]
	s_cbranch_execnz .LBB22_109
.LBB22_99:
	s_or_b64 exec, exec, s[0:1]
	s_and_saveexec_b64 s[0:1], s[12:13]
	s_cbranch_execnz .LBB22_110
.LBB22_100:
	s_or_b64 exec, exec, s[0:1]
	s_and_saveexec_b64 s[0:1], s[14:15]
	s_cbranch_execnz .LBB22_111
.LBB22_101:
	s_or_b64 exec, exec, s[0:1]
	s_and_saveexec_b64 s[0:1], s[16:17]
	s_cbranch_execnz .LBB22_112
.LBB22_102:
	s_endpgm
.LBB22_103:
	ds_read_b64 v[20:21], v57
	s_waitcnt lgkmcnt(0)
	global_store_dwordx2 v[18:19], v[20:21], off
	s_or_b64 exec, exec, s[4:5]
	s_and_saveexec_b64 s[4:5], s[0:1]
	s_cbranch_execz .LBB22_94
.LBB22_104:
	s_waitcnt lgkmcnt(4)
	global_store_dwordx2 v[18:19], v[12:13], off offset:1024
	s_or_b64 exec, exec, s[4:5]
	s_and_saveexec_b64 s[0:1], s[2:3]
	s_cbranch_execz .LBB22_95
.LBB22_105:
	s_waitcnt lgkmcnt(4)
	global_store_dwordx2 v[18:19], v[14:15], off offset:2048
	s_or_b64 exec, exec, s[0:1]
	s_and_saveexec_b64 s[0:1], s[40:41]
	s_cbranch_execz .LBB22_96
.LBB22_106:
	s_waitcnt lgkmcnt(3)
	global_store_dwordx2 v[18:19], v[8:9], off offset:3072
	s_or_b64 exec, exec, s[0:1]
	s_and_saveexec_b64 s[0:1], s[6:7]
	s_cbranch_execz .LBB22_97
.LBB22_107:
	s_waitcnt lgkmcnt(3)
	v_add_co_u32_e32 v8, vcc, 0x1000, v18
	v_addc_co_u32_e32 v9, vcc, 0, v19, vcc
	global_store_dwordx2 v[8:9], v[10:11], off
	s_or_b64 exec, exec, s[0:1]
	s_and_saveexec_b64 s[0:1], s[8:9]
	s_cbranch_execz .LBB22_98
.LBB22_108:
	s_waitcnt lgkmcnt(3)
	v_add_co_u32_e32 v8, vcc, 0x1000, v18
	v_addc_co_u32_e32 v9, vcc, 0, v19, vcc
	s_waitcnt lgkmcnt(2)
	global_store_dwordx2 v[8:9], v[4:5], off offset:1024
	s_or_b64 exec, exec, s[0:1]
	s_and_saveexec_b64 s[0:1], s[10:11]
	s_cbranch_execz .LBB22_99
.LBB22_109:
	s_waitcnt lgkmcnt(2)
	v_add_co_u32_e32 v4, vcc, 0x1000, v18
	v_addc_co_u32_e32 v5, vcc, 0, v19, vcc
	global_store_dwordx2 v[4:5], v[6:7], off offset:2048
	s_or_b64 exec, exec, s[0:1]
	s_and_saveexec_b64 s[0:1], s[12:13]
	s_cbranch_execz .LBB22_100
.LBB22_110:
	s_waitcnt lgkmcnt(2)
	v_add_co_u32_e32 v4, vcc, 0x1000, v18
	v_addc_co_u32_e32 v5, vcc, 0, v19, vcc
	s_waitcnt lgkmcnt(1)
	global_store_dwordx2 v[4:5], v[0:1], off offset:3072
	s_or_b64 exec, exec, s[0:1]
	s_and_saveexec_b64 s[0:1], s[14:15]
	s_cbranch_execz .LBB22_101
.LBB22_111:
	s_waitcnt lgkmcnt(1)
	v_add_co_u32_e32 v0, vcc, 0x2000, v18
	v_addc_co_u32_e32 v1, vcc, 0, v19, vcc
	global_store_dwordx2 v[0:1], v[2:3], off
	s_or_b64 exec, exec, s[0:1]
	s_and_saveexec_b64 s[0:1], s[16:17]
	s_cbranch_execz .LBB22_102
.LBB22_112:
	s_waitcnt lgkmcnt(1)
	v_add_co_u32_e32 v0, vcc, 0x2000, v18
	v_addc_co_u32_e32 v1, vcc, 0, v19, vcc
	s_waitcnt lgkmcnt(0)
	global_store_dwordx2 v[0:1], v[16:17], off offset:1024
	s_endpgm
	.section	.rodata,"a",@progbits
	.p2align	6, 0x0
	.amdhsa_kernel _ZN7rocprim17ROCPRIM_400000_NS6detail17trampoline_kernelINS0_14default_configENS1_20scan_config_selectorIdEEZZNS1_9scan_implILNS1_25lookback_scan_determinismE0ELb0ELb0ES3_PKdPddZZZN2at6native31launch_logcumsumexp_cuda_kernelERKNSB_10TensorBaseESF_lENKUlvE_clEvENKUlvE_clEvEUlddE_dEEDaPvRmT3_T4_T5_mT6_P12ihipStream_tbENKUlT_T0_E_clISt17integral_constantIbLb0EESW_EEDaSR_SS_EUlSR_E0_NS1_11comp_targetILNS1_3genE2ELNS1_11target_archE906ELNS1_3gpuE6ELNS1_3repE0EEENS1_30default_config_static_selectorELNS0_4arch9wavefront6targetE1EEEvT1_
		.amdhsa_group_segment_fixed_size 10240
		.amdhsa_private_segment_fixed_size 0
		.amdhsa_kernarg_size 40
		.amdhsa_user_sgpr_count 6
		.amdhsa_user_sgpr_private_segment_buffer 1
		.amdhsa_user_sgpr_dispatch_ptr 0
		.amdhsa_user_sgpr_queue_ptr 0
		.amdhsa_user_sgpr_kernarg_segment_ptr 1
		.amdhsa_user_sgpr_dispatch_id 0
		.amdhsa_user_sgpr_flat_scratch_init 0
		.amdhsa_user_sgpr_private_segment_size 0
		.amdhsa_uses_dynamic_stack 0
		.amdhsa_system_sgpr_private_segment_wavefront_offset 0
		.amdhsa_system_sgpr_workgroup_id_x 1
		.amdhsa_system_sgpr_workgroup_id_y 0
		.amdhsa_system_sgpr_workgroup_id_z 0
		.amdhsa_system_sgpr_workgroup_info 0
		.amdhsa_system_vgpr_workitem_id 0
		.amdhsa_next_free_vgpr 82
		.amdhsa_next_free_sgpr 98
		.amdhsa_reserve_vcc 1
		.amdhsa_reserve_flat_scratch 0
		.amdhsa_float_round_mode_32 0
		.amdhsa_float_round_mode_16_64 0
		.amdhsa_float_denorm_mode_32 3
		.amdhsa_float_denorm_mode_16_64 3
		.amdhsa_dx10_clamp 1
		.amdhsa_ieee_mode 1
		.amdhsa_fp16_overflow 0
		.amdhsa_exception_fp_ieee_invalid_op 0
		.amdhsa_exception_fp_denorm_src 0
		.amdhsa_exception_fp_ieee_div_zero 0
		.amdhsa_exception_fp_ieee_overflow 0
		.amdhsa_exception_fp_ieee_underflow 0
		.amdhsa_exception_fp_ieee_inexact 0
		.amdhsa_exception_int_div_zero 0
	.end_amdhsa_kernel
	.section	.text._ZN7rocprim17ROCPRIM_400000_NS6detail17trampoline_kernelINS0_14default_configENS1_20scan_config_selectorIdEEZZNS1_9scan_implILNS1_25lookback_scan_determinismE0ELb0ELb0ES3_PKdPddZZZN2at6native31launch_logcumsumexp_cuda_kernelERKNSB_10TensorBaseESF_lENKUlvE_clEvENKUlvE_clEvEUlddE_dEEDaPvRmT3_T4_T5_mT6_P12ihipStream_tbENKUlT_T0_E_clISt17integral_constantIbLb0EESW_EEDaSR_SS_EUlSR_E0_NS1_11comp_targetILNS1_3genE2ELNS1_11target_archE906ELNS1_3gpuE6ELNS1_3repE0EEENS1_30default_config_static_selectorELNS0_4arch9wavefront6targetE1EEEvT1_,"axG",@progbits,_ZN7rocprim17ROCPRIM_400000_NS6detail17trampoline_kernelINS0_14default_configENS1_20scan_config_selectorIdEEZZNS1_9scan_implILNS1_25lookback_scan_determinismE0ELb0ELb0ES3_PKdPddZZZN2at6native31launch_logcumsumexp_cuda_kernelERKNSB_10TensorBaseESF_lENKUlvE_clEvENKUlvE_clEvEUlddE_dEEDaPvRmT3_T4_T5_mT6_P12ihipStream_tbENKUlT_T0_E_clISt17integral_constantIbLb0EESW_EEDaSR_SS_EUlSR_E0_NS1_11comp_targetILNS1_3genE2ELNS1_11target_archE906ELNS1_3gpuE6ELNS1_3repE0EEENS1_30default_config_static_selectorELNS0_4arch9wavefront6targetE1EEEvT1_,comdat
.Lfunc_end22:
	.size	_ZN7rocprim17ROCPRIM_400000_NS6detail17trampoline_kernelINS0_14default_configENS1_20scan_config_selectorIdEEZZNS1_9scan_implILNS1_25lookback_scan_determinismE0ELb0ELb0ES3_PKdPddZZZN2at6native31launch_logcumsumexp_cuda_kernelERKNSB_10TensorBaseESF_lENKUlvE_clEvENKUlvE_clEvEUlddE_dEEDaPvRmT3_T4_T5_mT6_P12ihipStream_tbENKUlT_T0_E_clISt17integral_constantIbLb0EESW_EEDaSR_SS_EUlSR_E0_NS1_11comp_targetILNS1_3genE2ELNS1_11target_archE906ELNS1_3gpuE6ELNS1_3repE0EEENS1_30default_config_static_selectorELNS0_4arch9wavefront6targetE1EEEvT1_, .Lfunc_end22-_ZN7rocprim17ROCPRIM_400000_NS6detail17trampoline_kernelINS0_14default_configENS1_20scan_config_selectorIdEEZZNS1_9scan_implILNS1_25lookback_scan_determinismE0ELb0ELb0ES3_PKdPddZZZN2at6native31launch_logcumsumexp_cuda_kernelERKNSB_10TensorBaseESF_lENKUlvE_clEvENKUlvE_clEvEUlddE_dEEDaPvRmT3_T4_T5_mT6_P12ihipStream_tbENKUlT_T0_E_clISt17integral_constantIbLb0EESW_EEDaSR_SS_EUlSR_E0_NS1_11comp_targetILNS1_3genE2ELNS1_11target_archE906ELNS1_3gpuE6ELNS1_3repE0EEENS1_30default_config_static_selectorELNS0_4arch9wavefront6targetE1EEEvT1_
                                        ; -- End function
	.set _ZN7rocprim17ROCPRIM_400000_NS6detail17trampoline_kernelINS0_14default_configENS1_20scan_config_selectorIdEEZZNS1_9scan_implILNS1_25lookback_scan_determinismE0ELb0ELb0ES3_PKdPddZZZN2at6native31launch_logcumsumexp_cuda_kernelERKNSB_10TensorBaseESF_lENKUlvE_clEvENKUlvE_clEvEUlddE_dEEDaPvRmT3_T4_T5_mT6_P12ihipStream_tbENKUlT_T0_E_clISt17integral_constantIbLb0EESW_EEDaSR_SS_EUlSR_E0_NS1_11comp_targetILNS1_3genE2ELNS1_11target_archE906ELNS1_3gpuE6ELNS1_3repE0EEENS1_30default_config_static_selectorELNS0_4arch9wavefront6targetE1EEEvT1_.num_vgpr, 82
	.set _ZN7rocprim17ROCPRIM_400000_NS6detail17trampoline_kernelINS0_14default_configENS1_20scan_config_selectorIdEEZZNS1_9scan_implILNS1_25lookback_scan_determinismE0ELb0ELb0ES3_PKdPddZZZN2at6native31launch_logcumsumexp_cuda_kernelERKNSB_10TensorBaseESF_lENKUlvE_clEvENKUlvE_clEvEUlddE_dEEDaPvRmT3_T4_T5_mT6_P12ihipStream_tbENKUlT_T0_E_clISt17integral_constantIbLb0EESW_EEDaSR_SS_EUlSR_E0_NS1_11comp_targetILNS1_3genE2ELNS1_11target_archE906ELNS1_3gpuE6ELNS1_3repE0EEENS1_30default_config_static_selectorELNS0_4arch9wavefront6targetE1EEEvT1_.num_agpr, 0
	.set _ZN7rocprim17ROCPRIM_400000_NS6detail17trampoline_kernelINS0_14default_configENS1_20scan_config_selectorIdEEZZNS1_9scan_implILNS1_25lookback_scan_determinismE0ELb0ELb0ES3_PKdPddZZZN2at6native31launch_logcumsumexp_cuda_kernelERKNSB_10TensorBaseESF_lENKUlvE_clEvENKUlvE_clEvEUlddE_dEEDaPvRmT3_T4_T5_mT6_P12ihipStream_tbENKUlT_T0_E_clISt17integral_constantIbLb0EESW_EEDaSR_SS_EUlSR_E0_NS1_11comp_targetILNS1_3genE2ELNS1_11target_archE906ELNS1_3gpuE6ELNS1_3repE0EEENS1_30default_config_static_selectorELNS0_4arch9wavefront6targetE1EEEvT1_.numbered_sgpr, 58
	.set _ZN7rocprim17ROCPRIM_400000_NS6detail17trampoline_kernelINS0_14default_configENS1_20scan_config_selectorIdEEZZNS1_9scan_implILNS1_25lookback_scan_determinismE0ELb0ELb0ES3_PKdPddZZZN2at6native31launch_logcumsumexp_cuda_kernelERKNSB_10TensorBaseESF_lENKUlvE_clEvENKUlvE_clEvEUlddE_dEEDaPvRmT3_T4_T5_mT6_P12ihipStream_tbENKUlT_T0_E_clISt17integral_constantIbLb0EESW_EEDaSR_SS_EUlSR_E0_NS1_11comp_targetILNS1_3genE2ELNS1_11target_archE906ELNS1_3gpuE6ELNS1_3repE0EEENS1_30default_config_static_selectorELNS0_4arch9wavefront6targetE1EEEvT1_.num_named_barrier, 0
	.set _ZN7rocprim17ROCPRIM_400000_NS6detail17trampoline_kernelINS0_14default_configENS1_20scan_config_selectorIdEEZZNS1_9scan_implILNS1_25lookback_scan_determinismE0ELb0ELb0ES3_PKdPddZZZN2at6native31launch_logcumsumexp_cuda_kernelERKNSB_10TensorBaseESF_lENKUlvE_clEvENKUlvE_clEvEUlddE_dEEDaPvRmT3_T4_T5_mT6_P12ihipStream_tbENKUlT_T0_E_clISt17integral_constantIbLb0EESW_EEDaSR_SS_EUlSR_E0_NS1_11comp_targetILNS1_3genE2ELNS1_11target_archE906ELNS1_3gpuE6ELNS1_3repE0EEENS1_30default_config_static_selectorELNS0_4arch9wavefront6targetE1EEEvT1_.private_seg_size, 0
	.set _ZN7rocprim17ROCPRIM_400000_NS6detail17trampoline_kernelINS0_14default_configENS1_20scan_config_selectorIdEEZZNS1_9scan_implILNS1_25lookback_scan_determinismE0ELb0ELb0ES3_PKdPddZZZN2at6native31launch_logcumsumexp_cuda_kernelERKNSB_10TensorBaseESF_lENKUlvE_clEvENKUlvE_clEvEUlddE_dEEDaPvRmT3_T4_T5_mT6_P12ihipStream_tbENKUlT_T0_E_clISt17integral_constantIbLb0EESW_EEDaSR_SS_EUlSR_E0_NS1_11comp_targetILNS1_3genE2ELNS1_11target_archE906ELNS1_3gpuE6ELNS1_3repE0EEENS1_30default_config_static_selectorELNS0_4arch9wavefront6targetE1EEEvT1_.uses_vcc, 1
	.set _ZN7rocprim17ROCPRIM_400000_NS6detail17trampoline_kernelINS0_14default_configENS1_20scan_config_selectorIdEEZZNS1_9scan_implILNS1_25lookback_scan_determinismE0ELb0ELb0ES3_PKdPddZZZN2at6native31launch_logcumsumexp_cuda_kernelERKNSB_10TensorBaseESF_lENKUlvE_clEvENKUlvE_clEvEUlddE_dEEDaPvRmT3_T4_T5_mT6_P12ihipStream_tbENKUlT_T0_E_clISt17integral_constantIbLb0EESW_EEDaSR_SS_EUlSR_E0_NS1_11comp_targetILNS1_3genE2ELNS1_11target_archE906ELNS1_3gpuE6ELNS1_3repE0EEENS1_30default_config_static_selectorELNS0_4arch9wavefront6targetE1EEEvT1_.uses_flat_scratch, 0
	.set _ZN7rocprim17ROCPRIM_400000_NS6detail17trampoline_kernelINS0_14default_configENS1_20scan_config_selectorIdEEZZNS1_9scan_implILNS1_25lookback_scan_determinismE0ELb0ELb0ES3_PKdPddZZZN2at6native31launch_logcumsumexp_cuda_kernelERKNSB_10TensorBaseESF_lENKUlvE_clEvENKUlvE_clEvEUlddE_dEEDaPvRmT3_T4_T5_mT6_P12ihipStream_tbENKUlT_T0_E_clISt17integral_constantIbLb0EESW_EEDaSR_SS_EUlSR_E0_NS1_11comp_targetILNS1_3genE2ELNS1_11target_archE906ELNS1_3gpuE6ELNS1_3repE0EEENS1_30default_config_static_selectorELNS0_4arch9wavefront6targetE1EEEvT1_.has_dyn_sized_stack, 0
	.set _ZN7rocprim17ROCPRIM_400000_NS6detail17trampoline_kernelINS0_14default_configENS1_20scan_config_selectorIdEEZZNS1_9scan_implILNS1_25lookback_scan_determinismE0ELb0ELb0ES3_PKdPddZZZN2at6native31launch_logcumsumexp_cuda_kernelERKNSB_10TensorBaseESF_lENKUlvE_clEvENKUlvE_clEvEUlddE_dEEDaPvRmT3_T4_T5_mT6_P12ihipStream_tbENKUlT_T0_E_clISt17integral_constantIbLb0EESW_EEDaSR_SS_EUlSR_E0_NS1_11comp_targetILNS1_3genE2ELNS1_11target_archE906ELNS1_3gpuE6ELNS1_3repE0EEENS1_30default_config_static_selectorELNS0_4arch9wavefront6targetE1EEEvT1_.has_recursion, 0
	.set _ZN7rocprim17ROCPRIM_400000_NS6detail17trampoline_kernelINS0_14default_configENS1_20scan_config_selectorIdEEZZNS1_9scan_implILNS1_25lookback_scan_determinismE0ELb0ELb0ES3_PKdPddZZZN2at6native31launch_logcumsumexp_cuda_kernelERKNSB_10TensorBaseESF_lENKUlvE_clEvENKUlvE_clEvEUlddE_dEEDaPvRmT3_T4_T5_mT6_P12ihipStream_tbENKUlT_T0_E_clISt17integral_constantIbLb0EESW_EEDaSR_SS_EUlSR_E0_NS1_11comp_targetILNS1_3genE2ELNS1_11target_archE906ELNS1_3gpuE6ELNS1_3repE0EEENS1_30default_config_static_selectorELNS0_4arch9wavefront6targetE1EEEvT1_.has_indirect_call, 0
	.section	.AMDGPU.csdata,"",@progbits
; Kernel info:
; codeLenInByte = 48396
; TotalNumSgprs: 62
; NumVgprs: 82
; ScratchSize: 0
; MemoryBound: 0
; FloatMode: 240
; IeeeMode: 1
; LDSByteSize: 10240 bytes/workgroup (compile time only)
; SGPRBlocks: 12
; VGPRBlocks: 20
; NumSGPRsForWavesPerEU: 102
; NumVGPRsForWavesPerEU: 82
; Occupancy: 3
; WaveLimiterHint : 0
; COMPUTE_PGM_RSRC2:SCRATCH_EN: 0
; COMPUTE_PGM_RSRC2:USER_SGPR: 6
; COMPUTE_PGM_RSRC2:TRAP_HANDLER: 0
; COMPUTE_PGM_RSRC2:TGID_X_EN: 1
; COMPUTE_PGM_RSRC2:TGID_Y_EN: 0
; COMPUTE_PGM_RSRC2:TGID_Z_EN: 0
; COMPUTE_PGM_RSRC2:TIDIG_COMP_CNT: 0
	.section	.text._ZN7rocprim17ROCPRIM_400000_NS6detail17trampoline_kernelINS0_14default_configENS1_20scan_config_selectorIdEEZZNS1_9scan_implILNS1_25lookback_scan_determinismE0ELb0ELb0ES3_PKdPddZZZN2at6native31launch_logcumsumexp_cuda_kernelERKNSB_10TensorBaseESF_lENKUlvE_clEvENKUlvE_clEvEUlddE_dEEDaPvRmT3_T4_T5_mT6_P12ihipStream_tbENKUlT_T0_E_clISt17integral_constantIbLb0EESW_EEDaSR_SS_EUlSR_E0_NS1_11comp_targetILNS1_3genE10ELNS1_11target_archE1201ELNS1_3gpuE5ELNS1_3repE0EEENS1_30default_config_static_selectorELNS0_4arch9wavefront6targetE1EEEvT1_,"axG",@progbits,_ZN7rocprim17ROCPRIM_400000_NS6detail17trampoline_kernelINS0_14default_configENS1_20scan_config_selectorIdEEZZNS1_9scan_implILNS1_25lookback_scan_determinismE0ELb0ELb0ES3_PKdPddZZZN2at6native31launch_logcumsumexp_cuda_kernelERKNSB_10TensorBaseESF_lENKUlvE_clEvENKUlvE_clEvEUlddE_dEEDaPvRmT3_T4_T5_mT6_P12ihipStream_tbENKUlT_T0_E_clISt17integral_constantIbLb0EESW_EEDaSR_SS_EUlSR_E0_NS1_11comp_targetILNS1_3genE10ELNS1_11target_archE1201ELNS1_3gpuE5ELNS1_3repE0EEENS1_30default_config_static_selectorELNS0_4arch9wavefront6targetE1EEEvT1_,comdat
	.globl	_ZN7rocprim17ROCPRIM_400000_NS6detail17trampoline_kernelINS0_14default_configENS1_20scan_config_selectorIdEEZZNS1_9scan_implILNS1_25lookback_scan_determinismE0ELb0ELb0ES3_PKdPddZZZN2at6native31launch_logcumsumexp_cuda_kernelERKNSB_10TensorBaseESF_lENKUlvE_clEvENKUlvE_clEvEUlddE_dEEDaPvRmT3_T4_T5_mT6_P12ihipStream_tbENKUlT_T0_E_clISt17integral_constantIbLb0EESW_EEDaSR_SS_EUlSR_E0_NS1_11comp_targetILNS1_3genE10ELNS1_11target_archE1201ELNS1_3gpuE5ELNS1_3repE0EEENS1_30default_config_static_selectorELNS0_4arch9wavefront6targetE1EEEvT1_ ; -- Begin function _ZN7rocprim17ROCPRIM_400000_NS6detail17trampoline_kernelINS0_14default_configENS1_20scan_config_selectorIdEEZZNS1_9scan_implILNS1_25lookback_scan_determinismE0ELb0ELb0ES3_PKdPddZZZN2at6native31launch_logcumsumexp_cuda_kernelERKNSB_10TensorBaseESF_lENKUlvE_clEvENKUlvE_clEvEUlddE_dEEDaPvRmT3_T4_T5_mT6_P12ihipStream_tbENKUlT_T0_E_clISt17integral_constantIbLb0EESW_EEDaSR_SS_EUlSR_E0_NS1_11comp_targetILNS1_3genE10ELNS1_11target_archE1201ELNS1_3gpuE5ELNS1_3repE0EEENS1_30default_config_static_selectorELNS0_4arch9wavefront6targetE1EEEvT1_
	.p2align	8
	.type	_ZN7rocprim17ROCPRIM_400000_NS6detail17trampoline_kernelINS0_14default_configENS1_20scan_config_selectorIdEEZZNS1_9scan_implILNS1_25lookback_scan_determinismE0ELb0ELb0ES3_PKdPddZZZN2at6native31launch_logcumsumexp_cuda_kernelERKNSB_10TensorBaseESF_lENKUlvE_clEvENKUlvE_clEvEUlddE_dEEDaPvRmT3_T4_T5_mT6_P12ihipStream_tbENKUlT_T0_E_clISt17integral_constantIbLb0EESW_EEDaSR_SS_EUlSR_E0_NS1_11comp_targetILNS1_3genE10ELNS1_11target_archE1201ELNS1_3gpuE5ELNS1_3repE0EEENS1_30default_config_static_selectorELNS0_4arch9wavefront6targetE1EEEvT1_,@function
_ZN7rocprim17ROCPRIM_400000_NS6detail17trampoline_kernelINS0_14default_configENS1_20scan_config_selectorIdEEZZNS1_9scan_implILNS1_25lookback_scan_determinismE0ELb0ELb0ES3_PKdPddZZZN2at6native31launch_logcumsumexp_cuda_kernelERKNSB_10TensorBaseESF_lENKUlvE_clEvENKUlvE_clEvEUlddE_dEEDaPvRmT3_T4_T5_mT6_P12ihipStream_tbENKUlT_T0_E_clISt17integral_constantIbLb0EESW_EEDaSR_SS_EUlSR_E0_NS1_11comp_targetILNS1_3genE10ELNS1_11target_archE1201ELNS1_3gpuE5ELNS1_3repE0EEENS1_30default_config_static_selectorELNS0_4arch9wavefront6targetE1EEEvT1_: ; @_ZN7rocprim17ROCPRIM_400000_NS6detail17trampoline_kernelINS0_14default_configENS1_20scan_config_selectorIdEEZZNS1_9scan_implILNS1_25lookback_scan_determinismE0ELb0ELb0ES3_PKdPddZZZN2at6native31launch_logcumsumexp_cuda_kernelERKNSB_10TensorBaseESF_lENKUlvE_clEvENKUlvE_clEvEUlddE_dEEDaPvRmT3_T4_T5_mT6_P12ihipStream_tbENKUlT_T0_E_clISt17integral_constantIbLb0EESW_EEDaSR_SS_EUlSR_E0_NS1_11comp_targetILNS1_3genE10ELNS1_11target_archE1201ELNS1_3gpuE5ELNS1_3repE0EEENS1_30default_config_static_selectorELNS0_4arch9wavefront6targetE1EEEvT1_
; %bb.0:
	.section	.rodata,"a",@progbits
	.p2align	6, 0x0
	.amdhsa_kernel _ZN7rocprim17ROCPRIM_400000_NS6detail17trampoline_kernelINS0_14default_configENS1_20scan_config_selectorIdEEZZNS1_9scan_implILNS1_25lookback_scan_determinismE0ELb0ELb0ES3_PKdPddZZZN2at6native31launch_logcumsumexp_cuda_kernelERKNSB_10TensorBaseESF_lENKUlvE_clEvENKUlvE_clEvEUlddE_dEEDaPvRmT3_T4_T5_mT6_P12ihipStream_tbENKUlT_T0_E_clISt17integral_constantIbLb0EESW_EEDaSR_SS_EUlSR_E0_NS1_11comp_targetILNS1_3genE10ELNS1_11target_archE1201ELNS1_3gpuE5ELNS1_3repE0EEENS1_30default_config_static_selectorELNS0_4arch9wavefront6targetE1EEEvT1_
		.amdhsa_group_segment_fixed_size 0
		.amdhsa_private_segment_fixed_size 0
		.amdhsa_kernarg_size 40
		.amdhsa_user_sgpr_count 6
		.amdhsa_user_sgpr_private_segment_buffer 1
		.amdhsa_user_sgpr_dispatch_ptr 0
		.amdhsa_user_sgpr_queue_ptr 0
		.amdhsa_user_sgpr_kernarg_segment_ptr 1
		.amdhsa_user_sgpr_dispatch_id 0
		.amdhsa_user_sgpr_flat_scratch_init 0
		.amdhsa_user_sgpr_private_segment_size 0
		.amdhsa_uses_dynamic_stack 0
		.amdhsa_system_sgpr_private_segment_wavefront_offset 0
		.amdhsa_system_sgpr_workgroup_id_x 1
		.amdhsa_system_sgpr_workgroup_id_y 0
		.amdhsa_system_sgpr_workgroup_id_z 0
		.amdhsa_system_sgpr_workgroup_info 0
		.amdhsa_system_vgpr_workitem_id 0
		.amdhsa_next_free_vgpr 1
		.amdhsa_next_free_sgpr 0
		.amdhsa_reserve_vcc 0
		.amdhsa_reserve_flat_scratch 0
		.amdhsa_float_round_mode_32 0
		.amdhsa_float_round_mode_16_64 0
		.amdhsa_float_denorm_mode_32 3
		.amdhsa_float_denorm_mode_16_64 3
		.amdhsa_dx10_clamp 1
		.amdhsa_ieee_mode 1
		.amdhsa_fp16_overflow 0
		.amdhsa_exception_fp_ieee_invalid_op 0
		.amdhsa_exception_fp_denorm_src 0
		.amdhsa_exception_fp_ieee_div_zero 0
		.amdhsa_exception_fp_ieee_overflow 0
		.amdhsa_exception_fp_ieee_underflow 0
		.amdhsa_exception_fp_ieee_inexact 0
		.amdhsa_exception_int_div_zero 0
	.end_amdhsa_kernel
	.section	.text._ZN7rocprim17ROCPRIM_400000_NS6detail17trampoline_kernelINS0_14default_configENS1_20scan_config_selectorIdEEZZNS1_9scan_implILNS1_25lookback_scan_determinismE0ELb0ELb0ES3_PKdPddZZZN2at6native31launch_logcumsumexp_cuda_kernelERKNSB_10TensorBaseESF_lENKUlvE_clEvENKUlvE_clEvEUlddE_dEEDaPvRmT3_T4_T5_mT6_P12ihipStream_tbENKUlT_T0_E_clISt17integral_constantIbLb0EESW_EEDaSR_SS_EUlSR_E0_NS1_11comp_targetILNS1_3genE10ELNS1_11target_archE1201ELNS1_3gpuE5ELNS1_3repE0EEENS1_30default_config_static_selectorELNS0_4arch9wavefront6targetE1EEEvT1_,"axG",@progbits,_ZN7rocprim17ROCPRIM_400000_NS6detail17trampoline_kernelINS0_14default_configENS1_20scan_config_selectorIdEEZZNS1_9scan_implILNS1_25lookback_scan_determinismE0ELb0ELb0ES3_PKdPddZZZN2at6native31launch_logcumsumexp_cuda_kernelERKNSB_10TensorBaseESF_lENKUlvE_clEvENKUlvE_clEvEUlddE_dEEDaPvRmT3_T4_T5_mT6_P12ihipStream_tbENKUlT_T0_E_clISt17integral_constantIbLb0EESW_EEDaSR_SS_EUlSR_E0_NS1_11comp_targetILNS1_3genE10ELNS1_11target_archE1201ELNS1_3gpuE5ELNS1_3repE0EEENS1_30default_config_static_selectorELNS0_4arch9wavefront6targetE1EEEvT1_,comdat
.Lfunc_end23:
	.size	_ZN7rocprim17ROCPRIM_400000_NS6detail17trampoline_kernelINS0_14default_configENS1_20scan_config_selectorIdEEZZNS1_9scan_implILNS1_25lookback_scan_determinismE0ELb0ELb0ES3_PKdPddZZZN2at6native31launch_logcumsumexp_cuda_kernelERKNSB_10TensorBaseESF_lENKUlvE_clEvENKUlvE_clEvEUlddE_dEEDaPvRmT3_T4_T5_mT6_P12ihipStream_tbENKUlT_T0_E_clISt17integral_constantIbLb0EESW_EEDaSR_SS_EUlSR_E0_NS1_11comp_targetILNS1_3genE10ELNS1_11target_archE1201ELNS1_3gpuE5ELNS1_3repE0EEENS1_30default_config_static_selectorELNS0_4arch9wavefront6targetE1EEEvT1_, .Lfunc_end23-_ZN7rocprim17ROCPRIM_400000_NS6detail17trampoline_kernelINS0_14default_configENS1_20scan_config_selectorIdEEZZNS1_9scan_implILNS1_25lookback_scan_determinismE0ELb0ELb0ES3_PKdPddZZZN2at6native31launch_logcumsumexp_cuda_kernelERKNSB_10TensorBaseESF_lENKUlvE_clEvENKUlvE_clEvEUlddE_dEEDaPvRmT3_T4_T5_mT6_P12ihipStream_tbENKUlT_T0_E_clISt17integral_constantIbLb0EESW_EEDaSR_SS_EUlSR_E0_NS1_11comp_targetILNS1_3genE10ELNS1_11target_archE1201ELNS1_3gpuE5ELNS1_3repE0EEENS1_30default_config_static_selectorELNS0_4arch9wavefront6targetE1EEEvT1_
                                        ; -- End function
	.set _ZN7rocprim17ROCPRIM_400000_NS6detail17trampoline_kernelINS0_14default_configENS1_20scan_config_selectorIdEEZZNS1_9scan_implILNS1_25lookback_scan_determinismE0ELb0ELb0ES3_PKdPddZZZN2at6native31launch_logcumsumexp_cuda_kernelERKNSB_10TensorBaseESF_lENKUlvE_clEvENKUlvE_clEvEUlddE_dEEDaPvRmT3_T4_T5_mT6_P12ihipStream_tbENKUlT_T0_E_clISt17integral_constantIbLb0EESW_EEDaSR_SS_EUlSR_E0_NS1_11comp_targetILNS1_3genE10ELNS1_11target_archE1201ELNS1_3gpuE5ELNS1_3repE0EEENS1_30default_config_static_selectorELNS0_4arch9wavefront6targetE1EEEvT1_.num_vgpr, 0
	.set _ZN7rocprim17ROCPRIM_400000_NS6detail17trampoline_kernelINS0_14default_configENS1_20scan_config_selectorIdEEZZNS1_9scan_implILNS1_25lookback_scan_determinismE0ELb0ELb0ES3_PKdPddZZZN2at6native31launch_logcumsumexp_cuda_kernelERKNSB_10TensorBaseESF_lENKUlvE_clEvENKUlvE_clEvEUlddE_dEEDaPvRmT3_T4_T5_mT6_P12ihipStream_tbENKUlT_T0_E_clISt17integral_constantIbLb0EESW_EEDaSR_SS_EUlSR_E0_NS1_11comp_targetILNS1_3genE10ELNS1_11target_archE1201ELNS1_3gpuE5ELNS1_3repE0EEENS1_30default_config_static_selectorELNS0_4arch9wavefront6targetE1EEEvT1_.num_agpr, 0
	.set _ZN7rocprim17ROCPRIM_400000_NS6detail17trampoline_kernelINS0_14default_configENS1_20scan_config_selectorIdEEZZNS1_9scan_implILNS1_25lookback_scan_determinismE0ELb0ELb0ES3_PKdPddZZZN2at6native31launch_logcumsumexp_cuda_kernelERKNSB_10TensorBaseESF_lENKUlvE_clEvENKUlvE_clEvEUlddE_dEEDaPvRmT3_T4_T5_mT6_P12ihipStream_tbENKUlT_T0_E_clISt17integral_constantIbLb0EESW_EEDaSR_SS_EUlSR_E0_NS1_11comp_targetILNS1_3genE10ELNS1_11target_archE1201ELNS1_3gpuE5ELNS1_3repE0EEENS1_30default_config_static_selectorELNS0_4arch9wavefront6targetE1EEEvT1_.numbered_sgpr, 0
	.set _ZN7rocprim17ROCPRIM_400000_NS6detail17trampoline_kernelINS0_14default_configENS1_20scan_config_selectorIdEEZZNS1_9scan_implILNS1_25lookback_scan_determinismE0ELb0ELb0ES3_PKdPddZZZN2at6native31launch_logcumsumexp_cuda_kernelERKNSB_10TensorBaseESF_lENKUlvE_clEvENKUlvE_clEvEUlddE_dEEDaPvRmT3_T4_T5_mT6_P12ihipStream_tbENKUlT_T0_E_clISt17integral_constantIbLb0EESW_EEDaSR_SS_EUlSR_E0_NS1_11comp_targetILNS1_3genE10ELNS1_11target_archE1201ELNS1_3gpuE5ELNS1_3repE0EEENS1_30default_config_static_selectorELNS0_4arch9wavefront6targetE1EEEvT1_.num_named_barrier, 0
	.set _ZN7rocprim17ROCPRIM_400000_NS6detail17trampoline_kernelINS0_14default_configENS1_20scan_config_selectorIdEEZZNS1_9scan_implILNS1_25lookback_scan_determinismE0ELb0ELb0ES3_PKdPddZZZN2at6native31launch_logcumsumexp_cuda_kernelERKNSB_10TensorBaseESF_lENKUlvE_clEvENKUlvE_clEvEUlddE_dEEDaPvRmT3_T4_T5_mT6_P12ihipStream_tbENKUlT_T0_E_clISt17integral_constantIbLb0EESW_EEDaSR_SS_EUlSR_E0_NS1_11comp_targetILNS1_3genE10ELNS1_11target_archE1201ELNS1_3gpuE5ELNS1_3repE0EEENS1_30default_config_static_selectorELNS0_4arch9wavefront6targetE1EEEvT1_.private_seg_size, 0
	.set _ZN7rocprim17ROCPRIM_400000_NS6detail17trampoline_kernelINS0_14default_configENS1_20scan_config_selectorIdEEZZNS1_9scan_implILNS1_25lookback_scan_determinismE0ELb0ELb0ES3_PKdPddZZZN2at6native31launch_logcumsumexp_cuda_kernelERKNSB_10TensorBaseESF_lENKUlvE_clEvENKUlvE_clEvEUlddE_dEEDaPvRmT3_T4_T5_mT6_P12ihipStream_tbENKUlT_T0_E_clISt17integral_constantIbLb0EESW_EEDaSR_SS_EUlSR_E0_NS1_11comp_targetILNS1_3genE10ELNS1_11target_archE1201ELNS1_3gpuE5ELNS1_3repE0EEENS1_30default_config_static_selectorELNS0_4arch9wavefront6targetE1EEEvT1_.uses_vcc, 0
	.set _ZN7rocprim17ROCPRIM_400000_NS6detail17trampoline_kernelINS0_14default_configENS1_20scan_config_selectorIdEEZZNS1_9scan_implILNS1_25lookback_scan_determinismE0ELb0ELb0ES3_PKdPddZZZN2at6native31launch_logcumsumexp_cuda_kernelERKNSB_10TensorBaseESF_lENKUlvE_clEvENKUlvE_clEvEUlddE_dEEDaPvRmT3_T4_T5_mT6_P12ihipStream_tbENKUlT_T0_E_clISt17integral_constantIbLb0EESW_EEDaSR_SS_EUlSR_E0_NS1_11comp_targetILNS1_3genE10ELNS1_11target_archE1201ELNS1_3gpuE5ELNS1_3repE0EEENS1_30default_config_static_selectorELNS0_4arch9wavefront6targetE1EEEvT1_.uses_flat_scratch, 0
	.set _ZN7rocprim17ROCPRIM_400000_NS6detail17trampoline_kernelINS0_14default_configENS1_20scan_config_selectorIdEEZZNS1_9scan_implILNS1_25lookback_scan_determinismE0ELb0ELb0ES3_PKdPddZZZN2at6native31launch_logcumsumexp_cuda_kernelERKNSB_10TensorBaseESF_lENKUlvE_clEvENKUlvE_clEvEUlddE_dEEDaPvRmT3_T4_T5_mT6_P12ihipStream_tbENKUlT_T0_E_clISt17integral_constantIbLb0EESW_EEDaSR_SS_EUlSR_E0_NS1_11comp_targetILNS1_3genE10ELNS1_11target_archE1201ELNS1_3gpuE5ELNS1_3repE0EEENS1_30default_config_static_selectorELNS0_4arch9wavefront6targetE1EEEvT1_.has_dyn_sized_stack, 0
	.set _ZN7rocprim17ROCPRIM_400000_NS6detail17trampoline_kernelINS0_14default_configENS1_20scan_config_selectorIdEEZZNS1_9scan_implILNS1_25lookback_scan_determinismE0ELb0ELb0ES3_PKdPddZZZN2at6native31launch_logcumsumexp_cuda_kernelERKNSB_10TensorBaseESF_lENKUlvE_clEvENKUlvE_clEvEUlddE_dEEDaPvRmT3_T4_T5_mT6_P12ihipStream_tbENKUlT_T0_E_clISt17integral_constantIbLb0EESW_EEDaSR_SS_EUlSR_E0_NS1_11comp_targetILNS1_3genE10ELNS1_11target_archE1201ELNS1_3gpuE5ELNS1_3repE0EEENS1_30default_config_static_selectorELNS0_4arch9wavefront6targetE1EEEvT1_.has_recursion, 0
	.set _ZN7rocprim17ROCPRIM_400000_NS6detail17trampoline_kernelINS0_14default_configENS1_20scan_config_selectorIdEEZZNS1_9scan_implILNS1_25lookback_scan_determinismE0ELb0ELb0ES3_PKdPddZZZN2at6native31launch_logcumsumexp_cuda_kernelERKNSB_10TensorBaseESF_lENKUlvE_clEvENKUlvE_clEvEUlddE_dEEDaPvRmT3_T4_T5_mT6_P12ihipStream_tbENKUlT_T0_E_clISt17integral_constantIbLb0EESW_EEDaSR_SS_EUlSR_E0_NS1_11comp_targetILNS1_3genE10ELNS1_11target_archE1201ELNS1_3gpuE5ELNS1_3repE0EEENS1_30default_config_static_selectorELNS0_4arch9wavefront6targetE1EEEvT1_.has_indirect_call, 0
	.section	.AMDGPU.csdata,"",@progbits
; Kernel info:
; codeLenInByte = 0
; TotalNumSgprs: 4
; NumVgprs: 0
; ScratchSize: 0
; MemoryBound: 0
; FloatMode: 240
; IeeeMode: 1
; LDSByteSize: 0 bytes/workgroup (compile time only)
; SGPRBlocks: 0
; VGPRBlocks: 0
; NumSGPRsForWavesPerEU: 4
; NumVGPRsForWavesPerEU: 1
; Occupancy: 10
; WaveLimiterHint : 0
; COMPUTE_PGM_RSRC2:SCRATCH_EN: 0
; COMPUTE_PGM_RSRC2:USER_SGPR: 6
; COMPUTE_PGM_RSRC2:TRAP_HANDLER: 0
; COMPUTE_PGM_RSRC2:TGID_X_EN: 1
; COMPUTE_PGM_RSRC2:TGID_Y_EN: 0
; COMPUTE_PGM_RSRC2:TGID_Z_EN: 0
; COMPUTE_PGM_RSRC2:TIDIG_COMP_CNT: 0
	.section	.text._ZN7rocprim17ROCPRIM_400000_NS6detail17trampoline_kernelINS0_14default_configENS1_20scan_config_selectorIdEEZZNS1_9scan_implILNS1_25lookback_scan_determinismE0ELb0ELb0ES3_PKdPddZZZN2at6native31launch_logcumsumexp_cuda_kernelERKNSB_10TensorBaseESF_lENKUlvE_clEvENKUlvE_clEvEUlddE_dEEDaPvRmT3_T4_T5_mT6_P12ihipStream_tbENKUlT_T0_E_clISt17integral_constantIbLb0EESW_EEDaSR_SS_EUlSR_E0_NS1_11comp_targetILNS1_3genE10ELNS1_11target_archE1200ELNS1_3gpuE4ELNS1_3repE0EEENS1_30default_config_static_selectorELNS0_4arch9wavefront6targetE1EEEvT1_,"axG",@progbits,_ZN7rocprim17ROCPRIM_400000_NS6detail17trampoline_kernelINS0_14default_configENS1_20scan_config_selectorIdEEZZNS1_9scan_implILNS1_25lookback_scan_determinismE0ELb0ELb0ES3_PKdPddZZZN2at6native31launch_logcumsumexp_cuda_kernelERKNSB_10TensorBaseESF_lENKUlvE_clEvENKUlvE_clEvEUlddE_dEEDaPvRmT3_T4_T5_mT6_P12ihipStream_tbENKUlT_T0_E_clISt17integral_constantIbLb0EESW_EEDaSR_SS_EUlSR_E0_NS1_11comp_targetILNS1_3genE10ELNS1_11target_archE1200ELNS1_3gpuE4ELNS1_3repE0EEENS1_30default_config_static_selectorELNS0_4arch9wavefront6targetE1EEEvT1_,comdat
	.globl	_ZN7rocprim17ROCPRIM_400000_NS6detail17trampoline_kernelINS0_14default_configENS1_20scan_config_selectorIdEEZZNS1_9scan_implILNS1_25lookback_scan_determinismE0ELb0ELb0ES3_PKdPddZZZN2at6native31launch_logcumsumexp_cuda_kernelERKNSB_10TensorBaseESF_lENKUlvE_clEvENKUlvE_clEvEUlddE_dEEDaPvRmT3_T4_T5_mT6_P12ihipStream_tbENKUlT_T0_E_clISt17integral_constantIbLb0EESW_EEDaSR_SS_EUlSR_E0_NS1_11comp_targetILNS1_3genE10ELNS1_11target_archE1200ELNS1_3gpuE4ELNS1_3repE0EEENS1_30default_config_static_selectorELNS0_4arch9wavefront6targetE1EEEvT1_ ; -- Begin function _ZN7rocprim17ROCPRIM_400000_NS6detail17trampoline_kernelINS0_14default_configENS1_20scan_config_selectorIdEEZZNS1_9scan_implILNS1_25lookback_scan_determinismE0ELb0ELb0ES3_PKdPddZZZN2at6native31launch_logcumsumexp_cuda_kernelERKNSB_10TensorBaseESF_lENKUlvE_clEvENKUlvE_clEvEUlddE_dEEDaPvRmT3_T4_T5_mT6_P12ihipStream_tbENKUlT_T0_E_clISt17integral_constantIbLb0EESW_EEDaSR_SS_EUlSR_E0_NS1_11comp_targetILNS1_3genE10ELNS1_11target_archE1200ELNS1_3gpuE4ELNS1_3repE0EEENS1_30default_config_static_selectorELNS0_4arch9wavefront6targetE1EEEvT1_
	.p2align	8
	.type	_ZN7rocprim17ROCPRIM_400000_NS6detail17trampoline_kernelINS0_14default_configENS1_20scan_config_selectorIdEEZZNS1_9scan_implILNS1_25lookback_scan_determinismE0ELb0ELb0ES3_PKdPddZZZN2at6native31launch_logcumsumexp_cuda_kernelERKNSB_10TensorBaseESF_lENKUlvE_clEvENKUlvE_clEvEUlddE_dEEDaPvRmT3_T4_T5_mT6_P12ihipStream_tbENKUlT_T0_E_clISt17integral_constantIbLb0EESW_EEDaSR_SS_EUlSR_E0_NS1_11comp_targetILNS1_3genE10ELNS1_11target_archE1200ELNS1_3gpuE4ELNS1_3repE0EEENS1_30default_config_static_selectorELNS0_4arch9wavefront6targetE1EEEvT1_,@function
_ZN7rocprim17ROCPRIM_400000_NS6detail17trampoline_kernelINS0_14default_configENS1_20scan_config_selectorIdEEZZNS1_9scan_implILNS1_25lookback_scan_determinismE0ELb0ELb0ES3_PKdPddZZZN2at6native31launch_logcumsumexp_cuda_kernelERKNSB_10TensorBaseESF_lENKUlvE_clEvENKUlvE_clEvEUlddE_dEEDaPvRmT3_T4_T5_mT6_P12ihipStream_tbENKUlT_T0_E_clISt17integral_constantIbLb0EESW_EEDaSR_SS_EUlSR_E0_NS1_11comp_targetILNS1_3genE10ELNS1_11target_archE1200ELNS1_3gpuE4ELNS1_3repE0EEENS1_30default_config_static_selectorELNS0_4arch9wavefront6targetE1EEEvT1_: ; @_ZN7rocprim17ROCPRIM_400000_NS6detail17trampoline_kernelINS0_14default_configENS1_20scan_config_selectorIdEEZZNS1_9scan_implILNS1_25lookback_scan_determinismE0ELb0ELb0ES3_PKdPddZZZN2at6native31launch_logcumsumexp_cuda_kernelERKNSB_10TensorBaseESF_lENKUlvE_clEvENKUlvE_clEvEUlddE_dEEDaPvRmT3_T4_T5_mT6_P12ihipStream_tbENKUlT_T0_E_clISt17integral_constantIbLb0EESW_EEDaSR_SS_EUlSR_E0_NS1_11comp_targetILNS1_3genE10ELNS1_11target_archE1200ELNS1_3gpuE4ELNS1_3repE0EEENS1_30default_config_static_selectorELNS0_4arch9wavefront6targetE1EEEvT1_
; %bb.0:
	.section	.rodata,"a",@progbits
	.p2align	6, 0x0
	.amdhsa_kernel _ZN7rocprim17ROCPRIM_400000_NS6detail17trampoline_kernelINS0_14default_configENS1_20scan_config_selectorIdEEZZNS1_9scan_implILNS1_25lookback_scan_determinismE0ELb0ELb0ES3_PKdPddZZZN2at6native31launch_logcumsumexp_cuda_kernelERKNSB_10TensorBaseESF_lENKUlvE_clEvENKUlvE_clEvEUlddE_dEEDaPvRmT3_T4_T5_mT6_P12ihipStream_tbENKUlT_T0_E_clISt17integral_constantIbLb0EESW_EEDaSR_SS_EUlSR_E0_NS1_11comp_targetILNS1_3genE10ELNS1_11target_archE1200ELNS1_3gpuE4ELNS1_3repE0EEENS1_30default_config_static_selectorELNS0_4arch9wavefront6targetE1EEEvT1_
		.amdhsa_group_segment_fixed_size 0
		.amdhsa_private_segment_fixed_size 0
		.amdhsa_kernarg_size 40
		.amdhsa_user_sgpr_count 6
		.amdhsa_user_sgpr_private_segment_buffer 1
		.amdhsa_user_sgpr_dispatch_ptr 0
		.amdhsa_user_sgpr_queue_ptr 0
		.amdhsa_user_sgpr_kernarg_segment_ptr 1
		.amdhsa_user_sgpr_dispatch_id 0
		.amdhsa_user_sgpr_flat_scratch_init 0
		.amdhsa_user_sgpr_private_segment_size 0
		.amdhsa_uses_dynamic_stack 0
		.amdhsa_system_sgpr_private_segment_wavefront_offset 0
		.amdhsa_system_sgpr_workgroup_id_x 1
		.amdhsa_system_sgpr_workgroup_id_y 0
		.amdhsa_system_sgpr_workgroup_id_z 0
		.amdhsa_system_sgpr_workgroup_info 0
		.amdhsa_system_vgpr_workitem_id 0
		.amdhsa_next_free_vgpr 1
		.amdhsa_next_free_sgpr 0
		.amdhsa_reserve_vcc 0
		.amdhsa_reserve_flat_scratch 0
		.amdhsa_float_round_mode_32 0
		.amdhsa_float_round_mode_16_64 0
		.amdhsa_float_denorm_mode_32 3
		.amdhsa_float_denorm_mode_16_64 3
		.amdhsa_dx10_clamp 1
		.amdhsa_ieee_mode 1
		.amdhsa_fp16_overflow 0
		.amdhsa_exception_fp_ieee_invalid_op 0
		.amdhsa_exception_fp_denorm_src 0
		.amdhsa_exception_fp_ieee_div_zero 0
		.amdhsa_exception_fp_ieee_overflow 0
		.amdhsa_exception_fp_ieee_underflow 0
		.amdhsa_exception_fp_ieee_inexact 0
		.amdhsa_exception_int_div_zero 0
	.end_amdhsa_kernel
	.section	.text._ZN7rocprim17ROCPRIM_400000_NS6detail17trampoline_kernelINS0_14default_configENS1_20scan_config_selectorIdEEZZNS1_9scan_implILNS1_25lookback_scan_determinismE0ELb0ELb0ES3_PKdPddZZZN2at6native31launch_logcumsumexp_cuda_kernelERKNSB_10TensorBaseESF_lENKUlvE_clEvENKUlvE_clEvEUlddE_dEEDaPvRmT3_T4_T5_mT6_P12ihipStream_tbENKUlT_T0_E_clISt17integral_constantIbLb0EESW_EEDaSR_SS_EUlSR_E0_NS1_11comp_targetILNS1_3genE10ELNS1_11target_archE1200ELNS1_3gpuE4ELNS1_3repE0EEENS1_30default_config_static_selectorELNS0_4arch9wavefront6targetE1EEEvT1_,"axG",@progbits,_ZN7rocprim17ROCPRIM_400000_NS6detail17trampoline_kernelINS0_14default_configENS1_20scan_config_selectorIdEEZZNS1_9scan_implILNS1_25lookback_scan_determinismE0ELb0ELb0ES3_PKdPddZZZN2at6native31launch_logcumsumexp_cuda_kernelERKNSB_10TensorBaseESF_lENKUlvE_clEvENKUlvE_clEvEUlddE_dEEDaPvRmT3_T4_T5_mT6_P12ihipStream_tbENKUlT_T0_E_clISt17integral_constantIbLb0EESW_EEDaSR_SS_EUlSR_E0_NS1_11comp_targetILNS1_3genE10ELNS1_11target_archE1200ELNS1_3gpuE4ELNS1_3repE0EEENS1_30default_config_static_selectorELNS0_4arch9wavefront6targetE1EEEvT1_,comdat
.Lfunc_end24:
	.size	_ZN7rocprim17ROCPRIM_400000_NS6detail17trampoline_kernelINS0_14default_configENS1_20scan_config_selectorIdEEZZNS1_9scan_implILNS1_25lookback_scan_determinismE0ELb0ELb0ES3_PKdPddZZZN2at6native31launch_logcumsumexp_cuda_kernelERKNSB_10TensorBaseESF_lENKUlvE_clEvENKUlvE_clEvEUlddE_dEEDaPvRmT3_T4_T5_mT6_P12ihipStream_tbENKUlT_T0_E_clISt17integral_constantIbLb0EESW_EEDaSR_SS_EUlSR_E0_NS1_11comp_targetILNS1_3genE10ELNS1_11target_archE1200ELNS1_3gpuE4ELNS1_3repE0EEENS1_30default_config_static_selectorELNS0_4arch9wavefront6targetE1EEEvT1_, .Lfunc_end24-_ZN7rocprim17ROCPRIM_400000_NS6detail17trampoline_kernelINS0_14default_configENS1_20scan_config_selectorIdEEZZNS1_9scan_implILNS1_25lookback_scan_determinismE0ELb0ELb0ES3_PKdPddZZZN2at6native31launch_logcumsumexp_cuda_kernelERKNSB_10TensorBaseESF_lENKUlvE_clEvENKUlvE_clEvEUlddE_dEEDaPvRmT3_T4_T5_mT6_P12ihipStream_tbENKUlT_T0_E_clISt17integral_constantIbLb0EESW_EEDaSR_SS_EUlSR_E0_NS1_11comp_targetILNS1_3genE10ELNS1_11target_archE1200ELNS1_3gpuE4ELNS1_3repE0EEENS1_30default_config_static_selectorELNS0_4arch9wavefront6targetE1EEEvT1_
                                        ; -- End function
	.set _ZN7rocprim17ROCPRIM_400000_NS6detail17trampoline_kernelINS0_14default_configENS1_20scan_config_selectorIdEEZZNS1_9scan_implILNS1_25lookback_scan_determinismE0ELb0ELb0ES3_PKdPddZZZN2at6native31launch_logcumsumexp_cuda_kernelERKNSB_10TensorBaseESF_lENKUlvE_clEvENKUlvE_clEvEUlddE_dEEDaPvRmT3_T4_T5_mT6_P12ihipStream_tbENKUlT_T0_E_clISt17integral_constantIbLb0EESW_EEDaSR_SS_EUlSR_E0_NS1_11comp_targetILNS1_3genE10ELNS1_11target_archE1200ELNS1_3gpuE4ELNS1_3repE0EEENS1_30default_config_static_selectorELNS0_4arch9wavefront6targetE1EEEvT1_.num_vgpr, 0
	.set _ZN7rocprim17ROCPRIM_400000_NS6detail17trampoline_kernelINS0_14default_configENS1_20scan_config_selectorIdEEZZNS1_9scan_implILNS1_25lookback_scan_determinismE0ELb0ELb0ES3_PKdPddZZZN2at6native31launch_logcumsumexp_cuda_kernelERKNSB_10TensorBaseESF_lENKUlvE_clEvENKUlvE_clEvEUlddE_dEEDaPvRmT3_T4_T5_mT6_P12ihipStream_tbENKUlT_T0_E_clISt17integral_constantIbLb0EESW_EEDaSR_SS_EUlSR_E0_NS1_11comp_targetILNS1_3genE10ELNS1_11target_archE1200ELNS1_3gpuE4ELNS1_3repE0EEENS1_30default_config_static_selectorELNS0_4arch9wavefront6targetE1EEEvT1_.num_agpr, 0
	.set _ZN7rocprim17ROCPRIM_400000_NS6detail17trampoline_kernelINS0_14default_configENS1_20scan_config_selectorIdEEZZNS1_9scan_implILNS1_25lookback_scan_determinismE0ELb0ELb0ES3_PKdPddZZZN2at6native31launch_logcumsumexp_cuda_kernelERKNSB_10TensorBaseESF_lENKUlvE_clEvENKUlvE_clEvEUlddE_dEEDaPvRmT3_T4_T5_mT6_P12ihipStream_tbENKUlT_T0_E_clISt17integral_constantIbLb0EESW_EEDaSR_SS_EUlSR_E0_NS1_11comp_targetILNS1_3genE10ELNS1_11target_archE1200ELNS1_3gpuE4ELNS1_3repE0EEENS1_30default_config_static_selectorELNS0_4arch9wavefront6targetE1EEEvT1_.numbered_sgpr, 0
	.set _ZN7rocprim17ROCPRIM_400000_NS6detail17trampoline_kernelINS0_14default_configENS1_20scan_config_selectorIdEEZZNS1_9scan_implILNS1_25lookback_scan_determinismE0ELb0ELb0ES3_PKdPddZZZN2at6native31launch_logcumsumexp_cuda_kernelERKNSB_10TensorBaseESF_lENKUlvE_clEvENKUlvE_clEvEUlddE_dEEDaPvRmT3_T4_T5_mT6_P12ihipStream_tbENKUlT_T0_E_clISt17integral_constantIbLb0EESW_EEDaSR_SS_EUlSR_E0_NS1_11comp_targetILNS1_3genE10ELNS1_11target_archE1200ELNS1_3gpuE4ELNS1_3repE0EEENS1_30default_config_static_selectorELNS0_4arch9wavefront6targetE1EEEvT1_.num_named_barrier, 0
	.set _ZN7rocprim17ROCPRIM_400000_NS6detail17trampoline_kernelINS0_14default_configENS1_20scan_config_selectorIdEEZZNS1_9scan_implILNS1_25lookback_scan_determinismE0ELb0ELb0ES3_PKdPddZZZN2at6native31launch_logcumsumexp_cuda_kernelERKNSB_10TensorBaseESF_lENKUlvE_clEvENKUlvE_clEvEUlddE_dEEDaPvRmT3_T4_T5_mT6_P12ihipStream_tbENKUlT_T0_E_clISt17integral_constantIbLb0EESW_EEDaSR_SS_EUlSR_E0_NS1_11comp_targetILNS1_3genE10ELNS1_11target_archE1200ELNS1_3gpuE4ELNS1_3repE0EEENS1_30default_config_static_selectorELNS0_4arch9wavefront6targetE1EEEvT1_.private_seg_size, 0
	.set _ZN7rocprim17ROCPRIM_400000_NS6detail17trampoline_kernelINS0_14default_configENS1_20scan_config_selectorIdEEZZNS1_9scan_implILNS1_25lookback_scan_determinismE0ELb0ELb0ES3_PKdPddZZZN2at6native31launch_logcumsumexp_cuda_kernelERKNSB_10TensorBaseESF_lENKUlvE_clEvENKUlvE_clEvEUlddE_dEEDaPvRmT3_T4_T5_mT6_P12ihipStream_tbENKUlT_T0_E_clISt17integral_constantIbLb0EESW_EEDaSR_SS_EUlSR_E0_NS1_11comp_targetILNS1_3genE10ELNS1_11target_archE1200ELNS1_3gpuE4ELNS1_3repE0EEENS1_30default_config_static_selectorELNS0_4arch9wavefront6targetE1EEEvT1_.uses_vcc, 0
	.set _ZN7rocprim17ROCPRIM_400000_NS6detail17trampoline_kernelINS0_14default_configENS1_20scan_config_selectorIdEEZZNS1_9scan_implILNS1_25lookback_scan_determinismE0ELb0ELb0ES3_PKdPddZZZN2at6native31launch_logcumsumexp_cuda_kernelERKNSB_10TensorBaseESF_lENKUlvE_clEvENKUlvE_clEvEUlddE_dEEDaPvRmT3_T4_T5_mT6_P12ihipStream_tbENKUlT_T0_E_clISt17integral_constantIbLb0EESW_EEDaSR_SS_EUlSR_E0_NS1_11comp_targetILNS1_3genE10ELNS1_11target_archE1200ELNS1_3gpuE4ELNS1_3repE0EEENS1_30default_config_static_selectorELNS0_4arch9wavefront6targetE1EEEvT1_.uses_flat_scratch, 0
	.set _ZN7rocprim17ROCPRIM_400000_NS6detail17trampoline_kernelINS0_14default_configENS1_20scan_config_selectorIdEEZZNS1_9scan_implILNS1_25lookback_scan_determinismE0ELb0ELb0ES3_PKdPddZZZN2at6native31launch_logcumsumexp_cuda_kernelERKNSB_10TensorBaseESF_lENKUlvE_clEvENKUlvE_clEvEUlddE_dEEDaPvRmT3_T4_T5_mT6_P12ihipStream_tbENKUlT_T0_E_clISt17integral_constantIbLb0EESW_EEDaSR_SS_EUlSR_E0_NS1_11comp_targetILNS1_3genE10ELNS1_11target_archE1200ELNS1_3gpuE4ELNS1_3repE0EEENS1_30default_config_static_selectorELNS0_4arch9wavefront6targetE1EEEvT1_.has_dyn_sized_stack, 0
	.set _ZN7rocprim17ROCPRIM_400000_NS6detail17trampoline_kernelINS0_14default_configENS1_20scan_config_selectorIdEEZZNS1_9scan_implILNS1_25lookback_scan_determinismE0ELb0ELb0ES3_PKdPddZZZN2at6native31launch_logcumsumexp_cuda_kernelERKNSB_10TensorBaseESF_lENKUlvE_clEvENKUlvE_clEvEUlddE_dEEDaPvRmT3_T4_T5_mT6_P12ihipStream_tbENKUlT_T0_E_clISt17integral_constantIbLb0EESW_EEDaSR_SS_EUlSR_E0_NS1_11comp_targetILNS1_3genE10ELNS1_11target_archE1200ELNS1_3gpuE4ELNS1_3repE0EEENS1_30default_config_static_selectorELNS0_4arch9wavefront6targetE1EEEvT1_.has_recursion, 0
	.set _ZN7rocprim17ROCPRIM_400000_NS6detail17trampoline_kernelINS0_14default_configENS1_20scan_config_selectorIdEEZZNS1_9scan_implILNS1_25lookback_scan_determinismE0ELb0ELb0ES3_PKdPddZZZN2at6native31launch_logcumsumexp_cuda_kernelERKNSB_10TensorBaseESF_lENKUlvE_clEvENKUlvE_clEvEUlddE_dEEDaPvRmT3_T4_T5_mT6_P12ihipStream_tbENKUlT_T0_E_clISt17integral_constantIbLb0EESW_EEDaSR_SS_EUlSR_E0_NS1_11comp_targetILNS1_3genE10ELNS1_11target_archE1200ELNS1_3gpuE4ELNS1_3repE0EEENS1_30default_config_static_selectorELNS0_4arch9wavefront6targetE1EEEvT1_.has_indirect_call, 0
	.section	.AMDGPU.csdata,"",@progbits
; Kernel info:
; codeLenInByte = 0
; TotalNumSgprs: 4
; NumVgprs: 0
; ScratchSize: 0
; MemoryBound: 0
; FloatMode: 240
; IeeeMode: 1
; LDSByteSize: 0 bytes/workgroup (compile time only)
; SGPRBlocks: 0
; VGPRBlocks: 0
; NumSGPRsForWavesPerEU: 4
; NumVGPRsForWavesPerEU: 1
; Occupancy: 10
; WaveLimiterHint : 0
; COMPUTE_PGM_RSRC2:SCRATCH_EN: 0
; COMPUTE_PGM_RSRC2:USER_SGPR: 6
; COMPUTE_PGM_RSRC2:TRAP_HANDLER: 0
; COMPUTE_PGM_RSRC2:TGID_X_EN: 1
; COMPUTE_PGM_RSRC2:TGID_Y_EN: 0
; COMPUTE_PGM_RSRC2:TGID_Z_EN: 0
; COMPUTE_PGM_RSRC2:TIDIG_COMP_CNT: 0
	.section	.text._ZN7rocprim17ROCPRIM_400000_NS6detail17trampoline_kernelINS0_14default_configENS1_20scan_config_selectorIdEEZZNS1_9scan_implILNS1_25lookback_scan_determinismE0ELb0ELb0ES3_PKdPddZZZN2at6native31launch_logcumsumexp_cuda_kernelERKNSB_10TensorBaseESF_lENKUlvE_clEvENKUlvE_clEvEUlddE_dEEDaPvRmT3_T4_T5_mT6_P12ihipStream_tbENKUlT_T0_E_clISt17integral_constantIbLb0EESW_EEDaSR_SS_EUlSR_E0_NS1_11comp_targetILNS1_3genE9ELNS1_11target_archE1100ELNS1_3gpuE3ELNS1_3repE0EEENS1_30default_config_static_selectorELNS0_4arch9wavefront6targetE1EEEvT1_,"axG",@progbits,_ZN7rocprim17ROCPRIM_400000_NS6detail17trampoline_kernelINS0_14default_configENS1_20scan_config_selectorIdEEZZNS1_9scan_implILNS1_25lookback_scan_determinismE0ELb0ELb0ES3_PKdPddZZZN2at6native31launch_logcumsumexp_cuda_kernelERKNSB_10TensorBaseESF_lENKUlvE_clEvENKUlvE_clEvEUlddE_dEEDaPvRmT3_T4_T5_mT6_P12ihipStream_tbENKUlT_T0_E_clISt17integral_constantIbLb0EESW_EEDaSR_SS_EUlSR_E0_NS1_11comp_targetILNS1_3genE9ELNS1_11target_archE1100ELNS1_3gpuE3ELNS1_3repE0EEENS1_30default_config_static_selectorELNS0_4arch9wavefront6targetE1EEEvT1_,comdat
	.globl	_ZN7rocprim17ROCPRIM_400000_NS6detail17trampoline_kernelINS0_14default_configENS1_20scan_config_selectorIdEEZZNS1_9scan_implILNS1_25lookback_scan_determinismE0ELb0ELb0ES3_PKdPddZZZN2at6native31launch_logcumsumexp_cuda_kernelERKNSB_10TensorBaseESF_lENKUlvE_clEvENKUlvE_clEvEUlddE_dEEDaPvRmT3_T4_T5_mT6_P12ihipStream_tbENKUlT_T0_E_clISt17integral_constantIbLb0EESW_EEDaSR_SS_EUlSR_E0_NS1_11comp_targetILNS1_3genE9ELNS1_11target_archE1100ELNS1_3gpuE3ELNS1_3repE0EEENS1_30default_config_static_selectorELNS0_4arch9wavefront6targetE1EEEvT1_ ; -- Begin function _ZN7rocprim17ROCPRIM_400000_NS6detail17trampoline_kernelINS0_14default_configENS1_20scan_config_selectorIdEEZZNS1_9scan_implILNS1_25lookback_scan_determinismE0ELb0ELb0ES3_PKdPddZZZN2at6native31launch_logcumsumexp_cuda_kernelERKNSB_10TensorBaseESF_lENKUlvE_clEvENKUlvE_clEvEUlddE_dEEDaPvRmT3_T4_T5_mT6_P12ihipStream_tbENKUlT_T0_E_clISt17integral_constantIbLb0EESW_EEDaSR_SS_EUlSR_E0_NS1_11comp_targetILNS1_3genE9ELNS1_11target_archE1100ELNS1_3gpuE3ELNS1_3repE0EEENS1_30default_config_static_selectorELNS0_4arch9wavefront6targetE1EEEvT1_
	.p2align	8
	.type	_ZN7rocprim17ROCPRIM_400000_NS6detail17trampoline_kernelINS0_14default_configENS1_20scan_config_selectorIdEEZZNS1_9scan_implILNS1_25lookback_scan_determinismE0ELb0ELb0ES3_PKdPddZZZN2at6native31launch_logcumsumexp_cuda_kernelERKNSB_10TensorBaseESF_lENKUlvE_clEvENKUlvE_clEvEUlddE_dEEDaPvRmT3_T4_T5_mT6_P12ihipStream_tbENKUlT_T0_E_clISt17integral_constantIbLb0EESW_EEDaSR_SS_EUlSR_E0_NS1_11comp_targetILNS1_3genE9ELNS1_11target_archE1100ELNS1_3gpuE3ELNS1_3repE0EEENS1_30default_config_static_selectorELNS0_4arch9wavefront6targetE1EEEvT1_,@function
_ZN7rocprim17ROCPRIM_400000_NS6detail17trampoline_kernelINS0_14default_configENS1_20scan_config_selectorIdEEZZNS1_9scan_implILNS1_25lookback_scan_determinismE0ELb0ELb0ES3_PKdPddZZZN2at6native31launch_logcumsumexp_cuda_kernelERKNSB_10TensorBaseESF_lENKUlvE_clEvENKUlvE_clEvEUlddE_dEEDaPvRmT3_T4_T5_mT6_P12ihipStream_tbENKUlT_T0_E_clISt17integral_constantIbLb0EESW_EEDaSR_SS_EUlSR_E0_NS1_11comp_targetILNS1_3genE9ELNS1_11target_archE1100ELNS1_3gpuE3ELNS1_3repE0EEENS1_30default_config_static_selectorELNS0_4arch9wavefront6targetE1EEEvT1_: ; @_ZN7rocprim17ROCPRIM_400000_NS6detail17trampoline_kernelINS0_14default_configENS1_20scan_config_selectorIdEEZZNS1_9scan_implILNS1_25lookback_scan_determinismE0ELb0ELb0ES3_PKdPddZZZN2at6native31launch_logcumsumexp_cuda_kernelERKNSB_10TensorBaseESF_lENKUlvE_clEvENKUlvE_clEvEUlddE_dEEDaPvRmT3_T4_T5_mT6_P12ihipStream_tbENKUlT_T0_E_clISt17integral_constantIbLb0EESW_EEDaSR_SS_EUlSR_E0_NS1_11comp_targetILNS1_3genE9ELNS1_11target_archE1100ELNS1_3gpuE3ELNS1_3repE0EEENS1_30default_config_static_selectorELNS0_4arch9wavefront6targetE1EEEvT1_
; %bb.0:
	.section	.rodata,"a",@progbits
	.p2align	6, 0x0
	.amdhsa_kernel _ZN7rocprim17ROCPRIM_400000_NS6detail17trampoline_kernelINS0_14default_configENS1_20scan_config_selectorIdEEZZNS1_9scan_implILNS1_25lookback_scan_determinismE0ELb0ELb0ES3_PKdPddZZZN2at6native31launch_logcumsumexp_cuda_kernelERKNSB_10TensorBaseESF_lENKUlvE_clEvENKUlvE_clEvEUlddE_dEEDaPvRmT3_T4_T5_mT6_P12ihipStream_tbENKUlT_T0_E_clISt17integral_constantIbLb0EESW_EEDaSR_SS_EUlSR_E0_NS1_11comp_targetILNS1_3genE9ELNS1_11target_archE1100ELNS1_3gpuE3ELNS1_3repE0EEENS1_30default_config_static_selectorELNS0_4arch9wavefront6targetE1EEEvT1_
		.amdhsa_group_segment_fixed_size 0
		.amdhsa_private_segment_fixed_size 0
		.amdhsa_kernarg_size 40
		.amdhsa_user_sgpr_count 6
		.amdhsa_user_sgpr_private_segment_buffer 1
		.amdhsa_user_sgpr_dispatch_ptr 0
		.amdhsa_user_sgpr_queue_ptr 0
		.amdhsa_user_sgpr_kernarg_segment_ptr 1
		.amdhsa_user_sgpr_dispatch_id 0
		.amdhsa_user_sgpr_flat_scratch_init 0
		.amdhsa_user_sgpr_private_segment_size 0
		.amdhsa_uses_dynamic_stack 0
		.amdhsa_system_sgpr_private_segment_wavefront_offset 0
		.amdhsa_system_sgpr_workgroup_id_x 1
		.amdhsa_system_sgpr_workgroup_id_y 0
		.amdhsa_system_sgpr_workgroup_id_z 0
		.amdhsa_system_sgpr_workgroup_info 0
		.amdhsa_system_vgpr_workitem_id 0
		.amdhsa_next_free_vgpr 1
		.amdhsa_next_free_sgpr 0
		.amdhsa_reserve_vcc 0
		.amdhsa_reserve_flat_scratch 0
		.amdhsa_float_round_mode_32 0
		.amdhsa_float_round_mode_16_64 0
		.amdhsa_float_denorm_mode_32 3
		.amdhsa_float_denorm_mode_16_64 3
		.amdhsa_dx10_clamp 1
		.amdhsa_ieee_mode 1
		.amdhsa_fp16_overflow 0
		.amdhsa_exception_fp_ieee_invalid_op 0
		.amdhsa_exception_fp_denorm_src 0
		.amdhsa_exception_fp_ieee_div_zero 0
		.amdhsa_exception_fp_ieee_overflow 0
		.amdhsa_exception_fp_ieee_underflow 0
		.amdhsa_exception_fp_ieee_inexact 0
		.amdhsa_exception_int_div_zero 0
	.end_amdhsa_kernel
	.section	.text._ZN7rocprim17ROCPRIM_400000_NS6detail17trampoline_kernelINS0_14default_configENS1_20scan_config_selectorIdEEZZNS1_9scan_implILNS1_25lookback_scan_determinismE0ELb0ELb0ES3_PKdPddZZZN2at6native31launch_logcumsumexp_cuda_kernelERKNSB_10TensorBaseESF_lENKUlvE_clEvENKUlvE_clEvEUlddE_dEEDaPvRmT3_T4_T5_mT6_P12ihipStream_tbENKUlT_T0_E_clISt17integral_constantIbLb0EESW_EEDaSR_SS_EUlSR_E0_NS1_11comp_targetILNS1_3genE9ELNS1_11target_archE1100ELNS1_3gpuE3ELNS1_3repE0EEENS1_30default_config_static_selectorELNS0_4arch9wavefront6targetE1EEEvT1_,"axG",@progbits,_ZN7rocprim17ROCPRIM_400000_NS6detail17trampoline_kernelINS0_14default_configENS1_20scan_config_selectorIdEEZZNS1_9scan_implILNS1_25lookback_scan_determinismE0ELb0ELb0ES3_PKdPddZZZN2at6native31launch_logcumsumexp_cuda_kernelERKNSB_10TensorBaseESF_lENKUlvE_clEvENKUlvE_clEvEUlddE_dEEDaPvRmT3_T4_T5_mT6_P12ihipStream_tbENKUlT_T0_E_clISt17integral_constantIbLb0EESW_EEDaSR_SS_EUlSR_E0_NS1_11comp_targetILNS1_3genE9ELNS1_11target_archE1100ELNS1_3gpuE3ELNS1_3repE0EEENS1_30default_config_static_selectorELNS0_4arch9wavefront6targetE1EEEvT1_,comdat
.Lfunc_end25:
	.size	_ZN7rocprim17ROCPRIM_400000_NS6detail17trampoline_kernelINS0_14default_configENS1_20scan_config_selectorIdEEZZNS1_9scan_implILNS1_25lookback_scan_determinismE0ELb0ELb0ES3_PKdPddZZZN2at6native31launch_logcumsumexp_cuda_kernelERKNSB_10TensorBaseESF_lENKUlvE_clEvENKUlvE_clEvEUlddE_dEEDaPvRmT3_T4_T5_mT6_P12ihipStream_tbENKUlT_T0_E_clISt17integral_constantIbLb0EESW_EEDaSR_SS_EUlSR_E0_NS1_11comp_targetILNS1_3genE9ELNS1_11target_archE1100ELNS1_3gpuE3ELNS1_3repE0EEENS1_30default_config_static_selectorELNS0_4arch9wavefront6targetE1EEEvT1_, .Lfunc_end25-_ZN7rocprim17ROCPRIM_400000_NS6detail17trampoline_kernelINS0_14default_configENS1_20scan_config_selectorIdEEZZNS1_9scan_implILNS1_25lookback_scan_determinismE0ELb0ELb0ES3_PKdPddZZZN2at6native31launch_logcumsumexp_cuda_kernelERKNSB_10TensorBaseESF_lENKUlvE_clEvENKUlvE_clEvEUlddE_dEEDaPvRmT3_T4_T5_mT6_P12ihipStream_tbENKUlT_T0_E_clISt17integral_constantIbLb0EESW_EEDaSR_SS_EUlSR_E0_NS1_11comp_targetILNS1_3genE9ELNS1_11target_archE1100ELNS1_3gpuE3ELNS1_3repE0EEENS1_30default_config_static_selectorELNS0_4arch9wavefront6targetE1EEEvT1_
                                        ; -- End function
	.set _ZN7rocprim17ROCPRIM_400000_NS6detail17trampoline_kernelINS0_14default_configENS1_20scan_config_selectorIdEEZZNS1_9scan_implILNS1_25lookback_scan_determinismE0ELb0ELb0ES3_PKdPddZZZN2at6native31launch_logcumsumexp_cuda_kernelERKNSB_10TensorBaseESF_lENKUlvE_clEvENKUlvE_clEvEUlddE_dEEDaPvRmT3_T4_T5_mT6_P12ihipStream_tbENKUlT_T0_E_clISt17integral_constantIbLb0EESW_EEDaSR_SS_EUlSR_E0_NS1_11comp_targetILNS1_3genE9ELNS1_11target_archE1100ELNS1_3gpuE3ELNS1_3repE0EEENS1_30default_config_static_selectorELNS0_4arch9wavefront6targetE1EEEvT1_.num_vgpr, 0
	.set _ZN7rocprim17ROCPRIM_400000_NS6detail17trampoline_kernelINS0_14default_configENS1_20scan_config_selectorIdEEZZNS1_9scan_implILNS1_25lookback_scan_determinismE0ELb0ELb0ES3_PKdPddZZZN2at6native31launch_logcumsumexp_cuda_kernelERKNSB_10TensorBaseESF_lENKUlvE_clEvENKUlvE_clEvEUlddE_dEEDaPvRmT3_T4_T5_mT6_P12ihipStream_tbENKUlT_T0_E_clISt17integral_constantIbLb0EESW_EEDaSR_SS_EUlSR_E0_NS1_11comp_targetILNS1_3genE9ELNS1_11target_archE1100ELNS1_3gpuE3ELNS1_3repE0EEENS1_30default_config_static_selectorELNS0_4arch9wavefront6targetE1EEEvT1_.num_agpr, 0
	.set _ZN7rocprim17ROCPRIM_400000_NS6detail17trampoline_kernelINS0_14default_configENS1_20scan_config_selectorIdEEZZNS1_9scan_implILNS1_25lookback_scan_determinismE0ELb0ELb0ES3_PKdPddZZZN2at6native31launch_logcumsumexp_cuda_kernelERKNSB_10TensorBaseESF_lENKUlvE_clEvENKUlvE_clEvEUlddE_dEEDaPvRmT3_T4_T5_mT6_P12ihipStream_tbENKUlT_T0_E_clISt17integral_constantIbLb0EESW_EEDaSR_SS_EUlSR_E0_NS1_11comp_targetILNS1_3genE9ELNS1_11target_archE1100ELNS1_3gpuE3ELNS1_3repE0EEENS1_30default_config_static_selectorELNS0_4arch9wavefront6targetE1EEEvT1_.numbered_sgpr, 0
	.set _ZN7rocprim17ROCPRIM_400000_NS6detail17trampoline_kernelINS0_14default_configENS1_20scan_config_selectorIdEEZZNS1_9scan_implILNS1_25lookback_scan_determinismE0ELb0ELb0ES3_PKdPddZZZN2at6native31launch_logcumsumexp_cuda_kernelERKNSB_10TensorBaseESF_lENKUlvE_clEvENKUlvE_clEvEUlddE_dEEDaPvRmT3_T4_T5_mT6_P12ihipStream_tbENKUlT_T0_E_clISt17integral_constantIbLb0EESW_EEDaSR_SS_EUlSR_E0_NS1_11comp_targetILNS1_3genE9ELNS1_11target_archE1100ELNS1_3gpuE3ELNS1_3repE0EEENS1_30default_config_static_selectorELNS0_4arch9wavefront6targetE1EEEvT1_.num_named_barrier, 0
	.set _ZN7rocprim17ROCPRIM_400000_NS6detail17trampoline_kernelINS0_14default_configENS1_20scan_config_selectorIdEEZZNS1_9scan_implILNS1_25lookback_scan_determinismE0ELb0ELb0ES3_PKdPddZZZN2at6native31launch_logcumsumexp_cuda_kernelERKNSB_10TensorBaseESF_lENKUlvE_clEvENKUlvE_clEvEUlddE_dEEDaPvRmT3_T4_T5_mT6_P12ihipStream_tbENKUlT_T0_E_clISt17integral_constantIbLb0EESW_EEDaSR_SS_EUlSR_E0_NS1_11comp_targetILNS1_3genE9ELNS1_11target_archE1100ELNS1_3gpuE3ELNS1_3repE0EEENS1_30default_config_static_selectorELNS0_4arch9wavefront6targetE1EEEvT1_.private_seg_size, 0
	.set _ZN7rocprim17ROCPRIM_400000_NS6detail17trampoline_kernelINS0_14default_configENS1_20scan_config_selectorIdEEZZNS1_9scan_implILNS1_25lookback_scan_determinismE0ELb0ELb0ES3_PKdPddZZZN2at6native31launch_logcumsumexp_cuda_kernelERKNSB_10TensorBaseESF_lENKUlvE_clEvENKUlvE_clEvEUlddE_dEEDaPvRmT3_T4_T5_mT6_P12ihipStream_tbENKUlT_T0_E_clISt17integral_constantIbLb0EESW_EEDaSR_SS_EUlSR_E0_NS1_11comp_targetILNS1_3genE9ELNS1_11target_archE1100ELNS1_3gpuE3ELNS1_3repE0EEENS1_30default_config_static_selectorELNS0_4arch9wavefront6targetE1EEEvT1_.uses_vcc, 0
	.set _ZN7rocprim17ROCPRIM_400000_NS6detail17trampoline_kernelINS0_14default_configENS1_20scan_config_selectorIdEEZZNS1_9scan_implILNS1_25lookback_scan_determinismE0ELb0ELb0ES3_PKdPddZZZN2at6native31launch_logcumsumexp_cuda_kernelERKNSB_10TensorBaseESF_lENKUlvE_clEvENKUlvE_clEvEUlddE_dEEDaPvRmT3_T4_T5_mT6_P12ihipStream_tbENKUlT_T0_E_clISt17integral_constantIbLb0EESW_EEDaSR_SS_EUlSR_E0_NS1_11comp_targetILNS1_3genE9ELNS1_11target_archE1100ELNS1_3gpuE3ELNS1_3repE0EEENS1_30default_config_static_selectorELNS0_4arch9wavefront6targetE1EEEvT1_.uses_flat_scratch, 0
	.set _ZN7rocprim17ROCPRIM_400000_NS6detail17trampoline_kernelINS0_14default_configENS1_20scan_config_selectorIdEEZZNS1_9scan_implILNS1_25lookback_scan_determinismE0ELb0ELb0ES3_PKdPddZZZN2at6native31launch_logcumsumexp_cuda_kernelERKNSB_10TensorBaseESF_lENKUlvE_clEvENKUlvE_clEvEUlddE_dEEDaPvRmT3_T4_T5_mT6_P12ihipStream_tbENKUlT_T0_E_clISt17integral_constantIbLb0EESW_EEDaSR_SS_EUlSR_E0_NS1_11comp_targetILNS1_3genE9ELNS1_11target_archE1100ELNS1_3gpuE3ELNS1_3repE0EEENS1_30default_config_static_selectorELNS0_4arch9wavefront6targetE1EEEvT1_.has_dyn_sized_stack, 0
	.set _ZN7rocprim17ROCPRIM_400000_NS6detail17trampoline_kernelINS0_14default_configENS1_20scan_config_selectorIdEEZZNS1_9scan_implILNS1_25lookback_scan_determinismE0ELb0ELb0ES3_PKdPddZZZN2at6native31launch_logcumsumexp_cuda_kernelERKNSB_10TensorBaseESF_lENKUlvE_clEvENKUlvE_clEvEUlddE_dEEDaPvRmT3_T4_T5_mT6_P12ihipStream_tbENKUlT_T0_E_clISt17integral_constantIbLb0EESW_EEDaSR_SS_EUlSR_E0_NS1_11comp_targetILNS1_3genE9ELNS1_11target_archE1100ELNS1_3gpuE3ELNS1_3repE0EEENS1_30default_config_static_selectorELNS0_4arch9wavefront6targetE1EEEvT1_.has_recursion, 0
	.set _ZN7rocprim17ROCPRIM_400000_NS6detail17trampoline_kernelINS0_14default_configENS1_20scan_config_selectorIdEEZZNS1_9scan_implILNS1_25lookback_scan_determinismE0ELb0ELb0ES3_PKdPddZZZN2at6native31launch_logcumsumexp_cuda_kernelERKNSB_10TensorBaseESF_lENKUlvE_clEvENKUlvE_clEvEUlddE_dEEDaPvRmT3_T4_T5_mT6_P12ihipStream_tbENKUlT_T0_E_clISt17integral_constantIbLb0EESW_EEDaSR_SS_EUlSR_E0_NS1_11comp_targetILNS1_3genE9ELNS1_11target_archE1100ELNS1_3gpuE3ELNS1_3repE0EEENS1_30default_config_static_selectorELNS0_4arch9wavefront6targetE1EEEvT1_.has_indirect_call, 0
	.section	.AMDGPU.csdata,"",@progbits
; Kernel info:
; codeLenInByte = 0
; TotalNumSgprs: 4
; NumVgprs: 0
; ScratchSize: 0
; MemoryBound: 0
; FloatMode: 240
; IeeeMode: 1
; LDSByteSize: 0 bytes/workgroup (compile time only)
; SGPRBlocks: 0
; VGPRBlocks: 0
; NumSGPRsForWavesPerEU: 4
; NumVGPRsForWavesPerEU: 1
; Occupancy: 10
; WaveLimiterHint : 0
; COMPUTE_PGM_RSRC2:SCRATCH_EN: 0
; COMPUTE_PGM_RSRC2:USER_SGPR: 6
; COMPUTE_PGM_RSRC2:TRAP_HANDLER: 0
; COMPUTE_PGM_RSRC2:TGID_X_EN: 1
; COMPUTE_PGM_RSRC2:TGID_Y_EN: 0
; COMPUTE_PGM_RSRC2:TGID_Z_EN: 0
; COMPUTE_PGM_RSRC2:TIDIG_COMP_CNT: 0
	.section	.text._ZN7rocprim17ROCPRIM_400000_NS6detail17trampoline_kernelINS0_14default_configENS1_20scan_config_selectorIdEEZZNS1_9scan_implILNS1_25lookback_scan_determinismE0ELb0ELb0ES3_PKdPddZZZN2at6native31launch_logcumsumexp_cuda_kernelERKNSB_10TensorBaseESF_lENKUlvE_clEvENKUlvE_clEvEUlddE_dEEDaPvRmT3_T4_T5_mT6_P12ihipStream_tbENKUlT_T0_E_clISt17integral_constantIbLb0EESW_EEDaSR_SS_EUlSR_E0_NS1_11comp_targetILNS1_3genE8ELNS1_11target_archE1030ELNS1_3gpuE2ELNS1_3repE0EEENS1_30default_config_static_selectorELNS0_4arch9wavefront6targetE1EEEvT1_,"axG",@progbits,_ZN7rocprim17ROCPRIM_400000_NS6detail17trampoline_kernelINS0_14default_configENS1_20scan_config_selectorIdEEZZNS1_9scan_implILNS1_25lookback_scan_determinismE0ELb0ELb0ES3_PKdPddZZZN2at6native31launch_logcumsumexp_cuda_kernelERKNSB_10TensorBaseESF_lENKUlvE_clEvENKUlvE_clEvEUlddE_dEEDaPvRmT3_T4_T5_mT6_P12ihipStream_tbENKUlT_T0_E_clISt17integral_constantIbLb0EESW_EEDaSR_SS_EUlSR_E0_NS1_11comp_targetILNS1_3genE8ELNS1_11target_archE1030ELNS1_3gpuE2ELNS1_3repE0EEENS1_30default_config_static_selectorELNS0_4arch9wavefront6targetE1EEEvT1_,comdat
	.globl	_ZN7rocprim17ROCPRIM_400000_NS6detail17trampoline_kernelINS0_14default_configENS1_20scan_config_selectorIdEEZZNS1_9scan_implILNS1_25lookback_scan_determinismE0ELb0ELb0ES3_PKdPddZZZN2at6native31launch_logcumsumexp_cuda_kernelERKNSB_10TensorBaseESF_lENKUlvE_clEvENKUlvE_clEvEUlddE_dEEDaPvRmT3_T4_T5_mT6_P12ihipStream_tbENKUlT_T0_E_clISt17integral_constantIbLb0EESW_EEDaSR_SS_EUlSR_E0_NS1_11comp_targetILNS1_3genE8ELNS1_11target_archE1030ELNS1_3gpuE2ELNS1_3repE0EEENS1_30default_config_static_selectorELNS0_4arch9wavefront6targetE1EEEvT1_ ; -- Begin function _ZN7rocprim17ROCPRIM_400000_NS6detail17trampoline_kernelINS0_14default_configENS1_20scan_config_selectorIdEEZZNS1_9scan_implILNS1_25lookback_scan_determinismE0ELb0ELb0ES3_PKdPddZZZN2at6native31launch_logcumsumexp_cuda_kernelERKNSB_10TensorBaseESF_lENKUlvE_clEvENKUlvE_clEvEUlddE_dEEDaPvRmT3_T4_T5_mT6_P12ihipStream_tbENKUlT_T0_E_clISt17integral_constantIbLb0EESW_EEDaSR_SS_EUlSR_E0_NS1_11comp_targetILNS1_3genE8ELNS1_11target_archE1030ELNS1_3gpuE2ELNS1_3repE0EEENS1_30default_config_static_selectorELNS0_4arch9wavefront6targetE1EEEvT1_
	.p2align	8
	.type	_ZN7rocprim17ROCPRIM_400000_NS6detail17trampoline_kernelINS0_14default_configENS1_20scan_config_selectorIdEEZZNS1_9scan_implILNS1_25lookback_scan_determinismE0ELb0ELb0ES3_PKdPddZZZN2at6native31launch_logcumsumexp_cuda_kernelERKNSB_10TensorBaseESF_lENKUlvE_clEvENKUlvE_clEvEUlddE_dEEDaPvRmT3_T4_T5_mT6_P12ihipStream_tbENKUlT_T0_E_clISt17integral_constantIbLb0EESW_EEDaSR_SS_EUlSR_E0_NS1_11comp_targetILNS1_3genE8ELNS1_11target_archE1030ELNS1_3gpuE2ELNS1_3repE0EEENS1_30default_config_static_selectorELNS0_4arch9wavefront6targetE1EEEvT1_,@function
_ZN7rocprim17ROCPRIM_400000_NS6detail17trampoline_kernelINS0_14default_configENS1_20scan_config_selectorIdEEZZNS1_9scan_implILNS1_25lookback_scan_determinismE0ELb0ELb0ES3_PKdPddZZZN2at6native31launch_logcumsumexp_cuda_kernelERKNSB_10TensorBaseESF_lENKUlvE_clEvENKUlvE_clEvEUlddE_dEEDaPvRmT3_T4_T5_mT6_P12ihipStream_tbENKUlT_T0_E_clISt17integral_constantIbLb0EESW_EEDaSR_SS_EUlSR_E0_NS1_11comp_targetILNS1_3genE8ELNS1_11target_archE1030ELNS1_3gpuE2ELNS1_3repE0EEENS1_30default_config_static_selectorELNS0_4arch9wavefront6targetE1EEEvT1_: ; @_ZN7rocprim17ROCPRIM_400000_NS6detail17trampoline_kernelINS0_14default_configENS1_20scan_config_selectorIdEEZZNS1_9scan_implILNS1_25lookback_scan_determinismE0ELb0ELb0ES3_PKdPddZZZN2at6native31launch_logcumsumexp_cuda_kernelERKNSB_10TensorBaseESF_lENKUlvE_clEvENKUlvE_clEvEUlddE_dEEDaPvRmT3_T4_T5_mT6_P12ihipStream_tbENKUlT_T0_E_clISt17integral_constantIbLb0EESW_EEDaSR_SS_EUlSR_E0_NS1_11comp_targetILNS1_3genE8ELNS1_11target_archE1030ELNS1_3gpuE2ELNS1_3repE0EEENS1_30default_config_static_selectorELNS0_4arch9wavefront6targetE1EEEvT1_
; %bb.0:
	.section	.rodata,"a",@progbits
	.p2align	6, 0x0
	.amdhsa_kernel _ZN7rocprim17ROCPRIM_400000_NS6detail17trampoline_kernelINS0_14default_configENS1_20scan_config_selectorIdEEZZNS1_9scan_implILNS1_25lookback_scan_determinismE0ELb0ELb0ES3_PKdPddZZZN2at6native31launch_logcumsumexp_cuda_kernelERKNSB_10TensorBaseESF_lENKUlvE_clEvENKUlvE_clEvEUlddE_dEEDaPvRmT3_T4_T5_mT6_P12ihipStream_tbENKUlT_T0_E_clISt17integral_constantIbLb0EESW_EEDaSR_SS_EUlSR_E0_NS1_11comp_targetILNS1_3genE8ELNS1_11target_archE1030ELNS1_3gpuE2ELNS1_3repE0EEENS1_30default_config_static_selectorELNS0_4arch9wavefront6targetE1EEEvT1_
		.amdhsa_group_segment_fixed_size 0
		.amdhsa_private_segment_fixed_size 0
		.amdhsa_kernarg_size 40
		.amdhsa_user_sgpr_count 6
		.amdhsa_user_sgpr_private_segment_buffer 1
		.amdhsa_user_sgpr_dispatch_ptr 0
		.amdhsa_user_sgpr_queue_ptr 0
		.amdhsa_user_sgpr_kernarg_segment_ptr 1
		.amdhsa_user_sgpr_dispatch_id 0
		.amdhsa_user_sgpr_flat_scratch_init 0
		.amdhsa_user_sgpr_private_segment_size 0
		.amdhsa_uses_dynamic_stack 0
		.amdhsa_system_sgpr_private_segment_wavefront_offset 0
		.amdhsa_system_sgpr_workgroup_id_x 1
		.amdhsa_system_sgpr_workgroup_id_y 0
		.amdhsa_system_sgpr_workgroup_id_z 0
		.amdhsa_system_sgpr_workgroup_info 0
		.amdhsa_system_vgpr_workitem_id 0
		.amdhsa_next_free_vgpr 1
		.amdhsa_next_free_sgpr 0
		.amdhsa_reserve_vcc 0
		.amdhsa_reserve_flat_scratch 0
		.amdhsa_float_round_mode_32 0
		.amdhsa_float_round_mode_16_64 0
		.amdhsa_float_denorm_mode_32 3
		.amdhsa_float_denorm_mode_16_64 3
		.amdhsa_dx10_clamp 1
		.amdhsa_ieee_mode 1
		.amdhsa_fp16_overflow 0
		.amdhsa_exception_fp_ieee_invalid_op 0
		.amdhsa_exception_fp_denorm_src 0
		.amdhsa_exception_fp_ieee_div_zero 0
		.amdhsa_exception_fp_ieee_overflow 0
		.amdhsa_exception_fp_ieee_underflow 0
		.amdhsa_exception_fp_ieee_inexact 0
		.amdhsa_exception_int_div_zero 0
	.end_amdhsa_kernel
	.section	.text._ZN7rocprim17ROCPRIM_400000_NS6detail17trampoline_kernelINS0_14default_configENS1_20scan_config_selectorIdEEZZNS1_9scan_implILNS1_25lookback_scan_determinismE0ELb0ELb0ES3_PKdPddZZZN2at6native31launch_logcumsumexp_cuda_kernelERKNSB_10TensorBaseESF_lENKUlvE_clEvENKUlvE_clEvEUlddE_dEEDaPvRmT3_T4_T5_mT6_P12ihipStream_tbENKUlT_T0_E_clISt17integral_constantIbLb0EESW_EEDaSR_SS_EUlSR_E0_NS1_11comp_targetILNS1_3genE8ELNS1_11target_archE1030ELNS1_3gpuE2ELNS1_3repE0EEENS1_30default_config_static_selectorELNS0_4arch9wavefront6targetE1EEEvT1_,"axG",@progbits,_ZN7rocprim17ROCPRIM_400000_NS6detail17trampoline_kernelINS0_14default_configENS1_20scan_config_selectorIdEEZZNS1_9scan_implILNS1_25lookback_scan_determinismE0ELb0ELb0ES3_PKdPddZZZN2at6native31launch_logcumsumexp_cuda_kernelERKNSB_10TensorBaseESF_lENKUlvE_clEvENKUlvE_clEvEUlddE_dEEDaPvRmT3_T4_T5_mT6_P12ihipStream_tbENKUlT_T0_E_clISt17integral_constantIbLb0EESW_EEDaSR_SS_EUlSR_E0_NS1_11comp_targetILNS1_3genE8ELNS1_11target_archE1030ELNS1_3gpuE2ELNS1_3repE0EEENS1_30default_config_static_selectorELNS0_4arch9wavefront6targetE1EEEvT1_,comdat
.Lfunc_end26:
	.size	_ZN7rocprim17ROCPRIM_400000_NS6detail17trampoline_kernelINS0_14default_configENS1_20scan_config_selectorIdEEZZNS1_9scan_implILNS1_25lookback_scan_determinismE0ELb0ELb0ES3_PKdPddZZZN2at6native31launch_logcumsumexp_cuda_kernelERKNSB_10TensorBaseESF_lENKUlvE_clEvENKUlvE_clEvEUlddE_dEEDaPvRmT3_T4_T5_mT6_P12ihipStream_tbENKUlT_T0_E_clISt17integral_constantIbLb0EESW_EEDaSR_SS_EUlSR_E0_NS1_11comp_targetILNS1_3genE8ELNS1_11target_archE1030ELNS1_3gpuE2ELNS1_3repE0EEENS1_30default_config_static_selectorELNS0_4arch9wavefront6targetE1EEEvT1_, .Lfunc_end26-_ZN7rocprim17ROCPRIM_400000_NS6detail17trampoline_kernelINS0_14default_configENS1_20scan_config_selectorIdEEZZNS1_9scan_implILNS1_25lookback_scan_determinismE0ELb0ELb0ES3_PKdPddZZZN2at6native31launch_logcumsumexp_cuda_kernelERKNSB_10TensorBaseESF_lENKUlvE_clEvENKUlvE_clEvEUlddE_dEEDaPvRmT3_T4_T5_mT6_P12ihipStream_tbENKUlT_T0_E_clISt17integral_constantIbLb0EESW_EEDaSR_SS_EUlSR_E0_NS1_11comp_targetILNS1_3genE8ELNS1_11target_archE1030ELNS1_3gpuE2ELNS1_3repE0EEENS1_30default_config_static_selectorELNS0_4arch9wavefront6targetE1EEEvT1_
                                        ; -- End function
	.set _ZN7rocprim17ROCPRIM_400000_NS6detail17trampoline_kernelINS0_14default_configENS1_20scan_config_selectorIdEEZZNS1_9scan_implILNS1_25lookback_scan_determinismE0ELb0ELb0ES3_PKdPddZZZN2at6native31launch_logcumsumexp_cuda_kernelERKNSB_10TensorBaseESF_lENKUlvE_clEvENKUlvE_clEvEUlddE_dEEDaPvRmT3_T4_T5_mT6_P12ihipStream_tbENKUlT_T0_E_clISt17integral_constantIbLb0EESW_EEDaSR_SS_EUlSR_E0_NS1_11comp_targetILNS1_3genE8ELNS1_11target_archE1030ELNS1_3gpuE2ELNS1_3repE0EEENS1_30default_config_static_selectorELNS0_4arch9wavefront6targetE1EEEvT1_.num_vgpr, 0
	.set _ZN7rocprim17ROCPRIM_400000_NS6detail17trampoline_kernelINS0_14default_configENS1_20scan_config_selectorIdEEZZNS1_9scan_implILNS1_25lookback_scan_determinismE0ELb0ELb0ES3_PKdPddZZZN2at6native31launch_logcumsumexp_cuda_kernelERKNSB_10TensorBaseESF_lENKUlvE_clEvENKUlvE_clEvEUlddE_dEEDaPvRmT3_T4_T5_mT6_P12ihipStream_tbENKUlT_T0_E_clISt17integral_constantIbLb0EESW_EEDaSR_SS_EUlSR_E0_NS1_11comp_targetILNS1_3genE8ELNS1_11target_archE1030ELNS1_3gpuE2ELNS1_3repE0EEENS1_30default_config_static_selectorELNS0_4arch9wavefront6targetE1EEEvT1_.num_agpr, 0
	.set _ZN7rocprim17ROCPRIM_400000_NS6detail17trampoline_kernelINS0_14default_configENS1_20scan_config_selectorIdEEZZNS1_9scan_implILNS1_25lookback_scan_determinismE0ELb0ELb0ES3_PKdPddZZZN2at6native31launch_logcumsumexp_cuda_kernelERKNSB_10TensorBaseESF_lENKUlvE_clEvENKUlvE_clEvEUlddE_dEEDaPvRmT3_T4_T5_mT6_P12ihipStream_tbENKUlT_T0_E_clISt17integral_constantIbLb0EESW_EEDaSR_SS_EUlSR_E0_NS1_11comp_targetILNS1_3genE8ELNS1_11target_archE1030ELNS1_3gpuE2ELNS1_3repE0EEENS1_30default_config_static_selectorELNS0_4arch9wavefront6targetE1EEEvT1_.numbered_sgpr, 0
	.set _ZN7rocprim17ROCPRIM_400000_NS6detail17trampoline_kernelINS0_14default_configENS1_20scan_config_selectorIdEEZZNS1_9scan_implILNS1_25lookback_scan_determinismE0ELb0ELb0ES3_PKdPddZZZN2at6native31launch_logcumsumexp_cuda_kernelERKNSB_10TensorBaseESF_lENKUlvE_clEvENKUlvE_clEvEUlddE_dEEDaPvRmT3_T4_T5_mT6_P12ihipStream_tbENKUlT_T0_E_clISt17integral_constantIbLb0EESW_EEDaSR_SS_EUlSR_E0_NS1_11comp_targetILNS1_3genE8ELNS1_11target_archE1030ELNS1_3gpuE2ELNS1_3repE0EEENS1_30default_config_static_selectorELNS0_4arch9wavefront6targetE1EEEvT1_.num_named_barrier, 0
	.set _ZN7rocprim17ROCPRIM_400000_NS6detail17trampoline_kernelINS0_14default_configENS1_20scan_config_selectorIdEEZZNS1_9scan_implILNS1_25lookback_scan_determinismE0ELb0ELb0ES3_PKdPddZZZN2at6native31launch_logcumsumexp_cuda_kernelERKNSB_10TensorBaseESF_lENKUlvE_clEvENKUlvE_clEvEUlddE_dEEDaPvRmT3_T4_T5_mT6_P12ihipStream_tbENKUlT_T0_E_clISt17integral_constantIbLb0EESW_EEDaSR_SS_EUlSR_E0_NS1_11comp_targetILNS1_3genE8ELNS1_11target_archE1030ELNS1_3gpuE2ELNS1_3repE0EEENS1_30default_config_static_selectorELNS0_4arch9wavefront6targetE1EEEvT1_.private_seg_size, 0
	.set _ZN7rocprim17ROCPRIM_400000_NS6detail17trampoline_kernelINS0_14default_configENS1_20scan_config_selectorIdEEZZNS1_9scan_implILNS1_25lookback_scan_determinismE0ELb0ELb0ES3_PKdPddZZZN2at6native31launch_logcumsumexp_cuda_kernelERKNSB_10TensorBaseESF_lENKUlvE_clEvENKUlvE_clEvEUlddE_dEEDaPvRmT3_T4_T5_mT6_P12ihipStream_tbENKUlT_T0_E_clISt17integral_constantIbLb0EESW_EEDaSR_SS_EUlSR_E0_NS1_11comp_targetILNS1_3genE8ELNS1_11target_archE1030ELNS1_3gpuE2ELNS1_3repE0EEENS1_30default_config_static_selectorELNS0_4arch9wavefront6targetE1EEEvT1_.uses_vcc, 0
	.set _ZN7rocprim17ROCPRIM_400000_NS6detail17trampoline_kernelINS0_14default_configENS1_20scan_config_selectorIdEEZZNS1_9scan_implILNS1_25lookback_scan_determinismE0ELb0ELb0ES3_PKdPddZZZN2at6native31launch_logcumsumexp_cuda_kernelERKNSB_10TensorBaseESF_lENKUlvE_clEvENKUlvE_clEvEUlddE_dEEDaPvRmT3_T4_T5_mT6_P12ihipStream_tbENKUlT_T0_E_clISt17integral_constantIbLb0EESW_EEDaSR_SS_EUlSR_E0_NS1_11comp_targetILNS1_3genE8ELNS1_11target_archE1030ELNS1_3gpuE2ELNS1_3repE0EEENS1_30default_config_static_selectorELNS0_4arch9wavefront6targetE1EEEvT1_.uses_flat_scratch, 0
	.set _ZN7rocprim17ROCPRIM_400000_NS6detail17trampoline_kernelINS0_14default_configENS1_20scan_config_selectorIdEEZZNS1_9scan_implILNS1_25lookback_scan_determinismE0ELb0ELb0ES3_PKdPddZZZN2at6native31launch_logcumsumexp_cuda_kernelERKNSB_10TensorBaseESF_lENKUlvE_clEvENKUlvE_clEvEUlddE_dEEDaPvRmT3_T4_T5_mT6_P12ihipStream_tbENKUlT_T0_E_clISt17integral_constantIbLb0EESW_EEDaSR_SS_EUlSR_E0_NS1_11comp_targetILNS1_3genE8ELNS1_11target_archE1030ELNS1_3gpuE2ELNS1_3repE0EEENS1_30default_config_static_selectorELNS0_4arch9wavefront6targetE1EEEvT1_.has_dyn_sized_stack, 0
	.set _ZN7rocprim17ROCPRIM_400000_NS6detail17trampoline_kernelINS0_14default_configENS1_20scan_config_selectorIdEEZZNS1_9scan_implILNS1_25lookback_scan_determinismE0ELb0ELb0ES3_PKdPddZZZN2at6native31launch_logcumsumexp_cuda_kernelERKNSB_10TensorBaseESF_lENKUlvE_clEvENKUlvE_clEvEUlddE_dEEDaPvRmT3_T4_T5_mT6_P12ihipStream_tbENKUlT_T0_E_clISt17integral_constantIbLb0EESW_EEDaSR_SS_EUlSR_E0_NS1_11comp_targetILNS1_3genE8ELNS1_11target_archE1030ELNS1_3gpuE2ELNS1_3repE0EEENS1_30default_config_static_selectorELNS0_4arch9wavefront6targetE1EEEvT1_.has_recursion, 0
	.set _ZN7rocprim17ROCPRIM_400000_NS6detail17trampoline_kernelINS0_14default_configENS1_20scan_config_selectorIdEEZZNS1_9scan_implILNS1_25lookback_scan_determinismE0ELb0ELb0ES3_PKdPddZZZN2at6native31launch_logcumsumexp_cuda_kernelERKNSB_10TensorBaseESF_lENKUlvE_clEvENKUlvE_clEvEUlddE_dEEDaPvRmT3_T4_T5_mT6_P12ihipStream_tbENKUlT_T0_E_clISt17integral_constantIbLb0EESW_EEDaSR_SS_EUlSR_E0_NS1_11comp_targetILNS1_3genE8ELNS1_11target_archE1030ELNS1_3gpuE2ELNS1_3repE0EEENS1_30default_config_static_selectorELNS0_4arch9wavefront6targetE1EEEvT1_.has_indirect_call, 0
	.section	.AMDGPU.csdata,"",@progbits
; Kernel info:
; codeLenInByte = 0
; TotalNumSgprs: 4
; NumVgprs: 0
; ScratchSize: 0
; MemoryBound: 0
; FloatMode: 240
; IeeeMode: 1
; LDSByteSize: 0 bytes/workgroup (compile time only)
; SGPRBlocks: 0
; VGPRBlocks: 0
; NumSGPRsForWavesPerEU: 4
; NumVGPRsForWavesPerEU: 1
; Occupancy: 10
; WaveLimiterHint : 0
; COMPUTE_PGM_RSRC2:SCRATCH_EN: 0
; COMPUTE_PGM_RSRC2:USER_SGPR: 6
; COMPUTE_PGM_RSRC2:TRAP_HANDLER: 0
; COMPUTE_PGM_RSRC2:TGID_X_EN: 1
; COMPUTE_PGM_RSRC2:TGID_Y_EN: 0
; COMPUTE_PGM_RSRC2:TGID_Z_EN: 0
; COMPUTE_PGM_RSRC2:TIDIG_COMP_CNT: 0
	.section	.text._ZN7rocprim17ROCPRIM_400000_NS6detail31init_lookback_scan_state_kernelINS1_19lookback_scan_stateIdLb1ELb1EEENS1_16block_id_wrapperIjLb1EEEEEvT_jT0_jPNS7_10value_typeE,"axG",@progbits,_ZN7rocprim17ROCPRIM_400000_NS6detail31init_lookback_scan_state_kernelINS1_19lookback_scan_stateIdLb1ELb1EEENS1_16block_id_wrapperIjLb1EEEEEvT_jT0_jPNS7_10value_typeE,comdat
	.protected	_ZN7rocprim17ROCPRIM_400000_NS6detail31init_lookback_scan_state_kernelINS1_19lookback_scan_stateIdLb1ELb1EEENS1_16block_id_wrapperIjLb1EEEEEvT_jT0_jPNS7_10value_typeE ; -- Begin function _ZN7rocprim17ROCPRIM_400000_NS6detail31init_lookback_scan_state_kernelINS1_19lookback_scan_stateIdLb1ELb1EEENS1_16block_id_wrapperIjLb1EEEEEvT_jT0_jPNS7_10value_typeE
	.globl	_ZN7rocprim17ROCPRIM_400000_NS6detail31init_lookback_scan_state_kernelINS1_19lookback_scan_stateIdLb1ELb1EEENS1_16block_id_wrapperIjLb1EEEEEvT_jT0_jPNS7_10value_typeE
	.p2align	8
	.type	_ZN7rocprim17ROCPRIM_400000_NS6detail31init_lookback_scan_state_kernelINS1_19lookback_scan_stateIdLb1ELb1EEENS1_16block_id_wrapperIjLb1EEEEEvT_jT0_jPNS7_10value_typeE,@function
_ZN7rocprim17ROCPRIM_400000_NS6detail31init_lookback_scan_state_kernelINS1_19lookback_scan_stateIdLb1ELb1EEENS1_16block_id_wrapperIjLb1EEEEEvT_jT0_jPNS7_10value_typeE: ; @_ZN7rocprim17ROCPRIM_400000_NS6detail31init_lookback_scan_state_kernelINS1_19lookback_scan_stateIdLb1ELb1EEENS1_16block_id_wrapperIjLb1EEEEEvT_jT0_jPNS7_10value_typeE
; %bb.0:
	s_load_dword s7, s[4:5], 0x34
	s_load_dwordx2 s[2:3], s[4:5], 0x20
	s_load_dwordx2 s[0:1], s[4:5], 0x0
	s_load_dword s14, s[4:5], 0x8
	s_waitcnt lgkmcnt(0)
	s_and_b32 s7, s7, 0xffff
	s_mul_i32 s6, s6, s7
	s_cmp_eq_u64 s[2:3], 0
	v_add_u32_e32 v0, s6, v0
	s_cbranch_scc1 .LBB27_10
; %bb.1:
	s_load_dword s8, s[4:5], 0x18
	s_mov_b32 s9, 0
	s_waitcnt lgkmcnt(0)
	s_cmp_lt_u32 s8, s14
	s_cselect_b32 s6, s8, 0
	v_cmp_eq_u32_e32 vcc, s6, v0
	s_and_saveexec_b64 s[6:7], vcc
	s_cbranch_execz .LBB27_9
; %bb.2:
	s_add_i32 s8, s8, 64
	s_lshl_b64 s[8:9], s[8:9], 4
	s_add_u32 s12, s0, s8
	s_addc_u32 s13, s1, s9
	v_mov_b32_e32 v1, s12
	v_mov_b32_e32 v2, s13
	;;#ASMSTART
	global_load_dwordx4 v[1:4], v[1:2] off glc	
s_waitcnt vmcnt(0)
	;;#ASMEND
	v_and_b32_e32 v4, 0xff, v3
	v_mov_b32_e32 v5, 0
	v_cmp_eq_u64_e32 vcc, 0, v[4:5]
	s_mov_b64 s[10:11], 0
	s_and_saveexec_b64 s[8:9], vcc
	s_cbranch_execz .LBB27_8
; %bb.3:
	v_mov_b32_e32 v6, s12
	s_mov_b32 s15, 1
	v_mov_b32_e32 v7, s13
.LBB27_4:                               ; =>This Loop Header: Depth=1
                                        ;     Child Loop BB27_5 Depth 2
	s_mov_b32 s12, s15
.LBB27_5:                               ;   Parent Loop BB27_4 Depth=1
                                        ; =>  This Inner Loop Header: Depth=2
	s_add_i32 s12, s12, -1
	s_cmp_eq_u32 s12, 0
	s_sleep 1
	s_cbranch_scc0 .LBB27_5
; %bb.6:                                ;   in Loop: Header=BB27_4 Depth=1
	s_cmp_lt_u32 s15, 32
	;;#ASMSTART
	global_load_dwordx4 v[1:4], v[6:7] off glc	
s_waitcnt vmcnt(0)
	;;#ASMEND
	s_cselect_b64 s[12:13], -1, 0
	v_and_b32_e32 v4, 0xff, v3
	s_cmp_lg_u64 s[12:13], 0
	v_cmp_ne_u64_e32 vcc, 0, v[4:5]
	s_addc_u32 s15, s15, 0
	s_or_b64 s[10:11], vcc, s[10:11]
	s_andn2_b64 exec, exec, s[10:11]
	s_cbranch_execnz .LBB27_4
; %bb.7:
	s_or_b64 exec, exec, s[10:11]
.LBB27_8:
	s_or_b64 exec, exec, s[8:9]
	v_mov_b32_e32 v3, 0
	global_store_dwordx2 v3, v[1:2], s[2:3]
.LBB27_9:
	s_or_b64 exec, exec, s[6:7]
.LBB27_10:
	v_cmp_eq_u32_e32 vcc, 0, v0
	s_and_saveexec_b64 s[2:3], vcc
	s_cbranch_execnz .LBB27_14
; %bb.11:
	s_or_b64 exec, exec, s[2:3]
	v_cmp_gt_u32_e32 vcc, s14, v0
	s_and_saveexec_b64 s[2:3], vcc
	s_cbranch_execnz .LBB27_15
.LBB27_12:
	s_or_b64 exec, exec, s[2:3]
	v_cmp_gt_u32_e32 vcc, 64, v0
	s_and_saveexec_b64 s[2:3], vcc
	s_cbranch_execnz .LBB27_16
.LBB27_13:
	s_endpgm
.LBB27_14:
	s_load_dwordx2 s[4:5], s[4:5], 0x10
	v_mov_b32_e32 v1, 0
	s_waitcnt lgkmcnt(0)
	global_store_dword v1, v1, s[4:5]
	s_or_b64 exec, exec, s[2:3]
	v_cmp_gt_u32_e32 vcc, s14, v0
	s_and_saveexec_b64 s[2:3], vcc
	s_cbranch_execz .LBB27_12
.LBB27_15:
	v_add_u32_e32 v1, 64, v0
	v_mov_b32_e32 v2, 0
	v_lshlrev_b64 v[3:4], 4, v[1:2]
	v_mov_b32_e32 v1, s1
	v_add_co_u32_e32 v5, vcc, s0, v3
	v_addc_co_u32_e32 v6, vcc, v1, v4, vcc
	v_mov_b32_e32 v1, v2
	v_mov_b32_e32 v3, v2
	;; [unrolled: 1-line block ×3, first 2 shown]
	global_store_dwordx4 v[5:6], v[1:4], off
	s_or_b64 exec, exec, s[2:3]
	v_cmp_gt_u32_e32 vcc, 64, v0
	s_and_saveexec_b64 s[2:3], vcc
	s_cbranch_execz .LBB27_13
.LBB27_16:
	v_mov_b32_e32 v1, 0
	v_lshlrev_b64 v[2:3], 4, v[0:1]
	v_mov_b32_e32 v0, s1
	v_add_co_u32_e32 v4, vcc, s0, v2
	v_addc_co_u32_e32 v5, vcc, v0, v3, vcc
	v_mov_b32_e32 v2, 0xff
	v_mov_b32_e32 v0, v1
	;; [unrolled: 1-line block ×3, first 2 shown]
	global_store_dwordx4 v[4:5], v[0:3], off
	s_endpgm
	.section	.rodata,"a",@progbits
	.p2align	6, 0x0
	.amdhsa_kernel _ZN7rocprim17ROCPRIM_400000_NS6detail31init_lookback_scan_state_kernelINS1_19lookback_scan_stateIdLb1ELb1EEENS1_16block_id_wrapperIjLb1EEEEEvT_jT0_jPNS7_10value_typeE
		.amdhsa_group_segment_fixed_size 0
		.amdhsa_private_segment_fixed_size 0
		.amdhsa_kernarg_size 296
		.amdhsa_user_sgpr_count 6
		.amdhsa_user_sgpr_private_segment_buffer 1
		.amdhsa_user_sgpr_dispatch_ptr 0
		.amdhsa_user_sgpr_queue_ptr 0
		.amdhsa_user_sgpr_kernarg_segment_ptr 1
		.amdhsa_user_sgpr_dispatch_id 0
		.amdhsa_user_sgpr_flat_scratch_init 0
		.amdhsa_user_sgpr_private_segment_size 0
		.amdhsa_uses_dynamic_stack 0
		.amdhsa_system_sgpr_private_segment_wavefront_offset 0
		.amdhsa_system_sgpr_workgroup_id_x 1
		.amdhsa_system_sgpr_workgroup_id_y 0
		.amdhsa_system_sgpr_workgroup_id_z 0
		.amdhsa_system_sgpr_workgroup_info 0
		.amdhsa_system_vgpr_workitem_id 0
		.amdhsa_next_free_vgpr 8
		.amdhsa_next_free_sgpr 16
		.amdhsa_reserve_vcc 1
		.amdhsa_reserve_flat_scratch 0
		.amdhsa_float_round_mode_32 0
		.amdhsa_float_round_mode_16_64 0
		.amdhsa_float_denorm_mode_32 3
		.amdhsa_float_denorm_mode_16_64 3
		.amdhsa_dx10_clamp 1
		.amdhsa_ieee_mode 1
		.amdhsa_fp16_overflow 0
		.amdhsa_exception_fp_ieee_invalid_op 0
		.amdhsa_exception_fp_denorm_src 0
		.amdhsa_exception_fp_ieee_div_zero 0
		.amdhsa_exception_fp_ieee_overflow 0
		.amdhsa_exception_fp_ieee_underflow 0
		.amdhsa_exception_fp_ieee_inexact 0
		.amdhsa_exception_int_div_zero 0
	.end_amdhsa_kernel
	.section	.text._ZN7rocprim17ROCPRIM_400000_NS6detail31init_lookback_scan_state_kernelINS1_19lookback_scan_stateIdLb1ELb1EEENS1_16block_id_wrapperIjLb1EEEEEvT_jT0_jPNS7_10value_typeE,"axG",@progbits,_ZN7rocprim17ROCPRIM_400000_NS6detail31init_lookback_scan_state_kernelINS1_19lookback_scan_stateIdLb1ELb1EEENS1_16block_id_wrapperIjLb1EEEEEvT_jT0_jPNS7_10value_typeE,comdat
.Lfunc_end27:
	.size	_ZN7rocprim17ROCPRIM_400000_NS6detail31init_lookback_scan_state_kernelINS1_19lookback_scan_stateIdLb1ELb1EEENS1_16block_id_wrapperIjLb1EEEEEvT_jT0_jPNS7_10value_typeE, .Lfunc_end27-_ZN7rocprim17ROCPRIM_400000_NS6detail31init_lookback_scan_state_kernelINS1_19lookback_scan_stateIdLb1ELb1EEENS1_16block_id_wrapperIjLb1EEEEEvT_jT0_jPNS7_10value_typeE
                                        ; -- End function
	.set _ZN7rocprim17ROCPRIM_400000_NS6detail31init_lookback_scan_state_kernelINS1_19lookback_scan_stateIdLb1ELb1EEENS1_16block_id_wrapperIjLb1EEEEEvT_jT0_jPNS7_10value_typeE.num_vgpr, 8
	.set _ZN7rocprim17ROCPRIM_400000_NS6detail31init_lookback_scan_state_kernelINS1_19lookback_scan_stateIdLb1ELb1EEENS1_16block_id_wrapperIjLb1EEEEEvT_jT0_jPNS7_10value_typeE.num_agpr, 0
	.set _ZN7rocprim17ROCPRIM_400000_NS6detail31init_lookback_scan_state_kernelINS1_19lookback_scan_stateIdLb1ELb1EEENS1_16block_id_wrapperIjLb1EEEEEvT_jT0_jPNS7_10value_typeE.numbered_sgpr, 16
	.set _ZN7rocprim17ROCPRIM_400000_NS6detail31init_lookback_scan_state_kernelINS1_19lookback_scan_stateIdLb1ELb1EEENS1_16block_id_wrapperIjLb1EEEEEvT_jT0_jPNS7_10value_typeE.num_named_barrier, 0
	.set _ZN7rocprim17ROCPRIM_400000_NS6detail31init_lookback_scan_state_kernelINS1_19lookback_scan_stateIdLb1ELb1EEENS1_16block_id_wrapperIjLb1EEEEEvT_jT0_jPNS7_10value_typeE.private_seg_size, 0
	.set _ZN7rocprim17ROCPRIM_400000_NS6detail31init_lookback_scan_state_kernelINS1_19lookback_scan_stateIdLb1ELb1EEENS1_16block_id_wrapperIjLb1EEEEEvT_jT0_jPNS7_10value_typeE.uses_vcc, 1
	.set _ZN7rocprim17ROCPRIM_400000_NS6detail31init_lookback_scan_state_kernelINS1_19lookback_scan_stateIdLb1ELb1EEENS1_16block_id_wrapperIjLb1EEEEEvT_jT0_jPNS7_10value_typeE.uses_flat_scratch, 0
	.set _ZN7rocprim17ROCPRIM_400000_NS6detail31init_lookback_scan_state_kernelINS1_19lookback_scan_stateIdLb1ELb1EEENS1_16block_id_wrapperIjLb1EEEEEvT_jT0_jPNS7_10value_typeE.has_dyn_sized_stack, 0
	.set _ZN7rocprim17ROCPRIM_400000_NS6detail31init_lookback_scan_state_kernelINS1_19lookback_scan_stateIdLb1ELb1EEENS1_16block_id_wrapperIjLb1EEEEEvT_jT0_jPNS7_10value_typeE.has_recursion, 0
	.set _ZN7rocprim17ROCPRIM_400000_NS6detail31init_lookback_scan_state_kernelINS1_19lookback_scan_stateIdLb1ELb1EEENS1_16block_id_wrapperIjLb1EEEEEvT_jT0_jPNS7_10value_typeE.has_indirect_call, 0
	.section	.AMDGPU.csdata,"",@progbits
; Kernel info:
; codeLenInByte = 480
; TotalNumSgprs: 20
; NumVgprs: 8
; ScratchSize: 0
; MemoryBound: 0
; FloatMode: 240
; IeeeMode: 1
; LDSByteSize: 0 bytes/workgroup (compile time only)
; SGPRBlocks: 2
; VGPRBlocks: 1
; NumSGPRsForWavesPerEU: 20
; NumVGPRsForWavesPerEU: 8
; Occupancy: 10
; WaveLimiterHint : 0
; COMPUTE_PGM_RSRC2:SCRATCH_EN: 0
; COMPUTE_PGM_RSRC2:USER_SGPR: 6
; COMPUTE_PGM_RSRC2:TRAP_HANDLER: 0
; COMPUTE_PGM_RSRC2:TGID_X_EN: 1
; COMPUTE_PGM_RSRC2:TGID_Y_EN: 0
; COMPUTE_PGM_RSRC2:TGID_Z_EN: 0
; COMPUTE_PGM_RSRC2:TIDIG_COMP_CNT: 0
	.section	.text._ZN7rocprim17ROCPRIM_400000_NS6detail17trampoline_kernelINS0_14default_configENS1_20scan_config_selectorIdEEZZNS1_9scan_implILNS1_25lookback_scan_determinismE0ELb0ELb0ES3_PKdPddZZZN2at6native31launch_logcumsumexp_cuda_kernelERKNSB_10TensorBaseESF_lENKUlvE_clEvENKUlvE_clEvEUlddE_dEEDaPvRmT3_T4_T5_mT6_P12ihipStream_tbENKUlT_T0_E_clISt17integral_constantIbLb1EESW_EEDaSR_SS_EUlSR_E_NS1_11comp_targetILNS1_3genE0ELNS1_11target_archE4294967295ELNS1_3gpuE0ELNS1_3repE0EEENS1_30default_config_static_selectorELNS0_4arch9wavefront6targetE1EEEvT1_,"axG",@progbits,_ZN7rocprim17ROCPRIM_400000_NS6detail17trampoline_kernelINS0_14default_configENS1_20scan_config_selectorIdEEZZNS1_9scan_implILNS1_25lookback_scan_determinismE0ELb0ELb0ES3_PKdPddZZZN2at6native31launch_logcumsumexp_cuda_kernelERKNSB_10TensorBaseESF_lENKUlvE_clEvENKUlvE_clEvEUlddE_dEEDaPvRmT3_T4_T5_mT6_P12ihipStream_tbENKUlT_T0_E_clISt17integral_constantIbLb1EESW_EEDaSR_SS_EUlSR_E_NS1_11comp_targetILNS1_3genE0ELNS1_11target_archE4294967295ELNS1_3gpuE0ELNS1_3repE0EEENS1_30default_config_static_selectorELNS0_4arch9wavefront6targetE1EEEvT1_,comdat
	.globl	_ZN7rocprim17ROCPRIM_400000_NS6detail17trampoline_kernelINS0_14default_configENS1_20scan_config_selectorIdEEZZNS1_9scan_implILNS1_25lookback_scan_determinismE0ELb0ELb0ES3_PKdPddZZZN2at6native31launch_logcumsumexp_cuda_kernelERKNSB_10TensorBaseESF_lENKUlvE_clEvENKUlvE_clEvEUlddE_dEEDaPvRmT3_T4_T5_mT6_P12ihipStream_tbENKUlT_T0_E_clISt17integral_constantIbLb1EESW_EEDaSR_SS_EUlSR_E_NS1_11comp_targetILNS1_3genE0ELNS1_11target_archE4294967295ELNS1_3gpuE0ELNS1_3repE0EEENS1_30default_config_static_selectorELNS0_4arch9wavefront6targetE1EEEvT1_ ; -- Begin function _ZN7rocprim17ROCPRIM_400000_NS6detail17trampoline_kernelINS0_14default_configENS1_20scan_config_selectorIdEEZZNS1_9scan_implILNS1_25lookback_scan_determinismE0ELb0ELb0ES3_PKdPddZZZN2at6native31launch_logcumsumexp_cuda_kernelERKNSB_10TensorBaseESF_lENKUlvE_clEvENKUlvE_clEvEUlddE_dEEDaPvRmT3_T4_T5_mT6_P12ihipStream_tbENKUlT_T0_E_clISt17integral_constantIbLb1EESW_EEDaSR_SS_EUlSR_E_NS1_11comp_targetILNS1_3genE0ELNS1_11target_archE4294967295ELNS1_3gpuE0ELNS1_3repE0EEENS1_30default_config_static_selectorELNS0_4arch9wavefront6targetE1EEEvT1_
	.p2align	8
	.type	_ZN7rocprim17ROCPRIM_400000_NS6detail17trampoline_kernelINS0_14default_configENS1_20scan_config_selectorIdEEZZNS1_9scan_implILNS1_25lookback_scan_determinismE0ELb0ELb0ES3_PKdPddZZZN2at6native31launch_logcumsumexp_cuda_kernelERKNSB_10TensorBaseESF_lENKUlvE_clEvENKUlvE_clEvEUlddE_dEEDaPvRmT3_T4_T5_mT6_P12ihipStream_tbENKUlT_T0_E_clISt17integral_constantIbLb1EESW_EEDaSR_SS_EUlSR_E_NS1_11comp_targetILNS1_3genE0ELNS1_11target_archE4294967295ELNS1_3gpuE0ELNS1_3repE0EEENS1_30default_config_static_selectorELNS0_4arch9wavefront6targetE1EEEvT1_,@function
_ZN7rocprim17ROCPRIM_400000_NS6detail17trampoline_kernelINS0_14default_configENS1_20scan_config_selectorIdEEZZNS1_9scan_implILNS1_25lookback_scan_determinismE0ELb0ELb0ES3_PKdPddZZZN2at6native31launch_logcumsumexp_cuda_kernelERKNSB_10TensorBaseESF_lENKUlvE_clEvENKUlvE_clEvEUlddE_dEEDaPvRmT3_T4_T5_mT6_P12ihipStream_tbENKUlT_T0_E_clISt17integral_constantIbLb1EESW_EEDaSR_SS_EUlSR_E_NS1_11comp_targetILNS1_3genE0ELNS1_11target_archE4294967295ELNS1_3gpuE0ELNS1_3repE0EEENS1_30default_config_static_selectorELNS0_4arch9wavefront6targetE1EEEvT1_: ; @_ZN7rocprim17ROCPRIM_400000_NS6detail17trampoline_kernelINS0_14default_configENS1_20scan_config_selectorIdEEZZNS1_9scan_implILNS1_25lookback_scan_determinismE0ELb0ELb0ES3_PKdPddZZZN2at6native31launch_logcumsumexp_cuda_kernelERKNSB_10TensorBaseESF_lENKUlvE_clEvENKUlvE_clEvEUlddE_dEEDaPvRmT3_T4_T5_mT6_P12ihipStream_tbENKUlT_T0_E_clISt17integral_constantIbLb1EESW_EEDaSR_SS_EUlSR_E_NS1_11comp_targetILNS1_3genE0ELNS1_11target_archE4294967295ELNS1_3gpuE0ELNS1_3repE0EEENS1_30default_config_static_selectorELNS0_4arch9wavefront6targetE1EEEvT1_
; %bb.0:
	.section	.rodata,"a",@progbits
	.p2align	6, 0x0
	.amdhsa_kernel _ZN7rocprim17ROCPRIM_400000_NS6detail17trampoline_kernelINS0_14default_configENS1_20scan_config_selectorIdEEZZNS1_9scan_implILNS1_25lookback_scan_determinismE0ELb0ELb0ES3_PKdPddZZZN2at6native31launch_logcumsumexp_cuda_kernelERKNSB_10TensorBaseESF_lENKUlvE_clEvENKUlvE_clEvEUlddE_dEEDaPvRmT3_T4_T5_mT6_P12ihipStream_tbENKUlT_T0_E_clISt17integral_constantIbLb1EESW_EEDaSR_SS_EUlSR_E_NS1_11comp_targetILNS1_3genE0ELNS1_11target_archE4294967295ELNS1_3gpuE0ELNS1_3repE0EEENS1_30default_config_static_selectorELNS0_4arch9wavefront6targetE1EEEvT1_
		.amdhsa_group_segment_fixed_size 0
		.amdhsa_private_segment_fixed_size 0
		.amdhsa_kernarg_size 104
		.amdhsa_user_sgpr_count 6
		.amdhsa_user_sgpr_private_segment_buffer 1
		.amdhsa_user_sgpr_dispatch_ptr 0
		.amdhsa_user_sgpr_queue_ptr 0
		.amdhsa_user_sgpr_kernarg_segment_ptr 1
		.amdhsa_user_sgpr_dispatch_id 0
		.amdhsa_user_sgpr_flat_scratch_init 0
		.amdhsa_user_sgpr_private_segment_size 0
		.amdhsa_uses_dynamic_stack 0
		.amdhsa_system_sgpr_private_segment_wavefront_offset 0
		.amdhsa_system_sgpr_workgroup_id_x 1
		.amdhsa_system_sgpr_workgroup_id_y 0
		.amdhsa_system_sgpr_workgroup_id_z 0
		.amdhsa_system_sgpr_workgroup_info 0
		.amdhsa_system_vgpr_workitem_id 0
		.amdhsa_next_free_vgpr 1
		.amdhsa_next_free_sgpr 0
		.amdhsa_reserve_vcc 0
		.amdhsa_reserve_flat_scratch 0
		.amdhsa_float_round_mode_32 0
		.amdhsa_float_round_mode_16_64 0
		.amdhsa_float_denorm_mode_32 3
		.amdhsa_float_denorm_mode_16_64 3
		.amdhsa_dx10_clamp 1
		.amdhsa_ieee_mode 1
		.amdhsa_fp16_overflow 0
		.amdhsa_exception_fp_ieee_invalid_op 0
		.amdhsa_exception_fp_denorm_src 0
		.amdhsa_exception_fp_ieee_div_zero 0
		.amdhsa_exception_fp_ieee_overflow 0
		.amdhsa_exception_fp_ieee_underflow 0
		.amdhsa_exception_fp_ieee_inexact 0
		.amdhsa_exception_int_div_zero 0
	.end_amdhsa_kernel
	.section	.text._ZN7rocprim17ROCPRIM_400000_NS6detail17trampoline_kernelINS0_14default_configENS1_20scan_config_selectorIdEEZZNS1_9scan_implILNS1_25lookback_scan_determinismE0ELb0ELb0ES3_PKdPddZZZN2at6native31launch_logcumsumexp_cuda_kernelERKNSB_10TensorBaseESF_lENKUlvE_clEvENKUlvE_clEvEUlddE_dEEDaPvRmT3_T4_T5_mT6_P12ihipStream_tbENKUlT_T0_E_clISt17integral_constantIbLb1EESW_EEDaSR_SS_EUlSR_E_NS1_11comp_targetILNS1_3genE0ELNS1_11target_archE4294967295ELNS1_3gpuE0ELNS1_3repE0EEENS1_30default_config_static_selectorELNS0_4arch9wavefront6targetE1EEEvT1_,"axG",@progbits,_ZN7rocprim17ROCPRIM_400000_NS6detail17trampoline_kernelINS0_14default_configENS1_20scan_config_selectorIdEEZZNS1_9scan_implILNS1_25lookback_scan_determinismE0ELb0ELb0ES3_PKdPddZZZN2at6native31launch_logcumsumexp_cuda_kernelERKNSB_10TensorBaseESF_lENKUlvE_clEvENKUlvE_clEvEUlddE_dEEDaPvRmT3_T4_T5_mT6_P12ihipStream_tbENKUlT_T0_E_clISt17integral_constantIbLb1EESW_EEDaSR_SS_EUlSR_E_NS1_11comp_targetILNS1_3genE0ELNS1_11target_archE4294967295ELNS1_3gpuE0ELNS1_3repE0EEENS1_30default_config_static_selectorELNS0_4arch9wavefront6targetE1EEEvT1_,comdat
.Lfunc_end28:
	.size	_ZN7rocprim17ROCPRIM_400000_NS6detail17trampoline_kernelINS0_14default_configENS1_20scan_config_selectorIdEEZZNS1_9scan_implILNS1_25lookback_scan_determinismE0ELb0ELb0ES3_PKdPddZZZN2at6native31launch_logcumsumexp_cuda_kernelERKNSB_10TensorBaseESF_lENKUlvE_clEvENKUlvE_clEvEUlddE_dEEDaPvRmT3_T4_T5_mT6_P12ihipStream_tbENKUlT_T0_E_clISt17integral_constantIbLb1EESW_EEDaSR_SS_EUlSR_E_NS1_11comp_targetILNS1_3genE0ELNS1_11target_archE4294967295ELNS1_3gpuE0ELNS1_3repE0EEENS1_30default_config_static_selectorELNS0_4arch9wavefront6targetE1EEEvT1_, .Lfunc_end28-_ZN7rocprim17ROCPRIM_400000_NS6detail17trampoline_kernelINS0_14default_configENS1_20scan_config_selectorIdEEZZNS1_9scan_implILNS1_25lookback_scan_determinismE0ELb0ELb0ES3_PKdPddZZZN2at6native31launch_logcumsumexp_cuda_kernelERKNSB_10TensorBaseESF_lENKUlvE_clEvENKUlvE_clEvEUlddE_dEEDaPvRmT3_T4_T5_mT6_P12ihipStream_tbENKUlT_T0_E_clISt17integral_constantIbLb1EESW_EEDaSR_SS_EUlSR_E_NS1_11comp_targetILNS1_3genE0ELNS1_11target_archE4294967295ELNS1_3gpuE0ELNS1_3repE0EEENS1_30default_config_static_selectorELNS0_4arch9wavefront6targetE1EEEvT1_
                                        ; -- End function
	.set _ZN7rocprim17ROCPRIM_400000_NS6detail17trampoline_kernelINS0_14default_configENS1_20scan_config_selectorIdEEZZNS1_9scan_implILNS1_25lookback_scan_determinismE0ELb0ELb0ES3_PKdPddZZZN2at6native31launch_logcumsumexp_cuda_kernelERKNSB_10TensorBaseESF_lENKUlvE_clEvENKUlvE_clEvEUlddE_dEEDaPvRmT3_T4_T5_mT6_P12ihipStream_tbENKUlT_T0_E_clISt17integral_constantIbLb1EESW_EEDaSR_SS_EUlSR_E_NS1_11comp_targetILNS1_3genE0ELNS1_11target_archE4294967295ELNS1_3gpuE0ELNS1_3repE0EEENS1_30default_config_static_selectorELNS0_4arch9wavefront6targetE1EEEvT1_.num_vgpr, 0
	.set _ZN7rocprim17ROCPRIM_400000_NS6detail17trampoline_kernelINS0_14default_configENS1_20scan_config_selectorIdEEZZNS1_9scan_implILNS1_25lookback_scan_determinismE0ELb0ELb0ES3_PKdPddZZZN2at6native31launch_logcumsumexp_cuda_kernelERKNSB_10TensorBaseESF_lENKUlvE_clEvENKUlvE_clEvEUlddE_dEEDaPvRmT3_T4_T5_mT6_P12ihipStream_tbENKUlT_T0_E_clISt17integral_constantIbLb1EESW_EEDaSR_SS_EUlSR_E_NS1_11comp_targetILNS1_3genE0ELNS1_11target_archE4294967295ELNS1_3gpuE0ELNS1_3repE0EEENS1_30default_config_static_selectorELNS0_4arch9wavefront6targetE1EEEvT1_.num_agpr, 0
	.set _ZN7rocprim17ROCPRIM_400000_NS6detail17trampoline_kernelINS0_14default_configENS1_20scan_config_selectorIdEEZZNS1_9scan_implILNS1_25lookback_scan_determinismE0ELb0ELb0ES3_PKdPddZZZN2at6native31launch_logcumsumexp_cuda_kernelERKNSB_10TensorBaseESF_lENKUlvE_clEvENKUlvE_clEvEUlddE_dEEDaPvRmT3_T4_T5_mT6_P12ihipStream_tbENKUlT_T0_E_clISt17integral_constantIbLb1EESW_EEDaSR_SS_EUlSR_E_NS1_11comp_targetILNS1_3genE0ELNS1_11target_archE4294967295ELNS1_3gpuE0ELNS1_3repE0EEENS1_30default_config_static_selectorELNS0_4arch9wavefront6targetE1EEEvT1_.numbered_sgpr, 0
	.set _ZN7rocprim17ROCPRIM_400000_NS6detail17trampoline_kernelINS0_14default_configENS1_20scan_config_selectorIdEEZZNS1_9scan_implILNS1_25lookback_scan_determinismE0ELb0ELb0ES3_PKdPddZZZN2at6native31launch_logcumsumexp_cuda_kernelERKNSB_10TensorBaseESF_lENKUlvE_clEvENKUlvE_clEvEUlddE_dEEDaPvRmT3_T4_T5_mT6_P12ihipStream_tbENKUlT_T0_E_clISt17integral_constantIbLb1EESW_EEDaSR_SS_EUlSR_E_NS1_11comp_targetILNS1_3genE0ELNS1_11target_archE4294967295ELNS1_3gpuE0ELNS1_3repE0EEENS1_30default_config_static_selectorELNS0_4arch9wavefront6targetE1EEEvT1_.num_named_barrier, 0
	.set _ZN7rocprim17ROCPRIM_400000_NS6detail17trampoline_kernelINS0_14default_configENS1_20scan_config_selectorIdEEZZNS1_9scan_implILNS1_25lookback_scan_determinismE0ELb0ELb0ES3_PKdPddZZZN2at6native31launch_logcumsumexp_cuda_kernelERKNSB_10TensorBaseESF_lENKUlvE_clEvENKUlvE_clEvEUlddE_dEEDaPvRmT3_T4_T5_mT6_P12ihipStream_tbENKUlT_T0_E_clISt17integral_constantIbLb1EESW_EEDaSR_SS_EUlSR_E_NS1_11comp_targetILNS1_3genE0ELNS1_11target_archE4294967295ELNS1_3gpuE0ELNS1_3repE0EEENS1_30default_config_static_selectorELNS0_4arch9wavefront6targetE1EEEvT1_.private_seg_size, 0
	.set _ZN7rocprim17ROCPRIM_400000_NS6detail17trampoline_kernelINS0_14default_configENS1_20scan_config_selectorIdEEZZNS1_9scan_implILNS1_25lookback_scan_determinismE0ELb0ELb0ES3_PKdPddZZZN2at6native31launch_logcumsumexp_cuda_kernelERKNSB_10TensorBaseESF_lENKUlvE_clEvENKUlvE_clEvEUlddE_dEEDaPvRmT3_T4_T5_mT6_P12ihipStream_tbENKUlT_T0_E_clISt17integral_constantIbLb1EESW_EEDaSR_SS_EUlSR_E_NS1_11comp_targetILNS1_3genE0ELNS1_11target_archE4294967295ELNS1_3gpuE0ELNS1_3repE0EEENS1_30default_config_static_selectorELNS0_4arch9wavefront6targetE1EEEvT1_.uses_vcc, 0
	.set _ZN7rocprim17ROCPRIM_400000_NS6detail17trampoline_kernelINS0_14default_configENS1_20scan_config_selectorIdEEZZNS1_9scan_implILNS1_25lookback_scan_determinismE0ELb0ELb0ES3_PKdPddZZZN2at6native31launch_logcumsumexp_cuda_kernelERKNSB_10TensorBaseESF_lENKUlvE_clEvENKUlvE_clEvEUlddE_dEEDaPvRmT3_T4_T5_mT6_P12ihipStream_tbENKUlT_T0_E_clISt17integral_constantIbLb1EESW_EEDaSR_SS_EUlSR_E_NS1_11comp_targetILNS1_3genE0ELNS1_11target_archE4294967295ELNS1_3gpuE0ELNS1_3repE0EEENS1_30default_config_static_selectorELNS0_4arch9wavefront6targetE1EEEvT1_.uses_flat_scratch, 0
	.set _ZN7rocprim17ROCPRIM_400000_NS6detail17trampoline_kernelINS0_14default_configENS1_20scan_config_selectorIdEEZZNS1_9scan_implILNS1_25lookback_scan_determinismE0ELb0ELb0ES3_PKdPddZZZN2at6native31launch_logcumsumexp_cuda_kernelERKNSB_10TensorBaseESF_lENKUlvE_clEvENKUlvE_clEvEUlddE_dEEDaPvRmT3_T4_T5_mT6_P12ihipStream_tbENKUlT_T0_E_clISt17integral_constantIbLb1EESW_EEDaSR_SS_EUlSR_E_NS1_11comp_targetILNS1_3genE0ELNS1_11target_archE4294967295ELNS1_3gpuE0ELNS1_3repE0EEENS1_30default_config_static_selectorELNS0_4arch9wavefront6targetE1EEEvT1_.has_dyn_sized_stack, 0
	.set _ZN7rocprim17ROCPRIM_400000_NS6detail17trampoline_kernelINS0_14default_configENS1_20scan_config_selectorIdEEZZNS1_9scan_implILNS1_25lookback_scan_determinismE0ELb0ELb0ES3_PKdPddZZZN2at6native31launch_logcumsumexp_cuda_kernelERKNSB_10TensorBaseESF_lENKUlvE_clEvENKUlvE_clEvEUlddE_dEEDaPvRmT3_T4_T5_mT6_P12ihipStream_tbENKUlT_T0_E_clISt17integral_constantIbLb1EESW_EEDaSR_SS_EUlSR_E_NS1_11comp_targetILNS1_3genE0ELNS1_11target_archE4294967295ELNS1_3gpuE0ELNS1_3repE0EEENS1_30default_config_static_selectorELNS0_4arch9wavefront6targetE1EEEvT1_.has_recursion, 0
	.set _ZN7rocprim17ROCPRIM_400000_NS6detail17trampoline_kernelINS0_14default_configENS1_20scan_config_selectorIdEEZZNS1_9scan_implILNS1_25lookback_scan_determinismE0ELb0ELb0ES3_PKdPddZZZN2at6native31launch_logcumsumexp_cuda_kernelERKNSB_10TensorBaseESF_lENKUlvE_clEvENKUlvE_clEvEUlddE_dEEDaPvRmT3_T4_T5_mT6_P12ihipStream_tbENKUlT_T0_E_clISt17integral_constantIbLb1EESW_EEDaSR_SS_EUlSR_E_NS1_11comp_targetILNS1_3genE0ELNS1_11target_archE4294967295ELNS1_3gpuE0ELNS1_3repE0EEENS1_30default_config_static_selectorELNS0_4arch9wavefront6targetE1EEEvT1_.has_indirect_call, 0
	.section	.AMDGPU.csdata,"",@progbits
; Kernel info:
; codeLenInByte = 0
; TotalNumSgprs: 4
; NumVgprs: 0
; ScratchSize: 0
; MemoryBound: 0
; FloatMode: 240
; IeeeMode: 1
; LDSByteSize: 0 bytes/workgroup (compile time only)
; SGPRBlocks: 0
; VGPRBlocks: 0
; NumSGPRsForWavesPerEU: 4
; NumVGPRsForWavesPerEU: 1
; Occupancy: 10
; WaveLimiterHint : 0
; COMPUTE_PGM_RSRC2:SCRATCH_EN: 0
; COMPUTE_PGM_RSRC2:USER_SGPR: 6
; COMPUTE_PGM_RSRC2:TRAP_HANDLER: 0
; COMPUTE_PGM_RSRC2:TGID_X_EN: 1
; COMPUTE_PGM_RSRC2:TGID_Y_EN: 0
; COMPUTE_PGM_RSRC2:TGID_Z_EN: 0
; COMPUTE_PGM_RSRC2:TIDIG_COMP_CNT: 0
	.section	.text._ZN7rocprim17ROCPRIM_400000_NS6detail17trampoline_kernelINS0_14default_configENS1_20scan_config_selectorIdEEZZNS1_9scan_implILNS1_25lookback_scan_determinismE0ELb0ELb0ES3_PKdPddZZZN2at6native31launch_logcumsumexp_cuda_kernelERKNSB_10TensorBaseESF_lENKUlvE_clEvENKUlvE_clEvEUlddE_dEEDaPvRmT3_T4_T5_mT6_P12ihipStream_tbENKUlT_T0_E_clISt17integral_constantIbLb1EESW_EEDaSR_SS_EUlSR_E_NS1_11comp_targetILNS1_3genE5ELNS1_11target_archE942ELNS1_3gpuE9ELNS1_3repE0EEENS1_30default_config_static_selectorELNS0_4arch9wavefront6targetE1EEEvT1_,"axG",@progbits,_ZN7rocprim17ROCPRIM_400000_NS6detail17trampoline_kernelINS0_14default_configENS1_20scan_config_selectorIdEEZZNS1_9scan_implILNS1_25lookback_scan_determinismE0ELb0ELb0ES3_PKdPddZZZN2at6native31launch_logcumsumexp_cuda_kernelERKNSB_10TensorBaseESF_lENKUlvE_clEvENKUlvE_clEvEUlddE_dEEDaPvRmT3_T4_T5_mT6_P12ihipStream_tbENKUlT_T0_E_clISt17integral_constantIbLb1EESW_EEDaSR_SS_EUlSR_E_NS1_11comp_targetILNS1_3genE5ELNS1_11target_archE942ELNS1_3gpuE9ELNS1_3repE0EEENS1_30default_config_static_selectorELNS0_4arch9wavefront6targetE1EEEvT1_,comdat
	.globl	_ZN7rocprim17ROCPRIM_400000_NS6detail17trampoline_kernelINS0_14default_configENS1_20scan_config_selectorIdEEZZNS1_9scan_implILNS1_25lookback_scan_determinismE0ELb0ELb0ES3_PKdPddZZZN2at6native31launch_logcumsumexp_cuda_kernelERKNSB_10TensorBaseESF_lENKUlvE_clEvENKUlvE_clEvEUlddE_dEEDaPvRmT3_T4_T5_mT6_P12ihipStream_tbENKUlT_T0_E_clISt17integral_constantIbLb1EESW_EEDaSR_SS_EUlSR_E_NS1_11comp_targetILNS1_3genE5ELNS1_11target_archE942ELNS1_3gpuE9ELNS1_3repE0EEENS1_30default_config_static_selectorELNS0_4arch9wavefront6targetE1EEEvT1_ ; -- Begin function _ZN7rocprim17ROCPRIM_400000_NS6detail17trampoline_kernelINS0_14default_configENS1_20scan_config_selectorIdEEZZNS1_9scan_implILNS1_25lookback_scan_determinismE0ELb0ELb0ES3_PKdPddZZZN2at6native31launch_logcumsumexp_cuda_kernelERKNSB_10TensorBaseESF_lENKUlvE_clEvENKUlvE_clEvEUlddE_dEEDaPvRmT3_T4_T5_mT6_P12ihipStream_tbENKUlT_T0_E_clISt17integral_constantIbLb1EESW_EEDaSR_SS_EUlSR_E_NS1_11comp_targetILNS1_3genE5ELNS1_11target_archE942ELNS1_3gpuE9ELNS1_3repE0EEENS1_30default_config_static_selectorELNS0_4arch9wavefront6targetE1EEEvT1_
	.p2align	8
	.type	_ZN7rocprim17ROCPRIM_400000_NS6detail17trampoline_kernelINS0_14default_configENS1_20scan_config_selectorIdEEZZNS1_9scan_implILNS1_25lookback_scan_determinismE0ELb0ELb0ES3_PKdPddZZZN2at6native31launch_logcumsumexp_cuda_kernelERKNSB_10TensorBaseESF_lENKUlvE_clEvENKUlvE_clEvEUlddE_dEEDaPvRmT3_T4_T5_mT6_P12ihipStream_tbENKUlT_T0_E_clISt17integral_constantIbLb1EESW_EEDaSR_SS_EUlSR_E_NS1_11comp_targetILNS1_3genE5ELNS1_11target_archE942ELNS1_3gpuE9ELNS1_3repE0EEENS1_30default_config_static_selectorELNS0_4arch9wavefront6targetE1EEEvT1_,@function
_ZN7rocprim17ROCPRIM_400000_NS6detail17trampoline_kernelINS0_14default_configENS1_20scan_config_selectorIdEEZZNS1_9scan_implILNS1_25lookback_scan_determinismE0ELb0ELb0ES3_PKdPddZZZN2at6native31launch_logcumsumexp_cuda_kernelERKNSB_10TensorBaseESF_lENKUlvE_clEvENKUlvE_clEvEUlddE_dEEDaPvRmT3_T4_T5_mT6_P12ihipStream_tbENKUlT_T0_E_clISt17integral_constantIbLb1EESW_EEDaSR_SS_EUlSR_E_NS1_11comp_targetILNS1_3genE5ELNS1_11target_archE942ELNS1_3gpuE9ELNS1_3repE0EEENS1_30default_config_static_selectorELNS0_4arch9wavefront6targetE1EEEvT1_: ; @_ZN7rocprim17ROCPRIM_400000_NS6detail17trampoline_kernelINS0_14default_configENS1_20scan_config_selectorIdEEZZNS1_9scan_implILNS1_25lookback_scan_determinismE0ELb0ELb0ES3_PKdPddZZZN2at6native31launch_logcumsumexp_cuda_kernelERKNSB_10TensorBaseESF_lENKUlvE_clEvENKUlvE_clEvEUlddE_dEEDaPvRmT3_T4_T5_mT6_P12ihipStream_tbENKUlT_T0_E_clISt17integral_constantIbLb1EESW_EEDaSR_SS_EUlSR_E_NS1_11comp_targetILNS1_3genE5ELNS1_11target_archE942ELNS1_3gpuE9ELNS1_3repE0EEENS1_30default_config_static_selectorELNS0_4arch9wavefront6targetE1EEEvT1_
; %bb.0:
	.section	.rodata,"a",@progbits
	.p2align	6, 0x0
	.amdhsa_kernel _ZN7rocprim17ROCPRIM_400000_NS6detail17trampoline_kernelINS0_14default_configENS1_20scan_config_selectorIdEEZZNS1_9scan_implILNS1_25lookback_scan_determinismE0ELb0ELb0ES3_PKdPddZZZN2at6native31launch_logcumsumexp_cuda_kernelERKNSB_10TensorBaseESF_lENKUlvE_clEvENKUlvE_clEvEUlddE_dEEDaPvRmT3_T4_T5_mT6_P12ihipStream_tbENKUlT_T0_E_clISt17integral_constantIbLb1EESW_EEDaSR_SS_EUlSR_E_NS1_11comp_targetILNS1_3genE5ELNS1_11target_archE942ELNS1_3gpuE9ELNS1_3repE0EEENS1_30default_config_static_selectorELNS0_4arch9wavefront6targetE1EEEvT1_
		.amdhsa_group_segment_fixed_size 0
		.amdhsa_private_segment_fixed_size 0
		.amdhsa_kernarg_size 104
		.amdhsa_user_sgpr_count 6
		.amdhsa_user_sgpr_private_segment_buffer 1
		.amdhsa_user_sgpr_dispatch_ptr 0
		.amdhsa_user_sgpr_queue_ptr 0
		.amdhsa_user_sgpr_kernarg_segment_ptr 1
		.amdhsa_user_sgpr_dispatch_id 0
		.amdhsa_user_sgpr_flat_scratch_init 0
		.amdhsa_user_sgpr_private_segment_size 0
		.amdhsa_uses_dynamic_stack 0
		.amdhsa_system_sgpr_private_segment_wavefront_offset 0
		.amdhsa_system_sgpr_workgroup_id_x 1
		.amdhsa_system_sgpr_workgroup_id_y 0
		.amdhsa_system_sgpr_workgroup_id_z 0
		.amdhsa_system_sgpr_workgroup_info 0
		.amdhsa_system_vgpr_workitem_id 0
		.amdhsa_next_free_vgpr 1
		.amdhsa_next_free_sgpr 0
		.amdhsa_reserve_vcc 0
		.amdhsa_reserve_flat_scratch 0
		.amdhsa_float_round_mode_32 0
		.amdhsa_float_round_mode_16_64 0
		.amdhsa_float_denorm_mode_32 3
		.amdhsa_float_denorm_mode_16_64 3
		.amdhsa_dx10_clamp 1
		.amdhsa_ieee_mode 1
		.amdhsa_fp16_overflow 0
		.amdhsa_exception_fp_ieee_invalid_op 0
		.amdhsa_exception_fp_denorm_src 0
		.amdhsa_exception_fp_ieee_div_zero 0
		.amdhsa_exception_fp_ieee_overflow 0
		.amdhsa_exception_fp_ieee_underflow 0
		.amdhsa_exception_fp_ieee_inexact 0
		.amdhsa_exception_int_div_zero 0
	.end_amdhsa_kernel
	.section	.text._ZN7rocprim17ROCPRIM_400000_NS6detail17trampoline_kernelINS0_14default_configENS1_20scan_config_selectorIdEEZZNS1_9scan_implILNS1_25lookback_scan_determinismE0ELb0ELb0ES3_PKdPddZZZN2at6native31launch_logcumsumexp_cuda_kernelERKNSB_10TensorBaseESF_lENKUlvE_clEvENKUlvE_clEvEUlddE_dEEDaPvRmT3_T4_T5_mT6_P12ihipStream_tbENKUlT_T0_E_clISt17integral_constantIbLb1EESW_EEDaSR_SS_EUlSR_E_NS1_11comp_targetILNS1_3genE5ELNS1_11target_archE942ELNS1_3gpuE9ELNS1_3repE0EEENS1_30default_config_static_selectorELNS0_4arch9wavefront6targetE1EEEvT1_,"axG",@progbits,_ZN7rocprim17ROCPRIM_400000_NS6detail17trampoline_kernelINS0_14default_configENS1_20scan_config_selectorIdEEZZNS1_9scan_implILNS1_25lookback_scan_determinismE0ELb0ELb0ES3_PKdPddZZZN2at6native31launch_logcumsumexp_cuda_kernelERKNSB_10TensorBaseESF_lENKUlvE_clEvENKUlvE_clEvEUlddE_dEEDaPvRmT3_T4_T5_mT6_P12ihipStream_tbENKUlT_T0_E_clISt17integral_constantIbLb1EESW_EEDaSR_SS_EUlSR_E_NS1_11comp_targetILNS1_3genE5ELNS1_11target_archE942ELNS1_3gpuE9ELNS1_3repE0EEENS1_30default_config_static_selectorELNS0_4arch9wavefront6targetE1EEEvT1_,comdat
.Lfunc_end29:
	.size	_ZN7rocprim17ROCPRIM_400000_NS6detail17trampoline_kernelINS0_14default_configENS1_20scan_config_selectorIdEEZZNS1_9scan_implILNS1_25lookback_scan_determinismE0ELb0ELb0ES3_PKdPddZZZN2at6native31launch_logcumsumexp_cuda_kernelERKNSB_10TensorBaseESF_lENKUlvE_clEvENKUlvE_clEvEUlddE_dEEDaPvRmT3_T4_T5_mT6_P12ihipStream_tbENKUlT_T0_E_clISt17integral_constantIbLb1EESW_EEDaSR_SS_EUlSR_E_NS1_11comp_targetILNS1_3genE5ELNS1_11target_archE942ELNS1_3gpuE9ELNS1_3repE0EEENS1_30default_config_static_selectorELNS0_4arch9wavefront6targetE1EEEvT1_, .Lfunc_end29-_ZN7rocprim17ROCPRIM_400000_NS6detail17trampoline_kernelINS0_14default_configENS1_20scan_config_selectorIdEEZZNS1_9scan_implILNS1_25lookback_scan_determinismE0ELb0ELb0ES3_PKdPddZZZN2at6native31launch_logcumsumexp_cuda_kernelERKNSB_10TensorBaseESF_lENKUlvE_clEvENKUlvE_clEvEUlddE_dEEDaPvRmT3_T4_T5_mT6_P12ihipStream_tbENKUlT_T0_E_clISt17integral_constantIbLb1EESW_EEDaSR_SS_EUlSR_E_NS1_11comp_targetILNS1_3genE5ELNS1_11target_archE942ELNS1_3gpuE9ELNS1_3repE0EEENS1_30default_config_static_selectorELNS0_4arch9wavefront6targetE1EEEvT1_
                                        ; -- End function
	.set _ZN7rocprim17ROCPRIM_400000_NS6detail17trampoline_kernelINS0_14default_configENS1_20scan_config_selectorIdEEZZNS1_9scan_implILNS1_25lookback_scan_determinismE0ELb0ELb0ES3_PKdPddZZZN2at6native31launch_logcumsumexp_cuda_kernelERKNSB_10TensorBaseESF_lENKUlvE_clEvENKUlvE_clEvEUlddE_dEEDaPvRmT3_T4_T5_mT6_P12ihipStream_tbENKUlT_T0_E_clISt17integral_constantIbLb1EESW_EEDaSR_SS_EUlSR_E_NS1_11comp_targetILNS1_3genE5ELNS1_11target_archE942ELNS1_3gpuE9ELNS1_3repE0EEENS1_30default_config_static_selectorELNS0_4arch9wavefront6targetE1EEEvT1_.num_vgpr, 0
	.set _ZN7rocprim17ROCPRIM_400000_NS6detail17trampoline_kernelINS0_14default_configENS1_20scan_config_selectorIdEEZZNS1_9scan_implILNS1_25lookback_scan_determinismE0ELb0ELb0ES3_PKdPddZZZN2at6native31launch_logcumsumexp_cuda_kernelERKNSB_10TensorBaseESF_lENKUlvE_clEvENKUlvE_clEvEUlddE_dEEDaPvRmT3_T4_T5_mT6_P12ihipStream_tbENKUlT_T0_E_clISt17integral_constantIbLb1EESW_EEDaSR_SS_EUlSR_E_NS1_11comp_targetILNS1_3genE5ELNS1_11target_archE942ELNS1_3gpuE9ELNS1_3repE0EEENS1_30default_config_static_selectorELNS0_4arch9wavefront6targetE1EEEvT1_.num_agpr, 0
	.set _ZN7rocprim17ROCPRIM_400000_NS6detail17trampoline_kernelINS0_14default_configENS1_20scan_config_selectorIdEEZZNS1_9scan_implILNS1_25lookback_scan_determinismE0ELb0ELb0ES3_PKdPddZZZN2at6native31launch_logcumsumexp_cuda_kernelERKNSB_10TensorBaseESF_lENKUlvE_clEvENKUlvE_clEvEUlddE_dEEDaPvRmT3_T4_T5_mT6_P12ihipStream_tbENKUlT_T0_E_clISt17integral_constantIbLb1EESW_EEDaSR_SS_EUlSR_E_NS1_11comp_targetILNS1_3genE5ELNS1_11target_archE942ELNS1_3gpuE9ELNS1_3repE0EEENS1_30default_config_static_selectorELNS0_4arch9wavefront6targetE1EEEvT1_.numbered_sgpr, 0
	.set _ZN7rocprim17ROCPRIM_400000_NS6detail17trampoline_kernelINS0_14default_configENS1_20scan_config_selectorIdEEZZNS1_9scan_implILNS1_25lookback_scan_determinismE0ELb0ELb0ES3_PKdPddZZZN2at6native31launch_logcumsumexp_cuda_kernelERKNSB_10TensorBaseESF_lENKUlvE_clEvENKUlvE_clEvEUlddE_dEEDaPvRmT3_T4_T5_mT6_P12ihipStream_tbENKUlT_T0_E_clISt17integral_constantIbLb1EESW_EEDaSR_SS_EUlSR_E_NS1_11comp_targetILNS1_3genE5ELNS1_11target_archE942ELNS1_3gpuE9ELNS1_3repE0EEENS1_30default_config_static_selectorELNS0_4arch9wavefront6targetE1EEEvT1_.num_named_barrier, 0
	.set _ZN7rocprim17ROCPRIM_400000_NS6detail17trampoline_kernelINS0_14default_configENS1_20scan_config_selectorIdEEZZNS1_9scan_implILNS1_25lookback_scan_determinismE0ELb0ELb0ES3_PKdPddZZZN2at6native31launch_logcumsumexp_cuda_kernelERKNSB_10TensorBaseESF_lENKUlvE_clEvENKUlvE_clEvEUlddE_dEEDaPvRmT3_T4_T5_mT6_P12ihipStream_tbENKUlT_T0_E_clISt17integral_constantIbLb1EESW_EEDaSR_SS_EUlSR_E_NS1_11comp_targetILNS1_3genE5ELNS1_11target_archE942ELNS1_3gpuE9ELNS1_3repE0EEENS1_30default_config_static_selectorELNS0_4arch9wavefront6targetE1EEEvT1_.private_seg_size, 0
	.set _ZN7rocprim17ROCPRIM_400000_NS6detail17trampoline_kernelINS0_14default_configENS1_20scan_config_selectorIdEEZZNS1_9scan_implILNS1_25lookback_scan_determinismE0ELb0ELb0ES3_PKdPddZZZN2at6native31launch_logcumsumexp_cuda_kernelERKNSB_10TensorBaseESF_lENKUlvE_clEvENKUlvE_clEvEUlddE_dEEDaPvRmT3_T4_T5_mT6_P12ihipStream_tbENKUlT_T0_E_clISt17integral_constantIbLb1EESW_EEDaSR_SS_EUlSR_E_NS1_11comp_targetILNS1_3genE5ELNS1_11target_archE942ELNS1_3gpuE9ELNS1_3repE0EEENS1_30default_config_static_selectorELNS0_4arch9wavefront6targetE1EEEvT1_.uses_vcc, 0
	.set _ZN7rocprim17ROCPRIM_400000_NS6detail17trampoline_kernelINS0_14default_configENS1_20scan_config_selectorIdEEZZNS1_9scan_implILNS1_25lookback_scan_determinismE0ELb0ELb0ES3_PKdPddZZZN2at6native31launch_logcumsumexp_cuda_kernelERKNSB_10TensorBaseESF_lENKUlvE_clEvENKUlvE_clEvEUlddE_dEEDaPvRmT3_T4_T5_mT6_P12ihipStream_tbENKUlT_T0_E_clISt17integral_constantIbLb1EESW_EEDaSR_SS_EUlSR_E_NS1_11comp_targetILNS1_3genE5ELNS1_11target_archE942ELNS1_3gpuE9ELNS1_3repE0EEENS1_30default_config_static_selectorELNS0_4arch9wavefront6targetE1EEEvT1_.uses_flat_scratch, 0
	.set _ZN7rocprim17ROCPRIM_400000_NS6detail17trampoline_kernelINS0_14default_configENS1_20scan_config_selectorIdEEZZNS1_9scan_implILNS1_25lookback_scan_determinismE0ELb0ELb0ES3_PKdPddZZZN2at6native31launch_logcumsumexp_cuda_kernelERKNSB_10TensorBaseESF_lENKUlvE_clEvENKUlvE_clEvEUlddE_dEEDaPvRmT3_T4_T5_mT6_P12ihipStream_tbENKUlT_T0_E_clISt17integral_constantIbLb1EESW_EEDaSR_SS_EUlSR_E_NS1_11comp_targetILNS1_3genE5ELNS1_11target_archE942ELNS1_3gpuE9ELNS1_3repE0EEENS1_30default_config_static_selectorELNS0_4arch9wavefront6targetE1EEEvT1_.has_dyn_sized_stack, 0
	.set _ZN7rocprim17ROCPRIM_400000_NS6detail17trampoline_kernelINS0_14default_configENS1_20scan_config_selectorIdEEZZNS1_9scan_implILNS1_25lookback_scan_determinismE0ELb0ELb0ES3_PKdPddZZZN2at6native31launch_logcumsumexp_cuda_kernelERKNSB_10TensorBaseESF_lENKUlvE_clEvENKUlvE_clEvEUlddE_dEEDaPvRmT3_T4_T5_mT6_P12ihipStream_tbENKUlT_T0_E_clISt17integral_constantIbLb1EESW_EEDaSR_SS_EUlSR_E_NS1_11comp_targetILNS1_3genE5ELNS1_11target_archE942ELNS1_3gpuE9ELNS1_3repE0EEENS1_30default_config_static_selectorELNS0_4arch9wavefront6targetE1EEEvT1_.has_recursion, 0
	.set _ZN7rocprim17ROCPRIM_400000_NS6detail17trampoline_kernelINS0_14default_configENS1_20scan_config_selectorIdEEZZNS1_9scan_implILNS1_25lookback_scan_determinismE0ELb0ELb0ES3_PKdPddZZZN2at6native31launch_logcumsumexp_cuda_kernelERKNSB_10TensorBaseESF_lENKUlvE_clEvENKUlvE_clEvEUlddE_dEEDaPvRmT3_T4_T5_mT6_P12ihipStream_tbENKUlT_T0_E_clISt17integral_constantIbLb1EESW_EEDaSR_SS_EUlSR_E_NS1_11comp_targetILNS1_3genE5ELNS1_11target_archE942ELNS1_3gpuE9ELNS1_3repE0EEENS1_30default_config_static_selectorELNS0_4arch9wavefront6targetE1EEEvT1_.has_indirect_call, 0
	.section	.AMDGPU.csdata,"",@progbits
; Kernel info:
; codeLenInByte = 0
; TotalNumSgprs: 4
; NumVgprs: 0
; ScratchSize: 0
; MemoryBound: 0
; FloatMode: 240
; IeeeMode: 1
; LDSByteSize: 0 bytes/workgroup (compile time only)
; SGPRBlocks: 0
; VGPRBlocks: 0
; NumSGPRsForWavesPerEU: 4
; NumVGPRsForWavesPerEU: 1
; Occupancy: 10
; WaveLimiterHint : 0
; COMPUTE_PGM_RSRC2:SCRATCH_EN: 0
; COMPUTE_PGM_RSRC2:USER_SGPR: 6
; COMPUTE_PGM_RSRC2:TRAP_HANDLER: 0
; COMPUTE_PGM_RSRC2:TGID_X_EN: 1
; COMPUTE_PGM_RSRC2:TGID_Y_EN: 0
; COMPUTE_PGM_RSRC2:TGID_Z_EN: 0
; COMPUTE_PGM_RSRC2:TIDIG_COMP_CNT: 0
	.section	.text._ZN7rocprim17ROCPRIM_400000_NS6detail17trampoline_kernelINS0_14default_configENS1_20scan_config_selectorIdEEZZNS1_9scan_implILNS1_25lookback_scan_determinismE0ELb0ELb0ES3_PKdPddZZZN2at6native31launch_logcumsumexp_cuda_kernelERKNSB_10TensorBaseESF_lENKUlvE_clEvENKUlvE_clEvEUlddE_dEEDaPvRmT3_T4_T5_mT6_P12ihipStream_tbENKUlT_T0_E_clISt17integral_constantIbLb1EESW_EEDaSR_SS_EUlSR_E_NS1_11comp_targetILNS1_3genE4ELNS1_11target_archE910ELNS1_3gpuE8ELNS1_3repE0EEENS1_30default_config_static_selectorELNS0_4arch9wavefront6targetE1EEEvT1_,"axG",@progbits,_ZN7rocprim17ROCPRIM_400000_NS6detail17trampoline_kernelINS0_14default_configENS1_20scan_config_selectorIdEEZZNS1_9scan_implILNS1_25lookback_scan_determinismE0ELb0ELb0ES3_PKdPddZZZN2at6native31launch_logcumsumexp_cuda_kernelERKNSB_10TensorBaseESF_lENKUlvE_clEvENKUlvE_clEvEUlddE_dEEDaPvRmT3_T4_T5_mT6_P12ihipStream_tbENKUlT_T0_E_clISt17integral_constantIbLb1EESW_EEDaSR_SS_EUlSR_E_NS1_11comp_targetILNS1_3genE4ELNS1_11target_archE910ELNS1_3gpuE8ELNS1_3repE0EEENS1_30default_config_static_selectorELNS0_4arch9wavefront6targetE1EEEvT1_,comdat
	.globl	_ZN7rocprim17ROCPRIM_400000_NS6detail17trampoline_kernelINS0_14default_configENS1_20scan_config_selectorIdEEZZNS1_9scan_implILNS1_25lookback_scan_determinismE0ELb0ELb0ES3_PKdPddZZZN2at6native31launch_logcumsumexp_cuda_kernelERKNSB_10TensorBaseESF_lENKUlvE_clEvENKUlvE_clEvEUlddE_dEEDaPvRmT3_T4_T5_mT6_P12ihipStream_tbENKUlT_T0_E_clISt17integral_constantIbLb1EESW_EEDaSR_SS_EUlSR_E_NS1_11comp_targetILNS1_3genE4ELNS1_11target_archE910ELNS1_3gpuE8ELNS1_3repE0EEENS1_30default_config_static_selectorELNS0_4arch9wavefront6targetE1EEEvT1_ ; -- Begin function _ZN7rocprim17ROCPRIM_400000_NS6detail17trampoline_kernelINS0_14default_configENS1_20scan_config_selectorIdEEZZNS1_9scan_implILNS1_25lookback_scan_determinismE0ELb0ELb0ES3_PKdPddZZZN2at6native31launch_logcumsumexp_cuda_kernelERKNSB_10TensorBaseESF_lENKUlvE_clEvENKUlvE_clEvEUlddE_dEEDaPvRmT3_T4_T5_mT6_P12ihipStream_tbENKUlT_T0_E_clISt17integral_constantIbLb1EESW_EEDaSR_SS_EUlSR_E_NS1_11comp_targetILNS1_3genE4ELNS1_11target_archE910ELNS1_3gpuE8ELNS1_3repE0EEENS1_30default_config_static_selectorELNS0_4arch9wavefront6targetE1EEEvT1_
	.p2align	8
	.type	_ZN7rocprim17ROCPRIM_400000_NS6detail17trampoline_kernelINS0_14default_configENS1_20scan_config_selectorIdEEZZNS1_9scan_implILNS1_25lookback_scan_determinismE0ELb0ELb0ES3_PKdPddZZZN2at6native31launch_logcumsumexp_cuda_kernelERKNSB_10TensorBaseESF_lENKUlvE_clEvENKUlvE_clEvEUlddE_dEEDaPvRmT3_T4_T5_mT6_P12ihipStream_tbENKUlT_T0_E_clISt17integral_constantIbLb1EESW_EEDaSR_SS_EUlSR_E_NS1_11comp_targetILNS1_3genE4ELNS1_11target_archE910ELNS1_3gpuE8ELNS1_3repE0EEENS1_30default_config_static_selectorELNS0_4arch9wavefront6targetE1EEEvT1_,@function
_ZN7rocprim17ROCPRIM_400000_NS6detail17trampoline_kernelINS0_14default_configENS1_20scan_config_selectorIdEEZZNS1_9scan_implILNS1_25lookback_scan_determinismE0ELb0ELb0ES3_PKdPddZZZN2at6native31launch_logcumsumexp_cuda_kernelERKNSB_10TensorBaseESF_lENKUlvE_clEvENKUlvE_clEvEUlddE_dEEDaPvRmT3_T4_T5_mT6_P12ihipStream_tbENKUlT_T0_E_clISt17integral_constantIbLb1EESW_EEDaSR_SS_EUlSR_E_NS1_11comp_targetILNS1_3genE4ELNS1_11target_archE910ELNS1_3gpuE8ELNS1_3repE0EEENS1_30default_config_static_selectorELNS0_4arch9wavefront6targetE1EEEvT1_: ; @_ZN7rocprim17ROCPRIM_400000_NS6detail17trampoline_kernelINS0_14default_configENS1_20scan_config_selectorIdEEZZNS1_9scan_implILNS1_25lookback_scan_determinismE0ELb0ELb0ES3_PKdPddZZZN2at6native31launch_logcumsumexp_cuda_kernelERKNSB_10TensorBaseESF_lENKUlvE_clEvENKUlvE_clEvEUlddE_dEEDaPvRmT3_T4_T5_mT6_P12ihipStream_tbENKUlT_T0_E_clISt17integral_constantIbLb1EESW_EEDaSR_SS_EUlSR_E_NS1_11comp_targetILNS1_3genE4ELNS1_11target_archE910ELNS1_3gpuE8ELNS1_3repE0EEENS1_30default_config_static_selectorELNS0_4arch9wavefront6targetE1EEEvT1_
; %bb.0:
	.section	.rodata,"a",@progbits
	.p2align	6, 0x0
	.amdhsa_kernel _ZN7rocprim17ROCPRIM_400000_NS6detail17trampoline_kernelINS0_14default_configENS1_20scan_config_selectorIdEEZZNS1_9scan_implILNS1_25lookback_scan_determinismE0ELb0ELb0ES3_PKdPddZZZN2at6native31launch_logcumsumexp_cuda_kernelERKNSB_10TensorBaseESF_lENKUlvE_clEvENKUlvE_clEvEUlddE_dEEDaPvRmT3_T4_T5_mT6_P12ihipStream_tbENKUlT_T0_E_clISt17integral_constantIbLb1EESW_EEDaSR_SS_EUlSR_E_NS1_11comp_targetILNS1_3genE4ELNS1_11target_archE910ELNS1_3gpuE8ELNS1_3repE0EEENS1_30default_config_static_selectorELNS0_4arch9wavefront6targetE1EEEvT1_
		.amdhsa_group_segment_fixed_size 0
		.amdhsa_private_segment_fixed_size 0
		.amdhsa_kernarg_size 104
		.amdhsa_user_sgpr_count 6
		.amdhsa_user_sgpr_private_segment_buffer 1
		.amdhsa_user_sgpr_dispatch_ptr 0
		.amdhsa_user_sgpr_queue_ptr 0
		.amdhsa_user_sgpr_kernarg_segment_ptr 1
		.amdhsa_user_sgpr_dispatch_id 0
		.amdhsa_user_sgpr_flat_scratch_init 0
		.amdhsa_user_sgpr_private_segment_size 0
		.amdhsa_uses_dynamic_stack 0
		.amdhsa_system_sgpr_private_segment_wavefront_offset 0
		.amdhsa_system_sgpr_workgroup_id_x 1
		.amdhsa_system_sgpr_workgroup_id_y 0
		.amdhsa_system_sgpr_workgroup_id_z 0
		.amdhsa_system_sgpr_workgroup_info 0
		.amdhsa_system_vgpr_workitem_id 0
		.amdhsa_next_free_vgpr 1
		.amdhsa_next_free_sgpr 0
		.amdhsa_reserve_vcc 0
		.amdhsa_reserve_flat_scratch 0
		.amdhsa_float_round_mode_32 0
		.amdhsa_float_round_mode_16_64 0
		.amdhsa_float_denorm_mode_32 3
		.amdhsa_float_denorm_mode_16_64 3
		.amdhsa_dx10_clamp 1
		.amdhsa_ieee_mode 1
		.amdhsa_fp16_overflow 0
		.amdhsa_exception_fp_ieee_invalid_op 0
		.amdhsa_exception_fp_denorm_src 0
		.amdhsa_exception_fp_ieee_div_zero 0
		.amdhsa_exception_fp_ieee_overflow 0
		.amdhsa_exception_fp_ieee_underflow 0
		.amdhsa_exception_fp_ieee_inexact 0
		.amdhsa_exception_int_div_zero 0
	.end_amdhsa_kernel
	.section	.text._ZN7rocprim17ROCPRIM_400000_NS6detail17trampoline_kernelINS0_14default_configENS1_20scan_config_selectorIdEEZZNS1_9scan_implILNS1_25lookback_scan_determinismE0ELb0ELb0ES3_PKdPddZZZN2at6native31launch_logcumsumexp_cuda_kernelERKNSB_10TensorBaseESF_lENKUlvE_clEvENKUlvE_clEvEUlddE_dEEDaPvRmT3_T4_T5_mT6_P12ihipStream_tbENKUlT_T0_E_clISt17integral_constantIbLb1EESW_EEDaSR_SS_EUlSR_E_NS1_11comp_targetILNS1_3genE4ELNS1_11target_archE910ELNS1_3gpuE8ELNS1_3repE0EEENS1_30default_config_static_selectorELNS0_4arch9wavefront6targetE1EEEvT1_,"axG",@progbits,_ZN7rocprim17ROCPRIM_400000_NS6detail17trampoline_kernelINS0_14default_configENS1_20scan_config_selectorIdEEZZNS1_9scan_implILNS1_25lookback_scan_determinismE0ELb0ELb0ES3_PKdPddZZZN2at6native31launch_logcumsumexp_cuda_kernelERKNSB_10TensorBaseESF_lENKUlvE_clEvENKUlvE_clEvEUlddE_dEEDaPvRmT3_T4_T5_mT6_P12ihipStream_tbENKUlT_T0_E_clISt17integral_constantIbLb1EESW_EEDaSR_SS_EUlSR_E_NS1_11comp_targetILNS1_3genE4ELNS1_11target_archE910ELNS1_3gpuE8ELNS1_3repE0EEENS1_30default_config_static_selectorELNS0_4arch9wavefront6targetE1EEEvT1_,comdat
.Lfunc_end30:
	.size	_ZN7rocprim17ROCPRIM_400000_NS6detail17trampoline_kernelINS0_14default_configENS1_20scan_config_selectorIdEEZZNS1_9scan_implILNS1_25lookback_scan_determinismE0ELb0ELb0ES3_PKdPddZZZN2at6native31launch_logcumsumexp_cuda_kernelERKNSB_10TensorBaseESF_lENKUlvE_clEvENKUlvE_clEvEUlddE_dEEDaPvRmT3_T4_T5_mT6_P12ihipStream_tbENKUlT_T0_E_clISt17integral_constantIbLb1EESW_EEDaSR_SS_EUlSR_E_NS1_11comp_targetILNS1_3genE4ELNS1_11target_archE910ELNS1_3gpuE8ELNS1_3repE0EEENS1_30default_config_static_selectorELNS0_4arch9wavefront6targetE1EEEvT1_, .Lfunc_end30-_ZN7rocprim17ROCPRIM_400000_NS6detail17trampoline_kernelINS0_14default_configENS1_20scan_config_selectorIdEEZZNS1_9scan_implILNS1_25lookback_scan_determinismE0ELb0ELb0ES3_PKdPddZZZN2at6native31launch_logcumsumexp_cuda_kernelERKNSB_10TensorBaseESF_lENKUlvE_clEvENKUlvE_clEvEUlddE_dEEDaPvRmT3_T4_T5_mT6_P12ihipStream_tbENKUlT_T0_E_clISt17integral_constantIbLb1EESW_EEDaSR_SS_EUlSR_E_NS1_11comp_targetILNS1_3genE4ELNS1_11target_archE910ELNS1_3gpuE8ELNS1_3repE0EEENS1_30default_config_static_selectorELNS0_4arch9wavefront6targetE1EEEvT1_
                                        ; -- End function
	.set _ZN7rocprim17ROCPRIM_400000_NS6detail17trampoline_kernelINS0_14default_configENS1_20scan_config_selectorIdEEZZNS1_9scan_implILNS1_25lookback_scan_determinismE0ELb0ELb0ES3_PKdPddZZZN2at6native31launch_logcumsumexp_cuda_kernelERKNSB_10TensorBaseESF_lENKUlvE_clEvENKUlvE_clEvEUlddE_dEEDaPvRmT3_T4_T5_mT6_P12ihipStream_tbENKUlT_T0_E_clISt17integral_constantIbLb1EESW_EEDaSR_SS_EUlSR_E_NS1_11comp_targetILNS1_3genE4ELNS1_11target_archE910ELNS1_3gpuE8ELNS1_3repE0EEENS1_30default_config_static_selectorELNS0_4arch9wavefront6targetE1EEEvT1_.num_vgpr, 0
	.set _ZN7rocprim17ROCPRIM_400000_NS6detail17trampoline_kernelINS0_14default_configENS1_20scan_config_selectorIdEEZZNS1_9scan_implILNS1_25lookback_scan_determinismE0ELb0ELb0ES3_PKdPddZZZN2at6native31launch_logcumsumexp_cuda_kernelERKNSB_10TensorBaseESF_lENKUlvE_clEvENKUlvE_clEvEUlddE_dEEDaPvRmT3_T4_T5_mT6_P12ihipStream_tbENKUlT_T0_E_clISt17integral_constantIbLb1EESW_EEDaSR_SS_EUlSR_E_NS1_11comp_targetILNS1_3genE4ELNS1_11target_archE910ELNS1_3gpuE8ELNS1_3repE0EEENS1_30default_config_static_selectorELNS0_4arch9wavefront6targetE1EEEvT1_.num_agpr, 0
	.set _ZN7rocprim17ROCPRIM_400000_NS6detail17trampoline_kernelINS0_14default_configENS1_20scan_config_selectorIdEEZZNS1_9scan_implILNS1_25lookback_scan_determinismE0ELb0ELb0ES3_PKdPddZZZN2at6native31launch_logcumsumexp_cuda_kernelERKNSB_10TensorBaseESF_lENKUlvE_clEvENKUlvE_clEvEUlddE_dEEDaPvRmT3_T4_T5_mT6_P12ihipStream_tbENKUlT_T0_E_clISt17integral_constantIbLb1EESW_EEDaSR_SS_EUlSR_E_NS1_11comp_targetILNS1_3genE4ELNS1_11target_archE910ELNS1_3gpuE8ELNS1_3repE0EEENS1_30default_config_static_selectorELNS0_4arch9wavefront6targetE1EEEvT1_.numbered_sgpr, 0
	.set _ZN7rocprim17ROCPRIM_400000_NS6detail17trampoline_kernelINS0_14default_configENS1_20scan_config_selectorIdEEZZNS1_9scan_implILNS1_25lookback_scan_determinismE0ELb0ELb0ES3_PKdPddZZZN2at6native31launch_logcumsumexp_cuda_kernelERKNSB_10TensorBaseESF_lENKUlvE_clEvENKUlvE_clEvEUlddE_dEEDaPvRmT3_T4_T5_mT6_P12ihipStream_tbENKUlT_T0_E_clISt17integral_constantIbLb1EESW_EEDaSR_SS_EUlSR_E_NS1_11comp_targetILNS1_3genE4ELNS1_11target_archE910ELNS1_3gpuE8ELNS1_3repE0EEENS1_30default_config_static_selectorELNS0_4arch9wavefront6targetE1EEEvT1_.num_named_barrier, 0
	.set _ZN7rocprim17ROCPRIM_400000_NS6detail17trampoline_kernelINS0_14default_configENS1_20scan_config_selectorIdEEZZNS1_9scan_implILNS1_25lookback_scan_determinismE0ELb0ELb0ES3_PKdPddZZZN2at6native31launch_logcumsumexp_cuda_kernelERKNSB_10TensorBaseESF_lENKUlvE_clEvENKUlvE_clEvEUlddE_dEEDaPvRmT3_T4_T5_mT6_P12ihipStream_tbENKUlT_T0_E_clISt17integral_constantIbLb1EESW_EEDaSR_SS_EUlSR_E_NS1_11comp_targetILNS1_3genE4ELNS1_11target_archE910ELNS1_3gpuE8ELNS1_3repE0EEENS1_30default_config_static_selectorELNS0_4arch9wavefront6targetE1EEEvT1_.private_seg_size, 0
	.set _ZN7rocprim17ROCPRIM_400000_NS6detail17trampoline_kernelINS0_14default_configENS1_20scan_config_selectorIdEEZZNS1_9scan_implILNS1_25lookback_scan_determinismE0ELb0ELb0ES3_PKdPddZZZN2at6native31launch_logcumsumexp_cuda_kernelERKNSB_10TensorBaseESF_lENKUlvE_clEvENKUlvE_clEvEUlddE_dEEDaPvRmT3_T4_T5_mT6_P12ihipStream_tbENKUlT_T0_E_clISt17integral_constantIbLb1EESW_EEDaSR_SS_EUlSR_E_NS1_11comp_targetILNS1_3genE4ELNS1_11target_archE910ELNS1_3gpuE8ELNS1_3repE0EEENS1_30default_config_static_selectorELNS0_4arch9wavefront6targetE1EEEvT1_.uses_vcc, 0
	.set _ZN7rocprim17ROCPRIM_400000_NS6detail17trampoline_kernelINS0_14default_configENS1_20scan_config_selectorIdEEZZNS1_9scan_implILNS1_25lookback_scan_determinismE0ELb0ELb0ES3_PKdPddZZZN2at6native31launch_logcumsumexp_cuda_kernelERKNSB_10TensorBaseESF_lENKUlvE_clEvENKUlvE_clEvEUlddE_dEEDaPvRmT3_T4_T5_mT6_P12ihipStream_tbENKUlT_T0_E_clISt17integral_constantIbLb1EESW_EEDaSR_SS_EUlSR_E_NS1_11comp_targetILNS1_3genE4ELNS1_11target_archE910ELNS1_3gpuE8ELNS1_3repE0EEENS1_30default_config_static_selectorELNS0_4arch9wavefront6targetE1EEEvT1_.uses_flat_scratch, 0
	.set _ZN7rocprim17ROCPRIM_400000_NS6detail17trampoline_kernelINS0_14default_configENS1_20scan_config_selectorIdEEZZNS1_9scan_implILNS1_25lookback_scan_determinismE0ELb0ELb0ES3_PKdPddZZZN2at6native31launch_logcumsumexp_cuda_kernelERKNSB_10TensorBaseESF_lENKUlvE_clEvENKUlvE_clEvEUlddE_dEEDaPvRmT3_T4_T5_mT6_P12ihipStream_tbENKUlT_T0_E_clISt17integral_constantIbLb1EESW_EEDaSR_SS_EUlSR_E_NS1_11comp_targetILNS1_3genE4ELNS1_11target_archE910ELNS1_3gpuE8ELNS1_3repE0EEENS1_30default_config_static_selectorELNS0_4arch9wavefront6targetE1EEEvT1_.has_dyn_sized_stack, 0
	.set _ZN7rocprim17ROCPRIM_400000_NS6detail17trampoline_kernelINS0_14default_configENS1_20scan_config_selectorIdEEZZNS1_9scan_implILNS1_25lookback_scan_determinismE0ELb0ELb0ES3_PKdPddZZZN2at6native31launch_logcumsumexp_cuda_kernelERKNSB_10TensorBaseESF_lENKUlvE_clEvENKUlvE_clEvEUlddE_dEEDaPvRmT3_T4_T5_mT6_P12ihipStream_tbENKUlT_T0_E_clISt17integral_constantIbLb1EESW_EEDaSR_SS_EUlSR_E_NS1_11comp_targetILNS1_3genE4ELNS1_11target_archE910ELNS1_3gpuE8ELNS1_3repE0EEENS1_30default_config_static_selectorELNS0_4arch9wavefront6targetE1EEEvT1_.has_recursion, 0
	.set _ZN7rocprim17ROCPRIM_400000_NS6detail17trampoline_kernelINS0_14default_configENS1_20scan_config_selectorIdEEZZNS1_9scan_implILNS1_25lookback_scan_determinismE0ELb0ELb0ES3_PKdPddZZZN2at6native31launch_logcumsumexp_cuda_kernelERKNSB_10TensorBaseESF_lENKUlvE_clEvENKUlvE_clEvEUlddE_dEEDaPvRmT3_T4_T5_mT6_P12ihipStream_tbENKUlT_T0_E_clISt17integral_constantIbLb1EESW_EEDaSR_SS_EUlSR_E_NS1_11comp_targetILNS1_3genE4ELNS1_11target_archE910ELNS1_3gpuE8ELNS1_3repE0EEENS1_30default_config_static_selectorELNS0_4arch9wavefront6targetE1EEEvT1_.has_indirect_call, 0
	.section	.AMDGPU.csdata,"",@progbits
; Kernel info:
; codeLenInByte = 0
; TotalNumSgprs: 4
; NumVgprs: 0
; ScratchSize: 0
; MemoryBound: 0
; FloatMode: 240
; IeeeMode: 1
; LDSByteSize: 0 bytes/workgroup (compile time only)
; SGPRBlocks: 0
; VGPRBlocks: 0
; NumSGPRsForWavesPerEU: 4
; NumVGPRsForWavesPerEU: 1
; Occupancy: 10
; WaveLimiterHint : 0
; COMPUTE_PGM_RSRC2:SCRATCH_EN: 0
; COMPUTE_PGM_RSRC2:USER_SGPR: 6
; COMPUTE_PGM_RSRC2:TRAP_HANDLER: 0
; COMPUTE_PGM_RSRC2:TGID_X_EN: 1
; COMPUTE_PGM_RSRC2:TGID_Y_EN: 0
; COMPUTE_PGM_RSRC2:TGID_Z_EN: 0
; COMPUTE_PGM_RSRC2:TIDIG_COMP_CNT: 0
	.section	.text._ZN7rocprim17ROCPRIM_400000_NS6detail17trampoline_kernelINS0_14default_configENS1_20scan_config_selectorIdEEZZNS1_9scan_implILNS1_25lookback_scan_determinismE0ELb0ELb0ES3_PKdPddZZZN2at6native31launch_logcumsumexp_cuda_kernelERKNSB_10TensorBaseESF_lENKUlvE_clEvENKUlvE_clEvEUlddE_dEEDaPvRmT3_T4_T5_mT6_P12ihipStream_tbENKUlT_T0_E_clISt17integral_constantIbLb1EESW_EEDaSR_SS_EUlSR_E_NS1_11comp_targetILNS1_3genE3ELNS1_11target_archE908ELNS1_3gpuE7ELNS1_3repE0EEENS1_30default_config_static_selectorELNS0_4arch9wavefront6targetE1EEEvT1_,"axG",@progbits,_ZN7rocprim17ROCPRIM_400000_NS6detail17trampoline_kernelINS0_14default_configENS1_20scan_config_selectorIdEEZZNS1_9scan_implILNS1_25lookback_scan_determinismE0ELb0ELb0ES3_PKdPddZZZN2at6native31launch_logcumsumexp_cuda_kernelERKNSB_10TensorBaseESF_lENKUlvE_clEvENKUlvE_clEvEUlddE_dEEDaPvRmT3_T4_T5_mT6_P12ihipStream_tbENKUlT_T0_E_clISt17integral_constantIbLb1EESW_EEDaSR_SS_EUlSR_E_NS1_11comp_targetILNS1_3genE3ELNS1_11target_archE908ELNS1_3gpuE7ELNS1_3repE0EEENS1_30default_config_static_selectorELNS0_4arch9wavefront6targetE1EEEvT1_,comdat
	.globl	_ZN7rocprim17ROCPRIM_400000_NS6detail17trampoline_kernelINS0_14default_configENS1_20scan_config_selectorIdEEZZNS1_9scan_implILNS1_25lookback_scan_determinismE0ELb0ELb0ES3_PKdPddZZZN2at6native31launch_logcumsumexp_cuda_kernelERKNSB_10TensorBaseESF_lENKUlvE_clEvENKUlvE_clEvEUlddE_dEEDaPvRmT3_T4_T5_mT6_P12ihipStream_tbENKUlT_T0_E_clISt17integral_constantIbLb1EESW_EEDaSR_SS_EUlSR_E_NS1_11comp_targetILNS1_3genE3ELNS1_11target_archE908ELNS1_3gpuE7ELNS1_3repE0EEENS1_30default_config_static_selectorELNS0_4arch9wavefront6targetE1EEEvT1_ ; -- Begin function _ZN7rocprim17ROCPRIM_400000_NS6detail17trampoline_kernelINS0_14default_configENS1_20scan_config_selectorIdEEZZNS1_9scan_implILNS1_25lookback_scan_determinismE0ELb0ELb0ES3_PKdPddZZZN2at6native31launch_logcumsumexp_cuda_kernelERKNSB_10TensorBaseESF_lENKUlvE_clEvENKUlvE_clEvEUlddE_dEEDaPvRmT3_T4_T5_mT6_P12ihipStream_tbENKUlT_T0_E_clISt17integral_constantIbLb1EESW_EEDaSR_SS_EUlSR_E_NS1_11comp_targetILNS1_3genE3ELNS1_11target_archE908ELNS1_3gpuE7ELNS1_3repE0EEENS1_30default_config_static_selectorELNS0_4arch9wavefront6targetE1EEEvT1_
	.p2align	8
	.type	_ZN7rocprim17ROCPRIM_400000_NS6detail17trampoline_kernelINS0_14default_configENS1_20scan_config_selectorIdEEZZNS1_9scan_implILNS1_25lookback_scan_determinismE0ELb0ELb0ES3_PKdPddZZZN2at6native31launch_logcumsumexp_cuda_kernelERKNSB_10TensorBaseESF_lENKUlvE_clEvENKUlvE_clEvEUlddE_dEEDaPvRmT3_T4_T5_mT6_P12ihipStream_tbENKUlT_T0_E_clISt17integral_constantIbLb1EESW_EEDaSR_SS_EUlSR_E_NS1_11comp_targetILNS1_3genE3ELNS1_11target_archE908ELNS1_3gpuE7ELNS1_3repE0EEENS1_30default_config_static_selectorELNS0_4arch9wavefront6targetE1EEEvT1_,@function
_ZN7rocprim17ROCPRIM_400000_NS6detail17trampoline_kernelINS0_14default_configENS1_20scan_config_selectorIdEEZZNS1_9scan_implILNS1_25lookback_scan_determinismE0ELb0ELb0ES3_PKdPddZZZN2at6native31launch_logcumsumexp_cuda_kernelERKNSB_10TensorBaseESF_lENKUlvE_clEvENKUlvE_clEvEUlddE_dEEDaPvRmT3_T4_T5_mT6_P12ihipStream_tbENKUlT_T0_E_clISt17integral_constantIbLb1EESW_EEDaSR_SS_EUlSR_E_NS1_11comp_targetILNS1_3genE3ELNS1_11target_archE908ELNS1_3gpuE7ELNS1_3repE0EEENS1_30default_config_static_selectorELNS0_4arch9wavefront6targetE1EEEvT1_: ; @_ZN7rocprim17ROCPRIM_400000_NS6detail17trampoline_kernelINS0_14default_configENS1_20scan_config_selectorIdEEZZNS1_9scan_implILNS1_25lookback_scan_determinismE0ELb0ELb0ES3_PKdPddZZZN2at6native31launch_logcumsumexp_cuda_kernelERKNSB_10TensorBaseESF_lENKUlvE_clEvENKUlvE_clEvEUlddE_dEEDaPvRmT3_T4_T5_mT6_P12ihipStream_tbENKUlT_T0_E_clISt17integral_constantIbLb1EESW_EEDaSR_SS_EUlSR_E_NS1_11comp_targetILNS1_3genE3ELNS1_11target_archE908ELNS1_3gpuE7ELNS1_3repE0EEENS1_30default_config_static_selectorELNS0_4arch9wavefront6targetE1EEEvT1_
; %bb.0:
	.section	.rodata,"a",@progbits
	.p2align	6, 0x0
	.amdhsa_kernel _ZN7rocprim17ROCPRIM_400000_NS6detail17trampoline_kernelINS0_14default_configENS1_20scan_config_selectorIdEEZZNS1_9scan_implILNS1_25lookback_scan_determinismE0ELb0ELb0ES3_PKdPddZZZN2at6native31launch_logcumsumexp_cuda_kernelERKNSB_10TensorBaseESF_lENKUlvE_clEvENKUlvE_clEvEUlddE_dEEDaPvRmT3_T4_T5_mT6_P12ihipStream_tbENKUlT_T0_E_clISt17integral_constantIbLb1EESW_EEDaSR_SS_EUlSR_E_NS1_11comp_targetILNS1_3genE3ELNS1_11target_archE908ELNS1_3gpuE7ELNS1_3repE0EEENS1_30default_config_static_selectorELNS0_4arch9wavefront6targetE1EEEvT1_
		.amdhsa_group_segment_fixed_size 0
		.amdhsa_private_segment_fixed_size 0
		.amdhsa_kernarg_size 104
		.amdhsa_user_sgpr_count 6
		.amdhsa_user_sgpr_private_segment_buffer 1
		.amdhsa_user_sgpr_dispatch_ptr 0
		.amdhsa_user_sgpr_queue_ptr 0
		.amdhsa_user_sgpr_kernarg_segment_ptr 1
		.amdhsa_user_sgpr_dispatch_id 0
		.amdhsa_user_sgpr_flat_scratch_init 0
		.amdhsa_user_sgpr_private_segment_size 0
		.amdhsa_uses_dynamic_stack 0
		.amdhsa_system_sgpr_private_segment_wavefront_offset 0
		.amdhsa_system_sgpr_workgroup_id_x 1
		.amdhsa_system_sgpr_workgroup_id_y 0
		.amdhsa_system_sgpr_workgroup_id_z 0
		.amdhsa_system_sgpr_workgroup_info 0
		.amdhsa_system_vgpr_workitem_id 0
		.amdhsa_next_free_vgpr 1
		.amdhsa_next_free_sgpr 0
		.amdhsa_reserve_vcc 0
		.amdhsa_reserve_flat_scratch 0
		.amdhsa_float_round_mode_32 0
		.amdhsa_float_round_mode_16_64 0
		.amdhsa_float_denorm_mode_32 3
		.amdhsa_float_denorm_mode_16_64 3
		.amdhsa_dx10_clamp 1
		.amdhsa_ieee_mode 1
		.amdhsa_fp16_overflow 0
		.amdhsa_exception_fp_ieee_invalid_op 0
		.amdhsa_exception_fp_denorm_src 0
		.amdhsa_exception_fp_ieee_div_zero 0
		.amdhsa_exception_fp_ieee_overflow 0
		.amdhsa_exception_fp_ieee_underflow 0
		.amdhsa_exception_fp_ieee_inexact 0
		.amdhsa_exception_int_div_zero 0
	.end_amdhsa_kernel
	.section	.text._ZN7rocprim17ROCPRIM_400000_NS6detail17trampoline_kernelINS0_14default_configENS1_20scan_config_selectorIdEEZZNS1_9scan_implILNS1_25lookback_scan_determinismE0ELb0ELb0ES3_PKdPddZZZN2at6native31launch_logcumsumexp_cuda_kernelERKNSB_10TensorBaseESF_lENKUlvE_clEvENKUlvE_clEvEUlddE_dEEDaPvRmT3_T4_T5_mT6_P12ihipStream_tbENKUlT_T0_E_clISt17integral_constantIbLb1EESW_EEDaSR_SS_EUlSR_E_NS1_11comp_targetILNS1_3genE3ELNS1_11target_archE908ELNS1_3gpuE7ELNS1_3repE0EEENS1_30default_config_static_selectorELNS0_4arch9wavefront6targetE1EEEvT1_,"axG",@progbits,_ZN7rocprim17ROCPRIM_400000_NS6detail17trampoline_kernelINS0_14default_configENS1_20scan_config_selectorIdEEZZNS1_9scan_implILNS1_25lookback_scan_determinismE0ELb0ELb0ES3_PKdPddZZZN2at6native31launch_logcumsumexp_cuda_kernelERKNSB_10TensorBaseESF_lENKUlvE_clEvENKUlvE_clEvEUlddE_dEEDaPvRmT3_T4_T5_mT6_P12ihipStream_tbENKUlT_T0_E_clISt17integral_constantIbLb1EESW_EEDaSR_SS_EUlSR_E_NS1_11comp_targetILNS1_3genE3ELNS1_11target_archE908ELNS1_3gpuE7ELNS1_3repE0EEENS1_30default_config_static_selectorELNS0_4arch9wavefront6targetE1EEEvT1_,comdat
.Lfunc_end31:
	.size	_ZN7rocprim17ROCPRIM_400000_NS6detail17trampoline_kernelINS0_14default_configENS1_20scan_config_selectorIdEEZZNS1_9scan_implILNS1_25lookback_scan_determinismE0ELb0ELb0ES3_PKdPddZZZN2at6native31launch_logcumsumexp_cuda_kernelERKNSB_10TensorBaseESF_lENKUlvE_clEvENKUlvE_clEvEUlddE_dEEDaPvRmT3_T4_T5_mT6_P12ihipStream_tbENKUlT_T0_E_clISt17integral_constantIbLb1EESW_EEDaSR_SS_EUlSR_E_NS1_11comp_targetILNS1_3genE3ELNS1_11target_archE908ELNS1_3gpuE7ELNS1_3repE0EEENS1_30default_config_static_selectorELNS0_4arch9wavefront6targetE1EEEvT1_, .Lfunc_end31-_ZN7rocprim17ROCPRIM_400000_NS6detail17trampoline_kernelINS0_14default_configENS1_20scan_config_selectorIdEEZZNS1_9scan_implILNS1_25lookback_scan_determinismE0ELb0ELb0ES3_PKdPddZZZN2at6native31launch_logcumsumexp_cuda_kernelERKNSB_10TensorBaseESF_lENKUlvE_clEvENKUlvE_clEvEUlddE_dEEDaPvRmT3_T4_T5_mT6_P12ihipStream_tbENKUlT_T0_E_clISt17integral_constantIbLb1EESW_EEDaSR_SS_EUlSR_E_NS1_11comp_targetILNS1_3genE3ELNS1_11target_archE908ELNS1_3gpuE7ELNS1_3repE0EEENS1_30default_config_static_selectorELNS0_4arch9wavefront6targetE1EEEvT1_
                                        ; -- End function
	.set _ZN7rocprim17ROCPRIM_400000_NS6detail17trampoline_kernelINS0_14default_configENS1_20scan_config_selectorIdEEZZNS1_9scan_implILNS1_25lookback_scan_determinismE0ELb0ELb0ES3_PKdPddZZZN2at6native31launch_logcumsumexp_cuda_kernelERKNSB_10TensorBaseESF_lENKUlvE_clEvENKUlvE_clEvEUlddE_dEEDaPvRmT3_T4_T5_mT6_P12ihipStream_tbENKUlT_T0_E_clISt17integral_constantIbLb1EESW_EEDaSR_SS_EUlSR_E_NS1_11comp_targetILNS1_3genE3ELNS1_11target_archE908ELNS1_3gpuE7ELNS1_3repE0EEENS1_30default_config_static_selectorELNS0_4arch9wavefront6targetE1EEEvT1_.num_vgpr, 0
	.set _ZN7rocprim17ROCPRIM_400000_NS6detail17trampoline_kernelINS0_14default_configENS1_20scan_config_selectorIdEEZZNS1_9scan_implILNS1_25lookback_scan_determinismE0ELb0ELb0ES3_PKdPddZZZN2at6native31launch_logcumsumexp_cuda_kernelERKNSB_10TensorBaseESF_lENKUlvE_clEvENKUlvE_clEvEUlddE_dEEDaPvRmT3_T4_T5_mT6_P12ihipStream_tbENKUlT_T0_E_clISt17integral_constantIbLb1EESW_EEDaSR_SS_EUlSR_E_NS1_11comp_targetILNS1_3genE3ELNS1_11target_archE908ELNS1_3gpuE7ELNS1_3repE0EEENS1_30default_config_static_selectorELNS0_4arch9wavefront6targetE1EEEvT1_.num_agpr, 0
	.set _ZN7rocprim17ROCPRIM_400000_NS6detail17trampoline_kernelINS0_14default_configENS1_20scan_config_selectorIdEEZZNS1_9scan_implILNS1_25lookback_scan_determinismE0ELb0ELb0ES3_PKdPddZZZN2at6native31launch_logcumsumexp_cuda_kernelERKNSB_10TensorBaseESF_lENKUlvE_clEvENKUlvE_clEvEUlddE_dEEDaPvRmT3_T4_T5_mT6_P12ihipStream_tbENKUlT_T0_E_clISt17integral_constantIbLb1EESW_EEDaSR_SS_EUlSR_E_NS1_11comp_targetILNS1_3genE3ELNS1_11target_archE908ELNS1_3gpuE7ELNS1_3repE0EEENS1_30default_config_static_selectorELNS0_4arch9wavefront6targetE1EEEvT1_.numbered_sgpr, 0
	.set _ZN7rocprim17ROCPRIM_400000_NS6detail17trampoline_kernelINS0_14default_configENS1_20scan_config_selectorIdEEZZNS1_9scan_implILNS1_25lookback_scan_determinismE0ELb0ELb0ES3_PKdPddZZZN2at6native31launch_logcumsumexp_cuda_kernelERKNSB_10TensorBaseESF_lENKUlvE_clEvENKUlvE_clEvEUlddE_dEEDaPvRmT3_T4_T5_mT6_P12ihipStream_tbENKUlT_T0_E_clISt17integral_constantIbLb1EESW_EEDaSR_SS_EUlSR_E_NS1_11comp_targetILNS1_3genE3ELNS1_11target_archE908ELNS1_3gpuE7ELNS1_3repE0EEENS1_30default_config_static_selectorELNS0_4arch9wavefront6targetE1EEEvT1_.num_named_barrier, 0
	.set _ZN7rocprim17ROCPRIM_400000_NS6detail17trampoline_kernelINS0_14default_configENS1_20scan_config_selectorIdEEZZNS1_9scan_implILNS1_25lookback_scan_determinismE0ELb0ELb0ES3_PKdPddZZZN2at6native31launch_logcumsumexp_cuda_kernelERKNSB_10TensorBaseESF_lENKUlvE_clEvENKUlvE_clEvEUlddE_dEEDaPvRmT3_T4_T5_mT6_P12ihipStream_tbENKUlT_T0_E_clISt17integral_constantIbLb1EESW_EEDaSR_SS_EUlSR_E_NS1_11comp_targetILNS1_3genE3ELNS1_11target_archE908ELNS1_3gpuE7ELNS1_3repE0EEENS1_30default_config_static_selectorELNS0_4arch9wavefront6targetE1EEEvT1_.private_seg_size, 0
	.set _ZN7rocprim17ROCPRIM_400000_NS6detail17trampoline_kernelINS0_14default_configENS1_20scan_config_selectorIdEEZZNS1_9scan_implILNS1_25lookback_scan_determinismE0ELb0ELb0ES3_PKdPddZZZN2at6native31launch_logcumsumexp_cuda_kernelERKNSB_10TensorBaseESF_lENKUlvE_clEvENKUlvE_clEvEUlddE_dEEDaPvRmT3_T4_T5_mT6_P12ihipStream_tbENKUlT_T0_E_clISt17integral_constantIbLb1EESW_EEDaSR_SS_EUlSR_E_NS1_11comp_targetILNS1_3genE3ELNS1_11target_archE908ELNS1_3gpuE7ELNS1_3repE0EEENS1_30default_config_static_selectorELNS0_4arch9wavefront6targetE1EEEvT1_.uses_vcc, 0
	.set _ZN7rocprim17ROCPRIM_400000_NS6detail17trampoline_kernelINS0_14default_configENS1_20scan_config_selectorIdEEZZNS1_9scan_implILNS1_25lookback_scan_determinismE0ELb0ELb0ES3_PKdPddZZZN2at6native31launch_logcumsumexp_cuda_kernelERKNSB_10TensorBaseESF_lENKUlvE_clEvENKUlvE_clEvEUlddE_dEEDaPvRmT3_T4_T5_mT6_P12ihipStream_tbENKUlT_T0_E_clISt17integral_constantIbLb1EESW_EEDaSR_SS_EUlSR_E_NS1_11comp_targetILNS1_3genE3ELNS1_11target_archE908ELNS1_3gpuE7ELNS1_3repE0EEENS1_30default_config_static_selectorELNS0_4arch9wavefront6targetE1EEEvT1_.uses_flat_scratch, 0
	.set _ZN7rocprim17ROCPRIM_400000_NS6detail17trampoline_kernelINS0_14default_configENS1_20scan_config_selectorIdEEZZNS1_9scan_implILNS1_25lookback_scan_determinismE0ELb0ELb0ES3_PKdPddZZZN2at6native31launch_logcumsumexp_cuda_kernelERKNSB_10TensorBaseESF_lENKUlvE_clEvENKUlvE_clEvEUlddE_dEEDaPvRmT3_T4_T5_mT6_P12ihipStream_tbENKUlT_T0_E_clISt17integral_constantIbLb1EESW_EEDaSR_SS_EUlSR_E_NS1_11comp_targetILNS1_3genE3ELNS1_11target_archE908ELNS1_3gpuE7ELNS1_3repE0EEENS1_30default_config_static_selectorELNS0_4arch9wavefront6targetE1EEEvT1_.has_dyn_sized_stack, 0
	.set _ZN7rocprim17ROCPRIM_400000_NS6detail17trampoline_kernelINS0_14default_configENS1_20scan_config_selectorIdEEZZNS1_9scan_implILNS1_25lookback_scan_determinismE0ELb0ELb0ES3_PKdPddZZZN2at6native31launch_logcumsumexp_cuda_kernelERKNSB_10TensorBaseESF_lENKUlvE_clEvENKUlvE_clEvEUlddE_dEEDaPvRmT3_T4_T5_mT6_P12ihipStream_tbENKUlT_T0_E_clISt17integral_constantIbLb1EESW_EEDaSR_SS_EUlSR_E_NS1_11comp_targetILNS1_3genE3ELNS1_11target_archE908ELNS1_3gpuE7ELNS1_3repE0EEENS1_30default_config_static_selectorELNS0_4arch9wavefront6targetE1EEEvT1_.has_recursion, 0
	.set _ZN7rocprim17ROCPRIM_400000_NS6detail17trampoline_kernelINS0_14default_configENS1_20scan_config_selectorIdEEZZNS1_9scan_implILNS1_25lookback_scan_determinismE0ELb0ELb0ES3_PKdPddZZZN2at6native31launch_logcumsumexp_cuda_kernelERKNSB_10TensorBaseESF_lENKUlvE_clEvENKUlvE_clEvEUlddE_dEEDaPvRmT3_T4_T5_mT6_P12ihipStream_tbENKUlT_T0_E_clISt17integral_constantIbLb1EESW_EEDaSR_SS_EUlSR_E_NS1_11comp_targetILNS1_3genE3ELNS1_11target_archE908ELNS1_3gpuE7ELNS1_3repE0EEENS1_30default_config_static_selectorELNS0_4arch9wavefront6targetE1EEEvT1_.has_indirect_call, 0
	.section	.AMDGPU.csdata,"",@progbits
; Kernel info:
; codeLenInByte = 0
; TotalNumSgprs: 4
; NumVgprs: 0
; ScratchSize: 0
; MemoryBound: 0
; FloatMode: 240
; IeeeMode: 1
; LDSByteSize: 0 bytes/workgroup (compile time only)
; SGPRBlocks: 0
; VGPRBlocks: 0
; NumSGPRsForWavesPerEU: 4
; NumVGPRsForWavesPerEU: 1
; Occupancy: 10
; WaveLimiterHint : 0
; COMPUTE_PGM_RSRC2:SCRATCH_EN: 0
; COMPUTE_PGM_RSRC2:USER_SGPR: 6
; COMPUTE_PGM_RSRC2:TRAP_HANDLER: 0
; COMPUTE_PGM_RSRC2:TGID_X_EN: 1
; COMPUTE_PGM_RSRC2:TGID_Y_EN: 0
; COMPUTE_PGM_RSRC2:TGID_Z_EN: 0
; COMPUTE_PGM_RSRC2:TIDIG_COMP_CNT: 0
	.section	.text._ZN7rocprim17ROCPRIM_400000_NS6detail17trampoline_kernelINS0_14default_configENS1_20scan_config_selectorIdEEZZNS1_9scan_implILNS1_25lookback_scan_determinismE0ELb0ELb0ES3_PKdPddZZZN2at6native31launch_logcumsumexp_cuda_kernelERKNSB_10TensorBaseESF_lENKUlvE_clEvENKUlvE_clEvEUlddE_dEEDaPvRmT3_T4_T5_mT6_P12ihipStream_tbENKUlT_T0_E_clISt17integral_constantIbLb1EESW_EEDaSR_SS_EUlSR_E_NS1_11comp_targetILNS1_3genE2ELNS1_11target_archE906ELNS1_3gpuE6ELNS1_3repE0EEENS1_30default_config_static_selectorELNS0_4arch9wavefront6targetE1EEEvT1_,"axG",@progbits,_ZN7rocprim17ROCPRIM_400000_NS6detail17trampoline_kernelINS0_14default_configENS1_20scan_config_selectorIdEEZZNS1_9scan_implILNS1_25lookback_scan_determinismE0ELb0ELb0ES3_PKdPddZZZN2at6native31launch_logcumsumexp_cuda_kernelERKNSB_10TensorBaseESF_lENKUlvE_clEvENKUlvE_clEvEUlddE_dEEDaPvRmT3_T4_T5_mT6_P12ihipStream_tbENKUlT_T0_E_clISt17integral_constantIbLb1EESW_EEDaSR_SS_EUlSR_E_NS1_11comp_targetILNS1_3genE2ELNS1_11target_archE906ELNS1_3gpuE6ELNS1_3repE0EEENS1_30default_config_static_selectorELNS0_4arch9wavefront6targetE1EEEvT1_,comdat
	.globl	_ZN7rocprim17ROCPRIM_400000_NS6detail17trampoline_kernelINS0_14default_configENS1_20scan_config_selectorIdEEZZNS1_9scan_implILNS1_25lookback_scan_determinismE0ELb0ELb0ES3_PKdPddZZZN2at6native31launch_logcumsumexp_cuda_kernelERKNSB_10TensorBaseESF_lENKUlvE_clEvENKUlvE_clEvEUlddE_dEEDaPvRmT3_T4_T5_mT6_P12ihipStream_tbENKUlT_T0_E_clISt17integral_constantIbLb1EESW_EEDaSR_SS_EUlSR_E_NS1_11comp_targetILNS1_3genE2ELNS1_11target_archE906ELNS1_3gpuE6ELNS1_3repE0EEENS1_30default_config_static_selectorELNS0_4arch9wavefront6targetE1EEEvT1_ ; -- Begin function _ZN7rocprim17ROCPRIM_400000_NS6detail17trampoline_kernelINS0_14default_configENS1_20scan_config_selectorIdEEZZNS1_9scan_implILNS1_25lookback_scan_determinismE0ELb0ELb0ES3_PKdPddZZZN2at6native31launch_logcumsumexp_cuda_kernelERKNSB_10TensorBaseESF_lENKUlvE_clEvENKUlvE_clEvEUlddE_dEEDaPvRmT3_T4_T5_mT6_P12ihipStream_tbENKUlT_T0_E_clISt17integral_constantIbLb1EESW_EEDaSR_SS_EUlSR_E_NS1_11comp_targetILNS1_3genE2ELNS1_11target_archE906ELNS1_3gpuE6ELNS1_3repE0EEENS1_30default_config_static_selectorELNS0_4arch9wavefront6targetE1EEEvT1_
	.p2align	8
	.type	_ZN7rocprim17ROCPRIM_400000_NS6detail17trampoline_kernelINS0_14default_configENS1_20scan_config_selectorIdEEZZNS1_9scan_implILNS1_25lookback_scan_determinismE0ELb0ELb0ES3_PKdPddZZZN2at6native31launch_logcumsumexp_cuda_kernelERKNSB_10TensorBaseESF_lENKUlvE_clEvENKUlvE_clEvEUlddE_dEEDaPvRmT3_T4_T5_mT6_P12ihipStream_tbENKUlT_T0_E_clISt17integral_constantIbLb1EESW_EEDaSR_SS_EUlSR_E_NS1_11comp_targetILNS1_3genE2ELNS1_11target_archE906ELNS1_3gpuE6ELNS1_3repE0EEENS1_30default_config_static_selectorELNS0_4arch9wavefront6targetE1EEEvT1_,@function
_ZN7rocprim17ROCPRIM_400000_NS6detail17trampoline_kernelINS0_14default_configENS1_20scan_config_selectorIdEEZZNS1_9scan_implILNS1_25lookback_scan_determinismE0ELb0ELb0ES3_PKdPddZZZN2at6native31launch_logcumsumexp_cuda_kernelERKNSB_10TensorBaseESF_lENKUlvE_clEvENKUlvE_clEvEUlddE_dEEDaPvRmT3_T4_T5_mT6_P12ihipStream_tbENKUlT_T0_E_clISt17integral_constantIbLb1EESW_EEDaSR_SS_EUlSR_E_NS1_11comp_targetILNS1_3genE2ELNS1_11target_archE906ELNS1_3gpuE6ELNS1_3repE0EEENS1_30default_config_static_selectorELNS0_4arch9wavefront6targetE1EEEvT1_: ; @_ZN7rocprim17ROCPRIM_400000_NS6detail17trampoline_kernelINS0_14default_configENS1_20scan_config_selectorIdEEZZNS1_9scan_implILNS1_25lookback_scan_determinismE0ELb0ELb0ES3_PKdPddZZZN2at6native31launch_logcumsumexp_cuda_kernelERKNSB_10TensorBaseESF_lENKUlvE_clEvENKUlvE_clEvEUlddE_dEEDaPvRmT3_T4_T5_mT6_P12ihipStream_tbENKUlT_T0_E_clISt17integral_constantIbLb1EESW_EEDaSR_SS_EUlSR_E_NS1_11comp_targetILNS1_3genE2ELNS1_11target_archE906ELNS1_3gpuE6ELNS1_3repE0EEENS1_30default_config_static_selectorELNS0_4arch9wavefront6targetE1EEEvT1_
; %bb.0:
	s_endpgm
	.section	.rodata,"a",@progbits
	.p2align	6, 0x0
	.amdhsa_kernel _ZN7rocprim17ROCPRIM_400000_NS6detail17trampoline_kernelINS0_14default_configENS1_20scan_config_selectorIdEEZZNS1_9scan_implILNS1_25lookback_scan_determinismE0ELb0ELb0ES3_PKdPddZZZN2at6native31launch_logcumsumexp_cuda_kernelERKNSB_10TensorBaseESF_lENKUlvE_clEvENKUlvE_clEvEUlddE_dEEDaPvRmT3_T4_T5_mT6_P12ihipStream_tbENKUlT_T0_E_clISt17integral_constantIbLb1EESW_EEDaSR_SS_EUlSR_E_NS1_11comp_targetILNS1_3genE2ELNS1_11target_archE906ELNS1_3gpuE6ELNS1_3repE0EEENS1_30default_config_static_selectorELNS0_4arch9wavefront6targetE1EEEvT1_
		.amdhsa_group_segment_fixed_size 0
		.amdhsa_private_segment_fixed_size 0
		.amdhsa_kernarg_size 104
		.amdhsa_user_sgpr_count 6
		.amdhsa_user_sgpr_private_segment_buffer 1
		.amdhsa_user_sgpr_dispatch_ptr 0
		.amdhsa_user_sgpr_queue_ptr 0
		.amdhsa_user_sgpr_kernarg_segment_ptr 1
		.amdhsa_user_sgpr_dispatch_id 0
		.amdhsa_user_sgpr_flat_scratch_init 0
		.amdhsa_user_sgpr_private_segment_size 0
		.amdhsa_uses_dynamic_stack 0
		.amdhsa_system_sgpr_private_segment_wavefront_offset 0
		.amdhsa_system_sgpr_workgroup_id_x 1
		.amdhsa_system_sgpr_workgroup_id_y 0
		.amdhsa_system_sgpr_workgroup_id_z 0
		.amdhsa_system_sgpr_workgroup_info 0
		.amdhsa_system_vgpr_workitem_id 0
		.amdhsa_next_free_vgpr 1
		.amdhsa_next_free_sgpr 0
		.amdhsa_reserve_vcc 0
		.amdhsa_reserve_flat_scratch 0
		.amdhsa_float_round_mode_32 0
		.amdhsa_float_round_mode_16_64 0
		.amdhsa_float_denorm_mode_32 3
		.amdhsa_float_denorm_mode_16_64 3
		.amdhsa_dx10_clamp 1
		.amdhsa_ieee_mode 1
		.amdhsa_fp16_overflow 0
		.amdhsa_exception_fp_ieee_invalid_op 0
		.amdhsa_exception_fp_denorm_src 0
		.amdhsa_exception_fp_ieee_div_zero 0
		.amdhsa_exception_fp_ieee_overflow 0
		.amdhsa_exception_fp_ieee_underflow 0
		.amdhsa_exception_fp_ieee_inexact 0
		.amdhsa_exception_int_div_zero 0
	.end_amdhsa_kernel
	.section	.text._ZN7rocprim17ROCPRIM_400000_NS6detail17trampoline_kernelINS0_14default_configENS1_20scan_config_selectorIdEEZZNS1_9scan_implILNS1_25lookback_scan_determinismE0ELb0ELb0ES3_PKdPddZZZN2at6native31launch_logcumsumexp_cuda_kernelERKNSB_10TensorBaseESF_lENKUlvE_clEvENKUlvE_clEvEUlddE_dEEDaPvRmT3_T4_T5_mT6_P12ihipStream_tbENKUlT_T0_E_clISt17integral_constantIbLb1EESW_EEDaSR_SS_EUlSR_E_NS1_11comp_targetILNS1_3genE2ELNS1_11target_archE906ELNS1_3gpuE6ELNS1_3repE0EEENS1_30default_config_static_selectorELNS0_4arch9wavefront6targetE1EEEvT1_,"axG",@progbits,_ZN7rocprim17ROCPRIM_400000_NS6detail17trampoline_kernelINS0_14default_configENS1_20scan_config_selectorIdEEZZNS1_9scan_implILNS1_25lookback_scan_determinismE0ELb0ELb0ES3_PKdPddZZZN2at6native31launch_logcumsumexp_cuda_kernelERKNSB_10TensorBaseESF_lENKUlvE_clEvENKUlvE_clEvEUlddE_dEEDaPvRmT3_T4_T5_mT6_P12ihipStream_tbENKUlT_T0_E_clISt17integral_constantIbLb1EESW_EEDaSR_SS_EUlSR_E_NS1_11comp_targetILNS1_3genE2ELNS1_11target_archE906ELNS1_3gpuE6ELNS1_3repE0EEENS1_30default_config_static_selectorELNS0_4arch9wavefront6targetE1EEEvT1_,comdat
.Lfunc_end32:
	.size	_ZN7rocprim17ROCPRIM_400000_NS6detail17trampoline_kernelINS0_14default_configENS1_20scan_config_selectorIdEEZZNS1_9scan_implILNS1_25lookback_scan_determinismE0ELb0ELb0ES3_PKdPddZZZN2at6native31launch_logcumsumexp_cuda_kernelERKNSB_10TensorBaseESF_lENKUlvE_clEvENKUlvE_clEvEUlddE_dEEDaPvRmT3_T4_T5_mT6_P12ihipStream_tbENKUlT_T0_E_clISt17integral_constantIbLb1EESW_EEDaSR_SS_EUlSR_E_NS1_11comp_targetILNS1_3genE2ELNS1_11target_archE906ELNS1_3gpuE6ELNS1_3repE0EEENS1_30default_config_static_selectorELNS0_4arch9wavefront6targetE1EEEvT1_, .Lfunc_end32-_ZN7rocprim17ROCPRIM_400000_NS6detail17trampoline_kernelINS0_14default_configENS1_20scan_config_selectorIdEEZZNS1_9scan_implILNS1_25lookback_scan_determinismE0ELb0ELb0ES3_PKdPddZZZN2at6native31launch_logcumsumexp_cuda_kernelERKNSB_10TensorBaseESF_lENKUlvE_clEvENKUlvE_clEvEUlddE_dEEDaPvRmT3_T4_T5_mT6_P12ihipStream_tbENKUlT_T0_E_clISt17integral_constantIbLb1EESW_EEDaSR_SS_EUlSR_E_NS1_11comp_targetILNS1_3genE2ELNS1_11target_archE906ELNS1_3gpuE6ELNS1_3repE0EEENS1_30default_config_static_selectorELNS0_4arch9wavefront6targetE1EEEvT1_
                                        ; -- End function
	.set _ZN7rocprim17ROCPRIM_400000_NS6detail17trampoline_kernelINS0_14default_configENS1_20scan_config_selectorIdEEZZNS1_9scan_implILNS1_25lookback_scan_determinismE0ELb0ELb0ES3_PKdPddZZZN2at6native31launch_logcumsumexp_cuda_kernelERKNSB_10TensorBaseESF_lENKUlvE_clEvENKUlvE_clEvEUlddE_dEEDaPvRmT3_T4_T5_mT6_P12ihipStream_tbENKUlT_T0_E_clISt17integral_constantIbLb1EESW_EEDaSR_SS_EUlSR_E_NS1_11comp_targetILNS1_3genE2ELNS1_11target_archE906ELNS1_3gpuE6ELNS1_3repE0EEENS1_30default_config_static_selectorELNS0_4arch9wavefront6targetE1EEEvT1_.num_vgpr, 0
	.set _ZN7rocprim17ROCPRIM_400000_NS6detail17trampoline_kernelINS0_14default_configENS1_20scan_config_selectorIdEEZZNS1_9scan_implILNS1_25lookback_scan_determinismE0ELb0ELb0ES3_PKdPddZZZN2at6native31launch_logcumsumexp_cuda_kernelERKNSB_10TensorBaseESF_lENKUlvE_clEvENKUlvE_clEvEUlddE_dEEDaPvRmT3_T4_T5_mT6_P12ihipStream_tbENKUlT_T0_E_clISt17integral_constantIbLb1EESW_EEDaSR_SS_EUlSR_E_NS1_11comp_targetILNS1_3genE2ELNS1_11target_archE906ELNS1_3gpuE6ELNS1_3repE0EEENS1_30default_config_static_selectorELNS0_4arch9wavefront6targetE1EEEvT1_.num_agpr, 0
	.set _ZN7rocprim17ROCPRIM_400000_NS6detail17trampoline_kernelINS0_14default_configENS1_20scan_config_selectorIdEEZZNS1_9scan_implILNS1_25lookback_scan_determinismE0ELb0ELb0ES3_PKdPddZZZN2at6native31launch_logcumsumexp_cuda_kernelERKNSB_10TensorBaseESF_lENKUlvE_clEvENKUlvE_clEvEUlddE_dEEDaPvRmT3_T4_T5_mT6_P12ihipStream_tbENKUlT_T0_E_clISt17integral_constantIbLb1EESW_EEDaSR_SS_EUlSR_E_NS1_11comp_targetILNS1_3genE2ELNS1_11target_archE906ELNS1_3gpuE6ELNS1_3repE0EEENS1_30default_config_static_selectorELNS0_4arch9wavefront6targetE1EEEvT1_.numbered_sgpr, 0
	.set _ZN7rocprim17ROCPRIM_400000_NS6detail17trampoline_kernelINS0_14default_configENS1_20scan_config_selectorIdEEZZNS1_9scan_implILNS1_25lookback_scan_determinismE0ELb0ELb0ES3_PKdPddZZZN2at6native31launch_logcumsumexp_cuda_kernelERKNSB_10TensorBaseESF_lENKUlvE_clEvENKUlvE_clEvEUlddE_dEEDaPvRmT3_T4_T5_mT6_P12ihipStream_tbENKUlT_T0_E_clISt17integral_constantIbLb1EESW_EEDaSR_SS_EUlSR_E_NS1_11comp_targetILNS1_3genE2ELNS1_11target_archE906ELNS1_3gpuE6ELNS1_3repE0EEENS1_30default_config_static_selectorELNS0_4arch9wavefront6targetE1EEEvT1_.num_named_barrier, 0
	.set _ZN7rocprim17ROCPRIM_400000_NS6detail17trampoline_kernelINS0_14default_configENS1_20scan_config_selectorIdEEZZNS1_9scan_implILNS1_25lookback_scan_determinismE0ELb0ELb0ES3_PKdPddZZZN2at6native31launch_logcumsumexp_cuda_kernelERKNSB_10TensorBaseESF_lENKUlvE_clEvENKUlvE_clEvEUlddE_dEEDaPvRmT3_T4_T5_mT6_P12ihipStream_tbENKUlT_T0_E_clISt17integral_constantIbLb1EESW_EEDaSR_SS_EUlSR_E_NS1_11comp_targetILNS1_3genE2ELNS1_11target_archE906ELNS1_3gpuE6ELNS1_3repE0EEENS1_30default_config_static_selectorELNS0_4arch9wavefront6targetE1EEEvT1_.private_seg_size, 0
	.set _ZN7rocprim17ROCPRIM_400000_NS6detail17trampoline_kernelINS0_14default_configENS1_20scan_config_selectorIdEEZZNS1_9scan_implILNS1_25lookback_scan_determinismE0ELb0ELb0ES3_PKdPddZZZN2at6native31launch_logcumsumexp_cuda_kernelERKNSB_10TensorBaseESF_lENKUlvE_clEvENKUlvE_clEvEUlddE_dEEDaPvRmT3_T4_T5_mT6_P12ihipStream_tbENKUlT_T0_E_clISt17integral_constantIbLb1EESW_EEDaSR_SS_EUlSR_E_NS1_11comp_targetILNS1_3genE2ELNS1_11target_archE906ELNS1_3gpuE6ELNS1_3repE0EEENS1_30default_config_static_selectorELNS0_4arch9wavefront6targetE1EEEvT1_.uses_vcc, 0
	.set _ZN7rocprim17ROCPRIM_400000_NS6detail17trampoline_kernelINS0_14default_configENS1_20scan_config_selectorIdEEZZNS1_9scan_implILNS1_25lookback_scan_determinismE0ELb0ELb0ES3_PKdPddZZZN2at6native31launch_logcumsumexp_cuda_kernelERKNSB_10TensorBaseESF_lENKUlvE_clEvENKUlvE_clEvEUlddE_dEEDaPvRmT3_T4_T5_mT6_P12ihipStream_tbENKUlT_T0_E_clISt17integral_constantIbLb1EESW_EEDaSR_SS_EUlSR_E_NS1_11comp_targetILNS1_3genE2ELNS1_11target_archE906ELNS1_3gpuE6ELNS1_3repE0EEENS1_30default_config_static_selectorELNS0_4arch9wavefront6targetE1EEEvT1_.uses_flat_scratch, 0
	.set _ZN7rocprim17ROCPRIM_400000_NS6detail17trampoline_kernelINS0_14default_configENS1_20scan_config_selectorIdEEZZNS1_9scan_implILNS1_25lookback_scan_determinismE0ELb0ELb0ES3_PKdPddZZZN2at6native31launch_logcumsumexp_cuda_kernelERKNSB_10TensorBaseESF_lENKUlvE_clEvENKUlvE_clEvEUlddE_dEEDaPvRmT3_T4_T5_mT6_P12ihipStream_tbENKUlT_T0_E_clISt17integral_constantIbLb1EESW_EEDaSR_SS_EUlSR_E_NS1_11comp_targetILNS1_3genE2ELNS1_11target_archE906ELNS1_3gpuE6ELNS1_3repE0EEENS1_30default_config_static_selectorELNS0_4arch9wavefront6targetE1EEEvT1_.has_dyn_sized_stack, 0
	.set _ZN7rocprim17ROCPRIM_400000_NS6detail17trampoline_kernelINS0_14default_configENS1_20scan_config_selectorIdEEZZNS1_9scan_implILNS1_25lookback_scan_determinismE0ELb0ELb0ES3_PKdPddZZZN2at6native31launch_logcumsumexp_cuda_kernelERKNSB_10TensorBaseESF_lENKUlvE_clEvENKUlvE_clEvEUlddE_dEEDaPvRmT3_T4_T5_mT6_P12ihipStream_tbENKUlT_T0_E_clISt17integral_constantIbLb1EESW_EEDaSR_SS_EUlSR_E_NS1_11comp_targetILNS1_3genE2ELNS1_11target_archE906ELNS1_3gpuE6ELNS1_3repE0EEENS1_30default_config_static_selectorELNS0_4arch9wavefront6targetE1EEEvT1_.has_recursion, 0
	.set _ZN7rocprim17ROCPRIM_400000_NS6detail17trampoline_kernelINS0_14default_configENS1_20scan_config_selectorIdEEZZNS1_9scan_implILNS1_25lookback_scan_determinismE0ELb0ELb0ES3_PKdPddZZZN2at6native31launch_logcumsumexp_cuda_kernelERKNSB_10TensorBaseESF_lENKUlvE_clEvENKUlvE_clEvEUlddE_dEEDaPvRmT3_T4_T5_mT6_P12ihipStream_tbENKUlT_T0_E_clISt17integral_constantIbLb1EESW_EEDaSR_SS_EUlSR_E_NS1_11comp_targetILNS1_3genE2ELNS1_11target_archE906ELNS1_3gpuE6ELNS1_3repE0EEENS1_30default_config_static_selectorELNS0_4arch9wavefront6targetE1EEEvT1_.has_indirect_call, 0
	.section	.AMDGPU.csdata,"",@progbits
; Kernel info:
; codeLenInByte = 4
; TotalNumSgprs: 4
; NumVgprs: 0
; ScratchSize: 0
; MemoryBound: 0
; FloatMode: 240
; IeeeMode: 1
; LDSByteSize: 0 bytes/workgroup (compile time only)
; SGPRBlocks: 0
; VGPRBlocks: 0
; NumSGPRsForWavesPerEU: 4
; NumVGPRsForWavesPerEU: 1
; Occupancy: 10
; WaveLimiterHint : 0
; COMPUTE_PGM_RSRC2:SCRATCH_EN: 0
; COMPUTE_PGM_RSRC2:USER_SGPR: 6
; COMPUTE_PGM_RSRC2:TRAP_HANDLER: 0
; COMPUTE_PGM_RSRC2:TGID_X_EN: 1
; COMPUTE_PGM_RSRC2:TGID_Y_EN: 0
; COMPUTE_PGM_RSRC2:TGID_Z_EN: 0
; COMPUTE_PGM_RSRC2:TIDIG_COMP_CNT: 0
	.section	.text._ZN7rocprim17ROCPRIM_400000_NS6detail17trampoline_kernelINS0_14default_configENS1_20scan_config_selectorIdEEZZNS1_9scan_implILNS1_25lookback_scan_determinismE0ELb0ELb0ES3_PKdPddZZZN2at6native31launch_logcumsumexp_cuda_kernelERKNSB_10TensorBaseESF_lENKUlvE_clEvENKUlvE_clEvEUlddE_dEEDaPvRmT3_T4_T5_mT6_P12ihipStream_tbENKUlT_T0_E_clISt17integral_constantIbLb1EESW_EEDaSR_SS_EUlSR_E_NS1_11comp_targetILNS1_3genE10ELNS1_11target_archE1201ELNS1_3gpuE5ELNS1_3repE0EEENS1_30default_config_static_selectorELNS0_4arch9wavefront6targetE1EEEvT1_,"axG",@progbits,_ZN7rocprim17ROCPRIM_400000_NS6detail17trampoline_kernelINS0_14default_configENS1_20scan_config_selectorIdEEZZNS1_9scan_implILNS1_25lookback_scan_determinismE0ELb0ELb0ES3_PKdPddZZZN2at6native31launch_logcumsumexp_cuda_kernelERKNSB_10TensorBaseESF_lENKUlvE_clEvENKUlvE_clEvEUlddE_dEEDaPvRmT3_T4_T5_mT6_P12ihipStream_tbENKUlT_T0_E_clISt17integral_constantIbLb1EESW_EEDaSR_SS_EUlSR_E_NS1_11comp_targetILNS1_3genE10ELNS1_11target_archE1201ELNS1_3gpuE5ELNS1_3repE0EEENS1_30default_config_static_selectorELNS0_4arch9wavefront6targetE1EEEvT1_,comdat
	.globl	_ZN7rocprim17ROCPRIM_400000_NS6detail17trampoline_kernelINS0_14default_configENS1_20scan_config_selectorIdEEZZNS1_9scan_implILNS1_25lookback_scan_determinismE0ELb0ELb0ES3_PKdPddZZZN2at6native31launch_logcumsumexp_cuda_kernelERKNSB_10TensorBaseESF_lENKUlvE_clEvENKUlvE_clEvEUlddE_dEEDaPvRmT3_T4_T5_mT6_P12ihipStream_tbENKUlT_T0_E_clISt17integral_constantIbLb1EESW_EEDaSR_SS_EUlSR_E_NS1_11comp_targetILNS1_3genE10ELNS1_11target_archE1201ELNS1_3gpuE5ELNS1_3repE0EEENS1_30default_config_static_selectorELNS0_4arch9wavefront6targetE1EEEvT1_ ; -- Begin function _ZN7rocprim17ROCPRIM_400000_NS6detail17trampoline_kernelINS0_14default_configENS1_20scan_config_selectorIdEEZZNS1_9scan_implILNS1_25lookback_scan_determinismE0ELb0ELb0ES3_PKdPddZZZN2at6native31launch_logcumsumexp_cuda_kernelERKNSB_10TensorBaseESF_lENKUlvE_clEvENKUlvE_clEvEUlddE_dEEDaPvRmT3_T4_T5_mT6_P12ihipStream_tbENKUlT_T0_E_clISt17integral_constantIbLb1EESW_EEDaSR_SS_EUlSR_E_NS1_11comp_targetILNS1_3genE10ELNS1_11target_archE1201ELNS1_3gpuE5ELNS1_3repE0EEENS1_30default_config_static_selectorELNS0_4arch9wavefront6targetE1EEEvT1_
	.p2align	8
	.type	_ZN7rocprim17ROCPRIM_400000_NS6detail17trampoline_kernelINS0_14default_configENS1_20scan_config_selectorIdEEZZNS1_9scan_implILNS1_25lookback_scan_determinismE0ELb0ELb0ES3_PKdPddZZZN2at6native31launch_logcumsumexp_cuda_kernelERKNSB_10TensorBaseESF_lENKUlvE_clEvENKUlvE_clEvEUlddE_dEEDaPvRmT3_T4_T5_mT6_P12ihipStream_tbENKUlT_T0_E_clISt17integral_constantIbLb1EESW_EEDaSR_SS_EUlSR_E_NS1_11comp_targetILNS1_3genE10ELNS1_11target_archE1201ELNS1_3gpuE5ELNS1_3repE0EEENS1_30default_config_static_selectorELNS0_4arch9wavefront6targetE1EEEvT1_,@function
_ZN7rocprim17ROCPRIM_400000_NS6detail17trampoline_kernelINS0_14default_configENS1_20scan_config_selectorIdEEZZNS1_9scan_implILNS1_25lookback_scan_determinismE0ELb0ELb0ES3_PKdPddZZZN2at6native31launch_logcumsumexp_cuda_kernelERKNSB_10TensorBaseESF_lENKUlvE_clEvENKUlvE_clEvEUlddE_dEEDaPvRmT3_T4_T5_mT6_P12ihipStream_tbENKUlT_T0_E_clISt17integral_constantIbLb1EESW_EEDaSR_SS_EUlSR_E_NS1_11comp_targetILNS1_3genE10ELNS1_11target_archE1201ELNS1_3gpuE5ELNS1_3repE0EEENS1_30default_config_static_selectorELNS0_4arch9wavefront6targetE1EEEvT1_: ; @_ZN7rocprim17ROCPRIM_400000_NS6detail17trampoline_kernelINS0_14default_configENS1_20scan_config_selectorIdEEZZNS1_9scan_implILNS1_25lookback_scan_determinismE0ELb0ELb0ES3_PKdPddZZZN2at6native31launch_logcumsumexp_cuda_kernelERKNSB_10TensorBaseESF_lENKUlvE_clEvENKUlvE_clEvEUlddE_dEEDaPvRmT3_T4_T5_mT6_P12ihipStream_tbENKUlT_T0_E_clISt17integral_constantIbLb1EESW_EEDaSR_SS_EUlSR_E_NS1_11comp_targetILNS1_3genE10ELNS1_11target_archE1201ELNS1_3gpuE5ELNS1_3repE0EEENS1_30default_config_static_selectorELNS0_4arch9wavefront6targetE1EEEvT1_
; %bb.0:
	.section	.rodata,"a",@progbits
	.p2align	6, 0x0
	.amdhsa_kernel _ZN7rocprim17ROCPRIM_400000_NS6detail17trampoline_kernelINS0_14default_configENS1_20scan_config_selectorIdEEZZNS1_9scan_implILNS1_25lookback_scan_determinismE0ELb0ELb0ES3_PKdPddZZZN2at6native31launch_logcumsumexp_cuda_kernelERKNSB_10TensorBaseESF_lENKUlvE_clEvENKUlvE_clEvEUlddE_dEEDaPvRmT3_T4_T5_mT6_P12ihipStream_tbENKUlT_T0_E_clISt17integral_constantIbLb1EESW_EEDaSR_SS_EUlSR_E_NS1_11comp_targetILNS1_3genE10ELNS1_11target_archE1201ELNS1_3gpuE5ELNS1_3repE0EEENS1_30default_config_static_selectorELNS0_4arch9wavefront6targetE1EEEvT1_
		.amdhsa_group_segment_fixed_size 0
		.amdhsa_private_segment_fixed_size 0
		.amdhsa_kernarg_size 104
		.amdhsa_user_sgpr_count 6
		.amdhsa_user_sgpr_private_segment_buffer 1
		.amdhsa_user_sgpr_dispatch_ptr 0
		.amdhsa_user_sgpr_queue_ptr 0
		.amdhsa_user_sgpr_kernarg_segment_ptr 1
		.amdhsa_user_sgpr_dispatch_id 0
		.amdhsa_user_sgpr_flat_scratch_init 0
		.amdhsa_user_sgpr_private_segment_size 0
		.amdhsa_uses_dynamic_stack 0
		.amdhsa_system_sgpr_private_segment_wavefront_offset 0
		.amdhsa_system_sgpr_workgroup_id_x 1
		.amdhsa_system_sgpr_workgroup_id_y 0
		.amdhsa_system_sgpr_workgroup_id_z 0
		.amdhsa_system_sgpr_workgroup_info 0
		.amdhsa_system_vgpr_workitem_id 0
		.amdhsa_next_free_vgpr 1
		.amdhsa_next_free_sgpr 0
		.amdhsa_reserve_vcc 0
		.amdhsa_reserve_flat_scratch 0
		.amdhsa_float_round_mode_32 0
		.amdhsa_float_round_mode_16_64 0
		.amdhsa_float_denorm_mode_32 3
		.amdhsa_float_denorm_mode_16_64 3
		.amdhsa_dx10_clamp 1
		.amdhsa_ieee_mode 1
		.amdhsa_fp16_overflow 0
		.amdhsa_exception_fp_ieee_invalid_op 0
		.amdhsa_exception_fp_denorm_src 0
		.amdhsa_exception_fp_ieee_div_zero 0
		.amdhsa_exception_fp_ieee_overflow 0
		.amdhsa_exception_fp_ieee_underflow 0
		.amdhsa_exception_fp_ieee_inexact 0
		.amdhsa_exception_int_div_zero 0
	.end_amdhsa_kernel
	.section	.text._ZN7rocprim17ROCPRIM_400000_NS6detail17trampoline_kernelINS0_14default_configENS1_20scan_config_selectorIdEEZZNS1_9scan_implILNS1_25lookback_scan_determinismE0ELb0ELb0ES3_PKdPddZZZN2at6native31launch_logcumsumexp_cuda_kernelERKNSB_10TensorBaseESF_lENKUlvE_clEvENKUlvE_clEvEUlddE_dEEDaPvRmT3_T4_T5_mT6_P12ihipStream_tbENKUlT_T0_E_clISt17integral_constantIbLb1EESW_EEDaSR_SS_EUlSR_E_NS1_11comp_targetILNS1_3genE10ELNS1_11target_archE1201ELNS1_3gpuE5ELNS1_3repE0EEENS1_30default_config_static_selectorELNS0_4arch9wavefront6targetE1EEEvT1_,"axG",@progbits,_ZN7rocprim17ROCPRIM_400000_NS6detail17trampoline_kernelINS0_14default_configENS1_20scan_config_selectorIdEEZZNS1_9scan_implILNS1_25lookback_scan_determinismE0ELb0ELb0ES3_PKdPddZZZN2at6native31launch_logcumsumexp_cuda_kernelERKNSB_10TensorBaseESF_lENKUlvE_clEvENKUlvE_clEvEUlddE_dEEDaPvRmT3_T4_T5_mT6_P12ihipStream_tbENKUlT_T0_E_clISt17integral_constantIbLb1EESW_EEDaSR_SS_EUlSR_E_NS1_11comp_targetILNS1_3genE10ELNS1_11target_archE1201ELNS1_3gpuE5ELNS1_3repE0EEENS1_30default_config_static_selectorELNS0_4arch9wavefront6targetE1EEEvT1_,comdat
.Lfunc_end33:
	.size	_ZN7rocprim17ROCPRIM_400000_NS6detail17trampoline_kernelINS0_14default_configENS1_20scan_config_selectorIdEEZZNS1_9scan_implILNS1_25lookback_scan_determinismE0ELb0ELb0ES3_PKdPddZZZN2at6native31launch_logcumsumexp_cuda_kernelERKNSB_10TensorBaseESF_lENKUlvE_clEvENKUlvE_clEvEUlddE_dEEDaPvRmT3_T4_T5_mT6_P12ihipStream_tbENKUlT_T0_E_clISt17integral_constantIbLb1EESW_EEDaSR_SS_EUlSR_E_NS1_11comp_targetILNS1_3genE10ELNS1_11target_archE1201ELNS1_3gpuE5ELNS1_3repE0EEENS1_30default_config_static_selectorELNS0_4arch9wavefront6targetE1EEEvT1_, .Lfunc_end33-_ZN7rocprim17ROCPRIM_400000_NS6detail17trampoline_kernelINS0_14default_configENS1_20scan_config_selectorIdEEZZNS1_9scan_implILNS1_25lookback_scan_determinismE0ELb0ELb0ES3_PKdPddZZZN2at6native31launch_logcumsumexp_cuda_kernelERKNSB_10TensorBaseESF_lENKUlvE_clEvENKUlvE_clEvEUlddE_dEEDaPvRmT3_T4_T5_mT6_P12ihipStream_tbENKUlT_T0_E_clISt17integral_constantIbLb1EESW_EEDaSR_SS_EUlSR_E_NS1_11comp_targetILNS1_3genE10ELNS1_11target_archE1201ELNS1_3gpuE5ELNS1_3repE0EEENS1_30default_config_static_selectorELNS0_4arch9wavefront6targetE1EEEvT1_
                                        ; -- End function
	.set _ZN7rocprim17ROCPRIM_400000_NS6detail17trampoline_kernelINS0_14default_configENS1_20scan_config_selectorIdEEZZNS1_9scan_implILNS1_25lookback_scan_determinismE0ELb0ELb0ES3_PKdPddZZZN2at6native31launch_logcumsumexp_cuda_kernelERKNSB_10TensorBaseESF_lENKUlvE_clEvENKUlvE_clEvEUlddE_dEEDaPvRmT3_T4_T5_mT6_P12ihipStream_tbENKUlT_T0_E_clISt17integral_constantIbLb1EESW_EEDaSR_SS_EUlSR_E_NS1_11comp_targetILNS1_3genE10ELNS1_11target_archE1201ELNS1_3gpuE5ELNS1_3repE0EEENS1_30default_config_static_selectorELNS0_4arch9wavefront6targetE1EEEvT1_.num_vgpr, 0
	.set _ZN7rocprim17ROCPRIM_400000_NS6detail17trampoline_kernelINS0_14default_configENS1_20scan_config_selectorIdEEZZNS1_9scan_implILNS1_25lookback_scan_determinismE0ELb0ELb0ES3_PKdPddZZZN2at6native31launch_logcumsumexp_cuda_kernelERKNSB_10TensorBaseESF_lENKUlvE_clEvENKUlvE_clEvEUlddE_dEEDaPvRmT3_T4_T5_mT6_P12ihipStream_tbENKUlT_T0_E_clISt17integral_constantIbLb1EESW_EEDaSR_SS_EUlSR_E_NS1_11comp_targetILNS1_3genE10ELNS1_11target_archE1201ELNS1_3gpuE5ELNS1_3repE0EEENS1_30default_config_static_selectorELNS0_4arch9wavefront6targetE1EEEvT1_.num_agpr, 0
	.set _ZN7rocprim17ROCPRIM_400000_NS6detail17trampoline_kernelINS0_14default_configENS1_20scan_config_selectorIdEEZZNS1_9scan_implILNS1_25lookback_scan_determinismE0ELb0ELb0ES3_PKdPddZZZN2at6native31launch_logcumsumexp_cuda_kernelERKNSB_10TensorBaseESF_lENKUlvE_clEvENKUlvE_clEvEUlddE_dEEDaPvRmT3_T4_T5_mT6_P12ihipStream_tbENKUlT_T0_E_clISt17integral_constantIbLb1EESW_EEDaSR_SS_EUlSR_E_NS1_11comp_targetILNS1_3genE10ELNS1_11target_archE1201ELNS1_3gpuE5ELNS1_3repE0EEENS1_30default_config_static_selectorELNS0_4arch9wavefront6targetE1EEEvT1_.numbered_sgpr, 0
	.set _ZN7rocprim17ROCPRIM_400000_NS6detail17trampoline_kernelINS0_14default_configENS1_20scan_config_selectorIdEEZZNS1_9scan_implILNS1_25lookback_scan_determinismE0ELb0ELb0ES3_PKdPddZZZN2at6native31launch_logcumsumexp_cuda_kernelERKNSB_10TensorBaseESF_lENKUlvE_clEvENKUlvE_clEvEUlddE_dEEDaPvRmT3_T4_T5_mT6_P12ihipStream_tbENKUlT_T0_E_clISt17integral_constantIbLb1EESW_EEDaSR_SS_EUlSR_E_NS1_11comp_targetILNS1_3genE10ELNS1_11target_archE1201ELNS1_3gpuE5ELNS1_3repE0EEENS1_30default_config_static_selectorELNS0_4arch9wavefront6targetE1EEEvT1_.num_named_barrier, 0
	.set _ZN7rocprim17ROCPRIM_400000_NS6detail17trampoline_kernelINS0_14default_configENS1_20scan_config_selectorIdEEZZNS1_9scan_implILNS1_25lookback_scan_determinismE0ELb0ELb0ES3_PKdPddZZZN2at6native31launch_logcumsumexp_cuda_kernelERKNSB_10TensorBaseESF_lENKUlvE_clEvENKUlvE_clEvEUlddE_dEEDaPvRmT3_T4_T5_mT6_P12ihipStream_tbENKUlT_T0_E_clISt17integral_constantIbLb1EESW_EEDaSR_SS_EUlSR_E_NS1_11comp_targetILNS1_3genE10ELNS1_11target_archE1201ELNS1_3gpuE5ELNS1_3repE0EEENS1_30default_config_static_selectorELNS0_4arch9wavefront6targetE1EEEvT1_.private_seg_size, 0
	.set _ZN7rocprim17ROCPRIM_400000_NS6detail17trampoline_kernelINS0_14default_configENS1_20scan_config_selectorIdEEZZNS1_9scan_implILNS1_25lookback_scan_determinismE0ELb0ELb0ES3_PKdPddZZZN2at6native31launch_logcumsumexp_cuda_kernelERKNSB_10TensorBaseESF_lENKUlvE_clEvENKUlvE_clEvEUlddE_dEEDaPvRmT3_T4_T5_mT6_P12ihipStream_tbENKUlT_T0_E_clISt17integral_constantIbLb1EESW_EEDaSR_SS_EUlSR_E_NS1_11comp_targetILNS1_3genE10ELNS1_11target_archE1201ELNS1_3gpuE5ELNS1_3repE0EEENS1_30default_config_static_selectorELNS0_4arch9wavefront6targetE1EEEvT1_.uses_vcc, 0
	.set _ZN7rocprim17ROCPRIM_400000_NS6detail17trampoline_kernelINS0_14default_configENS1_20scan_config_selectorIdEEZZNS1_9scan_implILNS1_25lookback_scan_determinismE0ELb0ELb0ES3_PKdPddZZZN2at6native31launch_logcumsumexp_cuda_kernelERKNSB_10TensorBaseESF_lENKUlvE_clEvENKUlvE_clEvEUlddE_dEEDaPvRmT3_T4_T5_mT6_P12ihipStream_tbENKUlT_T0_E_clISt17integral_constantIbLb1EESW_EEDaSR_SS_EUlSR_E_NS1_11comp_targetILNS1_3genE10ELNS1_11target_archE1201ELNS1_3gpuE5ELNS1_3repE0EEENS1_30default_config_static_selectorELNS0_4arch9wavefront6targetE1EEEvT1_.uses_flat_scratch, 0
	.set _ZN7rocprim17ROCPRIM_400000_NS6detail17trampoline_kernelINS0_14default_configENS1_20scan_config_selectorIdEEZZNS1_9scan_implILNS1_25lookback_scan_determinismE0ELb0ELb0ES3_PKdPddZZZN2at6native31launch_logcumsumexp_cuda_kernelERKNSB_10TensorBaseESF_lENKUlvE_clEvENKUlvE_clEvEUlddE_dEEDaPvRmT3_T4_T5_mT6_P12ihipStream_tbENKUlT_T0_E_clISt17integral_constantIbLb1EESW_EEDaSR_SS_EUlSR_E_NS1_11comp_targetILNS1_3genE10ELNS1_11target_archE1201ELNS1_3gpuE5ELNS1_3repE0EEENS1_30default_config_static_selectorELNS0_4arch9wavefront6targetE1EEEvT1_.has_dyn_sized_stack, 0
	.set _ZN7rocprim17ROCPRIM_400000_NS6detail17trampoline_kernelINS0_14default_configENS1_20scan_config_selectorIdEEZZNS1_9scan_implILNS1_25lookback_scan_determinismE0ELb0ELb0ES3_PKdPddZZZN2at6native31launch_logcumsumexp_cuda_kernelERKNSB_10TensorBaseESF_lENKUlvE_clEvENKUlvE_clEvEUlddE_dEEDaPvRmT3_T4_T5_mT6_P12ihipStream_tbENKUlT_T0_E_clISt17integral_constantIbLb1EESW_EEDaSR_SS_EUlSR_E_NS1_11comp_targetILNS1_3genE10ELNS1_11target_archE1201ELNS1_3gpuE5ELNS1_3repE0EEENS1_30default_config_static_selectorELNS0_4arch9wavefront6targetE1EEEvT1_.has_recursion, 0
	.set _ZN7rocprim17ROCPRIM_400000_NS6detail17trampoline_kernelINS0_14default_configENS1_20scan_config_selectorIdEEZZNS1_9scan_implILNS1_25lookback_scan_determinismE0ELb0ELb0ES3_PKdPddZZZN2at6native31launch_logcumsumexp_cuda_kernelERKNSB_10TensorBaseESF_lENKUlvE_clEvENKUlvE_clEvEUlddE_dEEDaPvRmT3_T4_T5_mT6_P12ihipStream_tbENKUlT_T0_E_clISt17integral_constantIbLb1EESW_EEDaSR_SS_EUlSR_E_NS1_11comp_targetILNS1_3genE10ELNS1_11target_archE1201ELNS1_3gpuE5ELNS1_3repE0EEENS1_30default_config_static_selectorELNS0_4arch9wavefront6targetE1EEEvT1_.has_indirect_call, 0
	.section	.AMDGPU.csdata,"",@progbits
; Kernel info:
; codeLenInByte = 0
; TotalNumSgprs: 4
; NumVgprs: 0
; ScratchSize: 0
; MemoryBound: 0
; FloatMode: 240
; IeeeMode: 1
; LDSByteSize: 0 bytes/workgroup (compile time only)
; SGPRBlocks: 0
; VGPRBlocks: 0
; NumSGPRsForWavesPerEU: 4
; NumVGPRsForWavesPerEU: 1
; Occupancy: 10
; WaveLimiterHint : 0
; COMPUTE_PGM_RSRC2:SCRATCH_EN: 0
; COMPUTE_PGM_RSRC2:USER_SGPR: 6
; COMPUTE_PGM_RSRC2:TRAP_HANDLER: 0
; COMPUTE_PGM_RSRC2:TGID_X_EN: 1
; COMPUTE_PGM_RSRC2:TGID_Y_EN: 0
; COMPUTE_PGM_RSRC2:TGID_Z_EN: 0
; COMPUTE_PGM_RSRC2:TIDIG_COMP_CNT: 0
	.section	.text._ZN7rocprim17ROCPRIM_400000_NS6detail17trampoline_kernelINS0_14default_configENS1_20scan_config_selectorIdEEZZNS1_9scan_implILNS1_25lookback_scan_determinismE0ELb0ELb0ES3_PKdPddZZZN2at6native31launch_logcumsumexp_cuda_kernelERKNSB_10TensorBaseESF_lENKUlvE_clEvENKUlvE_clEvEUlddE_dEEDaPvRmT3_T4_T5_mT6_P12ihipStream_tbENKUlT_T0_E_clISt17integral_constantIbLb1EESW_EEDaSR_SS_EUlSR_E_NS1_11comp_targetILNS1_3genE10ELNS1_11target_archE1200ELNS1_3gpuE4ELNS1_3repE0EEENS1_30default_config_static_selectorELNS0_4arch9wavefront6targetE1EEEvT1_,"axG",@progbits,_ZN7rocprim17ROCPRIM_400000_NS6detail17trampoline_kernelINS0_14default_configENS1_20scan_config_selectorIdEEZZNS1_9scan_implILNS1_25lookback_scan_determinismE0ELb0ELb0ES3_PKdPddZZZN2at6native31launch_logcumsumexp_cuda_kernelERKNSB_10TensorBaseESF_lENKUlvE_clEvENKUlvE_clEvEUlddE_dEEDaPvRmT3_T4_T5_mT6_P12ihipStream_tbENKUlT_T0_E_clISt17integral_constantIbLb1EESW_EEDaSR_SS_EUlSR_E_NS1_11comp_targetILNS1_3genE10ELNS1_11target_archE1200ELNS1_3gpuE4ELNS1_3repE0EEENS1_30default_config_static_selectorELNS0_4arch9wavefront6targetE1EEEvT1_,comdat
	.globl	_ZN7rocprim17ROCPRIM_400000_NS6detail17trampoline_kernelINS0_14default_configENS1_20scan_config_selectorIdEEZZNS1_9scan_implILNS1_25lookback_scan_determinismE0ELb0ELb0ES3_PKdPddZZZN2at6native31launch_logcumsumexp_cuda_kernelERKNSB_10TensorBaseESF_lENKUlvE_clEvENKUlvE_clEvEUlddE_dEEDaPvRmT3_T4_T5_mT6_P12ihipStream_tbENKUlT_T0_E_clISt17integral_constantIbLb1EESW_EEDaSR_SS_EUlSR_E_NS1_11comp_targetILNS1_3genE10ELNS1_11target_archE1200ELNS1_3gpuE4ELNS1_3repE0EEENS1_30default_config_static_selectorELNS0_4arch9wavefront6targetE1EEEvT1_ ; -- Begin function _ZN7rocprim17ROCPRIM_400000_NS6detail17trampoline_kernelINS0_14default_configENS1_20scan_config_selectorIdEEZZNS1_9scan_implILNS1_25lookback_scan_determinismE0ELb0ELb0ES3_PKdPddZZZN2at6native31launch_logcumsumexp_cuda_kernelERKNSB_10TensorBaseESF_lENKUlvE_clEvENKUlvE_clEvEUlddE_dEEDaPvRmT3_T4_T5_mT6_P12ihipStream_tbENKUlT_T0_E_clISt17integral_constantIbLb1EESW_EEDaSR_SS_EUlSR_E_NS1_11comp_targetILNS1_3genE10ELNS1_11target_archE1200ELNS1_3gpuE4ELNS1_3repE0EEENS1_30default_config_static_selectorELNS0_4arch9wavefront6targetE1EEEvT1_
	.p2align	8
	.type	_ZN7rocprim17ROCPRIM_400000_NS6detail17trampoline_kernelINS0_14default_configENS1_20scan_config_selectorIdEEZZNS1_9scan_implILNS1_25lookback_scan_determinismE0ELb0ELb0ES3_PKdPddZZZN2at6native31launch_logcumsumexp_cuda_kernelERKNSB_10TensorBaseESF_lENKUlvE_clEvENKUlvE_clEvEUlddE_dEEDaPvRmT3_T4_T5_mT6_P12ihipStream_tbENKUlT_T0_E_clISt17integral_constantIbLb1EESW_EEDaSR_SS_EUlSR_E_NS1_11comp_targetILNS1_3genE10ELNS1_11target_archE1200ELNS1_3gpuE4ELNS1_3repE0EEENS1_30default_config_static_selectorELNS0_4arch9wavefront6targetE1EEEvT1_,@function
_ZN7rocprim17ROCPRIM_400000_NS6detail17trampoline_kernelINS0_14default_configENS1_20scan_config_selectorIdEEZZNS1_9scan_implILNS1_25lookback_scan_determinismE0ELb0ELb0ES3_PKdPddZZZN2at6native31launch_logcumsumexp_cuda_kernelERKNSB_10TensorBaseESF_lENKUlvE_clEvENKUlvE_clEvEUlddE_dEEDaPvRmT3_T4_T5_mT6_P12ihipStream_tbENKUlT_T0_E_clISt17integral_constantIbLb1EESW_EEDaSR_SS_EUlSR_E_NS1_11comp_targetILNS1_3genE10ELNS1_11target_archE1200ELNS1_3gpuE4ELNS1_3repE0EEENS1_30default_config_static_selectorELNS0_4arch9wavefront6targetE1EEEvT1_: ; @_ZN7rocprim17ROCPRIM_400000_NS6detail17trampoline_kernelINS0_14default_configENS1_20scan_config_selectorIdEEZZNS1_9scan_implILNS1_25lookback_scan_determinismE0ELb0ELb0ES3_PKdPddZZZN2at6native31launch_logcumsumexp_cuda_kernelERKNSB_10TensorBaseESF_lENKUlvE_clEvENKUlvE_clEvEUlddE_dEEDaPvRmT3_T4_T5_mT6_P12ihipStream_tbENKUlT_T0_E_clISt17integral_constantIbLb1EESW_EEDaSR_SS_EUlSR_E_NS1_11comp_targetILNS1_3genE10ELNS1_11target_archE1200ELNS1_3gpuE4ELNS1_3repE0EEENS1_30default_config_static_selectorELNS0_4arch9wavefront6targetE1EEEvT1_
; %bb.0:
	.section	.rodata,"a",@progbits
	.p2align	6, 0x0
	.amdhsa_kernel _ZN7rocprim17ROCPRIM_400000_NS6detail17trampoline_kernelINS0_14default_configENS1_20scan_config_selectorIdEEZZNS1_9scan_implILNS1_25lookback_scan_determinismE0ELb0ELb0ES3_PKdPddZZZN2at6native31launch_logcumsumexp_cuda_kernelERKNSB_10TensorBaseESF_lENKUlvE_clEvENKUlvE_clEvEUlddE_dEEDaPvRmT3_T4_T5_mT6_P12ihipStream_tbENKUlT_T0_E_clISt17integral_constantIbLb1EESW_EEDaSR_SS_EUlSR_E_NS1_11comp_targetILNS1_3genE10ELNS1_11target_archE1200ELNS1_3gpuE4ELNS1_3repE0EEENS1_30default_config_static_selectorELNS0_4arch9wavefront6targetE1EEEvT1_
		.amdhsa_group_segment_fixed_size 0
		.amdhsa_private_segment_fixed_size 0
		.amdhsa_kernarg_size 104
		.amdhsa_user_sgpr_count 6
		.amdhsa_user_sgpr_private_segment_buffer 1
		.amdhsa_user_sgpr_dispatch_ptr 0
		.amdhsa_user_sgpr_queue_ptr 0
		.amdhsa_user_sgpr_kernarg_segment_ptr 1
		.amdhsa_user_sgpr_dispatch_id 0
		.amdhsa_user_sgpr_flat_scratch_init 0
		.amdhsa_user_sgpr_private_segment_size 0
		.amdhsa_uses_dynamic_stack 0
		.amdhsa_system_sgpr_private_segment_wavefront_offset 0
		.amdhsa_system_sgpr_workgroup_id_x 1
		.amdhsa_system_sgpr_workgroup_id_y 0
		.amdhsa_system_sgpr_workgroup_id_z 0
		.amdhsa_system_sgpr_workgroup_info 0
		.amdhsa_system_vgpr_workitem_id 0
		.amdhsa_next_free_vgpr 1
		.amdhsa_next_free_sgpr 0
		.amdhsa_reserve_vcc 0
		.amdhsa_reserve_flat_scratch 0
		.amdhsa_float_round_mode_32 0
		.amdhsa_float_round_mode_16_64 0
		.amdhsa_float_denorm_mode_32 3
		.amdhsa_float_denorm_mode_16_64 3
		.amdhsa_dx10_clamp 1
		.amdhsa_ieee_mode 1
		.amdhsa_fp16_overflow 0
		.amdhsa_exception_fp_ieee_invalid_op 0
		.amdhsa_exception_fp_denorm_src 0
		.amdhsa_exception_fp_ieee_div_zero 0
		.amdhsa_exception_fp_ieee_overflow 0
		.amdhsa_exception_fp_ieee_underflow 0
		.amdhsa_exception_fp_ieee_inexact 0
		.amdhsa_exception_int_div_zero 0
	.end_amdhsa_kernel
	.section	.text._ZN7rocprim17ROCPRIM_400000_NS6detail17trampoline_kernelINS0_14default_configENS1_20scan_config_selectorIdEEZZNS1_9scan_implILNS1_25lookback_scan_determinismE0ELb0ELb0ES3_PKdPddZZZN2at6native31launch_logcumsumexp_cuda_kernelERKNSB_10TensorBaseESF_lENKUlvE_clEvENKUlvE_clEvEUlddE_dEEDaPvRmT3_T4_T5_mT6_P12ihipStream_tbENKUlT_T0_E_clISt17integral_constantIbLb1EESW_EEDaSR_SS_EUlSR_E_NS1_11comp_targetILNS1_3genE10ELNS1_11target_archE1200ELNS1_3gpuE4ELNS1_3repE0EEENS1_30default_config_static_selectorELNS0_4arch9wavefront6targetE1EEEvT1_,"axG",@progbits,_ZN7rocprim17ROCPRIM_400000_NS6detail17trampoline_kernelINS0_14default_configENS1_20scan_config_selectorIdEEZZNS1_9scan_implILNS1_25lookback_scan_determinismE0ELb0ELb0ES3_PKdPddZZZN2at6native31launch_logcumsumexp_cuda_kernelERKNSB_10TensorBaseESF_lENKUlvE_clEvENKUlvE_clEvEUlddE_dEEDaPvRmT3_T4_T5_mT6_P12ihipStream_tbENKUlT_T0_E_clISt17integral_constantIbLb1EESW_EEDaSR_SS_EUlSR_E_NS1_11comp_targetILNS1_3genE10ELNS1_11target_archE1200ELNS1_3gpuE4ELNS1_3repE0EEENS1_30default_config_static_selectorELNS0_4arch9wavefront6targetE1EEEvT1_,comdat
.Lfunc_end34:
	.size	_ZN7rocprim17ROCPRIM_400000_NS6detail17trampoline_kernelINS0_14default_configENS1_20scan_config_selectorIdEEZZNS1_9scan_implILNS1_25lookback_scan_determinismE0ELb0ELb0ES3_PKdPddZZZN2at6native31launch_logcumsumexp_cuda_kernelERKNSB_10TensorBaseESF_lENKUlvE_clEvENKUlvE_clEvEUlddE_dEEDaPvRmT3_T4_T5_mT6_P12ihipStream_tbENKUlT_T0_E_clISt17integral_constantIbLb1EESW_EEDaSR_SS_EUlSR_E_NS1_11comp_targetILNS1_3genE10ELNS1_11target_archE1200ELNS1_3gpuE4ELNS1_3repE0EEENS1_30default_config_static_selectorELNS0_4arch9wavefront6targetE1EEEvT1_, .Lfunc_end34-_ZN7rocprim17ROCPRIM_400000_NS6detail17trampoline_kernelINS0_14default_configENS1_20scan_config_selectorIdEEZZNS1_9scan_implILNS1_25lookback_scan_determinismE0ELb0ELb0ES3_PKdPddZZZN2at6native31launch_logcumsumexp_cuda_kernelERKNSB_10TensorBaseESF_lENKUlvE_clEvENKUlvE_clEvEUlddE_dEEDaPvRmT3_T4_T5_mT6_P12ihipStream_tbENKUlT_T0_E_clISt17integral_constantIbLb1EESW_EEDaSR_SS_EUlSR_E_NS1_11comp_targetILNS1_3genE10ELNS1_11target_archE1200ELNS1_3gpuE4ELNS1_3repE0EEENS1_30default_config_static_selectorELNS0_4arch9wavefront6targetE1EEEvT1_
                                        ; -- End function
	.set _ZN7rocprim17ROCPRIM_400000_NS6detail17trampoline_kernelINS0_14default_configENS1_20scan_config_selectorIdEEZZNS1_9scan_implILNS1_25lookback_scan_determinismE0ELb0ELb0ES3_PKdPddZZZN2at6native31launch_logcumsumexp_cuda_kernelERKNSB_10TensorBaseESF_lENKUlvE_clEvENKUlvE_clEvEUlddE_dEEDaPvRmT3_T4_T5_mT6_P12ihipStream_tbENKUlT_T0_E_clISt17integral_constantIbLb1EESW_EEDaSR_SS_EUlSR_E_NS1_11comp_targetILNS1_3genE10ELNS1_11target_archE1200ELNS1_3gpuE4ELNS1_3repE0EEENS1_30default_config_static_selectorELNS0_4arch9wavefront6targetE1EEEvT1_.num_vgpr, 0
	.set _ZN7rocprim17ROCPRIM_400000_NS6detail17trampoline_kernelINS0_14default_configENS1_20scan_config_selectorIdEEZZNS1_9scan_implILNS1_25lookback_scan_determinismE0ELb0ELb0ES3_PKdPddZZZN2at6native31launch_logcumsumexp_cuda_kernelERKNSB_10TensorBaseESF_lENKUlvE_clEvENKUlvE_clEvEUlddE_dEEDaPvRmT3_T4_T5_mT6_P12ihipStream_tbENKUlT_T0_E_clISt17integral_constantIbLb1EESW_EEDaSR_SS_EUlSR_E_NS1_11comp_targetILNS1_3genE10ELNS1_11target_archE1200ELNS1_3gpuE4ELNS1_3repE0EEENS1_30default_config_static_selectorELNS0_4arch9wavefront6targetE1EEEvT1_.num_agpr, 0
	.set _ZN7rocprim17ROCPRIM_400000_NS6detail17trampoline_kernelINS0_14default_configENS1_20scan_config_selectorIdEEZZNS1_9scan_implILNS1_25lookback_scan_determinismE0ELb0ELb0ES3_PKdPddZZZN2at6native31launch_logcumsumexp_cuda_kernelERKNSB_10TensorBaseESF_lENKUlvE_clEvENKUlvE_clEvEUlddE_dEEDaPvRmT3_T4_T5_mT6_P12ihipStream_tbENKUlT_T0_E_clISt17integral_constantIbLb1EESW_EEDaSR_SS_EUlSR_E_NS1_11comp_targetILNS1_3genE10ELNS1_11target_archE1200ELNS1_3gpuE4ELNS1_3repE0EEENS1_30default_config_static_selectorELNS0_4arch9wavefront6targetE1EEEvT1_.numbered_sgpr, 0
	.set _ZN7rocprim17ROCPRIM_400000_NS6detail17trampoline_kernelINS0_14default_configENS1_20scan_config_selectorIdEEZZNS1_9scan_implILNS1_25lookback_scan_determinismE0ELb0ELb0ES3_PKdPddZZZN2at6native31launch_logcumsumexp_cuda_kernelERKNSB_10TensorBaseESF_lENKUlvE_clEvENKUlvE_clEvEUlddE_dEEDaPvRmT3_T4_T5_mT6_P12ihipStream_tbENKUlT_T0_E_clISt17integral_constantIbLb1EESW_EEDaSR_SS_EUlSR_E_NS1_11comp_targetILNS1_3genE10ELNS1_11target_archE1200ELNS1_3gpuE4ELNS1_3repE0EEENS1_30default_config_static_selectorELNS0_4arch9wavefront6targetE1EEEvT1_.num_named_barrier, 0
	.set _ZN7rocprim17ROCPRIM_400000_NS6detail17trampoline_kernelINS0_14default_configENS1_20scan_config_selectorIdEEZZNS1_9scan_implILNS1_25lookback_scan_determinismE0ELb0ELb0ES3_PKdPddZZZN2at6native31launch_logcumsumexp_cuda_kernelERKNSB_10TensorBaseESF_lENKUlvE_clEvENKUlvE_clEvEUlddE_dEEDaPvRmT3_T4_T5_mT6_P12ihipStream_tbENKUlT_T0_E_clISt17integral_constantIbLb1EESW_EEDaSR_SS_EUlSR_E_NS1_11comp_targetILNS1_3genE10ELNS1_11target_archE1200ELNS1_3gpuE4ELNS1_3repE0EEENS1_30default_config_static_selectorELNS0_4arch9wavefront6targetE1EEEvT1_.private_seg_size, 0
	.set _ZN7rocprim17ROCPRIM_400000_NS6detail17trampoline_kernelINS0_14default_configENS1_20scan_config_selectorIdEEZZNS1_9scan_implILNS1_25lookback_scan_determinismE0ELb0ELb0ES3_PKdPddZZZN2at6native31launch_logcumsumexp_cuda_kernelERKNSB_10TensorBaseESF_lENKUlvE_clEvENKUlvE_clEvEUlddE_dEEDaPvRmT3_T4_T5_mT6_P12ihipStream_tbENKUlT_T0_E_clISt17integral_constantIbLb1EESW_EEDaSR_SS_EUlSR_E_NS1_11comp_targetILNS1_3genE10ELNS1_11target_archE1200ELNS1_3gpuE4ELNS1_3repE0EEENS1_30default_config_static_selectorELNS0_4arch9wavefront6targetE1EEEvT1_.uses_vcc, 0
	.set _ZN7rocprim17ROCPRIM_400000_NS6detail17trampoline_kernelINS0_14default_configENS1_20scan_config_selectorIdEEZZNS1_9scan_implILNS1_25lookback_scan_determinismE0ELb0ELb0ES3_PKdPddZZZN2at6native31launch_logcumsumexp_cuda_kernelERKNSB_10TensorBaseESF_lENKUlvE_clEvENKUlvE_clEvEUlddE_dEEDaPvRmT3_T4_T5_mT6_P12ihipStream_tbENKUlT_T0_E_clISt17integral_constantIbLb1EESW_EEDaSR_SS_EUlSR_E_NS1_11comp_targetILNS1_3genE10ELNS1_11target_archE1200ELNS1_3gpuE4ELNS1_3repE0EEENS1_30default_config_static_selectorELNS0_4arch9wavefront6targetE1EEEvT1_.uses_flat_scratch, 0
	.set _ZN7rocprim17ROCPRIM_400000_NS6detail17trampoline_kernelINS0_14default_configENS1_20scan_config_selectorIdEEZZNS1_9scan_implILNS1_25lookback_scan_determinismE0ELb0ELb0ES3_PKdPddZZZN2at6native31launch_logcumsumexp_cuda_kernelERKNSB_10TensorBaseESF_lENKUlvE_clEvENKUlvE_clEvEUlddE_dEEDaPvRmT3_T4_T5_mT6_P12ihipStream_tbENKUlT_T0_E_clISt17integral_constantIbLb1EESW_EEDaSR_SS_EUlSR_E_NS1_11comp_targetILNS1_3genE10ELNS1_11target_archE1200ELNS1_3gpuE4ELNS1_3repE0EEENS1_30default_config_static_selectorELNS0_4arch9wavefront6targetE1EEEvT1_.has_dyn_sized_stack, 0
	.set _ZN7rocprim17ROCPRIM_400000_NS6detail17trampoline_kernelINS0_14default_configENS1_20scan_config_selectorIdEEZZNS1_9scan_implILNS1_25lookback_scan_determinismE0ELb0ELb0ES3_PKdPddZZZN2at6native31launch_logcumsumexp_cuda_kernelERKNSB_10TensorBaseESF_lENKUlvE_clEvENKUlvE_clEvEUlddE_dEEDaPvRmT3_T4_T5_mT6_P12ihipStream_tbENKUlT_T0_E_clISt17integral_constantIbLb1EESW_EEDaSR_SS_EUlSR_E_NS1_11comp_targetILNS1_3genE10ELNS1_11target_archE1200ELNS1_3gpuE4ELNS1_3repE0EEENS1_30default_config_static_selectorELNS0_4arch9wavefront6targetE1EEEvT1_.has_recursion, 0
	.set _ZN7rocprim17ROCPRIM_400000_NS6detail17trampoline_kernelINS0_14default_configENS1_20scan_config_selectorIdEEZZNS1_9scan_implILNS1_25lookback_scan_determinismE0ELb0ELb0ES3_PKdPddZZZN2at6native31launch_logcumsumexp_cuda_kernelERKNSB_10TensorBaseESF_lENKUlvE_clEvENKUlvE_clEvEUlddE_dEEDaPvRmT3_T4_T5_mT6_P12ihipStream_tbENKUlT_T0_E_clISt17integral_constantIbLb1EESW_EEDaSR_SS_EUlSR_E_NS1_11comp_targetILNS1_3genE10ELNS1_11target_archE1200ELNS1_3gpuE4ELNS1_3repE0EEENS1_30default_config_static_selectorELNS0_4arch9wavefront6targetE1EEEvT1_.has_indirect_call, 0
	.section	.AMDGPU.csdata,"",@progbits
; Kernel info:
; codeLenInByte = 0
; TotalNumSgprs: 4
; NumVgprs: 0
; ScratchSize: 0
; MemoryBound: 0
; FloatMode: 240
; IeeeMode: 1
; LDSByteSize: 0 bytes/workgroup (compile time only)
; SGPRBlocks: 0
; VGPRBlocks: 0
; NumSGPRsForWavesPerEU: 4
; NumVGPRsForWavesPerEU: 1
; Occupancy: 10
; WaveLimiterHint : 0
; COMPUTE_PGM_RSRC2:SCRATCH_EN: 0
; COMPUTE_PGM_RSRC2:USER_SGPR: 6
; COMPUTE_PGM_RSRC2:TRAP_HANDLER: 0
; COMPUTE_PGM_RSRC2:TGID_X_EN: 1
; COMPUTE_PGM_RSRC2:TGID_Y_EN: 0
; COMPUTE_PGM_RSRC2:TGID_Z_EN: 0
; COMPUTE_PGM_RSRC2:TIDIG_COMP_CNT: 0
	.section	.text._ZN7rocprim17ROCPRIM_400000_NS6detail17trampoline_kernelINS0_14default_configENS1_20scan_config_selectorIdEEZZNS1_9scan_implILNS1_25lookback_scan_determinismE0ELb0ELb0ES3_PKdPddZZZN2at6native31launch_logcumsumexp_cuda_kernelERKNSB_10TensorBaseESF_lENKUlvE_clEvENKUlvE_clEvEUlddE_dEEDaPvRmT3_T4_T5_mT6_P12ihipStream_tbENKUlT_T0_E_clISt17integral_constantIbLb1EESW_EEDaSR_SS_EUlSR_E_NS1_11comp_targetILNS1_3genE9ELNS1_11target_archE1100ELNS1_3gpuE3ELNS1_3repE0EEENS1_30default_config_static_selectorELNS0_4arch9wavefront6targetE1EEEvT1_,"axG",@progbits,_ZN7rocprim17ROCPRIM_400000_NS6detail17trampoline_kernelINS0_14default_configENS1_20scan_config_selectorIdEEZZNS1_9scan_implILNS1_25lookback_scan_determinismE0ELb0ELb0ES3_PKdPddZZZN2at6native31launch_logcumsumexp_cuda_kernelERKNSB_10TensorBaseESF_lENKUlvE_clEvENKUlvE_clEvEUlddE_dEEDaPvRmT3_T4_T5_mT6_P12ihipStream_tbENKUlT_T0_E_clISt17integral_constantIbLb1EESW_EEDaSR_SS_EUlSR_E_NS1_11comp_targetILNS1_3genE9ELNS1_11target_archE1100ELNS1_3gpuE3ELNS1_3repE0EEENS1_30default_config_static_selectorELNS0_4arch9wavefront6targetE1EEEvT1_,comdat
	.globl	_ZN7rocprim17ROCPRIM_400000_NS6detail17trampoline_kernelINS0_14default_configENS1_20scan_config_selectorIdEEZZNS1_9scan_implILNS1_25lookback_scan_determinismE0ELb0ELb0ES3_PKdPddZZZN2at6native31launch_logcumsumexp_cuda_kernelERKNSB_10TensorBaseESF_lENKUlvE_clEvENKUlvE_clEvEUlddE_dEEDaPvRmT3_T4_T5_mT6_P12ihipStream_tbENKUlT_T0_E_clISt17integral_constantIbLb1EESW_EEDaSR_SS_EUlSR_E_NS1_11comp_targetILNS1_3genE9ELNS1_11target_archE1100ELNS1_3gpuE3ELNS1_3repE0EEENS1_30default_config_static_selectorELNS0_4arch9wavefront6targetE1EEEvT1_ ; -- Begin function _ZN7rocprim17ROCPRIM_400000_NS6detail17trampoline_kernelINS0_14default_configENS1_20scan_config_selectorIdEEZZNS1_9scan_implILNS1_25lookback_scan_determinismE0ELb0ELb0ES3_PKdPddZZZN2at6native31launch_logcumsumexp_cuda_kernelERKNSB_10TensorBaseESF_lENKUlvE_clEvENKUlvE_clEvEUlddE_dEEDaPvRmT3_T4_T5_mT6_P12ihipStream_tbENKUlT_T0_E_clISt17integral_constantIbLb1EESW_EEDaSR_SS_EUlSR_E_NS1_11comp_targetILNS1_3genE9ELNS1_11target_archE1100ELNS1_3gpuE3ELNS1_3repE0EEENS1_30default_config_static_selectorELNS0_4arch9wavefront6targetE1EEEvT1_
	.p2align	8
	.type	_ZN7rocprim17ROCPRIM_400000_NS6detail17trampoline_kernelINS0_14default_configENS1_20scan_config_selectorIdEEZZNS1_9scan_implILNS1_25lookback_scan_determinismE0ELb0ELb0ES3_PKdPddZZZN2at6native31launch_logcumsumexp_cuda_kernelERKNSB_10TensorBaseESF_lENKUlvE_clEvENKUlvE_clEvEUlddE_dEEDaPvRmT3_T4_T5_mT6_P12ihipStream_tbENKUlT_T0_E_clISt17integral_constantIbLb1EESW_EEDaSR_SS_EUlSR_E_NS1_11comp_targetILNS1_3genE9ELNS1_11target_archE1100ELNS1_3gpuE3ELNS1_3repE0EEENS1_30default_config_static_selectorELNS0_4arch9wavefront6targetE1EEEvT1_,@function
_ZN7rocprim17ROCPRIM_400000_NS6detail17trampoline_kernelINS0_14default_configENS1_20scan_config_selectorIdEEZZNS1_9scan_implILNS1_25lookback_scan_determinismE0ELb0ELb0ES3_PKdPddZZZN2at6native31launch_logcumsumexp_cuda_kernelERKNSB_10TensorBaseESF_lENKUlvE_clEvENKUlvE_clEvEUlddE_dEEDaPvRmT3_T4_T5_mT6_P12ihipStream_tbENKUlT_T0_E_clISt17integral_constantIbLb1EESW_EEDaSR_SS_EUlSR_E_NS1_11comp_targetILNS1_3genE9ELNS1_11target_archE1100ELNS1_3gpuE3ELNS1_3repE0EEENS1_30default_config_static_selectorELNS0_4arch9wavefront6targetE1EEEvT1_: ; @_ZN7rocprim17ROCPRIM_400000_NS6detail17trampoline_kernelINS0_14default_configENS1_20scan_config_selectorIdEEZZNS1_9scan_implILNS1_25lookback_scan_determinismE0ELb0ELb0ES3_PKdPddZZZN2at6native31launch_logcumsumexp_cuda_kernelERKNSB_10TensorBaseESF_lENKUlvE_clEvENKUlvE_clEvEUlddE_dEEDaPvRmT3_T4_T5_mT6_P12ihipStream_tbENKUlT_T0_E_clISt17integral_constantIbLb1EESW_EEDaSR_SS_EUlSR_E_NS1_11comp_targetILNS1_3genE9ELNS1_11target_archE1100ELNS1_3gpuE3ELNS1_3repE0EEENS1_30default_config_static_selectorELNS0_4arch9wavefront6targetE1EEEvT1_
; %bb.0:
	.section	.rodata,"a",@progbits
	.p2align	6, 0x0
	.amdhsa_kernel _ZN7rocprim17ROCPRIM_400000_NS6detail17trampoline_kernelINS0_14default_configENS1_20scan_config_selectorIdEEZZNS1_9scan_implILNS1_25lookback_scan_determinismE0ELb0ELb0ES3_PKdPddZZZN2at6native31launch_logcumsumexp_cuda_kernelERKNSB_10TensorBaseESF_lENKUlvE_clEvENKUlvE_clEvEUlddE_dEEDaPvRmT3_T4_T5_mT6_P12ihipStream_tbENKUlT_T0_E_clISt17integral_constantIbLb1EESW_EEDaSR_SS_EUlSR_E_NS1_11comp_targetILNS1_3genE9ELNS1_11target_archE1100ELNS1_3gpuE3ELNS1_3repE0EEENS1_30default_config_static_selectorELNS0_4arch9wavefront6targetE1EEEvT1_
		.amdhsa_group_segment_fixed_size 0
		.amdhsa_private_segment_fixed_size 0
		.amdhsa_kernarg_size 104
		.amdhsa_user_sgpr_count 6
		.amdhsa_user_sgpr_private_segment_buffer 1
		.amdhsa_user_sgpr_dispatch_ptr 0
		.amdhsa_user_sgpr_queue_ptr 0
		.amdhsa_user_sgpr_kernarg_segment_ptr 1
		.amdhsa_user_sgpr_dispatch_id 0
		.amdhsa_user_sgpr_flat_scratch_init 0
		.amdhsa_user_sgpr_private_segment_size 0
		.amdhsa_uses_dynamic_stack 0
		.amdhsa_system_sgpr_private_segment_wavefront_offset 0
		.amdhsa_system_sgpr_workgroup_id_x 1
		.amdhsa_system_sgpr_workgroup_id_y 0
		.amdhsa_system_sgpr_workgroup_id_z 0
		.amdhsa_system_sgpr_workgroup_info 0
		.amdhsa_system_vgpr_workitem_id 0
		.amdhsa_next_free_vgpr 1
		.amdhsa_next_free_sgpr 0
		.amdhsa_reserve_vcc 0
		.amdhsa_reserve_flat_scratch 0
		.amdhsa_float_round_mode_32 0
		.amdhsa_float_round_mode_16_64 0
		.amdhsa_float_denorm_mode_32 3
		.amdhsa_float_denorm_mode_16_64 3
		.amdhsa_dx10_clamp 1
		.amdhsa_ieee_mode 1
		.amdhsa_fp16_overflow 0
		.amdhsa_exception_fp_ieee_invalid_op 0
		.amdhsa_exception_fp_denorm_src 0
		.amdhsa_exception_fp_ieee_div_zero 0
		.amdhsa_exception_fp_ieee_overflow 0
		.amdhsa_exception_fp_ieee_underflow 0
		.amdhsa_exception_fp_ieee_inexact 0
		.amdhsa_exception_int_div_zero 0
	.end_amdhsa_kernel
	.section	.text._ZN7rocprim17ROCPRIM_400000_NS6detail17trampoline_kernelINS0_14default_configENS1_20scan_config_selectorIdEEZZNS1_9scan_implILNS1_25lookback_scan_determinismE0ELb0ELb0ES3_PKdPddZZZN2at6native31launch_logcumsumexp_cuda_kernelERKNSB_10TensorBaseESF_lENKUlvE_clEvENKUlvE_clEvEUlddE_dEEDaPvRmT3_T4_T5_mT6_P12ihipStream_tbENKUlT_T0_E_clISt17integral_constantIbLb1EESW_EEDaSR_SS_EUlSR_E_NS1_11comp_targetILNS1_3genE9ELNS1_11target_archE1100ELNS1_3gpuE3ELNS1_3repE0EEENS1_30default_config_static_selectorELNS0_4arch9wavefront6targetE1EEEvT1_,"axG",@progbits,_ZN7rocprim17ROCPRIM_400000_NS6detail17trampoline_kernelINS0_14default_configENS1_20scan_config_selectorIdEEZZNS1_9scan_implILNS1_25lookback_scan_determinismE0ELb0ELb0ES3_PKdPddZZZN2at6native31launch_logcumsumexp_cuda_kernelERKNSB_10TensorBaseESF_lENKUlvE_clEvENKUlvE_clEvEUlddE_dEEDaPvRmT3_T4_T5_mT6_P12ihipStream_tbENKUlT_T0_E_clISt17integral_constantIbLb1EESW_EEDaSR_SS_EUlSR_E_NS1_11comp_targetILNS1_3genE9ELNS1_11target_archE1100ELNS1_3gpuE3ELNS1_3repE0EEENS1_30default_config_static_selectorELNS0_4arch9wavefront6targetE1EEEvT1_,comdat
.Lfunc_end35:
	.size	_ZN7rocprim17ROCPRIM_400000_NS6detail17trampoline_kernelINS0_14default_configENS1_20scan_config_selectorIdEEZZNS1_9scan_implILNS1_25lookback_scan_determinismE0ELb0ELb0ES3_PKdPddZZZN2at6native31launch_logcumsumexp_cuda_kernelERKNSB_10TensorBaseESF_lENKUlvE_clEvENKUlvE_clEvEUlddE_dEEDaPvRmT3_T4_T5_mT6_P12ihipStream_tbENKUlT_T0_E_clISt17integral_constantIbLb1EESW_EEDaSR_SS_EUlSR_E_NS1_11comp_targetILNS1_3genE9ELNS1_11target_archE1100ELNS1_3gpuE3ELNS1_3repE0EEENS1_30default_config_static_selectorELNS0_4arch9wavefront6targetE1EEEvT1_, .Lfunc_end35-_ZN7rocprim17ROCPRIM_400000_NS6detail17trampoline_kernelINS0_14default_configENS1_20scan_config_selectorIdEEZZNS1_9scan_implILNS1_25lookback_scan_determinismE0ELb0ELb0ES3_PKdPddZZZN2at6native31launch_logcumsumexp_cuda_kernelERKNSB_10TensorBaseESF_lENKUlvE_clEvENKUlvE_clEvEUlddE_dEEDaPvRmT3_T4_T5_mT6_P12ihipStream_tbENKUlT_T0_E_clISt17integral_constantIbLb1EESW_EEDaSR_SS_EUlSR_E_NS1_11comp_targetILNS1_3genE9ELNS1_11target_archE1100ELNS1_3gpuE3ELNS1_3repE0EEENS1_30default_config_static_selectorELNS0_4arch9wavefront6targetE1EEEvT1_
                                        ; -- End function
	.set _ZN7rocprim17ROCPRIM_400000_NS6detail17trampoline_kernelINS0_14default_configENS1_20scan_config_selectorIdEEZZNS1_9scan_implILNS1_25lookback_scan_determinismE0ELb0ELb0ES3_PKdPddZZZN2at6native31launch_logcumsumexp_cuda_kernelERKNSB_10TensorBaseESF_lENKUlvE_clEvENKUlvE_clEvEUlddE_dEEDaPvRmT3_T4_T5_mT6_P12ihipStream_tbENKUlT_T0_E_clISt17integral_constantIbLb1EESW_EEDaSR_SS_EUlSR_E_NS1_11comp_targetILNS1_3genE9ELNS1_11target_archE1100ELNS1_3gpuE3ELNS1_3repE0EEENS1_30default_config_static_selectorELNS0_4arch9wavefront6targetE1EEEvT1_.num_vgpr, 0
	.set _ZN7rocprim17ROCPRIM_400000_NS6detail17trampoline_kernelINS0_14default_configENS1_20scan_config_selectorIdEEZZNS1_9scan_implILNS1_25lookback_scan_determinismE0ELb0ELb0ES3_PKdPddZZZN2at6native31launch_logcumsumexp_cuda_kernelERKNSB_10TensorBaseESF_lENKUlvE_clEvENKUlvE_clEvEUlddE_dEEDaPvRmT3_T4_T5_mT6_P12ihipStream_tbENKUlT_T0_E_clISt17integral_constantIbLb1EESW_EEDaSR_SS_EUlSR_E_NS1_11comp_targetILNS1_3genE9ELNS1_11target_archE1100ELNS1_3gpuE3ELNS1_3repE0EEENS1_30default_config_static_selectorELNS0_4arch9wavefront6targetE1EEEvT1_.num_agpr, 0
	.set _ZN7rocprim17ROCPRIM_400000_NS6detail17trampoline_kernelINS0_14default_configENS1_20scan_config_selectorIdEEZZNS1_9scan_implILNS1_25lookback_scan_determinismE0ELb0ELb0ES3_PKdPddZZZN2at6native31launch_logcumsumexp_cuda_kernelERKNSB_10TensorBaseESF_lENKUlvE_clEvENKUlvE_clEvEUlddE_dEEDaPvRmT3_T4_T5_mT6_P12ihipStream_tbENKUlT_T0_E_clISt17integral_constantIbLb1EESW_EEDaSR_SS_EUlSR_E_NS1_11comp_targetILNS1_3genE9ELNS1_11target_archE1100ELNS1_3gpuE3ELNS1_3repE0EEENS1_30default_config_static_selectorELNS0_4arch9wavefront6targetE1EEEvT1_.numbered_sgpr, 0
	.set _ZN7rocprim17ROCPRIM_400000_NS6detail17trampoline_kernelINS0_14default_configENS1_20scan_config_selectorIdEEZZNS1_9scan_implILNS1_25lookback_scan_determinismE0ELb0ELb0ES3_PKdPddZZZN2at6native31launch_logcumsumexp_cuda_kernelERKNSB_10TensorBaseESF_lENKUlvE_clEvENKUlvE_clEvEUlddE_dEEDaPvRmT3_T4_T5_mT6_P12ihipStream_tbENKUlT_T0_E_clISt17integral_constantIbLb1EESW_EEDaSR_SS_EUlSR_E_NS1_11comp_targetILNS1_3genE9ELNS1_11target_archE1100ELNS1_3gpuE3ELNS1_3repE0EEENS1_30default_config_static_selectorELNS0_4arch9wavefront6targetE1EEEvT1_.num_named_barrier, 0
	.set _ZN7rocprim17ROCPRIM_400000_NS6detail17trampoline_kernelINS0_14default_configENS1_20scan_config_selectorIdEEZZNS1_9scan_implILNS1_25lookback_scan_determinismE0ELb0ELb0ES3_PKdPddZZZN2at6native31launch_logcumsumexp_cuda_kernelERKNSB_10TensorBaseESF_lENKUlvE_clEvENKUlvE_clEvEUlddE_dEEDaPvRmT3_T4_T5_mT6_P12ihipStream_tbENKUlT_T0_E_clISt17integral_constantIbLb1EESW_EEDaSR_SS_EUlSR_E_NS1_11comp_targetILNS1_3genE9ELNS1_11target_archE1100ELNS1_3gpuE3ELNS1_3repE0EEENS1_30default_config_static_selectorELNS0_4arch9wavefront6targetE1EEEvT1_.private_seg_size, 0
	.set _ZN7rocprim17ROCPRIM_400000_NS6detail17trampoline_kernelINS0_14default_configENS1_20scan_config_selectorIdEEZZNS1_9scan_implILNS1_25lookback_scan_determinismE0ELb0ELb0ES3_PKdPddZZZN2at6native31launch_logcumsumexp_cuda_kernelERKNSB_10TensorBaseESF_lENKUlvE_clEvENKUlvE_clEvEUlddE_dEEDaPvRmT3_T4_T5_mT6_P12ihipStream_tbENKUlT_T0_E_clISt17integral_constantIbLb1EESW_EEDaSR_SS_EUlSR_E_NS1_11comp_targetILNS1_3genE9ELNS1_11target_archE1100ELNS1_3gpuE3ELNS1_3repE0EEENS1_30default_config_static_selectorELNS0_4arch9wavefront6targetE1EEEvT1_.uses_vcc, 0
	.set _ZN7rocprim17ROCPRIM_400000_NS6detail17trampoline_kernelINS0_14default_configENS1_20scan_config_selectorIdEEZZNS1_9scan_implILNS1_25lookback_scan_determinismE0ELb0ELb0ES3_PKdPddZZZN2at6native31launch_logcumsumexp_cuda_kernelERKNSB_10TensorBaseESF_lENKUlvE_clEvENKUlvE_clEvEUlddE_dEEDaPvRmT3_T4_T5_mT6_P12ihipStream_tbENKUlT_T0_E_clISt17integral_constantIbLb1EESW_EEDaSR_SS_EUlSR_E_NS1_11comp_targetILNS1_3genE9ELNS1_11target_archE1100ELNS1_3gpuE3ELNS1_3repE0EEENS1_30default_config_static_selectorELNS0_4arch9wavefront6targetE1EEEvT1_.uses_flat_scratch, 0
	.set _ZN7rocprim17ROCPRIM_400000_NS6detail17trampoline_kernelINS0_14default_configENS1_20scan_config_selectorIdEEZZNS1_9scan_implILNS1_25lookback_scan_determinismE0ELb0ELb0ES3_PKdPddZZZN2at6native31launch_logcumsumexp_cuda_kernelERKNSB_10TensorBaseESF_lENKUlvE_clEvENKUlvE_clEvEUlddE_dEEDaPvRmT3_T4_T5_mT6_P12ihipStream_tbENKUlT_T0_E_clISt17integral_constantIbLb1EESW_EEDaSR_SS_EUlSR_E_NS1_11comp_targetILNS1_3genE9ELNS1_11target_archE1100ELNS1_3gpuE3ELNS1_3repE0EEENS1_30default_config_static_selectorELNS0_4arch9wavefront6targetE1EEEvT1_.has_dyn_sized_stack, 0
	.set _ZN7rocprim17ROCPRIM_400000_NS6detail17trampoline_kernelINS0_14default_configENS1_20scan_config_selectorIdEEZZNS1_9scan_implILNS1_25lookback_scan_determinismE0ELb0ELb0ES3_PKdPddZZZN2at6native31launch_logcumsumexp_cuda_kernelERKNSB_10TensorBaseESF_lENKUlvE_clEvENKUlvE_clEvEUlddE_dEEDaPvRmT3_T4_T5_mT6_P12ihipStream_tbENKUlT_T0_E_clISt17integral_constantIbLb1EESW_EEDaSR_SS_EUlSR_E_NS1_11comp_targetILNS1_3genE9ELNS1_11target_archE1100ELNS1_3gpuE3ELNS1_3repE0EEENS1_30default_config_static_selectorELNS0_4arch9wavefront6targetE1EEEvT1_.has_recursion, 0
	.set _ZN7rocprim17ROCPRIM_400000_NS6detail17trampoline_kernelINS0_14default_configENS1_20scan_config_selectorIdEEZZNS1_9scan_implILNS1_25lookback_scan_determinismE0ELb0ELb0ES3_PKdPddZZZN2at6native31launch_logcumsumexp_cuda_kernelERKNSB_10TensorBaseESF_lENKUlvE_clEvENKUlvE_clEvEUlddE_dEEDaPvRmT3_T4_T5_mT6_P12ihipStream_tbENKUlT_T0_E_clISt17integral_constantIbLb1EESW_EEDaSR_SS_EUlSR_E_NS1_11comp_targetILNS1_3genE9ELNS1_11target_archE1100ELNS1_3gpuE3ELNS1_3repE0EEENS1_30default_config_static_selectorELNS0_4arch9wavefront6targetE1EEEvT1_.has_indirect_call, 0
	.section	.AMDGPU.csdata,"",@progbits
; Kernel info:
; codeLenInByte = 0
; TotalNumSgprs: 4
; NumVgprs: 0
; ScratchSize: 0
; MemoryBound: 0
; FloatMode: 240
; IeeeMode: 1
; LDSByteSize: 0 bytes/workgroup (compile time only)
; SGPRBlocks: 0
; VGPRBlocks: 0
; NumSGPRsForWavesPerEU: 4
; NumVGPRsForWavesPerEU: 1
; Occupancy: 10
; WaveLimiterHint : 0
; COMPUTE_PGM_RSRC2:SCRATCH_EN: 0
; COMPUTE_PGM_RSRC2:USER_SGPR: 6
; COMPUTE_PGM_RSRC2:TRAP_HANDLER: 0
; COMPUTE_PGM_RSRC2:TGID_X_EN: 1
; COMPUTE_PGM_RSRC2:TGID_Y_EN: 0
; COMPUTE_PGM_RSRC2:TGID_Z_EN: 0
; COMPUTE_PGM_RSRC2:TIDIG_COMP_CNT: 0
	.section	.text._ZN7rocprim17ROCPRIM_400000_NS6detail17trampoline_kernelINS0_14default_configENS1_20scan_config_selectorIdEEZZNS1_9scan_implILNS1_25lookback_scan_determinismE0ELb0ELb0ES3_PKdPddZZZN2at6native31launch_logcumsumexp_cuda_kernelERKNSB_10TensorBaseESF_lENKUlvE_clEvENKUlvE_clEvEUlddE_dEEDaPvRmT3_T4_T5_mT6_P12ihipStream_tbENKUlT_T0_E_clISt17integral_constantIbLb1EESW_EEDaSR_SS_EUlSR_E_NS1_11comp_targetILNS1_3genE8ELNS1_11target_archE1030ELNS1_3gpuE2ELNS1_3repE0EEENS1_30default_config_static_selectorELNS0_4arch9wavefront6targetE1EEEvT1_,"axG",@progbits,_ZN7rocprim17ROCPRIM_400000_NS6detail17trampoline_kernelINS0_14default_configENS1_20scan_config_selectorIdEEZZNS1_9scan_implILNS1_25lookback_scan_determinismE0ELb0ELb0ES3_PKdPddZZZN2at6native31launch_logcumsumexp_cuda_kernelERKNSB_10TensorBaseESF_lENKUlvE_clEvENKUlvE_clEvEUlddE_dEEDaPvRmT3_T4_T5_mT6_P12ihipStream_tbENKUlT_T0_E_clISt17integral_constantIbLb1EESW_EEDaSR_SS_EUlSR_E_NS1_11comp_targetILNS1_3genE8ELNS1_11target_archE1030ELNS1_3gpuE2ELNS1_3repE0EEENS1_30default_config_static_selectorELNS0_4arch9wavefront6targetE1EEEvT1_,comdat
	.globl	_ZN7rocprim17ROCPRIM_400000_NS6detail17trampoline_kernelINS0_14default_configENS1_20scan_config_selectorIdEEZZNS1_9scan_implILNS1_25lookback_scan_determinismE0ELb0ELb0ES3_PKdPddZZZN2at6native31launch_logcumsumexp_cuda_kernelERKNSB_10TensorBaseESF_lENKUlvE_clEvENKUlvE_clEvEUlddE_dEEDaPvRmT3_T4_T5_mT6_P12ihipStream_tbENKUlT_T0_E_clISt17integral_constantIbLb1EESW_EEDaSR_SS_EUlSR_E_NS1_11comp_targetILNS1_3genE8ELNS1_11target_archE1030ELNS1_3gpuE2ELNS1_3repE0EEENS1_30default_config_static_selectorELNS0_4arch9wavefront6targetE1EEEvT1_ ; -- Begin function _ZN7rocprim17ROCPRIM_400000_NS6detail17trampoline_kernelINS0_14default_configENS1_20scan_config_selectorIdEEZZNS1_9scan_implILNS1_25lookback_scan_determinismE0ELb0ELb0ES3_PKdPddZZZN2at6native31launch_logcumsumexp_cuda_kernelERKNSB_10TensorBaseESF_lENKUlvE_clEvENKUlvE_clEvEUlddE_dEEDaPvRmT3_T4_T5_mT6_P12ihipStream_tbENKUlT_T0_E_clISt17integral_constantIbLb1EESW_EEDaSR_SS_EUlSR_E_NS1_11comp_targetILNS1_3genE8ELNS1_11target_archE1030ELNS1_3gpuE2ELNS1_3repE0EEENS1_30default_config_static_selectorELNS0_4arch9wavefront6targetE1EEEvT1_
	.p2align	8
	.type	_ZN7rocprim17ROCPRIM_400000_NS6detail17trampoline_kernelINS0_14default_configENS1_20scan_config_selectorIdEEZZNS1_9scan_implILNS1_25lookback_scan_determinismE0ELb0ELb0ES3_PKdPddZZZN2at6native31launch_logcumsumexp_cuda_kernelERKNSB_10TensorBaseESF_lENKUlvE_clEvENKUlvE_clEvEUlddE_dEEDaPvRmT3_T4_T5_mT6_P12ihipStream_tbENKUlT_T0_E_clISt17integral_constantIbLb1EESW_EEDaSR_SS_EUlSR_E_NS1_11comp_targetILNS1_3genE8ELNS1_11target_archE1030ELNS1_3gpuE2ELNS1_3repE0EEENS1_30default_config_static_selectorELNS0_4arch9wavefront6targetE1EEEvT1_,@function
_ZN7rocprim17ROCPRIM_400000_NS6detail17trampoline_kernelINS0_14default_configENS1_20scan_config_selectorIdEEZZNS1_9scan_implILNS1_25lookback_scan_determinismE0ELb0ELb0ES3_PKdPddZZZN2at6native31launch_logcumsumexp_cuda_kernelERKNSB_10TensorBaseESF_lENKUlvE_clEvENKUlvE_clEvEUlddE_dEEDaPvRmT3_T4_T5_mT6_P12ihipStream_tbENKUlT_T0_E_clISt17integral_constantIbLb1EESW_EEDaSR_SS_EUlSR_E_NS1_11comp_targetILNS1_3genE8ELNS1_11target_archE1030ELNS1_3gpuE2ELNS1_3repE0EEENS1_30default_config_static_selectorELNS0_4arch9wavefront6targetE1EEEvT1_: ; @_ZN7rocprim17ROCPRIM_400000_NS6detail17trampoline_kernelINS0_14default_configENS1_20scan_config_selectorIdEEZZNS1_9scan_implILNS1_25lookback_scan_determinismE0ELb0ELb0ES3_PKdPddZZZN2at6native31launch_logcumsumexp_cuda_kernelERKNSB_10TensorBaseESF_lENKUlvE_clEvENKUlvE_clEvEUlddE_dEEDaPvRmT3_T4_T5_mT6_P12ihipStream_tbENKUlT_T0_E_clISt17integral_constantIbLb1EESW_EEDaSR_SS_EUlSR_E_NS1_11comp_targetILNS1_3genE8ELNS1_11target_archE1030ELNS1_3gpuE2ELNS1_3repE0EEENS1_30default_config_static_selectorELNS0_4arch9wavefront6targetE1EEEvT1_
; %bb.0:
	.section	.rodata,"a",@progbits
	.p2align	6, 0x0
	.amdhsa_kernel _ZN7rocprim17ROCPRIM_400000_NS6detail17trampoline_kernelINS0_14default_configENS1_20scan_config_selectorIdEEZZNS1_9scan_implILNS1_25lookback_scan_determinismE0ELb0ELb0ES3_PKdPddZZZN2at6native31launch_logcumsumexp_cuda_kernelERKNSB_10TensorBaseESF_lENKUlvE_clEvENKUlvE_clEvEUlddE_dEEDaPvRmT3_T4_T5_mT6_P12ihipStream_tbENKUlT_T0_E_clISt17integral_constantIbLb1EESW_EEDaSR_SS_EUlSR_E_NS1_11comp_targetILNS1_3genE8ELNS1_11target_archE1030ELNS1_3gpuE2ELNS1_3repE0EEENS1_30default_config_static_selectorELNS0_4arch9wavefront6targetE1EEEvT1_
		.amdhsa_group_segment_fixed_size 0
		.amdhsa_private_segment_fixed_size 0
		.amdhsa_kernarg_size 104
		.amdhsa_user_sgpr_count 6
		.amdhsa_user_sgpr_private_segment_buffer 1
		.amdhsa_user_sgpr_dispatch_ptr 0
		.amdhsa_user_sgpr_queue_ptr 0
		.amdhsa_user_sgpr_kernarg_segment_ptr 1
		.amdhsa_user_sgpr_dispatch_id 0
		.amdhsa_user_sgpr_flat_scratch_init 0
		.amdhsa_user_sgpr_private_segment_size 0
		.amdhsa_uses_dynamic_stack 0
		.amdhsa_system_sgpr_private_segment_wavefront_offset 0
		.amdhsa_system_sgpr_workgroup_id_x 1
		.amdhsa_system_sgpr_workgroup_id_y 0
		.amdhsa_system_sgpr_workgroup_id_z 0
		.amdhsa_system_sgpr_workgroup_info 0
		.amdhsa_system_vgpr_workitem_id 0
		.amdhsa_next_free_vgpr 1
		.amdhsa_next_free_sgpr 0
		.amdhsa_reserve_vcc 0
		.amdhsa_reserve_flat_scratch 0
		.amdhsa_float_round_mode_32 0
		.amdhsa_float_round_mode_16_64 0
		.amdhsa_float_denorm_mode_32 3
		.amdhsa_float_denorm_mode_16_64 3
		.amdhsa_dx10_clamp 1
		.amdhsa_ieee_mode 1
		.amdhsa_fp16_overflow 0
		.amdhsa_exception_fp_ieee_invalid_op 0
		.amdhsa_exception_fp_denorm_src 0
		.amdhsa_exception_fp_ieee_div_zero 0
		.amdhsa_exception_fp_ieee_overflow 0
		.amdhsa_exception_fp_ieee_underflow 0
		.amdhsa_exception_fp_ieee_inexact 0
		.amdhsa_exception_int_div_zero 0
	.end_amdhsa_kernel
	.section	.text._ZN7rocprim17ROCPRIM_400000_NS6detail17trampoline_kernelINS0_14default_configENS1_20scan_config_selectorIdEEZZNS1_9scan_implILNS1_25lookback_scan_determinismE0ELb0ELb0ES3_PKdPddZZZN2at6native31launch_logcumsumexp_cuda_kernelERKNSB_10TensorBaseESF_lENKUlvE_clEvENKUlvE_clEvEUlddE_dEEDaPvRmT3_T4_T5_mT6_P12ihipStream_tbENKUlT_T0_E_clISt17integral_constantIbLb1EESW_EEDaSR_SS_EUlSR_E_NS1_11comp_targetILNS1_3genE8ELNS1_11target_archE1030ELNS1_3gpuE2ELNS1_3repE0EEENS1_30default_config_static_selectorELNS0_4arch9wavefront6targetE1EEEvT1_,"axG",@progbits,_ZN7rocprim17ROCPRIM_400000_NS6detail17trampoline_kernelINS0_14default_configENS1_20scan_config_selectorIdEEZZNS1_9scan_implILNS1_25lookback_scan_determinismE0ELb0ELb0ES3_PKdPddZZZN2at6native31launch_logcumsumexp_cuda_kernelERKNSB_10TensorBaseESF_lENKUlvE_clEvENKUlvE_clEvEUlddE_dEEDaPvRmT3_T4_T5_mT6_P12ihipStream_tbENKUlT_T0_E_clISt17integral_constantIbLb1EESW_EEDaSR_SS_EUlSR_E_NS1_11comp_targetILNS1_3genE8ELNS1_11target_archE1030ELNS1_3gpuE2ELNS1_3repE0EEENS1_30default_config_static_selectorELNS0_4arch9wavefront6targetE1EEEvT1_,comdat
.Lfunc_end36:
	.size	_ZN7rocprim17ROCPRIM_400000_NS6detail17trampoline_kernelINS0_14default_configENS1_20scan_config_selectorIdEEZZNS1_9scan_implILNS1_25lookback_scan_determinismE0ELb0ELb0ES3_PKdPddZZZN2at6native31launch_logcumsumexp_cuda_kernelERKNSB_10TensorBaseESF_lENKUlvE_clEvENKUlvE_clEvEUlddE_dEEDaPvRmT3_T4_T5_mT6_P12ihipStream_tbENKUlT_T0_E_clISt17integral_constantIbLb1EESW_EEDaSR_SS_EUlSR_E_NS1_11comp_targetILNS1_3genE8ELNS1_11target_archE1030ELNS1_3gpuE2ELNS1_3repE0EEENS1_30default_config_static_selectorELNS0_4arch9wavefront6targetE1EEEvT1_, .Lfunc_end36-_ZN7rocprim17ROCPRIM_400000_NS6detail17trampoline_kernelINS0_14default_configENS1_20scan_config_selectorIdEEZZNS1_9scan_implILNS1_25lookback_scan_determinismE0ELb0ELb0ES3_PKdPddZZZN2at6native31launch_logcumsumexp_cuda_kernelERKNSB_10TensorBaseESF_lENKUlvE_clEvENKUlvE_clEvEUlddE_dEEDaPvRmT3_T4_T5_mT6_P12ihipStream_tbENKUlT_T0_E_clISt17integral_constantIbLb1EESW_EEDaSR_SS_EUlSR_E_NS1_11comp_targetILNS1_3genE8ELNS1_11target_archE1030ELNS1_3gpuE2ELNS1_3repE0EEENS1_30default_config_static_selectorELNS0_4arch9wavefront6targetE1EEEvT1_
                                        ; -- End function
	.set _ZN7rocprim17ROCPRIM_400000_NS6detail17trampoline_kernelINS0_14default_configENS1_20scan_config_selectorIdEEZZNS1_9scan_implILNS1_25lookback_scan_determinismE0ELb0ELb0ES3_PKdPddZZZN2at6native31launch_logcumsumexp_cuda_kernelERKNSB_10TensorBaseESF_lENKUlvE_clEvENKUlvE_clEvEUlddE_dEEDaPvRmT3_T4_T5_mT6_P12ihipStream_tbENKUlT_T0_E_clISt17integral_constantIbLb1EESW_EEDaSR_SS_EUlSR_E_NS1_11comp_targetILNS1_3genE8ELNS1_11target_archE1030ELNS1_3gpuE2ELNS1_3repE0EEENS1_30default_config_static_selectorELNS0_4arch9wavefront6targetE1EEEvT1_.num_vgpr, 0
	.set _ZN7rocprim17ROCPRIM_400000_NS6detail17trampoline_kernelINS0_14default_configENS1_20scan_config_selectorIdEEZZNS1_9scan_implILNS1_25lookback_scan_determinismE0ELb0ELb0ES3_PKdPddZZZN2at6native31launch_logcumsumexp_cuda_kernelERKNSB_10TensorBaseESF_lENKUlvE_clEvENKUlvE_clEvEUlddE_dEEDaPvRmT3_T4_T5_mT6_P12ihipStream_tbENKUlT_T0_E_clISt17integral_constantIbLb1EESW_EEDaSR_SS_EUlSR_E_NS1_11comp_targetILNS1_3genE8ELNS1_11target_archE1030ELNS1_3gpuE2ELNS1_3repE0EEENS1_30default_config_static_selectorELNS0_4arch9wavefront6targetE1EEEvT1_.num_agpr, 0
	.set _ZN7rocprim17ROCPRIM_400000_NS6detail17trampoline_kernelINS0_14default_configENS1_20scan_config_selectorIdEEZZNS1_9scan_implILNS1_25lookback_scan_determinismE0ELb0ELb0ES3_PKdPddZZZN2at6native31launch_logcumsumexp_cuda_kernelERKNSB_10TensorBaseESF_lENKUlvE_clEvENKUlvE_clEvEUlddE_dEEDaPvRmT3_T4_T5_mT6_P12ihipStream_tbENKUlT_T0_E_clISt17integral_constantIbLb1EESW_EEDaSR_SS_EUlSR_E_NS1_11comp_targetILNS1_3genE8ELNS1_11target_archE1030ELNS1_3gpuE2ELNS1_3repE0EEENS1_30default_config_static_selectorELNS0_4arch9wavefront6targetE1EEEvT1_.numbered_sgpr, 0
	.set _ZN7rocprim17ROCPRIM_400000_NS6detail17trampoline_kernelINS0_14default_configENS1_20scan_config_selectorIdEEZZNS1_9scan_implILNS1_25lookback_scan_determinismE0ELb0ELb0ES3_PKdPddZZZN2at6native31launch_logcumsumexp_cuda_kernelERKNSB_10TensorBaseESF_lENKUlvE_clEvENKUlvE_clEvEUlddE_dEEDaPvRmT3_T4_T5_mT6_P12ihipStream_tbENKUlT_T0_E_clISt17integral_constantIbLb1EESW_EEDaSR_SS_EUlSR_E_NS1_11comp_targetILNS1_3genE8ELNS1_11target_archE1030ELNS1_3gpuE2ELNS1_3repE0EEENS1_30default_config_static_selectorELNS0_4arch9wavefront6targetE1EEEvT1_.num_named_barrier, 0
	.set _ZN7rocprim17ROCPRIM_400000_NS6detail17trampoline_kernelINS0_14default_configENS1_20scan_config_selectorIdEEZZNS1_9scan_implILNS1_25lookback_scan_determinismE0ELb0ELb0ES3_PKdPddZZZN2at6native31launch_logcumsumexp_cuda_kernelERKNSB_10TensorBaseESF_lENKUlvE_clEvENKUlvE_clEvEUlddE_dEEDaPvRmT3_T4_T5_mT6_P12ihipStream_tbENKUlT_T0_E_clISt17integral_constantIbLb1EESW_EEDaSR_SS_EUlSR_E_NS1_11comp_targetILNS1_3genE8ELNS1_11target_archE1030ELNS1_3gpuE2ELNS1_3repE0EEENS1_30default_config_static_selectorELNS0_4arch9wavefront6targetE1EEEvT1_.private_seg_size, 0
	.set _ZN7rocprim17ROCPRIM_400000_NS6detail17trampoline_kernelINS0_14default_configENS1_20scan_config_selectorIdEEZZNS1_9scan_implILNS1_25lookback_scan_determinismE0ELb0ELb0ES3_PKdPddZZZN2at6native31launch_logcumsumexp_cuda_kernelERKNSB_10TensorBaseESF_lENKUlvE_clEvENKUlvE_clEvEUlddE_dEEDaPvRmT3_T4_T5_mT6_P12ihipStream_tbENKUlT_T0_E_clISt17integral_constantIbLb1EESW_EEDaSR_SS_EUlSR_E_NS1_11comp_targetILNS1_3genE8ELNS1_11target_archE1030ELNS1_3gpuE2ELNS1_3repE0EEENS1_30default_config_static_selectorELNS0_4arch9wavefront6targetE1EEEvT1_.uses_vcc, 0
	.set _ZN7rocprim17ROCPRIM_400000_NS6detail17trampoline_kernelINS0_14default_configENS1_20scan_config_selectorIdEEZZNS1_9scan_implILNS1_25lookback_scan_determinismE0ELb0ELb0ES3_PKdPddZZZN2at6native31launch_logcumsumexp_cuda_kernelERKNSB_10TensorBaseESF_lENKUlvE_clEvENKUlvE_clEvEUlddE_dEEDaPvRmT3_T4_T5_mT6_P12ihipStream_tbENKUlT_T0_E_clISt17integral_constantIbLb1EESW_EEDaSR_SS_EUlSR_E_NS1_11comp_targetILNS1_3genE8ELNS1_11target_archE1030ELNS1_3gpuE2ELNS1_3repE0EEENS1_30default_config_static_selectorELNS0_4arch9wavefront6targetE1EEEvT1_.uses_flat_scratch, 0
	.set _ZN7rocprim17ROCPRIM_400000_NS6detail17trampoline_kernelINS0_14default_configENS1_20scan_config_selectorIdEEZZNS1_9scan_implILNS1_25lookback_scan_determinismE0ELb0ELb0ES3_PKdPddZZZN2at6native31launch_logcumsumexp_cuda_kernelERKNSB_10TensorBaseESF_lENKUlvE_clEvENKUlvE_clEvEUlddE_dEEDaPvRmT3_T4_T5_mT6_P12ihipStream_tbENKUlT_T0_E_clISt17integral_constantIbLb1EESW_EEDaSR_SS_EUlSR_E_NS1_11comp_targetILNS1_3genE8ELNS1_11target_archE1030ELNS1_3gpuE2ELNS1_3repE0EEENS1_30default_config_static_selectorELNS0_4arch9wavefront6targetE1EEEvT1_.has_dyn_sized_stack, 0
	.set _ZN7rocprim17ROCPRIM_400000_NS6detail17trampoline_kernelINS0_14default_configENS1_20scan_config_selectorIdEEZZNS1_9scan_implILNS1_25lookback_scan_determinismE0ELb0ELb0ES3_PKdPddZZZN2at6native31launch_logcumsumexp_cuda_kernelERKNSB_10TensorBaseESF_lENKUlvE_clEvENKUlvE_clEvEUlddE_dEEDaPvRmT3_T4_T5_mT6_P12ihipStream_tbENKUlT_T0_E_clISt17integral_constantIbLb1EESW_EEDaSR_SS_EUlSR_E_NS1_11comp_targetILNS1_3genE8ELNS1_11target_archE1030ELNS1_3gpuE2ELNS1_3repE0EEENS1_30default_config_static_selectorELNS0_4arch9wavefront6targetE1EEEvT1_.has_recursion, 0
	.set _ZN7rocprim17ROCPRIM_400000_NS6detail17trampoline_kernelINS0_14default_configENS1_20scan_config_selectorIdEEZZNS1_9scan_implILNS1_25lookback_scan_determinismE0ELb0ELb0ES3_PKdPddZZZN2at6native31launch_logcumsumexp_cuda_kernelERKNSB_10TensorBaseESF_lENKUlvE_clEvENKUlvE_clEvEUlddE_dEEDaPvRmT3_T4_T5_mT6_P12ihipStream_tbENKUlT_T0_E_clISt17integral_constantIbLb1EESW_EEDaSR_SS_EUlSR_E_NS1_11comp_targetILNS1_3genE8ELNS1_11target_archE1030ELNS1_3gpuE2ELNS1_3repE0EEENS1_30default_config_static_selectorELNS0_4arch9wavefront6targetE1EEEvT1_.has_indirect_call, 0
	.section	.AMDGPU.csdata,"",@progbits
; Kernel info:
; codeLenInByte = 0
; TotalNumSgprs: 4
; NumVgprs: 0
; ScratchSize: 0
; MemoryBound: 0
; FloatMode: 240
; IeeeMode: 1
; LDSByteSize: 0 bytes/workgroup (compile time only)
; SGPRBlocks: 0
; VGPRBlocks: 0
; NumSGPRsForWavesPerEU: 4
; NumVGPRsForWavesPerEU: 1
; Occupancy: 10
; WaveLimiterHint : 0
; COMPUTE_PGM_RSRC2:SCRATCH_EN: 0
; COMPUTE_PGM_RSRC2:USER_SGPR: 6
; COMPUTE_PGM_RSRC2:TRAP_HANDLER: 0
; COMPUTE_PGM_RSRC2:TGID_X_EN: 1
; COMPUTE_PGM_RSRC2:TGID_Y_EN: 0
; COMPUTE_PGM_RSRC2:TGID_Z_EN: 0
; COMPUTE_PGM_RSRC2:TIDIG_COMP_CNT: 0
	.section	.text._ZN7rocprim17ROCPRIM_400000_NS6detail17trampoline_kernelINS0_14default_configENS1_20scan_config_selectorIdEEZZNS1_9scan_implILNS1_25lookback_scan_determinismE0ELb0ELb0ES3_PKdPddZZZN2at6native31launch_logcumsumexp_cuda_kernelERKNSB_10TensorBaseESF_lENKUlvE_clEvENKUlvE_clEvEUlddE_dEEDaPvRmT3_T4_T5_mT6_P12ihipStream_tbENKUlT_T0_E_clISt17integral_constantIbLb1EESW_EEDaSR_SS_EUlSR_E0_NS1_11comp_targetILNS1_3genE0ELNS1_11target_archE4294967295ELNS1_3gpuE0ELNS1_3repE0EEENS1_30default_config_static_selectorELNS0_4arch9wavefront6targetE1EEEvT1_,"axG",@progbits,_ZN7rocprim17ROCPRIM_400000_NS6detail17trampoline_kernelINS0_14default_configENS1_20scan_config_selectorIdEEZZNS1_9scan_implILNS1_25lookback_scan_determinismE0ELb0ELb0ES3_PKdPddZZZN2at6native31launch_logcumsumexp_cuda_kernelERKNSB_10TensorBaseESF_lENKUlvE_clEvENKUlvE_clEvEUlddE_dEEDaPvRmT3_T4_T5_mT6_P12ihipStream_tbENKUlT_T0_E_clISt17integral_constantIbLb1EESW_EEDaSR_SS_EUlSR_E0_NS1_11comp_targetILNS1_3genE0ELNS1_11target_archE4294967295ELNS1_3gpuE0ELNS1_3repE0EEENS1_30default_config_static_selectorELNS0_4arch9wavefront6targetE1EEEvT1_,comdat
	.globl	_ZN7rocprim17ROCPRIM_400000_NS6detail17trampoline_kernelINS0_14default_configENS1_20scan_config_selectorIdEEZZNS1_9scan_implILNS1_25lookback_scan_determinismE0ELb0ELb0ES3_PKdPddZZZN2at6native31launch_logcumsumexp_cuda_kernelERKNSB_10TensorBaseESF_lENKUlvE_clEvENKUlvE_clEvEUlddE_dEEDaPvRmT3_T4_T5_mT6_P12ihipStream_tbENKUlT_T0_E_clISt17integral_constantIbLb1EESW_EEDaSR_SS_EUlSR_E0_NS1_11comp_targetILNS1_3genE0ELNS1_11target_archE4294967295ELNS1_3gpuE0ELNS1_3repE0EEENS1_30default_config_static_selectorELNS0_4arch9wavefront6targetE1EEEvT1_ ; -- Begin function _ZN7rocprim17ROCPRIM_400000_NS6detail17trampoline_kernelINS0_14default_configENS1_20scan_config_selectorIdEEZZNS1_9scan_implILNS1_25lookback_scan_determinismE0ELb0ELb0ES3_PKdPddZZZN2at6native31launch_logcumsumexp_cuda_kernelERKNSB_10TensorBaseESF_lENKUlvE_clEvENKUlvE_clEvEUlddE_dEEDaPvRmT3_T4_T5_mT6_P12ihipStream_tbENKUlT_T0_E_clISt17integral_constantIbLb1EESW_EEDaSR_SS_EUlSR_E0_NS1_11comp_targetILNS1_3genE0ELNS1_11target_archE4294967295ELNS1_3gpuE0ELNS1_3repE0EEENS1_30default_config_static_selectorELNS0_4arch9wavefront6targetE1EEEvT1_
	.p2align	8
	.type	_ZN7rocprim17ROCPRIM_400000_NS6detail17trampoline_kernelINS0_14default_configENS1_20scan_config_selectorIdEEZZNS1_9scan_implILNS1_25lookback_scan_determinismE0ELb0ELb0ES3_PKdPddZZZN2at6native31launch_logcumsumexp_cuda_kernelERKNSB_10TensorBaseESF_lENKUlvE_clEvENKUlvE_clEvEUlddE_dEEDaPvRmT3_T4_T5_mT6_P12ihipStream_tbENKUlT_T0_E_clISt17integral_constantIbLb1EESW_EEDaSR_SS_EUlSR_E0_NS1_11comp_targetILNS1_3genE0ELNS1_11target_archE4294967295ELNS1_3gpuE0ELNS1_3repE0EEENS1_30default_config_static_selectorELNS0_4arch9wavefront6targetE1EEEvT1_,@function
_ZN7rocprim17ROCPRIM_400000_NS6detail17trampoline_kernelINS0_14default_configENS1_20scan_config_selectorIdEEZZNS1_9scan_implILNS1_25lookback_scan_determinismE0ELb0ELb0ES3_PKdPddZZZN2at6native31launch_logcumsumexp_cuda_kernelERKNSB_10TensorBaseESF_lENKUlvE_clEvENKUlvE_clEvEUlddE_dEEDaPvRmT3_T4_T5_mT6_P12ihipStream_tbENKUlT_T0_E_clISt17integral_constantIbLb1EESW_EEDaSR_SS_EUlSR_E0_NS1_11comp_targetILNS1_3genE0ELNS1_11target_archE4294967295ELNS1_3gpuE0ELNS1_3repE0EEENS1_30default_config_static_selectorELNS0_4arch9wavefront6targetE1EEEvT1_: ; @_ZN7rocprim17ROCPRIM_400000_NS6detail17trampoline_kernelINS0_14default_configENS1_20scan_config_selectorIdEEZZNS1_9scan_implILNS1_25lookback_scan_determinismE0ELb0ELb0ES3_PKdPddZZZN2at6native31launch_logcumsumexp_cuda_kernelERKNSB_10TensorBaseESF_lENKUlvE_clEvENKUlvE_clEvEUlddE_dEEDaPvRmT3_T4_T5_mT6_P12ihipStream_tbENKUlT_T0_E_clISt17integral_constantIbLb1EESW_EEDaSR_SS_EUlSR_E0_NS1_11comp_targetILNS1_3genE0ELNS1_11target_archE4294967295ELNS1_3gpuE0ELNS1_3repE0EEENS1_30default_config_static_selectorELNS0_4arch9wavefront6targetE1EEEvT1_
; %bb.0:
	.section	.rodata,"a",@progbits
	.p2align	6, 0x0
	.amdhsa_kernel _ZN7rocprim17ROCPRIM_400000_NS6detail17trampoline_kernelINS0_14default_configENS1_20scan_config_selectorIdEEZZNS1_9scan_implILNS1_25lookback_scan_determinismE0ELb0ELb0ES3_PKdPddZZZN2at6native31launch_logcumsumexp_cuda_kernelERKNSB_10TensorBaseESF_lENKUlvE_clEvENKUlvE_clEvEUlddE_dEEDaPvRmT3_T4_T5_mT6_P12ihipStream_tbENKUlT_T0_E_clISt17integral_constantIbLb1EESW_EEDaSR_SS_EUlSR_E0_NS1_11comp_targetILNS1_3genE0ELNS1_11target_archE4294967295ELNS1_3gpuE0ELNS1_3repE0EEENS1_30default_config_static_selectorELNS0_4arch9wavefront6targetE1EEEvT1_
		.amdhsa_group_segment_fixed_size 0
		.amdhsa_private_segment_fixed_size 0
		.amdhsa_kernarg_size 40
		.amdhsa_user_sgpr_count 6
		.amdhsa_user_sgpr_private_segment_buffer 1
		.amdhsa_user_sgpr_dispatch_ptr 0
		.amdhsa_user_sgpr_queue_ptr 0
		.amdhsa_user_sgpr_kernarg_segment_ptr 1
		.amdhsa_user_sgpr_dispatch_id 0
		.amdhsa_user_sgpr_flat_scratch_init 0
		.amdhsa_user_sgpr_private_segment_size 0
		.amdhsa_uses_dynamic_stack 0
		.amdhsa_system_sgpr_private_segment_wavefront_offset 0
		.amdhsa_system_sgpr_workgroup_id_x 1
		.amdhsa_system_sgpr_workgroup_id_y 0
		.amdhsa_system_sgpr_workgroup_id_z 0
		.amdhsa_system_sgpr_workgroup_info 0
		.amdhsa_system_vgpr_workitem_id 0
		.amdhsa_next_free_vgpr 1
		.amdhsa_next_free_sgpr 0
		.amdhsa_reserve_vcc 0
		.amdhsa_reserve_flat_scratch 0
		.amdhsa_float_round_mode_32 0
		.amdhsa_float_round_mode_16_64 0
		.amdhsa_float_denorm_mode_32 3
		.amdhsa_float_denorm_mode_16_64 3
		.amdhsa_dx10_clamp 1
		.amdhsa_ieee_mode 1
		.amdhsa_fp16_overflow 0
		.amdhsa_exception_fp_ieee_invalid_op 0
		.amdhsa_exception_fp_denorm_src 0
		.amdhsa_exception_fp_ieee_div_zero 0
		.amdhsa_exception_fp_ieee_overflow 0
		.amdhsa_exception_fp_ieee_underflow 0
		.amdhsa_exception_fp_ieee_inexact 0
		.amdhsa_exception_int_div_zero 0
	.end_amdhsa_kernel
	.section	.text._ZN7rocprim17ROCPRIM_400000_NS6detail17trampoline_kernelINS0_14default_configENS1_20scan_config_selectorIdEEZZNS1_9scan_implILNS1_25lookback_scan_determinismE0ELb0ELb0ES3_PKdPddZZZN2at6native31launch_logcumsumexp_cuda_kernelERKNSB_10TensorBaseESF_lENKUlvE_clEvENKUlvE_clEvEUlddE_dEEDaPvRmT3_T4_T5_mT6_P12ihipStream_tbENKUlT_T0_E_clISt17integral_constantIbLb1EESW_EEDaSR_SS_EUlSR_E0_NS1_11comp_targetILNS1_3genE0ELNS1_11target_archE4294967295ELNS1_3gpuE0ELNS1_3repE0EEENS1_30default_config_static_selectorELNS0_4arch9wavefront6targetE1EEEvT1_,"axG",@progbits,_ZN7rocprim17ROCPRIM_400000_NS6detail17trampoline_kernelINS0_14default_configENS1_20scan_config_selectorIdEEZZNS1_9scan_implILNS1_25lookback_scan_determinismE0ELb0ELb0ES3_PKdPddZZZN2at6native31launch_logcumsumexp_cuda_kernelERKNSB_10TensorBaseESF_lENKUlvE_clEvENKUlvE_clEvEUlddE_dEEDaPvRmT3_T4_T5_mT6_P12ihipStream_tbENKUlT_T0_E_clISt17integral_constantIbLb1EESW_EEDaSR_SS_EUlSR_E0_NS1_11comp_targetILNS1_3genE0ELNS1_11target_archE4294967295ELNS1_3gpuE0ELNS1_3repE0EEENS1_30default_config_static_selectorELNS0_4arch9wavefront6targetE1EEEvT1_,comdat
.Lfunc_end37:
	.size	_ZN7rocprim17ROCPRIM_400000_NS6detail17trampoline_kernelINS0_14default_configENS1_20scan_config_selectorIdEEZZNS1_9scan_implILNS1_25lookback_scan_determinismE0ELb0ELb0ES3_PKdPddZZZN2at6native31launch_logcumsumexp_cuda_kernelERKNSB_10TensorBaseESF_lENKUlvE_clEvENKUlvE_clEvEUlddE_dEEDaPvRmT3_T4_T5_mT6_P12ihipStream_tbENKUlT_T0_E_clISt17integral_constantIbLb1EESW_EEDaSR_SS_EUlSR_E0_NS1_11comp_targetILNS1_3genE0ELNS1_11target_archE4294967295ELNS1_3gpuE0ELNS1_3repE0EEENS1_30default_config_static_selectorELNS0_4arch9wavefront6targetE1EEEvT1_, .Lfunc_end37-_ZN7rocprim17ROCPRIM_400000_NS6detail17trampoline_kernelINS0_14default_configENS1_20scan_config_selectorIdEEZZNS1_9scan_implILNS1_25lookback_scan_determinismE0ELb0ELb0ES3_PKdPddZZZN2at6native31launch_logcumsumexp_cuda_kernelERKNSB_10TensorBaseESF_lENKUlvE_clEvENKUlvE_clEvEUlddE_dEEDaPvRmT3_T4_T5_mT6_P12ihipStream_tbENKUlT_T0_E_clISt17integral_constantIbLb1EESW_EEDaSR_SS_EUlSR_E0_NS1_11comp_targetILNS1_3genE0ELNS1_11target_archE4294967295ELNS1_3gpuE0ELNS1_3repE0EEENS1_30default_config_static_selectorELNS0_4arch9wavefront6targetE1EEEvT1_
                                        ; -- End function
	.set _ZN7rocprim17ROCPRIM_400000_NS6detail17trampoline_kernelINS0_14default_configENS1_20scan_config_selectorIdEEZZNS1_9scan_implILNS1_25lookback_scan_determinismE0ELb0ELb0ES3_PKdPddZZZN2at6native31launch_logcumsumexp_cuda_kernelERKNSB_10TensorBaseESF_lENKUlvE_clEvENKUlvE_clEvEUlddE_dEEDaPvRmT3_T4_T5_mT6_P12ihipStream_tbENKUlT_T0_E_clISt17integral_constantIbLb1EESW_EEDaSR_SS_EUlSR_E0_NS1_11comp_targetILNS1_3genE0ELNS1_11target_archE4294967295ELNS1_3gpuE0ELNS1_3repE0EEENS1_30default_config_static_selectorELNS0_4arch9wavefront6targetE1EEEvT1_.num_vgpr, 0
	.set _ZN7rocprim17ROCPRIM_400000_NS6detail17trampoline_kernelINS0_14default_configENS1_20scan_config_selectorIdEEZZNS1_9scan_implILNS1_25lookback_scan_determinismE0ELb0ELb0ES3_PKdPddZZZN2at6native31launch_logcumsumexp_cuda_kernelERKNSB_10TensorBaseESF_lENKUlvE_clEvENKUlvE_clEvEUlddE_dEEDaPvRmT3_T4_T5_mT6_P12ihipStream_tbENKUlT_T0_E_clISt17integral_constantIbLb1EESW_EEDaSR_SS_EUlSR_E0_NS1_11comp_targetILNS1_3genE0ELNS1_11target_archE4294967295ELNS1_3gpuE0ELNS1_3repE0EEENS1_30default_config_static_selectorELNS0_4arch9wavefront6targetE1EEEvT1_.num_agpr, 0
	.set _ZN7rocprim17ROCPRIM_400000_NS6detail17trampoline_kernelINS0_14default_configENS1_20scan_config_selectorIdEEZZNS1_9scan_implILNS1_25lookback_scan_determinismE0ELb0ELb0ES3_PKdPddZZZN2at6native31launch_logcumsumexp_cuda_kernelERKNSB_10TensorBaseESF_lENKUlvE_clEvENKUlvE_clEvEUlddE_dEEDaPvRmT3_T4_T5_mT6_P12ihipStream_tbENKUlT_T0_E_clISt17integral_constantIbLb1EESW_EEDaSR_SS_EUlSR_E0_NS1_11comp_targetILNS1_3genE0ELNS1_11target_archE4294967295ELNS1_3gpuE0ELNS1_3repE0EEENS1_30default_config_static_selectorELNS0_4arch9wavefront6targetE1EEEvT1_.numbered_sgpr, 0
	.set _ZN7rocprim17ROCPRIM_400000_NS6detail17trampoline_kernelINS0_14default_configENS1_20scan_config_selectorIdEEZZNS1_9scan_implILNS1_25lookback_scan_determinismE0ELb0ELb0ES3_PKdPddZZZN2at6native31launch_logcumsumexp_cuda_kernelERKNSB_10TensorBaseESF_lENKUlvE_clEvENKUlvE_clEvEUlddE_dEEDaPvRmT3_T4_T5_mT6_P12ihipStream_tbENKUlT_T0_E_clISt17integral_constantIbLb1EESW_EEDaSR_SS_EUlSR_E0_NS1_11comp_targetILNS1_3genE0ELNS1_11target_archE4294967295ELNS1_3gpuE0ELNS1_3repE0EEENS1_30default_config_static_selectorELNS0_4arch9wavefront6targetE1EEEvT1_.num_named_barrier, 0
	.set _ZN7rocprim17ROCPRIM_400000_NS6detail17trampoline_kernelINS0_14default_configENS1_20scan_config_selectorIdEEZZNS1_9scan_implILNS1_25lookback_scan_determinismE0ELb0ELb0ES3_PKdPddZZZN2at6native31launch_logcumsumexp_cuda_kernelERKNSB_10TensorBaseESF_lENKUlvE_clEvENKUlvE_clEvEUlddE_dEEDaPvRmT3_T4_T5_mT6_P12ihipStream_tbENKUlT_T0_E_clISt17integral_constantIbLb1EESW_EEDaSR_SS_EUlSR_E0_NS1_11comp_targetILNS1_3genE0ELNS1_11target_archE4294967295ELNS1_3gpuE0ELNS1_3repE0EEENS1_30default_config_static_selectorELNS0_4arch9wavefront6targetE1EEEvT1_.private_seg_size, 0
	.set _ZN7rocprim17ROCPRIM_400000_NS6detail17trampoline_kernelINS0_14default_configENS1_20scan_config_selectorIdEEZZNS1_9scan_implILNS1_25lookback_scan_determinismE0ELb0ELb0ES3_PKdPddZZZN2at6native31launch_logcumsumexp_cuda_kernelERKNSB_10TensorBaseESF_lENKUlvE_clEvENKUlvE_clEvEUlddE_dEEDaPvRmT3_T4_T5_mT6_P12ihipStream_tbENKUlT_T0_E_clISt17integral_constantIbLb1EESW_EEDaSR_SS_EUlSR_E0_NS1_11comp_targetILNS1_3genE0ELNS1_11target_archE4294967295ELNS1_3gpuE0ELNS1_3repE0EEENS1_30default_config_static_selectorELNS0_4arch9wavefront6targetE1EEEvT1_.uses_vcc, 0
	.set _ZN7rocprim17ROCPRIM_400000_NS6detail17trampoline_kernelINS0_14default_configENS1_20scan_config_selectorIdEEZZNS1_9scan_implILNS1_25lookback_scan_determinismE0ELb0ELb0ES3_PKdPddZZZN2at6native31launch_logcumsumexp_cuda_kernelERKNSB_10TensorBaseESF_lENKUlvE_clEvENKUlvE_clEvEUlddE_dEEDaPvRmT3_T4_T5_mT6_P12ihipStream_tbENKUlT_T0_E_clISt17integral_constantIbLb1EESW_EEDaSR_SS_EUlSR_E0_NS1_11comp_targetILNS1_3genE0ELNS1_11target_archE4294967295ELNS1_3gpuE0ELNS1_3repE0EEENS1_30default_config_static_selectorELNS0_4arch9wavefront6targetE1EEEvT1_.uses_flat_scratch, 0
	.set _ZN7rocprim17ROCPRIM_400000_NS6detail17trampoline_kernelINS0_14default_configENS1_20scan_config_selectorIdEEZZNS1_9scan_implILNS1_25lookback_scan_determinismE0ELb0ELb0ES3_PKdPddZZZN2at6native31launch_logcumsumexp_cuda_kernelERKNSB_10TensorBaseESF_lENKUlvE_clEvENKUlvE_clEvEUlddE_dEEDaPvRmT3_T4_T5_mT6_P12ihipStream_tbENKUlT_T0_E_clISt17integral_constantIbLb1EESW_EEDaSR_SS_EUlSR_E0_NS1_11comp_targetILNS1_3genE0ELNS1_11target_archE4294967295ELNS1_3gpuE0ELNS1_3repE0EEENS1_30default_config_static_selectorELNS0_4arch9wavefront6targetE1EEEvT1_.has_dyn_sized_stack, 0
	.set _ZN7rocprim17ROCPRIM_400000_NS6detail17trampoline_kernelINS0_14default_configENS1_20scan_config_selectorIdEEZZNS1_9scan_implILNS1_25lookback_scan_determinismE0ELb0ELb0ES3_PKdPddZZZN2at6native31launch_logcumsumexp_cuda_kernelERKNSB_10TensorBaseESF_lENKUlvE_clEvENKUlvE_clEvEUlddE_dEEDaPvRmT3_T4_T5_mT6_P12ihipStream_tbENKUlT_T0_E_clISt17integral_constantIbLb1EESW_EEDaSR_SS_EUlSR_E0_NS1_11comp_targetILNS1_3genE0ELNS1_11target_archE4294967295ELNS1_3gpuE0ELNS1_3repE0EEENS1_30default_config_static_selectorELNS0_4arch9wavefront6targetE1EEEvT1_.has_recursion, 0
	.set _ZN7rocprim17ROCPRIM_400000_NS6detail17trampoline_kernelINS0_14default_configENS1_20scan_config_selectorIdEEZZNS1_9scan_implILNS1_25lookback_scan_determinismE0ELb0ELb0ES3_PKdPddZZZN2at6native31launch_logcumsumexp_cuda_kernelERKNSB_10TensorBaseESF_lENKUlvE_clEvENKUlvE_clEvEUlddE_dEEDaPvRmT3_T4_T5_mT6_P12ihipStream_tbENKUlT_T0_E_clISt17integral_constantIbLb1EESW_EEDaSR_SS_EUlSR_E0_NS1_11comp_targetILNS1_3genE0ELNS1_11target_archE4294967295ELNS1_3gpuE0ELNS1_3repE0EEENS1_30default_config_static_selectorELNS0_4arch9wavefront6targetE1EEEvT1_.has_indirect_call, 0
	.section	.AMDGPU.csdata,"",@progbits
; Kernel info:
; codeLenInByte = 0
; TotalNumSgprs: 4
; NumVgprs: 0
; ScratchSize: 0
; MemoryBound: 0
; FloatMode: 240
; IeeeMode: 1
; LDSByteSize: 0 bytes/workgroup (compile time only)
; SGPRBlocks: 0
; VGPRBlocks: 0
; NumSGPRsForWavesPerEU: 4
; NumVGPRsForWavesPerEU: 1
; Occupancy: 10
; WaveLimiterHint : 0
; COMPUTE_PGM_RSRC2:SCRATCH_EN: 0
; COMPUTE_PGM_RSRC2:USER_SGPR: 6
; COMPUTE_PGM_RSRC2:TRAP_HANDLER: 0
; COMPUTE_PGM_RSRC2:TGID_X_EN: 1
; COMPUTE_PGM_RSRC2:TGID_Y_EN: 0
; COMPUTE_PGM_RSRC2:TGID_Z_EN: 0
; COMPUTE_PGM_RSRC2:TIDIG_COMP_CNT: 0
	.section	.text._ZN7rocprim17ROCPRIM_400000_NS6detail17trampoline_kernelINS0_14default_configENS1_20scan_config_selectorIdEEZZNS1_9scan_implILNS1_25lookback_scan_determinismE0ELb0ELb0ES3_PKdPddZZZN2at6native31launch_logcumsumexp_cuda_kernelERKNSB_10TensorBaseESF_lENKUlvE_clEvENKUlvE_clEvEUlddE_dEEDaPvRmT3_T4_T5_mT6_P12ihipStream_tbENKUlT_T0_E_clISt17integral_constantIbLb1EESW_EEDaSR_SS_EUlSR_E0_NS1_11comp_targetILNS1_3genE5ELNS1_11target_archE942ELNS1_3gpuE9ELNS1_3repE0EEENS1_30default_config_static_selectorELNS0_4arch9wavefront6targetE1EEEvT1_,"axG",@progbits,_ZN7rocprim17ROCPRIM_400000_NS6detail17trampoline_kernelINS0_14default_configENS1_20scan_config_selectorIdEEZZNS1_9scan_implILNS1_25lookback_scan_determinismE0ELb0ELb0ES3_PKdPddZZZN2at6native31launch_logcumsumexp_cuda_kernelERKNSB_10TensorBaseESF_lENKUlvE_clEvENKUlvE_clEvEUlddE_dEEDaPvRmT3_T4_T5_mT6_P12ihipStream_tbENKUlT_T0_E_clISt17integral_constantIbLb1EESW_EEDaSR_SS_EUlSR_E0_NS1_11comp_targetILNS1_3genE5ELNS1_11target_archE942ELNS1_3gpuE9ELNS1_3repE0EEENS1_30default_config_static_selectorELNS0_4arch9wavefront6targetE1EEEvT1_,comdat
	.globl	_ZN7rocprim17ROCPRIM_400000_NS6detail17trampoline_kernelINS0_14default_configENS1_20scan_config_selectorIdEEZZNS1_9scan_implILNS1_25lookback_scan_determinismE0ELb0ELb0ES3_PKdPddZZZN2at6native31launch_logcumsumexp_cuda_kernelERKNSB_10TensorBaseESF_lENKUlvE_clEvENKUlvE_clEvEUlddE_dEEDaPvRmT3_T4_T5_mT6_P12ihipStream_tbENKUlT_T0_E_clISt17integral_constantIbLb1EESW_EEDaSR_SS_EUlSR_E0_NS1_11comp_targetILNS1_3genE5ELNS1_11target_archE942ELNS1_3gpuE9ELNS1_3repE0EEENS1_30default_config_static_selectorELNS0_4arch9wavefront6targetE1EEEvT1_ ; -- Begin function _ZN7rocprim17ROCPRIM_400000_NS6detail17trampoline_kernelINS0_14default_configENS1_20scan_config_selectorIdEEZZNS1_9scan_implILNS1_25lookback_scan_determinismE0ELb0ELb0ES3_PKdPddZZZN2at6native31launch_logcumsumexp_cuda_kernelERKNSB_10TensorBaseESF_lENKUlvE_clEvENKUlvE_clEvEUlddE_dEEDaPvRmT3_T4_T5_mT6_P12ihipStream_tbENKUlT_T0_E_clISt17integral_constantIbLb1EESW_EEDaSR_SS_EUlSR_E0_NS1_11comp_targetILNS1_3genE5ELNS1_11target_archE942ELNS1_3gpuE9ELNS1_3repE0EEENS1_30default_config_static_selectorELNS0_4arch9wavefront6targetE1EEEvT1_
	.p2align	8
	.type	_ZN7rocprim17ROCPRIM_400000_NS6detail17trampoline_kernelINS0_14default_configENS1_20scan_config_selectorIdEEZZNS1_9scan_implILNS1_25lookback_scan_determinismE0ELb0ELb0ES3_PKdPddZZZN2at6native31launch_logcumsumexp_cuda_kernelERKNSB_10TensorBaseESF_lENKUlvE_clEvENKUlvE_clEvEUlddE_dEEDaPvRmT3_T4_T5_mT6_P12ihipStream_tbENKUlT_T0_E_clISt17integral_constantIbLb1EESW_EEDaSR_SS_EUlSR_E0_NS1_11comp_targetILNS1_3genE5ELNS1_11target_archE942ELNS1_3gpuE9ELNS1_3repE0EEENS1_30default_config_static_selectorELNS0_4arch9wavefront6targetE1EEEvT1_,@function
_ZN7rocprim17ROCPRIM_400000_NS6detail17trampoline_kernelINS0_14default_configENS1_20scan_config_selectorIdEEZZNS1_9scan_implILNS1_25lookback_scan_determinismE0ELb0ELb0ES3_PKdPddZZZN2at6native31launch_logcumsumexp_cuda_kernelERKNSB_10TensorBaseESF_lENKUlvE_clEvENKUlvE_clEvEUlddE_dEEDaPvRmT3_T4_T5_mT6_P12ihipStream_tbENKUlT_T0_E_clISt17integral_constantIbLb1EESW_EEDaSR_SS_EUlSR_E0_NS1_11comp_targetILNS1_3genE5ELNS1_11target_archE942ELNS1_3gpuE9ELNS1_3repE0EEENS1_30default_config_static_selectorELNS0_4arch9wavefront6targetE1EEEvT1_: ; @_ZN7rocprim17ROCPRIM_400000_NS6detail17trampoline_kernelINS0_14default_configENS1_20scan_config_selectorIdEEZZNS1_9scan_implILNS1_25lookback_scan_determinismE0ELb0ELb0ES3_PKdPddZZZN2at6native31launch_logcumsumexp_cuda_kernelERKNSB_10TensorBaseESF_lENKUlvE_clEvENKUlvE_clEvEUlddE_dEEDaPvRmT3_T4_T5_mT6_P12ihipStream_tbENKUlT_T0_E_clISt17integral_constantIbLb1EESW_EEDaSR_SS_EUlSR_E0_NS1_11comp_targetILNS1_3genE5ELNS1_11target_archE942ELNS1_3gpuE9ELNS1_3repE0EEENS1_30default_config_static_selectorELNS0_4arch9wavefront6targetE1EEEvT1_
; %bb.0:
	.section	.rodata,"a",@progbits
	.p2align	6, 0x0
	.amdhsa_kernel _ZN7rocprim17ROCPRIM_400000_NS6detail17trampoline_kernelINS0_14default_configENS1_20scan_config_selectorIdEEZZNS1_9scan_implILNS1_25lookback_scan_determinismE0ELb0ELb0ES3_PKdPddZZZN2at6native31launch_logcumsumexp_cuda_kernelERKNSB_10TensorBaseESF_lENKUlvE_clEvENKUlvE_clEvEUlddE_dEEDaPvRmT3_T4_T5_mT6_P12ihipStream_tbENKUlT_T0_E_clISt17integral_constantIbLb1EESW_EEDaSR_SS_EUlSR_E0_NS1_11comp_targetILNS1_3genE5ELNS1_11target_archE942ELNS1_3gpuE9ELNS1_3repE0EEENS1_30default_config_static_selectorELNS0_4arch9wavefront6targetE1EEEvT1_
		.amdhsa_group_segment_fixed_size 0
		.amdhsa_private_segment_fixed_size 0
		.amdhsa_kernarg_size 40
		.amdhsa_user_sgpr_count 6
		.amdhsa_user_sgpr_private_segment_buffer 1
		.amdhsa_user_sgpr_dispatch_ptr 0
		.amdhsa_user_sgpr_queue_ptr 0
		.amdhsa_user_sgpr_kernarg_segment_ptr 1
		.amdhsa_user_sgpr_dispatch_id 0
		.amdhsa_user_sgpr_flat_scratch_init 0
		.amdhsa_user_sgpr_private_segment_size 0
		.amdhsa_uses_dynamic_stack 0
		.amdhsa_system_sgpr_private_segment_wavefront_offset 0
		.amdhsa_system_sgpr_workgroup_id_x 1
		.amdhsa_system_sgpr_workgroup_id_y 0
		.amdhsa_system_sgpr_workgroup_id_z 0
		.amdhsa_system_sgpr_workgroup_info 0
		.amdhsa_system_vgpr_workitem_id 0
		.amdhsa_next_free_vgpr 1
		.amdhsa_next_free_sgpr 0
		.amdhsa_reserve_vcc 0
		.amdhsa_reserve_flat_scratch 0
		.amdhsa_float_round_mode_32 0
		.amdhsa_float_round_mode_16_64 0
		.amdhsa_float_denorm_mode_32 3
		.amdhsa_float_denorm_mode_16_64 3
		.amdhsa_dx10_clamp 1
		.amdhsa_ieee_mode 1
		.amdhsa_fp16_overflow 0
		.amdhsa_exception_fp_ieee_invalid_op 0
		.amdhsa_exception_fp_denorm_src 0
		.amdhsa_exception_fp_ieee_div_zero 0
		.amdhsa_exception_fp_ieee_overflow 0
		.amdhsa_exception_fp_ieee_underflow 0
		.amdhsa_exception_fp_ieee_inexact 0
		.amdhsa_exception_int_div_zero 0
	.end_amdhsa_kernel
	.section	.text._ZN7rocprim17ROCPRIM_400000_NS6detail17trampoline_kernelINS0_14default_configENS1_20scan_config_selectorIdEEZZNS1_9scan_implILNS1_25lookback_scan_determinismE0ELb0ELb0ES3_PKdPddZZZN2at6native31launch_logcumsumexp_cuda_kernelERKNSB_10TensorBaseESF_lENKUlvE_clEvENKUlvE_clEvEUlddE_dEEDaPvRmT3_T4_T5_mT6_P12ihipStream_tbENKUlT_T0_E_clISt17integral_constantIbLb1EESW_EEDaSR_SS_EUlSR_E0_NS1_11comp_targetILNS1_3genE5ELNS1_11target_archE942ELNS1_3gpuE9ELNS1_3repE0EEENS1_30default_config_static_selectorELNS0_4arch9wavefront6targetE1EEEvT1_,"axG",@progbits,_ZN7rocprim17ROCPRIM_400000_NS6detail17trampoline_kernelINS0_14default_configENS1_20scan_config_selectorIdEEZZNS1_9scan_implILNS1_25lookback_scan_determinismE0ELb0ELb0ES3_PKdPddZZZN2at6native31launch_logcumsumexp_cuda_kernelERKNSB_10TensorBaseESF_lENKUlvE_clEvENKUlvE_clEvEUlddE_dEEDaPvRmT3_T4_T5_mT6_P12ihipStream_tbENKUlT_T0_E_clISt17integral_constantIbLb1EESW_EEDaSR_SS_EUlSR_E0_NS1_11comp_targetILNS1_3genE5ELNS1_11target_archE942ELNS1_3gpuE9ELNS1_3repE0EEENS1_30default_config_static_selectorELNS0_4arch9wavefront6targetE1EEEvT1_,comdat
.Lfunc_end38:
	.size	_ZN7rocprim17ROCPRIM_400000_NS6detail17trampoline_kernelINS0_14default_configENS1_20scan_config_selectorIdEEZZNS1_9scan_implILNS1_25lookback_scan_determinismE0ELb0ELb0ES3_PKdPddZZZN2at6native31launch_logcumsumexp_cuda_kernelERKNSB_10TensorBaseESF_lENKUlvE_clEvENKUlvE_clEvEUlddE_dEEDaPvRmT3_T4_T5_mT6_P12ihipStream_tbENKUlT_T0_E_clISt17integral_constantIbLb1EESW_EEDaSR_SS_EUlSR_E0_NS1_11comp_targetILNS1_3genE5ELNS1_11target_archE942ELNS1_3gpuE9ELNS1_3repE0EEENS1_30default_config_static_selectorELNS0_4arch9wavefront6targetE1EEEvT1_, .Lfunc_end38-_ZN7rocprim17ROCPRIM_400000_NS6detail17trampoline_kernelINS0_14default_configENS1_20scan_config_selectorIdEEZZNS1_9scan_implILNS1_25lookback_scan_determinismE0ELb0ELb0ES3_PKdPddZZZN2at6native31launch_logcumsumexp_cuda_kernelERKNSB_10TensorBaseESF_lENKUlvE_clEvENKUlvE_clEvEUlddE_dEEDaPvRmT3_T4_T5_mT6_P12ihipStream_tbENKUlT_T0_E_clISt17integral_constantIbLb1EESW_EEDaSR_SS_EUlSR_E0_NS1_11comp_targetILNS1_3genE5ELNS1_11target_archE942ELNS1_3gpuE9ELNS1_3repE0EEENS1_30default_config_static_selectorELNS0_4arch9wavefront6targetE1EEEvT1_
                                        ; -- End function
	.set _ZN7rocprim17ROCPRIM_400000_NS6detail17trampoline_kernelINS0_14default_configENS1_20scan_config_selectorIdEEZZNS1_9scan_implILNS1_25lookback_scan_determinismE0ELb0ELb0ES3_PKdPddZZZN2at6native31launch_logcumsumexp_cuda_kernelERKNSB_10TensorBaseESF_lENKUlvE_clEvENKUlvE_clEvEUlddE_dEEDaPvRmT3_T4_T5_mT6_P12ihipStream_tbENKUlT_T0_E_clISt17integral_constantIbLb1EESW_EEDaSR_SS_EUlSR_E0_NS1_11comp_targetILNS1_3genE5ELNS1_11target_archE942ELNS1_3gpuE9ELNS1_3repE0EEENS1_30default_config_static_selectorELNS0_4arch9wavefront6targetE1EEEvT1_.num_vgpr, 0
	.set _ZN7rocprim17ROCPRIM_400000_NS6detail17trampoline_kernelINS0_14default_configENS1_20scan_config_selectorIdEEZZNS1_9scan_implILNS1_25lookback_scan_determinismE0ELb0ELb0ES3_PKdPddZZZN2at6native31launch_logcumsumexp_cuda_kernelERKNSB_10TensorBaseESF_lENKUlvE_clEvENKUlvE_clEvEUlddE_dEEDaPvRmT3_T4_T5_mT6_P12ihipStream_tbENKUlT_T0_E_clISt17integral_constantIbLb1EESW_EEDaSR_SS_EUlSR_E0_NS1_11comp_targetILNS1_3genE5ELNS1_11target_archE942ELNS1_3gpuE9ELNS1_3repE0EEENS1_30default_config_static_selectorELNS0_4arch9wavefront6targetE1EEEvT1_.num_agpr, 0
	.set _ZN7rocprim17ROCPRIM_400000_NS6detail17trampoline_kernelINS0_14default_configENS1_20scan_config_selectorIdEEZZNS1_9scan_implILNS1_25lookback_scan_determinismE0ELb0ELb0ES3_PKdPddZZZN2at6native31launch_logcumsumexp_cuda_kernelERKNSB_10TensorBaseESF_lENKUlvE_clEvENKUlvE_clEvEUlddE_dEEDaPvRmT3_T4_T5_mT6_P12ihipStream_tbENKUlT_T0_E_clISt17integral_constantIbLb1EESW_EEDaSR_SS_EUlSR_E0_NS1_11comp_targetILNS1_3genE5ELNS1_11target_archE942ELNS1_3gpuE9ELNS1_3repE0EEENS1_30default_config_static_selectorELNS0_4arch9wavefront6targetE1EEEvT1_.numbered_sgpr, 0
	.set _ZN7rocprim17ROCPRIM_400000_NS6detail17trampoline_kernelINS0_14default_configENS1_20scan_config_selectorIdEEZZNS1_9scan_implILNS1_25lookback_scan_determinismE0ELb0ELb0ES3_PKdPddZZZN2at6native31launch_logcumsumexp_cuda_kernelERKNSB_10TensorBaseESF_lENKUlvE_clEvENKUlvE_clEvEUlddE_dEEDaPvRmT3_T4_T5_mT6_P12ihipStream_tbENKUlT_T0_E_clISt17integral_constantIbLb1EESW_EEDaSR_SS_EUlSR_E0_NS1_11comp_targetILNS1_3genE5ELNS1_11target_archE942ELNS1_3gpuE9ELNS1_3repE0EEENS1_30default_config_static_selectorELNS0_4arch9wavefront6targetE1EEEvT1_.num_named_barrier, 0
	.set _ZN7rocprim17ROCPRIM_400000_NS6detail17trampoline_kernelINS0_14default_configENS1_20scan_config_selectorIdEEZZNS1_9scan_implILNS1_25lookback_scan_determinismE0ELb0ELb0ES3_PKdPddZZZN2at6native31launch_logcumsumexp_cuda_kernelERKNSB_10TensorBaseESF_lENKUlvE_clEvENKUlvE_clEvEUlddE_dEEDaPvRmT3_T4_T5_mT6_P12ihipStream_tbENKUlT_T0_E_clISt17integral_constantIbLb1EESW_EEDaSR_SS_EUlSR_E0_NS1_11comp_targetILNS1_3genE5ELNS1_11target_archE942ELNS1_3gpuE9ELNS1_3repE0EEENS1_30default_config_static_selectorELNS0_4arch9wavefront6targetE1EEEvT1_.private_seg_size, 0
	.set _ZN7rocprim17ROCPRIM_400000_NS6detail17trampoline_kernelINS0_14default_configENS1_20scan_config_selectorIdEEZZNS1_9scan_implILNS1_25lookback_scan_determinismE0ELb0ELb0ES3_PKdPddZZZN2at6native31launch_logcumsumexp_cuda_kernelERKNSB_10TensorBaseESF_lENKUlvE_clEvENKUlvE_clEvEUlddE_dEEDaPvRmT3_T4_T5_mT6_P12ihipStream_tbENKUlT_T0_E_clISt17integral_constantIbLb1EESW_EEDaSR_SS_EUlSR_E0_NS1_11comp_targetILNS1_3genE5ELNS1_11target_archE942ELNS1_3gpuE9ELNS1_3repE0EEENS1_30default_config_static_selectorELNS0_4arch9wavefront6targetE1EEEvT1_.uses_vcc, 0
	.set _ZN7rocprim17ROCPRIM_400000_NS6detail17trampoline_kernelINS0_14default_configENS1_20scan_config_selectorIdEEZZNS1_9scan_implILNS1_25lookback_scan_determinismE0ELb0ELb0ES3_PKdPddZZZN2at6native31launch_logcumsumexp_cuda_kernelERKNSB_10TensorBaseESF_lENKUlvE_clEvENKUlvE_clEvEUlddE_dEEDaPvRmT3_T4_T5_mT6_P12ihipStream_tbENKUlT_T0_E_clISt17integral_constantIbLb1EESW_EEDaSR_SS_EUlSR_E0_NS1_11comp_targetILNS1_3genE5ELNS1_11target_archE942ELNS1_3gpuE9ELNS1_3repE0EEENS1_30default_config_static_selectorELNS0_4arch9wavefront6targetE1EEEvT1_.uses_flat_scratch, 0
	.set _ZN7rocprim17ROCPRIM_400000_NS6detail17trampoline_kernelINS0_14default_configENS1_20scan_config_selectorIdEEZZNS1_9scan_implILNS1_25lookback_scan_determinismE0ELb0ELb0ES3_PKdPddZZZN2at6native31launch_logcumsumexp_cuda_kernelERKNSB_10TensorBaseESF_lENKUlvE_clEvENKUlvE_clEvEUlddE_dEEDaPvRmT3_T4_T5_mT6_P12ihipStream_tbENKUlT_T0_E_clISt17integral_constantIbLb1EESW_EEDaSR_SS_EUlSR_E0_NS1_11comp_targetILNS1_3genE5ELNS1_11target_archE942ELNS1_3gpuE9ELNS1_3repE0EEENS1_30default_config_static_selectorELNS0_4arch9wavefront6targetE1EEEvT1_.has_dyn_sized_stack, 0
	.set _ZN7rocprim17ROCPRIM_400000_NS6detail17trampoline_kernelINS0_14default_configENS1_20scan_config_selectorIdEEZZNS1_9scan_implILNS1_25lookback_scan_determinismE0ELb0ELb0ES3_PKdPddZZZN2at6native31launch_logcumsumexp_cuda_kernelERKNSB_10TensorBaseESF_lENKUlvE_clEvENKUlvE_clEvEUlddE_dEEDaPvRmT3_T4_T5_mT6_P12ihipStream_tbENKUlT_T0_E_clISt17integral_constantIbLb1EESW_EEDaSR_SS_EUlSR_E0_NS1_11comp_targetILNS1_3genE5ELNS1_11target_archE942ELNS1_3gpuE9ELNS1_3repE0EEENS1_30default_config_static_selectorELNS0_4arch9wavefront6targetE1EEEvT1_.has_recursion, 0
	.set _ZN7rocprim17ROCPRIM_400000_NS6detail17trampoline_kernelINS0_14default_configENS1_20scan_config_selectorIdEEZZNS1_9scan_implILNS1_25lookback_scan_determinismE0ELb0ELb0ES3_PKdPddZZZN2at6native31launch_logcumsumexp_cuda_kernelERKNSB_10TensorBaseESF_lENKUlvE_clEvENKUlvE_clEvEUlddE_dEEDaPvRmT3_T4_T5_mT6_P12ihipStream_tbENKUlT_T0_E_clISt17integral_constantIbLb1EESW_EEDaSR_SS_EUlSR_E0_NS1_11comp_targetILNS1_3genE5ELNS1_11target_archE942ELNS1_3gpuE9ELNS1_3repE0EEENS1_30default_config_static_selectorELNS0_4arch9wavefront6targetE1EEEvT1_.has_indirect_call, 0
	.section	.AMDGPU.csdata,"",@progbits
; Kernel info:
; codeLenInByte = 0
; TotalNumSgprs: 4
; NumVgprs: 0
; ScratchSize: 0
; MemoryBound: 0
; FloatMode: 240
; IeeeMode: 1
; LDSByteSize: 0 bytes/workgroup (compile time only)
; SGPRBlocks: 0
; VGPRBlocks: 0
; NumSGPRsForWavesPerEU: 4
; NumVGPRsForWavesPerEU: 1
; Occupancy: 10
; WaveLimiterHint : 0
; COMPUTE_PGM_RSRC2:SCRATCH_EN: 0
; COMPUTE_PGM_RSRC2:USER_SGPR: 6
; COMPUTE_PGM_RSRC2:TRAP_HANDLER: 0
; COMPUTE_PGM_RSRC2:TGID_X_EN: 1
; COMPUTE_PGM_RSRC2:TGID_Y_EN: 0
; COMPUTE_PGM_RSRC2:TGID_Z_EN: 0
; COMPUTE_PGM_RSRC2:TIDIG_COMP_CNT: 0
	.section	.text._ZN7rocprim17ROCPRIM_400000_NS6detail17trampoline_kernelINS0_14default_configENS1_20scan_config_selectorIdEEZZNS1_9scan_implILNS1_25lookback_scan_determinismE0ELb0ELb0ES3_PKdPddZZZN2at6native31launch_logcumsumexp_cuda_kernelERKNSB_10TensorBaseESF_lENKUlvE_clEvENKUlvE_clEvEUlddE_dEEDaPvRmT3_T4_T5_mT6_P12ihipStream_tbENKUlT_T0_E_clISt17integral_constantIbLb1EESW_EEDaSR_SS_EUlSR_E0_NS1_11comp_targetILNS1_3genE4ELNS1_11target_archE910ELNS1_3gpuE8ELNS1_3repE0EEENS1_30default_config_static_selectorELNS0_4arch9wavefront6targetE1EEEvT1_,"axG",@progbits,_ZN7rocprim17ROCPRIM_400000_NS6detail17trampoline_kernelINS0_14default_configENS1_20scan_config_selectorIdEEZZNS1_9scan_implILNS1_25lookback_scan_determinismE0ELb0ELb0ES3_PKdPddZZZN2at6native31launch_logcumsumexp_cuda_kernelERKNSB_10TensorBaseESF_lENKUlvE_clEvENKUlvE_clEvEUlddE_dEEDaPvRmT3_T4_T5_mT6_P12ihipStream_tbENKUlT_T0_E_clISt17integral_constantIbLb1EESW_EEDaSR_SS_EUlSR_E0_NS1_11comp_targetILNS1_3genE4ELNS1_11target_archE910ELNS1_3gpuE8ELNS1_3repE0EEENS1_30default_config_static_selectorELNS0_4arch9wavefront6targetE1EEEvT1_,comdat
	.globl	_ZN7rocprim17ROCPRIM_400000_NS6detail17trampoline_kernelINS0_14default_configENS1_20scan_config_selectorIdEEZZNS1_9scan_implILNS1_25lookback_scan_determinismE0ELb0ELb0ES3_PKdPddZZZN2at6native31launch_logcumsumexp_cuda_kernelERKNSB_10TensorBaseESF_lENKUlvE_clEvENKUlvE_clEvEUlddE_dEEDaPvRmT3_T4_T5_mT6_P12ihipStream_tbENKUlT_T0_E_clISt17integral_constantIbLb1EESW_EEDaSR_SS_EUlSR_E0_NS1_11comp_targetILNS1_3genE4ELNS1_11target_archE910ELNS1_3gpuE8ELNS1_3repE0EEENS1_30default_config_static_selectorELNS0_4arch9wavefront6targetE1EEEvT1_ ; -- Begin function _ZN7rocprim17ROCPRIM_400000_NS6detail17trampoline_kernelINS0_14default_configENS1_20scan_config_selectorIdEEZZNS1_9scan_implILNS1_25lookback_scan_determinismE0ELb0ELb0ES3_PKdPddZZZN2at6native31launch_logcumsumexp_cuda_kernelERKNSB_10TensorBaseESF_lENKUlvE_clEvENKUlvE_clEvEUlddE_dEEDaPvRmT3_T4_T5_mT6_P12ihipStream_tbENKUlT_T0_E_clISt17integral_constantIbLb1EESW_EEDaSR_SS_EUlSR_E0_NS1_11comp_targetILNS1_3genE4ELNS1_11target_archE910ELNS1_3gpuE8ELNS1_3repE0EEENS1_30default_config_static_selectorELNS0_4arch9wavefront6targetE1EEEvT1_
	.p2align	8
	.type	_ZN7rocprim17ROCPRIM_400000_NS6detail17trampoline_kernelINS0_14default_configENS1_20scan_config_selectorIdEEZZNS1_9scan_implILNS1_25lookback_scan_determinismE0ELb0ELb0ES3_PKdPddZZZN2at6native31launch_logcumsumexp_cuda_kernelERKNSB_10TensorBaseESF_lENKUlvE_clEvENKUlvE_clEvEUlddE_dEEDaPvRmT3_T4_T5_mT6_P12ihipStream_tbENKUlT_T0_E_clISt17integral_constantIbLb1EESW_EEDaSR_SS_EUlSR_E0_NS1_11comp_targetILNS1_3genE4ELNS1_11target_archE910ELNS1_3gpuE8ELNS1_3repE0EEENS1_30default_config_static_selectorELNS0_4arch9wavefront6targetE1EEEvT1_,@function
_ZN7rocprim17ROCPRIM_400000_NS6detail17trampoline_kernelINS0_14default_configENS1_20scan_config_selectorIdEEZZNS1_9scan_implILNS1_25lookback_scan_determinismE0ELb0ELb0ES3_PKdPddZZZN2at6native31launch_logcumsumexp_cuda_kernelERKNSB_10TensorBaseESF_lENKUlvE_clEvENKUlvE_clEvEUlddE_dEEDaPvRmT3_T4_T5_mT6_P12ihipStream_tbENKUlT_T0_E_clISt17integral_constantIbLb1EESW_EEDaSR_SS_EUlSR_E0_NS1_11comp_targetILNS1_3genE4ELNS1_11target_archE910ELNS1_3gpuE8ELNS1_3repE0EEENS1_30default_config_static_selectorELNS0_4arch9wavefront6targetE1EEEvT1_: ; @_ZN7rocprim17ROCPRIM_400000_NS6detail17trampoline_kernelINS0_14default_configENS1_20scan_config_selectorIdEEZZNS1_9scan_implILNS1_25lookback_scan_determinismE0ELb0ELb0ES3_PKdPddZZZN2at6native31launch_logcumsumexp_cuda_kernelERKNSB_10TensorBaseESF_lENKUlvE_clEvENKUlvE_clEvEUlddE_dEEDaPvRmT3_T4_T5_mT6_P12ihipStream_tbENKUlT_T0_E_clISt17integral_constantIbLb1EESW_EEDaSR_SS_EUlSR_E0_NS1_11comp_targetILNS1_3genE4ELNS1_11target_archE910ELNS1_3gpuE8ELNS1_3repE0EEENS1_30default_config_static_selectorELNS0_4arch9wavefront6targetE1EEEvT1_
; %bb.0:
	.section	.rodata,"a",@progbits
	.p2align	6, 0x0
	.amdhsa_kernel _ZN7rocprim17ROCPRIM_400000_NS6detail17trampoline_kernelINS0_14default_configENS1_20scan_config_selectorIdEEZZNS1_9scan_implILNS1_25lookback_scan_determinismE0ELb0ELb0ES3_PKdPddZZZN2at6native31launch_logcumsumexp_cuda_kernelERKNSB_10TensorBaseESF_lENKUlvE_clEvENKUlvE_clEvEUlddE_dEEDaPvRmT3_T4_T5_mT6_P12ihipStream_tbENKUlT_T0_E_clISt17integral_constantIbLb1EESW_EEDaSR_SS_EUlSR_E0_NS1_11comp_targetILNS1_3genE4ELNS1_11target_archE910ELNS1_3gpuE8ELNS1_3repE0EEENS1_30default_config_static_selectorELNS0_4arch9wavefront6targetE1EEEvT1_
		.amdhsa_group_segment_fixed_size 0
		.amdhsa_private_segment_fixed_size 0
		.amdhsa_kernarg_size 40
		.amdhsa_user_sgpr_count 6
		.amdhsa_user_sgpr_private_segment_buffer 1
		.amdhsa_user_sgpr_dispatch_ptr 0
		.amdhsa_user_sgpr_queue_ptr 0
		.amdhsa_user_sgpr_kernarg_segment_ptr 1
		.amdhsa_user_sgpr_dispatch_id 0
		.amdhsa_user_sgpr_flat_scratch_init 0
		.amdhsa_user_sgpr_private_segment_size 0
		.amdhsa_uses_dynamic_stack 0
		.amdhsa_system_sgpr_private_segment_wavefront_offset 0
		.amdhsa_system_sgpr_workgroup_id_x 1
		.amdhsa_system_sgpr_workgroup_id_y 0
		.amdhsa_system_sgpr_workgroup_id_z 0
		.amdhsa_system_sgpr_workgroup_info 0
		.amdhsa_system_vgpr_workitem_id 0
		.amdhsa_next_free_vgpr 1
		.amdhsa_next_free_sgpr 0
		.amdhsa_reserve_vcc 0
		.amdhsa_reserve_flat_scratch 0
		.amdhsa_float_round_mode_32 0
		.amdhsa_float_round_mode_16_64 0
		.amdhsa_float_denorm_mode_32 3
		.amdhsa_float_denorm_mode_16_64 3
		.amdhsa_dx10_clamp 1
		.amdhsa_ieee_mode 1
		.amdhsa_fp16_overflow 0
		.amdhsa_exception_fp_ieee_invalid_op 0
		.amdhsa_exception_fp_denorm_src 0
		.amdhsa_exception_fp_ieee_div_zero 0
		.amdhsa_exception_fp_ieee_overflow 0
		.amdhsa_exception_fp_ieee_underflow 0
		.amdhsa_exception_fp_ieee_inexact 0
		.amdhsa_exception_int_div_zero 0
	.end_amdhsa_kernel
	.section	.text._ZN7rocprim17ROCPRIM_400000_NS6detail17trampoline_kernelINS0_14default_configENS1_20scan_config_selectorIdEEZZNS1_9scan_implILNS1_25lookback_scan_determinismE0ELb0ELb0ES3_PKdPddZZZN2at6native31launch_logcumsumexp_cuda_kernelERKNSB_10TensorBaseESF_lENKUlvE_clEvENKUlvE_clEvEUlddE_dEEDaPvRmT3_T4_T5_mT6_P12ihipStream_tbENKUlT_T0_E_clISt17integral_constantIbLb1EESW_EEDaSR_SS_EUlSR_E0_NS1_11comp_targetILNS1_3genE4ELNS1_11target_archE910ELNS1_3gpuE8ELNS1_3repE0EEENS1_30default_config_static_selectorELNS0_4arch9wavefront6targetE1EEEvT1_,"axG",@progbits,_ZN7rocprim17ROCPRIM_400000_NS6detail17trampoline_kernelINS0_14default_configENS1_20scan_config_selectorIdEEZZNS1_9scan_implILNS1_25lookback_scan_determinismE0ELb0ELb0ES3_PKdPddZZZN2at6native31launch_logcumsumexp_cuda_kernelERKNSB_10TensorBaseESF_lENKUlvE_clEvENKUlvE_clEvEUlddE_dEEDaPvRmT3_T4_T5_mT6_P12ihipStream_tbENKUlT_T0_E_clISt17integral_constantIbLb1EESW_EEDaSR_SS_EUlSR_E0_NS1_11comp_targetILNS1_3genE4ELNS1_11target_archE910ELNS1_3gpuE8ELNS1_3repE0EEENS1_30default_config_static_selectorELNS0_4arch9wavefront6targetE1EEEvT1_,comdat
.Lfunc_end39:
	.size	_ZN7rocprim17ROCPRIM_400000_NS6detail17trampoline_kernelINS0_14default_configENS1_20scan_config_selectorIdEEZZNS1_9scan_implILNS1_25lookback_scan_determinismE0ELb0ELb0ES3_PKdPddZZZN2at6native31launch_logcumsumexp_cuda_kernelERKNSB_10TensorBaseESF_lENKUlvE_clEvENKUlvE_clEvEUlddE_dEEDaPvRmT3_T4_T5_mT6_P12ihipStream_tbENKUlT_T0_E_clISt17integral_constantIbLb1EESW_EEDaSR_SS_EUlSR_E0_NS1_11comp_targetILNS1_3genE4ELNS1_11target_archE910ELNS1_3gpuE8ELNS1_3repE0EEENS1_30default_config_static_selectorELNS0_4arch9wavefront6targetE1EEEvT1_, .Lfunc_end39-_ZN7rocprim17ROCPRIM_400000_NS6detail17trampoline_kernelINS0_14default_configENS1_20scan_config_selectorIdEEZZNS1_9scan_implILNS1_25lookback_scan_determinismE0ELb0ELb0ES3_PKdPddZZZN2at6native31launch_logcumsumexp_cuda_kernelERKNSB_10TensorBaseESF_lENKUlvE_clEvENKUlvE_clEvEUlddE_dEEDaPvRmT3_T4_T5_mT6_P12ihipStream_tbENKUlT_T0_E_clISt17integral_constantIbLb1EESW_EEDaSR_SS_EUlSR_E0_NS1_11comp_targetILNS1_3genE4ELNS1_11target_archE910ELNS1_3gpuE8ELNS1_3repE0EEENS1_30default_config_static_selectorELNS0_4arch9wavefront6targetE1EEEvT1_
                                        ; -- End function
	.set _ZN7rocprim17ROCPRIM_400000_NS6detail17trampoline_kernelINS0_14default_configENS1_20scan_config_selectorIdEEZZNS1_9scan_implILNS1_25lookback_scan_determinismE0ELb0ELb0ES3_PKdPddZZZN2at6native31launch_logcumsumexp_cuda_kernelERKNSB_10TensorBaseESF_lENKUlvE_clEvENKUlvE_clEvEUlddE_dEEDaPvRmT3_T4_T5_mT6_P12ihipStream_tbENKUlT_T0_E_clISt17integral_constantIbLb1EESW_EEDaSR_SS_EUlSR_E0_NS1_11comp_targetILNS1_3genE4ELNS1_11target_archE910ELNS1_3gpuE8ELNS1_3repE0EEENS1_30default_config_static_selectorELNS0_4arch9wavefront6targetE1EEEvT1_.num_vgpr, 0
	.set _ZN7rocprim17ROCPRIM_400000_NS6detail17trampoline_kernelINS0_14default_configENS1_20scan_config_selectorIdEEZZNS1_9scan_implILNS1_25lookback_scan_determinismE0ELb0ELb0ES3_PKdPddZZZN2at6native31launch_logcumsumexp_cuda_kernelERKNSB_10TensorBaseESF_lENKUlvE_clEvENKUlvE_clEvEUlddE_dEEDaPvRmT3_T4_T5_mT6_P12ihipStream_tbENKUlT_T0_E_clISt17integral_constantIbLb1EESW_EEDaSR_SS_EUlSR_E0_NS1_11comp_targetILNS1_3genE4ELNS1_11target_archE910ELNS1_3gpuE8ELNS1_3repE0EEENS1_30default_config_static_selectorELNS0_4arch9wavefront6targetE1EEEvT1_.num_agpr, 0
	.set _ZN7rocprim17ROCPRIM_400000_NS6detail17trampoline_kernelINS0_14default_configENS1_20scan_config_selectorIdEEZZNS1_9scan_implILNS1_25lookback_scan_determinismE0ELb0ELb0ES3_PKdPddZZZN2at6native31launch_logcumsumexp_cuda_kernelERKNSB_10TensorBaseESF_lENKUlvE_clEvENKUlvE_clEvEUlddE_dEEDaPvRmT3_T4_T5_mT6_P12ihipStream_tbENKUlT_T0_E_clISt17integral_constantIbLb1EESW_EEDaSR_SS_EUlSR_E0_NS1_11comp_targetILNS1_3genE4ELNS1_11target_archE910ELNS1_3gpuE8ELNS1_3repE0EEENS1_30default_config_static_selectorELNS0_4arch9wavefront6targetE1EEEvT1_.numbered_sgpr, 0
	.set _ZN7rocprim17ROCPRIM_400000_NS6detail17trampoline_kernelINS0_14default_configENS1_20scan_config_selectorIdEEZZNS1_9scan_implILNS1_25lookback_scan_determinismE0ELb0ELb0ES3_PKdPddZZZN2at6native31launch_logcumsumexp_cuda_kernelERKNSB_10TensorBaseESF_lENKUlvE_clEvENKUlvE_clEvEUlddE_dEEDaPvRmT3_T4_T5_mT6_P12ihipStream_tbENKUlT_T0_E_clISt17integral_constantIbLb1EESW_EEDaSR_SS_EUlSR_E0_NS1_11comp_targetILNS1_3genE4ELNS1_11target_archE910ELNS1_3gpuE8ELNS1_3repE0EEENS1_30default_config_static_selectorELNS0_4arch9wavefront6targetE1EEEvT1_.num_named_barrier, 0
	.set _ZN7rocprim17ROCPRIM_400000_NS6detail17trampoline_kernelINS0_14default_configENS1_20scan_config_selectorIdEEZZNS1_9scan_implILNS1_25lookback_scan_determinismE0ELb0ELb0ES3_PKdPddZZZN2at6native31launch_logcumsumexp_cuda_kernelERKNSB_10TensorBaseESF_lENKUlvE_clEvENKUlvE_clEvEUlddE_dEEDaPvRmT3_T4_T5_mT6_P12ihipStream_tbENKUlT_T0_E_clISt17integral_constantIbLb1EESW_EEDaSR_SS_EUlSR_E0_NS1_11comp_targetILNS1_3genE4ELNS1_11target_archE910ELNS1_3gpuE8ELNS1_3repE0EEENS1_30default_config_static_selectorELNS0_4arch9wavefront6targetE1EEEvT1_.private_seg_size, 0
	.set _ZN7rocprim17ROCPRIM_400000_NS6detail17trampoline_kernelINS0_14default_configENS1_20scan_config_selectorIdEEZZNS1_9scan_implILNS1_25lookback_scan_determinismE0ELb0ELb0ES3_PKdPddZZZN2at6native31launch_logcumsumexp_cuda_kernelERKNSB_10TensorBaseESF_lENKUlvE_clEvENKUlvE_clEvEUlddE_dEEDaPvRmT3_T4_T5_mT6_P12ihipStream_tbENKUlT_T0_E_clISt17integral_constantIbLb1EESW_EEDaSR_SS_EUlSR_E0_NS1_11comp_targetILNS1_3genE4ELNS1_11target_archE910ELNS1_3gpuE8ELNS1_3repE0EEENS1_30default_config_static_selectorELNS0_4arch9wavefront6targetE1EEEvT1_.uses_vcc, 0
	.set _ZN7rocprim17ROCPRIM_400000_NS6detail17trampoline_kernelINS0_14default_configENS1_20scan_config_selectorIdEEZZNS1_9scan_implILNS1_25lookback_scan_determinismE0ELb0ELb0ES3_PKdPddZZZN2at6native31launch_logcumsumexp_cuda_kernelERKNSB_10TensorBaseESF_lENKUlvE_clEvENKUlvE_clEvEUlddE_dEEDaPvRmT3_T4_T5_mT6_P12ihipStream_tbENKUlT_T0_E_clISt17integral_constantIbLb1EESW_EEDaSR_SS_EUlSR_E0_NS1_11comp_targetILNS1_3genE4ELNS1_11target_archE910ELNS1_3gpuE8ELNS1_3repE0EEENS1_30default_config_static_selectorELNS0_4arch9wavefront6targetE1EEEvT1_.uses_flat_scratch, 0
	.set _ZN7rocprim17ROCPRIM_400000_NS6detail17trampoline_kernelINS0_14default_configENS1_20scan_config_selectorIdEEZZNS1_9scan_implILNS1_25lookback_scan_determinismE0ELb0ELb0ES3_PKdPddZZZN2at6native31launch_logcumsumexp_cuda_kernelERKNSB_10TensorBaseESF_lENKUlvE_clEvENKUlvE_clEvEUlddE_dEEDaPvRmT3_T4_T5_mT6_P12ihipStream_tbENKUlT_T0_E_clISt17integral_constantIbLb1EESW_EEDaSR_SS_EUlSR_E0_NS1_11comp_targetILNS1_3genE4ELNS1_11target_archE910ELNS1_3gpuE8ELNS1_3repE0EEENS1_30default_config_static_selectorELNS0_4arch9wavefront6targetE1EEEvT1_.has_dyn_sized_stack, 0
	.set _ZN7rocprim17ROCPRIM_400000_NS6detail17trampoline_kernelINS0_14default_configENS1_20scan_config_selectorIdEEZZNS1_9scan_implILNS1_25lookback_scan_determinismE0ELb0ELb0ES3_PKdPddZZZN2at6native31launch_logcumsumexp_cuda_kernelERKNSB_10TensorBaseESF_lENKUlvE_clEvENKUlvE_clEvEUlddE_dEEDaPvRmT3_T4_T5_mT6_P12ihipStream_tbENKUlT_T0_E_clISt17integral_constantIbLb1EESW_EEDaSR_SS_EUlSR_E0_NS1_11comp_targetILNS1_3genE4ELNS1_11target_archE910ELNS1_3gpuE8ELNS1_3repE0EEENS1_30default_config_static_selectorELNS0_4arch9wavefront6targetE1EEEvT1_.has_recursion, 0
	.set _ZN7rocprim17ROCPRIM_400000_NS6detail17trampoline_kernelINS0_14default_configENS1_20scan_config_selectorIdEEZZNS1_9scan_implILNS1_25lookback_scan_determinismE0ELb0ELb0ES3_PKdPddZZZN2at6native31launch_logcumsumexp_cuda_kernelERKNSB_10TensorBaseESF_lENKUlvE_clEvENKUlvE_clEvEUlddE_dEEDaPvRmT3_T4_T5_mT6_P12ihipStream_tbENKUlT_T0_E_clISt17integral_constantIbLb1EESW_EEDaSR_SS_EUlSR_E0_NS1_11comp_targetILNS1_3genE4ELNS1_11target_archE910ELNS1_3gpuE8ELNS1_3repE0EEENS1_30default_config_static_selectorELNS0_4arch9wavefront6targetE1EEEvT1_.has_indirect_call, 0
	.section	.AMDGPU.csdata,"",@progbits
; Kernel info:
; codeLenInByte = 0
; TotalNumSgprs: 4
; NumVgprs: 0
; ScratchSize: 0
; MemoryBound: 0
; FloatMode: 240
; IeeeMode: 1
; LDSByteSize: 0 bytes/workgroup (compile time only)
; SGPRBlocks: 0
; VGPRBlocks: 0
; NumSGPRsForWavesPerEU: 4
; NumVGPRsForWavesPerEU: 1
; Occupancy: 10
; WaveLimiterHint : 0
; COMPUTE_PGM_RSRC2:SCRATCH_EN: 0
; COMPUTE_PGM_RSRC2:USER_SGPR: 6
; COMPUTE_PGM_RSRC2:TRAP_HANDLER: 0
; COMPUTE_PGM_RSRC2:TGID_X_EN: 1
; COMPUTE_PGM_RSRC2:TGID_Y_EN: 0
; COMPUTE_PGM_RSRC2:TGID_Z_EN: 0
; COMPUTE_PGM_RSRC2:TIDIG_COMP_CNT: 0
	.section	.text._ZN7rocprim17ROCPRIM_400000_NS6detail17trampoline_kernelINS0_14default_configENS1_20scan_config_selectorIdEEZZNS1_9scan_implILNS1_25lookback_scan_determinismE0ELb0ELb0ES3_PKdPddZZZN2at6native31launch_logcumsumexp_cuda_kernelERKNSB_10TensorBaseESF_lENKUlvE_clEvENKUlvE_clEvEUlddE_dEEDaPvRmT3_T4_T5_mT6_P12ihipStream_tbENKUlT_T0_E_clISt17integral_constantIbLb1EESW_EEDaSR_SS_EUlSR_E0_NS1_11comp_targetILNS1_3genE3ELNS1_11target_archE908ELNS1_3gpuE7ELNS1_3repE0EEENS1_30default_config_static_selectorELNS0_4arch9wavefront6targetE1EEEvT1_,"axG",@progbits,_ZN7rocprim17ROCPRIM_400000_NS6detail17trampoline_kernelINS0_14default_configENS1_20scan_config_selectorIdEEZZNS1_9scan_implILNS1_25lookback_scan_determinismE0ELb0ELb0ES3_PKdPddZZZN2at6native31launch_logcumsumexp_cuda_kernelERKNSB_10TensorBaseESF_lENKUlvE_clEvENKUlvE_clEvEUlddE_dEEDaPvRmT3_T4_T5_mT6_P12ihipStream_tbENKUlT_T0_E_clISt17integral_constantIbLb1EESW_EEDaSR_SS_EUlSR_E0_NS1_11comp_targetILNS1_3genE3ELNS1_11target_archE908ELNS1_3gpuE7ELNS1_3repE0EEENS1_30default_config_static_selectorELNS0_4arch9wavefront6targetE1EEEvT1_,comdat
	.globl	_ZN7rocprim17ROCPRIM_400000_NS6detail17trampoline_kernelINS0_14default_configENS1_20scan_config_selectorIdEEZZNS1_9scan_implILNS1_25lookback_scan_determinismE0ELb0ELb0ES3_PKdPddZZZN2at6native31launch_logcumsumexp_cuda_kernelERKNSB_10TensorBaseESF_lENKUlvE_clEvENKUlvE_clEvEUlddE_dEEDaPvRmT3_T4_T5_mT6_P12ihipStream_tbENKUlT_T0_E_clISt17integral_constantIbLb1EESW_EEDaSR_SS_EUlSR_E0_NS1_11comp_targetILNS1_3genE3ELNS1_11target_archE908ELNS1_3gpuE7ELNS1_3repE0EEENS1_30default_config_static_selectorELNS0_4arch9wavefront6targetE1EEEvT1_ ; -- Begin function _ZN7rocprim17ROCPRIM_400000_NS6detail17trampoline_kernelINS0_14default_configENS1_20scan_config_selectorIdEEZZNS1_9scan_implILNS1_25lookback_scan_determinismE0ELb0ELb0ES3_PKdPddZZZN2at6native31launch_logcumsumexp_cuda_kernelERKNSB_10TensorBaseESF_lENKUlvE_clEvENKUlvE_clEvEUlddE_dEEDaPvRmT3_T4_T5_mT6_P12ihipStream_tbENKUlT_T0_E_clISt17integral_constantIbLb1EESW_EEDaSR_SS_EUlSR_E0_NS1_11comp_targetILNS1_3genE3ELNS1_11target_archE908ELNS1_3gpuE7ELNS1_3repE0EEENS1_30default_config_static_selectorELNS0_4arch9wavefront6targetE1EEEvT1_
	.p2align	8
	.type	_ZN7rocprim17ROCPRIM_400000_NS6detail17trampoline_kernelINS0_14default_configENS1_20scan_config_selectorIdEEZZNS1_9scan_implILNS1_25lookback_scan_determinismE0ELb0ELb0ES3_PKdPddZZZN2at6native31launch_logcumsumexp_cuda_kernelERKNSB_10TensorBaseESF_lENKUlvE_clEvENKUlvE_clEvEUlddE_dEEDaPvRmT3_T4_T5_mT6_P12ihipStream_tbENKUlT_T0_E_clISt17integral_constantIbLb1EESW_EEDaSR_SS_EUlSR_E0_NS1_11comp_targetILNS1_3genE3ELNS1_11target_archE908ELNS1_3gpuE7ELNS1_3repE0EEENS1_30default_config_static_selectorELNS0_4arch9wavefront6targetE1EEEvT1_,@function
_ZN7rocprim17ROCPRIM_400000_NS6detail17trampoline_kernelINS0_14default_configENS1_20scan_config_selectorIdEEZZNS1_9scan_implILNS1_25lookback_scan_determinismE0ELb0ELb0ES3_PKdPddZZZN2at6native31launch_logcumsumexp_cuda_kernelERKNSB_10TensorBaseESF_lENKUlvE_clEvENKUlvE_clEvEUlddE_dEEDaPvRmT3_T4_T5_mT6_P12ihipStream_tbENKUlT_T0_E_clISt17integral_constantIbLb1EESW_EEDaSR_SS_EUlSR_E0_NS1_11comp_targetILNS1_3genE3ELNS1_11target_archE908ELNS1_3gpuE7ELNS1_3repE0EEENS1_30default_config_static_selectorELNS0_4arch9wavefront6targetE1EEEvT1_: ; @_ZN7rocprim17ROCPRIM_400000_NS6detail17trampoline_kernelINS0_14default_configENS1_20scan_config_selectorIdEEZZNS1_9scan_implILNS1_25lookback_scan_determinismE0ELb0ELb0ES3_PKdPddZZZN2at6native31launch_logcumsumexp_cuda_kernelERKNSB_10TensorBaseESF_lENKUlvE_clEvENKUlvE_clEvEUlddE_dEEDaPvRmT3_T4_T5_mT6_P12ihipStream_tbENKUlT_T0_E_clISt17integral_constantIbLb1EESW_EEDaSR_SS_EUlSR_E0_NS1_11comp_targetILNS1_3genE3ELNS1_11target_archE908ELNS1_3gpuE7ELNS1_3repE0EEENS1_30default_config_static_selectorELNS0_4arch9wavefront6targetE1EEEvT1_
; %bb.0:
	.section	.rodata,"a",@progbits
	.p2align	6, 0x0
	.amdhsa_kernel _ZN7rocprim17ROCPRIM_400000_NS6detail17trampoline_kernelINS0_14default_configENS1_20scan_config_selectorIdEEZZNS1_9scan_implILNS1_25lookback_scan_determinismE0ELb0ELb0ES3_PKdPddZZZN2at6native31launch_logcumsumexp_cuda_kernelERKNSB_10TensorBaseESF_lENKUlvE_clEvENKUlvE_clEvEUlddE_dEEDaPvRmT3_T4_T5_mT6_P12ihipStream_tbENKUlT_T0_E_clISt17integral_constantIbLb1EESW_EEDaSR_SS_EUlSR_E0_NS1_11comp_targetILNS1_3genE3ELNS1_11target_archE908ELNS1_3gpuE7ELNS1_3repE0EEENS1_30default_config_static_selectorELNS0_4arch9wavefront6targetE1EEEvT1_
		.amdhsa_group_segment_fixed_size 0
		.amdhsa_private_segment_fixed_size 0
		.amdhsa_kernarg_size 40
		.amdhsa_user_sgpr_count 6
		.amdhsa_user_sgpr_private_segment_buffer 1
		.amdhsa_user_sgpr_dispatch_ptr 0
		.amdhsa_user_sgpr_queue_ptr 0
		.amdhsa_user_sgpr_kernarg_segment_ptr 1
		.amdhsa_user_sgpr_dispatch_id 0
		.amdhsa_user_sgpr_flat_scratch_init 0
		.amdhsa_user_sgpr_private_segment_size 0
		.amdhsa_uses_dynamic_stack 0
		.amdhsa_system_sgpr_private_segment_wavefront_offset 0
		.amdhsa_system_sgpr_workgroup_id_x 1
		.amdhsa_system_sgpr_workgroup_id_y 0
		.amdhsa_system_sgpr_workgroup_id_z 0
		.amdhsa_system_sgpr_workgroup_info 0
		.amdhsa_system_vgpr_workitem_id 0
		.amdhsa_next_free_vgpr 1
		.amdhsa_next_free_sgpr 0
		.amdhsa_reserve_vcc 0
		.amdhsa_reserve_flat_scratch 0
		.amdhsa_float_round_mode_32 0
		.amdhsa_float_round_mode_16_64 0
		.amdhsa_float_denorm_mode_32 3
		.amdhsa_float_denorm_mode_16_64 3
		.amdhsa_dx10_clamp 1
		.amdhsa_ieee_mode 1
		.amdhsa_fp16_overflow 0
		.amdhsa_exception_fp_ieee_invalid_op 0
		.amdhsa_exception_fp_denorm_src 0
		.amdhsa_exception_fp_ieee_div_zero 0
		.amdhsa_exception_fp_ieee_overflow 0
		.amdhsa_exception_fp_ieee_underflow 0
		.amdhsa_exception_fp_ieee_inexact 0
		.amdhsa_exception_int_div_zero 0
	.end_amdhsa_kernel
	.section	.text._ZN7rocprim17ROCPRIM_400000_NS6detail17trampoline_kernelINS0_14default_configENS1_20scan_config_selectorIdEEZZNS1_9scan_implILNS1_25lookback_scan_determinismE0ELb0ELb0ES3_PKdPddZZZN2at6native31launch_logcumsumexp_cuda_kernelERKNSB_10TensorBaseESF_lENKUlvE_clEvENKUlvE_clEvEUlddE_dEEDaPvRmT3_T4_T5_mT6_P12ihipStream_tbENKUlT_T0_E_clISt17integral_constantIbLb1EESW_EEDaSR_SS_EUlSR_E0_NS1_11comp_targetILNS1_3genE3ELNS1_11target_archE908ELNS1_3gpuE7ELNS1_3repE0EEENS1_30default_config_static_selectorELNS0_4arch9wavefront6targetE1EEEvT1_,"axG",@progbits,_ZN7rocprim17ROCPRIM_400000_NS6detail17trampoline_kernelINS0_14default_configENS1_20scan_config_selectorIdEEZZNS1_9scan_implILNS1_25lookback_scan_determinismE0ELb0ELb0ES3_PKdPddZZZN2at6native31launch_logcumsumexp_cuda_kernelERKNSB_10TensorBaseESF_lENKUlvE_clEvENKUlvE_clEvEUlddE_dEEDaPvRmT3_T4_T5_mT6_P12ihipStream_tbENKUlT_T0_E_clISt17integral_constantIbLb1EESW_EEDaSR_SS_EUlSR_E0_NS1_11comp_targetILNS1_3genE3ELNS1_11target_archE908ELNS1_3gpuE7ELNS1_3repE0EEENS1_30default_config_static_selectorELNS0_4arch9wavefront6targetE1EEEvT1_,comdat
.Lfunc_end40:
	.size	_ZN7rocprim17ROCPRIM_400000_NS6detail17trampoline_kernelINS0_14default_configENS1_20scan_config_selectorIdEEZZNS1_9scan_implILNS1_25lookback_scan_determinismE0ELb0ELb0ES3_PKdPddZZZN2at6native31launch_logcumsumexp_cuda_kernelERKNSB_10TensorBaseESF_lENKUlvE_clEvENKUlvE_clEvEUlddE_dEEDaPvRmT3_T4_T5_mT6_P12ihipStream_tbENKUlT_T0_E_clISt17integral_constantIbLb1EESW_EEDaSR_SS_EUlSR_E0_NS1_11comp_targetILNS1_3genE3ELNS1_11target_archE908ELNS1_3gpuE7ELNS1_3repE0EEENS1_30default_config_static_selectorELNS0_4arch9wavefront6targetE1EEEvT1_, .Lfunc_end40-_ZN7rocprim17ROCPRIM_400000_NS6detail17trampoline_kernelINS0_14default_configENS1_20scan_config_selectorIdEEZZNS1_9scan_implILNS1_25lookback_scan_determinismE0ELb0ELb0ES3_PKdPddZZZN2at6native31launch_logcumsumexp_cuda_kernelERKNSB_10TensorBaseESF_lENKUlvE_clEvENKUlvE_clEvEUlddE_dEEDaPvRmT3_T4_T5_mT6_P12ihipStream_tbENKUlT_T0_E_clISt17integral_constantIbLb1EESW_EEDaSR_SS_EUlSR_E0_NS1_11comp_targetILNS1_3genE3ELNS1_11target_archE908ELNS1_3gpuE7ELNS1_3repE0EEENS1_30default_config_static_selectorELNS0_4arch9wavefront6targetE1EEEvT1_
                                        ; -- End function
	.set _ZN7rocprim17ROCPRIM_400000_NS6detail17trampoline_kernelINS0_14default_configENS1_20scan_config_selectorIdEEZZNS1_9scan_implILNS1_25lookback_scan_determinismE0ELb0ELb0ES3_PKdPddZZZN2at6native31launch_logcumsumexp_cuda_kernelERKNSB_10TensorBaseESF_lENKUlvE_clEvENKUlvE_clEvEUlddE_dEEDaPvRmT3_T4_T5_mT6_P12ihipStream_tbENKUlT_T0_E_clISt17integral_constantIbLb1EESW_EEDaSR_SS_EUlSR_E0_NS1_11comp_targetILNS1_3genE3ELNS1_11target_archE908ELNS1_3gpuE7ELNS1_3repE0EEENS1_30default_config_static_selectorELNS0_4arch9wavefront6targetE1EEEvT1_.num_vgpr, 0
	.set _ZN7rocprim17ROCPRIM_400000_NS6detail17trampoline_kernelINS0_14default_configENS1_20scan_config_selectorIdEEZZNS1_9scan_implILNS1_25lookback_scan_determinismE0ELb0ELb0ES3_PKdPddZZZN2at6native31launch_logcumsumexp_cuda_kernelERKNSB_10TensorBaseESF_lENKUlvE_clEvENKUlvE_clEvEUlddE_dEEDaPvRmT3_T4_T5_mT6_P12ihipStream_tbENKUlT_T0_E_clISt17integral_constantIbLb1EESW_EEDaSR_SS_EUlSR_E0_NS1_11comp_targetILNS1_3genE3ELNS1_11target_archE908ELNS1_3gpuE7ELNS1_3repE0EEENS1_30default_config_static_selectorELNS0_4arch9wavefront6targetE1EEEvT1_.num_agpr, 0
	.set _ZN7rocprim17ROCPRIM_400000_NS6detail17trampoline_kernelINS0_14default_configENS1_20scan_config_selectorIdEEZZNS1_9scan_implILNS1_25lookback_scan_determinismE0ELb0ELb0ES3_PKdPddZZZN2at6native31launch_logcumsumexp_cuda_kernelERKNSB_10TensorBaseESF_lENKUlvE_clEvENKUlvE_clEvEUlddE_dEEDaPvRmT3_T4_T5_mT6_P12ihipStream_tbENKUlT_T0_E_clISt17integral_constantIbLb1EESW_EEDaSR_SS_EUlSR_E0_NS1_11comp_targetILNS1_3genE3ELNS1_11target_archE908ELNS1_3gpuE7ELNS1_3repE0EEENS1_30default_config_static_selectorELNS0_4arch9wavefront6targetE1EEEvT1_.numbered_sgpr, 0
	.set _ZN7rocprim17ROCPRIM_400000_NS6detail17trampoline_kernelINS0_14default_configENS1_20scan_config_selectorIdEEZZNS1_9scan_implILNS1_25lookback_scan_determinismE0ELb0ELb0ES3_PKdPddZZZN2at6native31launch_logcumsumexp_cuda_kernelERKNSB_10TensorBaseESF_lENKUlvE_clEvENKUlvE_clEvEUlddE_dEEDaPvRmT3_T4_T5_mT6_P12ihipStream_tbENKUlT_T0_E_clISt17integral_constantIbLb1EESW_EEDaSR_SS_EUlSR_E0_NS1_11comp_targetILNS1_3genE3ELNS1_11target_archE908ELNS1_3gpuE7ELNS1_3repE0EEENS1_30default_config_static_selectorELNS0_4arch9wavefront6targetE1EEEvT1_.num_named_barrier, 0
	.set _ZN7rocprim17ROCPRIM_400000_NS6detail17trampoline_kernelINS0_14default_configENS1_20scan_config_selectorIdEEZZNS1_9scan_implILNS1_25lookback_scan_determinismE0ELb0ELb0ES3_PKdPddZZZN2at6native31launch_logcumsumexp_cuda_kernelERKNSB_10TensorBaseESF_lENKUlvE_clEvENKUlvE_clEvEUlddE_dEEDaPvRmT3_T4_T5_mT6_P12ihipStream_tbENKUlT_T0_E_clISt17integral_constantIbLb1EESW_EEDaSR_SS_EUlSR_E0_NS1_11comp_targetILNS1_3genE3ELNS1_11target_archE908ELNS1_3gpuE7ELNS1_3repE0EEENS1_30default_config_static_selectorELNS0_4arch9wavefront6targetE1EEEvT1_.private_seg_size, 0
	.set _ZN7rocprim17ROCPRIM_400000_NS6detail17trampoline_kernelINS0_14default_configENS1_20scan_config_selectorIdEEZZNS1_9scan_implILNS1_25lookback_scan_determinismE0ELb0ELb0ES3_PKdPddZZZN2at6native31launch_logcumsumexp_cuda_kernelERKNSB_10TensorBaseESF_lENKUlvE_clEvENKUlvE_clEvEUlddE_dEEDaPvRmT3_T4_T5_mT6_P12ihipStream_tbENKUlT_T0_E_clISt17integral_constantIbLb1EESW_EEDaSR_SS_EUlSR_E0_NS1_11comp_targetILNS1_3genE3ELNS1_11target_archE908ELNS1_3gpuE7ELNS1_3repE0EEENS1_30default_config_static_selectorELNS0_4arch9wavefront6targetE1EEEvT1_.uses_vcc, 0
	.set _ZN7rocprim17ROCPRIM_400000_NS6detail17trampoline_kernelINS0_14default_configENS1_20scan_config_selectorIdEEZZNS1_9scan_implILNS1_25lookback_scan_determinismE0ELb0ELb0ES3_PKdPddZZZN2at6native31launch_logcumsumexp_cuda_kernelERKNSB_10TensorBaseESF_lENKUlvE_clEvENKUlvE_clEvEUlddE_dEEDaPvRmT3_T4_T5_mT6_P12ihipStream_tbENKUlT_T0_E_clISt17integral_constantIbLb1EESW_EEDaSR_SS_EUlSR_E0_NS1_11comp_targetILNS1_3genE3ELNS1_11target_archE908ELNS1_3gpuE7ELNS1_3repE0EEENS1_30default_config_static_selectorELNS0_4arch9wavefront6targetE1EEEvT1_.uses_flat_scratch, 0
	.set _ZN7rocprim17ROCPRIM_400000_NS6detail17trampoline_kernelINS0_14default_configENS1_20scan_config_selectorIdEEZZNS1_9scan_implILNS1_25lookback_scan_determinismE0ELb0ELb0ES3_PKdPddZZZN2at6native31launch_logcumsumexp_cuda_kernelERKNSB_10TensorBaseESF_lENKUlvE_clEvENKUlvE_clEvEUlddE_dEEDaPvRmT3_T4_T5_mT6_P12ihipStream_tbENKUlT_T0_E_clISt17integral_constantIbLb1EESW_EEDaSR_SS_EUlSR_E0_NS1_11comp_targetILNS1_3genE3ELNS1_11target_archE908ELNS1_3gpuE7ELNS1_3repE0EEENS1_30default_config_static_selectorELNS0_4arch9wavefront6targetE1EEEvT1_.has_dyn_sized_stack, 0
	.set _ZN7rocprim17ROCPRIM_400000_NS6detail17trampoline_kernelINS0_14default_configENS1_20scan_config_selectorIdEEZZNS1_9scan_implILNS1_25lookback_scan_determinismE0ELb0ELb0ES3_PKdPddZZZN2at6native31launch_logcumsumexp_cuda_kernelERKNSB_10TensorBaseESF_lENKUlvE_clEvENKUlvE_clEvEUlddE_dEEDaPvRmT3_T4_T5_mT6_P12ihipStream_tbENKUlT_T0_E_clISt17integral_constantIbLb1EESW_EEDaSR_SS_EUlSR_E0_NS1_11comp_targetILNS1_3genE3ELNS1_11target_archE908ELNS1_3gpuE7ELNS1_3repE0EEENS1_30default_config_static_selectorELNS0_4arch9wavefront6targetE1EEEvT1_.has_recursion, 0
	.set _ZN7rocprim17ROCPRIM_400000_NS6detail17trampoline_kernelINS0_14default_configENS1_20scan_config_selectorIdEEZZNS1_9scan_implILNS1_25lookback_scan_determinismE0ELb0ELb0ES3_PKdPddZZZN2at6native31launch_logcumsumexp_cuda_kernelERKNSB_10TensorBaseESF_lENKUlvE_clEvENKUlvE_clEvEUlddE_dEEDaPvRmT3_T4_T5_mT6_P12ihipStream_tbENKUlT_T0_E_clISt17integral_constantIbLb1EESW_EEDaSR_SS_EUlSR_E0_NS1_11comp_targetILNS1_3genE3ELNS1_11target_archE908ELNS1_3gpuE7ELNS1_3repE0EEENS1_30default_config_static_selectorELNS0_4arch9wavefront6targetE1EEEvT1_.has_indirect_call, 0
	.section	.AMDGPU.csdata,"",@progbits
; Kernel info:
; codeLenInByte = 0
; TotalNumSgprs: 4
; NumVgprs: 0
; ScratchSize: 0
; MemoryBound: 0
; FloatMode: 240
; IeeeMode: 1
; LDSByteSize: 0 bytes/workgroup (compile time only)
; SGPRBlocks: 0
; VGPRBlocks: 0
; NumSGPRsForWavesPerEU: 4
; NumVGPRsForWavesPerEU: 1
; Occupancy: 10
; WaveLimiterHint : 0
; COMPUTE_PGM_RSRC2:SCRATCH_EN: 0
; COMPUTE_PGM_RSRC2:USER_SGPR: 6
; COMPUTE_PGM_RSRC2:TRAP_HANDLER: 0
; COMPUTE_PGM_RSRC2:TGID_X_EN: 1
; COMPUTE_PGM_RSRC2:TGID_Y_EN: 0
; COMPUTE_PGM_RSRC2:TGID_Z_EN: 0
; COMPUTE_PGM_RSRC2:TIDIG_COMP_CNT: 0
	.section	.text._ZN7rocprim17ROCPRIM_400000_NS6detail17trampoline_kernelINS0_14default_configENS1_20scan_config_selectorIdEEZZNS1_9scan_implILNS1_25lookback_scan_determinismE0ELb0ELb0ES3_PKdPddZZZN2at6native31launch_logcumsumexp_cuda_kernelERKNSB_10TensorBaseESF_lENKUlvE_clEvENKUlvE_clEvEUlddE_dEEDaPvRmT3_T4_T5_mT6_P12ihipStream_tbENKUlT_T0_E_clISt17integral_constantIbLb1EESW_EEDaSR_SS_EUlSR_E0_NS1_11comp_targetILNS1_3genE2ELNS1_11target_archE906ELNS1_3gpuE6ELNS1_3repE0EEENS1_30default_config_static_selectorELNS0_4arch9wavefront6targetE1EEEvT1_,"axG",@progbits,_ZN7rocprim17ROCPRIM_400000_NS6detail17trampoline_kernelINS0_14default_configENS1_20scan_config_selectorIdEEZZNS1_9scan_implILNS1_25lookback_scan_determinismE0ELb0ELb0ES3_PKdPddZZZN2at6native31launch_logcumsumexp_cuda_kernelERKNSB_10TensorBaseESF_lENKUlvE_clEvENKUlvE_clEvEUlddE_dEEDaPvRmT3_T4_T5_mT6_P12ihipStream_tbENKUlT_T0_E_clISt17integral_constantIbLb1EESW_EEDaSR_SS_EUlSR_E0_NS1_11comp_targetILNS1_3genE2ELNS1_11target_archE906ELNS1_3gpuE6ELNS1_3repE0EEENS1_30default_config_static_selectorELNS0_4arch9wavefront6targetE1EEEvT1_,comdat
	.globl	_ZN7rocprim17ROCPRIM_400000_NS6detail17trampoline_kernelINS0_14default_configENS1_20scan_config_selectorIdEEZZNS1_9scan_implILNS1_25lookback_scan_determinismE0ELb0ELb0ES3_PKdPddZZZN2at6native31launch_logcumsumexp_cuda_kernelERKNSB_10TensorBaseESF_lENKUlvE_clEvENKUlvE_clEvEUlddE_dEEDaPvRmT3_T4_T5_mT6_P12ihipStream_tbENKUlT_T0_E_clISt17integral_constantIbLb1EESW_EEDaSR_SS_EUlSR_E0_NS1_11comp_targetILNS1_3genE2ELNS1_11target_archE906ELNS1_3gpuE6ELNS1_3repE0EEENS1_30default_config_static_selectorELNS0_4arch9wavefront6targetE1EEEvT1_ ; -- Begin function _ZN7rocprim17ROCPRIM_400000_NS6detail17trampoline_kernelINS0_14default_configENS1_20scan_config_selectorIdEEZZNS1_9scan_implILNS1_25lookback_scan_determinismE0ELb0ELb0ES3_PKdPddZZZN2at6native31launch_logcumsumexp_cuda_kernelERKNSB_10TensorBaseESF_lENKUlvE_clEvENKUlvE_clEvEUlddE_dEEDaPvRmT3_T4_T5_mT6_P12ihipStream_tbENKUlT_T0_E_clISt17integral_constantIbLb1EESW_EEDaSR_SS_EUlSR_E0_NS1_11comp_targetILNS1_3genE2ELNS1_11target_archE906ELNS1_3gpuE6ELNS1_3repE0EEENS1_30default_config_static_selectorELNS0_4arch9wavefront6targetE1EEEvT1_
	.p2align	8
	.type	_ZN7rocprim17ROCPRIM_400000_NS6detail17trampoline_kernelINS0_14default_configENS1_20scan_config_selectorIdEEZZNS1_9scan_implILNS1_25lookback_scan_determinismE0ELb0ELb0ES3_PKdPddZZZN2at6native31launch_logcumsumexp_cuda_kernelERKNSB_10TensorBaseESF_lENKUlvE_clEvENKUlvE_clEvEUlddE_dEEDaPvRmT3_T4_T5_mT6_P12ihipStream_tbENKUlT_T0_E_clISt17integral_constantIbLb1EESW_EEDaSR_SS_EUlSR_E0_NS1_11comp_targetILNS1_3genE2ELNS1_11target_archE906ELNS1_3gpuE6ELNS1_3repE0EEENS1_30default_config_static_selectorELNS0_4arch9wavefront6targetE1EEEvT1_,@function
_ZN7rocprim17ROCPRIM_400000_NS6detail17trampoline_kernelINS0_14default_configENS1_20scan_config_selectorIdEEZZNS1_9scan_implILNS1_25lookback_scan_determinismE0ELb0ELb0ES3_PKdPddZZZN2at6native31launch_logcumsumexp_cuda_kernelERKNSB_10TensorBaseESF_lENKUlvE_clEvENKUlvE_clEvEUlddE_dEEDaPvRmT3_T4_T5_mT6_P12ihipStream_tbENKUlT_T0_E_clISt17integral_constantIbLb1EESW_EEDaSR_SS_EUlSR_E0_NS1_11comp_targetILNS1_3genE2ELNS1_11target_archE906ELNS1_3gpuE6ELNS1_3repE0EEENS1_30default_config_static_selectorELNS0_4arch9wavefront6targetE1EEEvT1_: ; @_ZN7rocprim17ROCPRIM_400000_NS6detail17trampoline_kernelINS0_14default_configENS1_20scan_config_selectorIdEEZZNS1_9scan_implILNS1_25lookback_scan_determinismE0ELb0ELb0ES3_PKdPddZZZN2at6native31launch_logcumsumexp_cuda_kernelERKNSB_10TensorBaseESF_lENKUlvE_clEvENKUlvE_clEvEUlddE_dEEDaPvRmT3_T4_T5_mT6_P12ihipStream_tbENKUlT_T0_E_clISt17integral_constantIbLb1EESW_EEDaSR_SS_EUlSR_E0_NS1_11comp_targetILNS1_3genE2ELNS1_11target_archE906ELNS1_3gpuE6ELNS1_3repE0EEENS1_30default_config_static_selectorELNS0_4arch9wavefront6targetE1EEEvT1_
; %bb.0:
	s_load_dwordx4 s[20:23], s[4:5], 0x0
	v_lshlrev_b32_e32 v57, 3, v0
	s_waitcnt lgkmcnt(0)
	s_load_dwordx2 s[18:19], s[20:21], 0x0
	v_cmp_gt_u32_e32 vcc, s22, v0
	s_waitcnt lgkmcnt(0)
	v_mov_b32_e32 v1, s18
	v_mov_b32_e32 v2, s19
	s_and_saveexec_b64 s[0:1], vcc
	s_cbranch_execz .LBB41_2
; %bb.1:
	global_load_dwordx2 v[1:2], v57, s[20:21]
.LBB41_2:
	s_or_b64 exec, exec, s[0:1]
	v_or_b32_e32 v3, 0x80, v0
	v_cmp_gt_u32_e64 s[0:1], s22, v3
	v_mov_b32_e32 v3, s18
	v_mov_b32_e32 v4, s19
	s_and_saveexec_b64 s[2:3], s[0:1]
	s_cbranch_execz .LBB41_4
; %bb.3:
	global_load_dwordx2 v[3:4], v57, s[20:21] offset:1024
.LBB41_4:
	s_or_b64 exec, exec, s[2:3]
	v_or_b32_e32 v5, 0x100, v0
	v_cmp_gt_u32_e64 s[2:3], s22, v5
	v_mov_b32_e32 v5, s18
	v_mov_b32_e32 v6, s19
	s_and_saveexec_b64 s[6:7], s[2:3]
	s_cbranch_execz .LBB41_6
; %bb.5:
	global_load_dwordx2 v[5:6], v57, s[20:21] offset:2048
.LBB41_6:
	;; [unrolled: 10-line block ×3, first 2 shown]
	s_or_b64 exec, exec, s[6:7]
	v_or_b32_e32 v11, 0x200, v0
	v_mov_b32_e32 v9, s18
	v_cmp_gt_u32_e64 s[6:7], s22, v11
	v_mov_b32_e32 v10, s19
	s_and_saveexec_b64 s[8:9], s[6:7]
	s_cbranch_execz .LBB41_10
; %bb.9:
	v_lshlrev_b32_e32 v9, 3, v11
	global_load_dwordx2 v[9:10], v9, s[20:21]
.LBB41_10:
	s_or_b64 exec, exec, s[8:9]
	v_or_b32_e32 v13, 0x280, v0
	v_mov_b32_e32 v11, s18
	v_cmp_gt_u32_e64 s[8:9], s22, v13
	v_mov_b32_e32 v12, s19
	s_and_saveexec_b64 s[10:11], s[8:9]
	s_cbranch_execz .LBB41_12
; %bb.11:
	v_lshlrev_b32_e32 v11, 3, v13
	global_load_dwordx2 v[11:12], v11, s[20:21]
.LBB41_12:
	;; [unrolled: 11-line block ×6, first 2 shown]
	s_or_b64 exec, exec, s[18:19]
	s_movk_i32 s18, 0x48
	s_waitcnt vmcnt(0)
	ds_write2st64_b64 v57, v[1:2], v[3:4] offset1:2
	ds_write2st64_b64 v57, v[5:6], v[7:8] offset0:4 offset1:6
	ds_write2st64_b64 v57, v[9:10], v[11:12] offset0:8 offset1:10
	;; [unrolled: 1-line block ×4, first 2 shown]
	v_mad_u32_u24 v5, v0, s18, v57
	s_waitcnt lgkmcnt(0)
	s_barrier
	ds_read_b128 v[1:4], v5
	ds_read_b128 v[17:20], v5 offset:16
	s_movk_i32 s30, 0x1f8
	s_waitcnt lgkmcnt(1)
	v_max_f64 v[29:30], v[3:4], v[3:4]
	v_max_f64 v[47:48], v[1:2], v[1:2]
	v_cmp_u_f64_e64 s[38:39], v[1:2], v[1:2]
	v_cmp_u_f64_e64 s[18:19], v[3:4], v[3:4]
	v_mov_b32_e32 v50, v2
	v_mov_b32_e32 v49, v1
	v_min_f64 v[43:44], v[47:48], v[29:30]
	v_max_f64 v[45:46], v[47:48], v[29:30]
	v_cndmask_b32_e64 v6, v43, v1, s[38:39]
	v_cndmask_b32_e64 v7, v44, v2, s[38:39]
	;; [unrolled: 1-line block ×8, first 2 shown]
	v_cmp_neq_f64_e64 s[20:21], v[23:24], v[21:22]
	v_cmp_class_f64_e64 s[22:23], v[23:24], s30
	ds_read_b128 v[13:16], v5 offset:32
	ds_read_b128 v[9:12], v5 offset:48
	ds_read_b128 v[5:8], v5 offset:64
	s_waitcnt lgkmcnt(0)
	s_barrier
	s_or_b64 s[20:21], s[20:21], s[22:23]
	s_and_saveexec_b64 s[24:25], s[20:21]
	s_cbranch_execz .LBB41_22
; %bb.21:
	v_add_f64 v[23:24], v[23:24], -v[21:22]
	s_mov_b32 s20, 0x652b82fe
	s_mov_b32 s21, 0x3ff71547
	s_mov_b32 s27, 0xbfe62e42
	s_mov_b32 s26, 0xfefa39ef
	s_mov_b32 s29, 0xbc7abc9e
	s_mov_b32 s28, 0x3b39803f
	v_mov_b32_e32 v31, 0xfca7ab0c
	v_mul_f64 v[25:26], v[23:24], s[20:21]
	s_mov_b32 s20, 0x6a5dcb37
	v_mov_b32_e32 v32, 0x3e928af3
	s_mov_b32 s21, 0x3e5ade15
	s_mov_b32 s22, 0
	;; [unrolled: 1-line block ×3, first 2 shown]
	v_cmp_ngt_f64_e64 s[22:23], s[22:23], v[23:24]
	v_mov_b32_e32 v55, 0x7ff00000
	v_rndne_f64_e32 v[25:26], v[25:26]
	v_fma_f64 v[27:28], v[25:26], s[26:27], v[23:24]
	s_mov_b32 s27, 0x3fe62e42
	v_fma_f64 v[27:28], v[25:26], s[28:29], v[27:28]
	v_cvt_i32_f64_e32 v25, v[25:26]
	s_mov_b32 s29, 0x3c7abc9e
	v_fma_f64 v[31:32], v[27:28], s[20:21], v[31:32]
	s_mov_b32 s20, 0x623fde64
	s_mov_b32 s21, 0x3ec71dee
	v_fma_f64 v[31:32], v[27:28], v[31:32], s[20:21]
	s_mov_b32 s20, 0x7c89e6b0
	;; [unrolled: 3-line block ×9, first 2 shown]
	s_mov_b32 s21, 0x40900000
	v_cmp_nlt_f64_e64 s[20:21], s[20:21], v[23:24]
	v_fma_f64 v[31:32], v[27:28], v[31:32], 1.0
	v_fma_f64 v[27:28], v[27:28], v[31:32], 1.0
	v_ldexp_f64 v[25:26], v[27:28], v25
	v_cndmask_b32_e64 v26, v55, v26, s[20:21]
	s_and_b64 s[20:21], s[22:23], s[20:21]
	v_cndmask_b32_e64 v24, 0, v26, s[22:23]
	v_cndmask_b32_e64 v23, 0, v25, s[20:21]
	v_add_f64 v[25:26], v[23:24], 1.0
	s_mov_b32 s23, 0x3fe55555
	s_mov_b32 s22, 0x55555555
	v_frexp_mant_f64_e32 v[31:32], v[25:26]
	v_frexp_exp_i32_f64_e32 v35, v[25:26]
	v_add_f64 v[27:28], v[25:26], -1.0
	v_cmp_gt_f64_e64 s[20:21], s[22:23], v[31:32]
	s_mov_b32 s22, 0x55555780
	v_add_f64 v[33:34], v[27:28], -v[25:26]
	v_add_f64 v[27:28], v[23:24], -v[27:28]
	v_subbrev_co_u32_e64 v56, s[20:21], 0, v35, s[20:21]
	v_sub_u32_e32 v35, 0, v56
	v_ldexp_f64 v[25:26], v[25:26], v35
	v_add_f64 v[31:32], v[33:34], 1.0
	s_mov_b32 s20, 0xbf559e2b
	s_mov_b32 s21, 0x3fc3ab76
	v_add_f64 v[33:34], v[25:26], 1.0
	v_add_f64 v[27:28], v[27:28], v[31:32]
	v_add_f64 v[39:40], v[25:26], -1.0
	v_add_f64 v[31:32], v[33:34], -1.0
	v_ldexp_f64 v[27:28], v[27:28], v35
	v_add_f64 v[41:42], v[39:40], 1.0
	v_add_f64 v[31:32], v[25:26], -v[31:32]
	v_add_f64 v[25:26], v[25:26], -v[41:42]
	v_add_f64 v[31:32], v[27:28], v[31:32]
	v_add_f64 v[25:26], v[27:28], v[25:26]
	;; [unrolled: 1-line block ×4, first 2 shown]
	v_rcp_f64_e32 v[37:38], v[35:36]
	v_add_f64 v[33:34], v[35:36], -v[33:34]
	v_add_f64 v[39:40], v[41:42], -v[39:40]
	;; [unrolled: 1-line block ×4, first 2 shown]
	v_fma_f64 v[49:50], -v[35:36], v[37:38], 1.0
	v_fma_f64 v[37:38], v[49:50], v[37:38], v[37:38]
	v_fma_f64 v[27:28], -v[35:36], v[37:38], 1.0
	v_fma_f64 v[27:28], v[27:28], v[37:38], v[37:38]
	v_mul_f64 v[37:38], v[41:42], v[27:28]
	v_mul_f64 v[49:50], v[35:36], v[37:38]
	v_fma_f64 v[33:34], v[37:38], v[35:36], -v[49:50]
	v_fma_f64 v[33:34], v[37:38], v[31:32], v[33:34]
	v_add_f64 v[51:52], v[49:50], v[33:34]
	v_add_f64 v[53:54], v[41:42], -v[51:52]
	v_add_f64 v[39:40], v[51:52], -v[49:50]
	;; [unrolled: 1-line block ×5, first 2 shown]
	v_add_f64 v[25:26], v[25:26], v[41:42]
	v_add_f64 v[25:26], v[33:34], v[25:26]
	;; [unrolled: 1-line block ×3, first 2 shown]
	v_mul_f64 v[39:40], v[27:28], v[33:34]
	v_add_f64 v[51:52], v[53:54], -v[33:34]
	v_mul_f64 v[41:42], v[35:36], v[39:40]
	v_add_f64 v[25:26], v[25:26], v[51:52]
	v_fma_f64 v[35:36], v[39:40], v[35:36], -v[41:42]
	v_fma_f64 v[31:32], v[39:40], v[31:32], v[35:36]
	v_add_f64 v[35:36], v[41:42], v[31:32]
	v_add_f64 v[49:50], v[33:34], -v[35:36]
	v_add_f64 v[41:42], v[35:36], -v[41:42]
	v_add_f64 v[33:34], v[33:34], -v[49:50]
	v_add_f64 v[31:32], v[41:42], -v[31:32]
	v_add_f64 v[33:34], v[33:34], -v[35:36]
	v_mov_b32_e32 v35, 0x6b47b09a
	v_mov_b32_e32 v36, 0x3fc38538
	v_add_f64 v[25:26], v[25:26], v[33:34]
	v_add_f64 v[33:34], v[37:38], v[39:40]
	;; [unrolled: 1-line block ×3, first 2 shown]
	v_add_f64 v[31:32], v[33:34], -v[37:38]
	v_add_f64 v[25:26], v[49:50], v[25:26]
	v_add_f64 v[31:32], v[39:40], -v[31:32]
	v_mul_f64 v[25:26], v[27:28], v[25:26]
	v_add_f64 v[25:26], v[31:32], v[25:26]
	v_add_f64 v[27:28], v[33:34], v[25:26]
	v_mul_f64 v[31:32], v[27:28], v[27:28]
	v_fma_f64 v[35:36], v[31:32], s[20:21], v[35:36]
	s_mov_b32 s20, 0xd7f4df2e
	s_mov_b32 s21, 0x3fc7474d
	v_mul_f64 v[37:38], v[27:28], v[31:32]
	v_fma_f64 v[35:36], v[31:32], v[35:36], s[20:21]
	s_mov_b32 s20, 0x16291751
	s_mov_b32 s21, 0x3fcc71c0
	v_fma_f64 v[35:36], v[31:32], v[35:36], s[20:21]
	s_mov_b32 s20, 0x9b27acf1
	s_mov_b32 s21, 0x3fd24924
	;; [unrolled: 3-line block ×3, first 2 shown]
	v_fma_f64 v[35:36], v[31:32], v[35:36], s[20:21]
	v_cmp_nge_f64_e64 s[20:21], -1.0, v[23:24]
	v_fma_f64 v[31:32], v[31:32], v[35:36], s[22:23]
	v_ldexp_f64 v[35:36], v[27:28], 1
	v_add_f64 v[27:28], v[27:28], -v[33:34]
	s_mov_b32 s22, 0
	s_mov_b32 s23, 0x7ff00000
	v_cmp_neq_f64_e64 s[22:23], s[22:23], v[23:24]
	v_mul_f64 v[31:32], v[37:38], v[31:32]
	v_cvt_f64_i32_e32 v[37:38], v56
	v_add_f64 v[25:26], v[25:26], -v[27:28]
	v_mul_f64 v[39:40], v[37:38], s[26:27]
	s_and_b64 s[20:21], s[20:21], s[22:23]
	v_add_f64 v[33:34], v[35:36], v[31:32]
	v_ldexp_f64 v[25:26], v[25:26], 1
	v_add_f64 v[27:28], v[33:34], -v[35:36]
	v_fma_f64 v[35:36], v[37:38], s[26:27], -v[39:40]
	v_add_f64 v[27:28], v[31:32], -v[27:28]
	v_fma_f64 v[31:32], v[37:38], s[28:29], v[35:36]
	v_add_f64 v[25:26], v[25:26], v[27:28]
	v_add_f64 v[27:28], v[39:40], v[31:32]
	;; [unrolled: 1-line block ×3, first 2 shown]
	v_add_f64 v[39:40], v[27:28], -v[39:40]
	v_add_f64 v[37:38], v[27:28], v[35:36]
	v_add_f64 v[33:34], v[35:36], -v[33:34]
	v_add_f64 v[31:32], v[31:32], -v[39:40]
	;; [unrolled: 1-line block ×6, first 2 shown]
	v_add_f64 v[35:36], v[31:32], v[25:26]
	v_add_f64 v[27:28], v[27:28], -v[49:50]
	v_add_f64 v[27:28], v[33:34], v[27:28]
	v_add_f64 v[33:34], v[35:36], -v[31:32]
	v_add_f64 v[27:28], v[35:36], v[27:28]
	v_add_f64 v[35:36], v[35:36], -v[33:34]
	v_add_f64 v[25:26], v[25:26], -v[33:34]
	v_add_f64 v[39:40], v[37:38], v[27:28]
	v_add_f64 v[31:32], v[31:32], -v[35:36]
	v_add_f64 v[33:34], v[39:40], -v[37:38]
	v_add_f64 v[25:26], v[25:26], v[31:32]
	v_add_f64 v[27:28], v[27:28], -v[33:34]
	v_add_f64 v[25:26], v[25:26], v[27:28]
	v_mov_b32_e32 v27, 0x7ff80000
	v_mov_b32_e32 v28, 0xfff00000
	v_add_f64 v[25:26], v[39:40], v[25:26]
	v_cndmask_b32_e64 v25, 0, v25, s[20:21]
	v_cmp_ngt_f64_e64 s[20:21], -1.0, v[23:24]
	v_cndmask_b32_e64 v26, v55, v26, s[22:23]
	v_cndmask_b32_e64 v26, v27, v26, s[20:21]
	v_cmp_neq_f64_e64 s[20:21], -1.0, v[23:24]
	v_cndmask_b32_e64 v26, v28, v26, s[20:21]
	v_add_f64 v[49:50], v[21:22], v[25:26]
.LBB41_22:
	s_or_b64 exec, exec, s[24:25]
	v_max_f64 v[25:26], v[17:18], v[17:18]
	v_max_f64 v[21:22], v[49:50], v[49:50]
	v_cmp_u_f64_e64 s[20:21], v[49:50], v[49:50]
	v_cmp_u_f64_e64 s[22:23], v[17:18], v[17:18]
	v_min_f64 v[23:24], v[21:22], v[25:26]
	v_max_f64 v[21:22], v[21:22], v[25:26]
	v_cndmask_b32_e64 v23, v23, v49, s[20:21]
	v_cndmask_b32_e64 v24, v24, v50, s[20:21]
	;; [unrolled: 1-line block ×8, first 2 shown]
	v_cmp_neq_f64_e64 s[20:21], v[23:24], v[21:22]
	v_cmp_class_f64_e64 s[24:25], v[23:24], s30
	s_or_b64 s[20:21], s[20:21], s[24:25]
	s_and_saveexec_b64 s[26:27], s[20:21]
	s_cbranch_execz .LBB41_24
; %bb.23:
	v_add_f64 v[23:24], v[23:24], -v[21:22]
	s_mov_b32 s20, 0x652b82fe
	s_mov_b32 s21, 0x3ff71547
	;; [unrolled: 1-line block ×6, first 2 shown]
	v_mov_b32_e32 v33, 0xfca7ab0c
	v_mul_f64 v[27:28], v[23:24], s[20:21]
	s_mov_b32 s20, 0x6a5dcb37
	v_mov_b32_e32 v34, 0x3e928af3
	s_mov_b32 s21, 0x3e5ade15
	s_mov_b32 s24, 0
	;; [unrolled: 1-line block ×3, first 2 shown]
	v_cmp_ngt_f64_e64 s[24:25], s[24:25], v[23:24]
	v_mov_b32_e32 v58, 0x7ff00000
	v_rndne_f64_e32 v[27:28], v[27:28]
	v_fma_f64 v[31:32], v[27:28], s[28:29], v[23:24]
	s_mov_b32 s29, 0x3fe62e42
	v_fma_f64 v[31:32], v[27:28], s[30:31], v[31:32]
	v_cvt_i32_f64_e32 v27, v[27:28]
	s_mov_b32 s31, 0x3c7abc9e
	v_fma_f64 v[33:34], v[31:32], s[20:21], v[33:34]
	s_mov_b32 s20, 0x623fde64
	s_mov_b32 s21, 0x3ec71dee
	v_fma_f64 v[33:34], v[31:32], v[33:34], s[20:21]
	s_mov_b32 s20, 0x7c89e6b0
	;; [unrolled: 3-line block ×9, first 2 shown]
	s_mov_b32 s21, 0x40900000
	v_cmp_nlt_f64_e64 s[20:21], s[20:21], v[23:24]
	v_fma_f64 v[33:34], v[31:32], v[33:34], 1.0
	v_fma_f64 v[31:32], v[31:32], v[33:34], 1.0
	v_ldexp_f64 v[27:28], v[31:32], v27
	v_cndmask_b32_e64 v28, v58, v28, s[20:21]
	s_and_b64 s[20:21], s[24:25], s[20:21]
	v_cndmask_b32_e64 v24, 0, v28, s[24:25]
	v_cndmask_b32_e64 v23, 0, v27, s[20:21]
	v_add_f64 v[27:28], v[23:24], 1.0
	s_mov_b32 s25, 0x3fe55555
	s_mov_b32 s24, 0x55555555
	v_frexp_mant_f64_e32 v[33:34], v[27:28]
	v_frexp_exp_i32_f64_e32 v37, v[27:28]
	v_add_f64 v[31:32], v[27:28], -1.0
	v_cmp_gt_f64_e64 s[20:21], s[24:25], v[33:34]
	s_mov_b32 s24, 0x55555780
	v_add_f64 v[35:36], v[31:32], -v[27:28]
	v_add_f64 v[31:32], v[23:24], -v[31:32]
	v_subbrev_co_u32_e64 v59, s[20:21], 0, v37, s[20:21]
	v_sub_u32_e32 v37, 0, v59
	v_ldexp_f64 v[27:28], v[27:28], v37
	v_add_f64 v[33:34], v[35:36], 1.0
	s_mov_b32 s20, 0xbf559e2b
	s_mov_b32 s21, 0x3fc3ab76
	v_add_f64 v[35:36], v[27:28], 1.0
	v_add_f64 v[31:32], v[31:32], v[33:34]
	v_add_f64 v[41:42], v[27:28], -1.0
	v_add_f64 v[33:34], v[35:36], -1.0
	v_ldexp_f64 v[31:32], v[31:32], v37
	v_add_f64 v[49:50], v[41:42], 1.0
	v_add_f64 v[33:34], v[27:28], -v[33:34]
	v_add_f64 v[27:28], v[27:28], -v[49:50]
	v_add_f64 v[33:34], v[31:32], v[33:34]
	v_add_f64 v[27:28], v[31:32], v[27:28]
	;; [unrolled: 1-line block ×4, first 2 shown]
	v_rcp_f64_e32 v[39:40], v[37:38]
	v_add_f64 v[35:36], v[37:38], -v[35:36]
	v_add_f64 v[41:42], v[49:50], -v[41:42]
	;; [unrolled: 1-line block ×4, first 2 shown]
	v_fma_f64 v[51:52], -v[37:38], v[39:40], 1.0
	v_fma_f64 v[39:40], v[51:52], v[39:40], v[39:40]
	v_fma_f64 v[31:32], -v[37:38], v[39:40], 1.0
	v_fma_f64 v[31:32], v[31:32], v[39:40], v[39:40]
	v_mul_f64 v[39:40], v[49:50], v[31:32]
	v_mul_f64 v[51:52], v[37:38], v[39:40]
	v_fma_f64 v[35:36], v[39:40], v[37:38], -v[51:52]
	v_fma_f64 v[35:36], v[39:40], v[33:34], v[35:36]
	v_add_f64 v[53:54], v[51:52], v[35:36]
	v_add_f64 v[55:56], v[49:50], -v[53:54]
	v_add_f64 v[41:42], v[53:54], -v[51:52]
	;; [unrolled: 1-line block ×5, first 2 shown]
	v_add_f64 v[27:28], v[27:28], v[49:50]
	v_add_f64 v[27:28], v[35:36], v[27:28]
	;; [unrolled: 1-line block ×3, first 2 shown]
	v_mul_f64 v[41:42], v[31:32], v[35:36]
	v_add_f64 v[53:54], v[55:56], -v[35:36]
	v_mul_f64 v[49:50], v[37:38], v[41:42]
	v_add_f64 v[27:28], v[27:28], v[53:54]
	v_fma_f64 v[37:38], v[41:42], v[37:38], -v[49:50]
	v_fma_f64 v[33:34], v[41:42], v[33:34], v[37:38]
	v_add_f64 v[37:38], v[49:50], v[33:34]
	v_add_f64 v[51:52], v[35:36], -v[37:38]
	v_add_f64 v[49:50], v[37:38], -v[49:50]
	;; [unrolled: 1-line block ×5, first 2 shown]
	v_mov_b32_e32 v37, 0x6b47b09a
	v_mov_b32_e32 v38, 0x3fc38538
	v_add_f64 v[27:28], v[27:28], v[35:36]
	v_add_f64 v[35:36], v[39:40], v[41:42]
	;; [unrolled: 1-line block ×3, first 2 shown]
	v_add_f64 v[33:34], v[35:36], -v[39:40]
	v_add_f64 v[27:28], v[51:52], v[27:28]
	v_add_f64 v[33:34], v[41:42], -v[33:34]
	v_mul_f64 v[27:28], v[31:32], v[27:28]
	v_add_f64 v[27:28], v[33:34], v[27:28]
	v_add_f64 v[31:32], v[35:36], v[27:28]
	v_mul_f64 v[33:34], v[31:32], v[31:32]
	v_fma_f64 v[37:38], v[33:34], s[20:21], v[37:38]
	s_mov_b32 s20, 0xd7f4df2e
	s_mov_b32 s21, 0x3fc7474d
	v_mul_f64 v[39:40], v[31:32], v[33:34]
	v_fma_f64 v[37:38], v[33:34], v[37:38], s[20:21]
	s_mov_b32 s20, 0x16291751
	s_mov_b32 s21, 0x3fcc71c0
	v_fma_f64 v[37:38], v[33:34], v[37:38], s[20:21]
	s_mov_b32 s20, 0x9b27acf1
	s_mov_b32 s21, 0x3fd24924
	;; [unrolled: 3-line block ×3, first 2 shown]
	v_fma_f64 v[37:38], v[33:34], v[37:38], s[20:21]
	v_cmp_nge_f64_e64 s[20:21], -1.0, v[23:24]
	v_fma_f64 v[33:34], v[33:34], v[37:38], s[24:25]
	v_ldexp_f64 v[37:38], v[31:32], 1
	v_add_f64 v[31:32], v[31:32], -v[35:36]
	s_mov_b32 s24, 0
	s_mov_b32 s25, 0x7ff00000
	v_cmp_neq_f64_e64 s[24:25], s[24:25], v[23:24]
	v_mul_f64 v[33:34], v[39:40], v[33:34]
	v_cvt_f64_i32_e32 v[39:40], v59
	v_add_f64 v[27:28], v[27:28], -v[31:32]
	v_mul_f64 v[41:42], v[39:40], s[28:29]
	s_and_b64 s[20:21], s[20:21], s[24:25]
	v_add_f64 v[35:36], v[37:38], v[33:34]
	v_ldexp_f64 v[27:28], v[27:28], 1
	v_add_f64 v[31:32], v[35:36], -v[37:38]
	v_fma_f64 v[37:38], v[39:40], s[28:29], -v[41:42]
	v_add_f64 v[31:32], v[33:34], -v[31:32]
	v_fma_f64 v[33:34], v[39:40], s[30:31], v[37:38]
	v_add_f64 v[27:28], v[27:28], v[31:32]
	v_add_f64 v[31:32], v[41:42], v[33:34]
	;; [unrolled: 1-line block ×3, first 2 shown]
	v_add_f64 v[41:42], v[31:32], -v[41:42]
	v_add_f64 v[39:40], v[31:32], v[37:38]
	v_add_f64 v[35:36], v[37:38], -v[35:36]
	v_add_f64 v[33:34], v[33:34], -v[41:42]
	;; [unrolled: 1-line block ×6, first 2 shown]
	v_add_f64 v[37:38], v[33:34], v[27:28]
	v_add_f64 v[31:32], v[31:32], -v[51:52]
	v_add_f64 v[31:32], v[35:36], v[31:32]
	v_add_f64 v[35:36], v[37:38], -v[33:34]
	;; [unrolled: 2-line block ×3, first 2 shown]
	v_add_f64 v[27:28], v[27:28], -v[35:36]
	v_add_f64 v[41:42], v[39:40], v[31:32]
	v_add_f64 v[33:34], v[33:34], -v[37:38]
	v_add_f64 v[35:36], v[41:42], -v[39:40]
	v_add_f64 v[27:28], v[27:28], v[33:34]
	v_add_f64 v[31:32], v[31:32], -v[35:36]
	v_add_f64 v[27:28], v[27:28], v[31:32]
	v_mov_b32_e32 v31, 0x7ff80000
	v_mov_b32_e32 v32, 0xfff00000
	v_add_f64 v[27:28], v[41:42], v[27:28]
	v_cndmask_b32_e64 v27, 0, v27, s[20:21]
	v_cmp_ngt_f64_e64 s[20:21], -1.0, v[23:24]
	v_cndmask_b32_e64 v28, v58, v28, s[24:25]
	v_cndmask_b32_e64 v28, v31, v28, s[20:21]
	v_cmp_neq_f64_e64 s[20:21], -1.0, v[23:24]
	v_cndmask_b32_e64 v28, v32, v28, s[20:21]
	v_add_f64 v[49:50], v[21:22], v[27:28]
.LBB41_24:
	s_or_b64 exec, exec, s[26:27]
	v_max_f64 v[27:28], v[19:20], v[19:20]
	v_max_f64 v[21:22], v[49:50], v[49:50]
	v_cmp_u_f64_e64 s[24:25], v[49:50], v[49:50]
	v_cmp_u_f64_e64 s[20:21], v[19:20], v[19:20]
	s_movk_i32 s33, 0x1f8
	v_min_f64 v[23:24], v[21:22], v[27:28]
	v_max_f64 v[21:22], v[21:22], v[27:28]
	v_cndmask_b32_e64 v23, v23, v49, s[24:25]
	v_cndmask_b32_e64 v24, v24, v50, s[24:25]
	v_cndmask_b32_e64 v21, v21, v49, s[24:25]
	v_cndmask_b32_e64 v22, v22, v50, s[24:25]
	v_cndmask_b32_e64 v24, v24, v20, s[20:21]
	v_cndmask_b32_e64 v23, v23, v19, s[20:21]
	v_cndmask_b32_e64 v22, v22, v20, s[20:21]
	v_cndmask_b32_e64 v21, v21, v19, s[20:21]
	v_cmp_neq_f64_e64 s[24:25], v[23:24], v[21:22]
	v_cmp_class_f64_e64 s[26:27], v[23:24], s33
	s_or_b64 s[24:25], s[24:25], s[26:27]
	s_and_saveexec_b64 s[28:29], s[24:25]
	s_cbranch_execz .LBB41_26
; %bb.25:
	v_add_f64 v[23:24], v[23:24], -v[21:22]
	s_mov_b32 s24, 0x652b82fe
	s_mov_b32 s25, 0x3ff71547
	;; [unrolled: 1-line block ×6, first 2 shown]
	v_mov_b32_e32 v35, 0xfca7ab0c
	v_mul_f64 v[31:32], v[23:24], s[24:25]
	s_mov_b32 s24, 0x6a5dcb37
	v_mov_b32_e32 v36, 0x3e928af3
	s_mov_b32 s25, 0x3e5ade15
	s_mov_b32 s26, 0
	;; [unrolled: 1-line block ×3, first 2 shown]
	v_cmp_ngt_f64_e64 s[26:27], s[26:27], v[23:24]
	v_mov_b32_e32 v60, 0x7ff00000
	v_rndne_f64_e32 v[31:32], v[31:32]
	v_fma_f64 v[33:34], v[31:32], s[30:31], v[23:24]
	s_mov_b32 s31, 0x3fe62e42
	v_fma_f64 v[33:34], v[31:32], s[34:35], v[33:34]
	v_cvt_i32_f64_e32 v31, v[31:32]
	s_mov_b32 s35, 0x3c7abc9e
	v_fma_f64 v[35:36], v[33:34], s[24:25], v[35:36]
	s_mov_b32 s24, 0x623fde64
	s_mov_b32 s25, 0x3ec71dee
	v_fma_f64 v[35:36], v[33:34], v[35:36], s[24:25]
	s_mov_b32 s24, 0x7c89e6b0
	s_mov_b32 s25, 0x3efa0199
	v_fma_f64 v[35:36], v[33:34], v[35:36], s[24:25]
	s_mov_b32 s24, 0x14761f6e
	s_mov_b32 s25, 0x3f2a01a0
	v_fma_f64 v[35:36], v[33:34], v[35:36], s[24:25]
	s_mov_b32 s24, 0x1852b7b0
	s_mov_b32 s25, 0x3f56c16c
	v_fma_f64 v[35:36], v[33:34], v[35:36], s[24:25]
	s_mov_b32 s24, 0x11122322
	s_mov_b32 s25, 0x3f811111
	v_fma_f64 v[35:36], v[33:34], v[35:36], s[24:25]
	s_mov_b32 s24, 0x555502a1
	s_mov_b32 s25, 0x3fa55555
	v_fma_f64 v[35:36], v[33:34], v[35:36], s[24:25]
	s_mov_b32 s24, 0x55555511
	s_mov_b32 s25, 0x3fc55555
	v_fma_f64 v[35:36], v[33:34], v[35:36], s[24:25]
	s_mov_b32 s24, 11
	s_mov_b32 s25, 0x3fe00000
	v_fma_f64 v[35:36], v[33:34], v[35:36], s[24:25]
	s_mov_b32 s24, 0
	s_mov_b32 s25, 0x40900000
	v_cmp_nlt_f64_e64 s[24:25], s[24:25], v[23:24]
	v_fma_f64 v[35:36], v[33:34], v[35:36], 1.0
	v_fma_f64 v[33:34], v[33:34], v[35:36], 1.0
	v_ldexp_f64 v[31:32], v[33:34], v31
	v_cndmask_b32_e64 v32, v60, v32, s[24:25]
	s_and_b64 s[24:25], s[26:27], s[24:25]
	v_cndmask_b32_e64 v24, 0, v32, s[26:27]
	v_cndmask_b32_e64 v23, 0, v31, s[24:25]
	v_add_f64 v[31:32], v[23:24], 1.0
	s_mov_b32 s27, 0x3fe55555
	s_mov_b32 s26, 0x55555555
	v_frexp_mant_f64_e32 v[35:36], v[31:32]
	v_frexp_exp_i32_f64_e32 v39, v[31:32]
	v_add_f64 v[33:34], v[31:32], -1.0
	v_cmp_gt_f64_e64 s[24:25], s[26:27], v[35:36]
	s_mov_b32 s26, 0x55555780
	v_add_f64 v[37:38], v[33:34], -v[31:32]
	v_add_f64 v[33:34], v[23:24], -v[33:34]
	v_subbrev_co_u32_e64 v61, s[24:25], 0, v39, s[24:25]
	v_sub_u32_e32 v39, 0, v61
	v_ldexp_f64 v[31:32], v[31:32], v39
	v_add_f64 v[35:36], v[37:38], 1.0
	s_mov_b32 s24, 0xbf559e2b
	s_mov_b32 s25, 0x3fc3ab76
	v_add_f64 v[37:38], v[31:32], 1.0
	v_add_f64 v[33:34], v[33:34], v[35:36]
	v_add_f64 v[49:50], v[31:32], -1.0
	v_add_f64 v[35:36], v[37:38], -1.0
	v_ldexp_f64 v[33:34], v[33:34], v39
	v_add_f64 v[51:52], v[49:50], 1.0
	v_add_f64 v[35:36], v[31:32], -v[35:36]
	v_add_f64 v[31:32], v[31:32], -v[51:52]
	v_add_f64 v[35:36], v[33:34], v[35:36]
	v_add_f64 v[31:32], v[33:34], v[31:32]
	;; [unrolled: 1-line block ×4, first 2 shown]
	v_rcp_f64_e32 v[41:42], v[39:40]
	v_add_f64 v[37:38], v[39:40], -v[37:38]
	v_add_f64 v[49:50], v[51:52], -v[49:50]
	;; [unrolled: 1-line block ×4, first 2 shown]
	v_fma_f64 v[53:54], -v[39:40], v[41:42], 1.0
	v_fma_f64 v[41:42], v[53:54], v[41:42], v[41:42]
	v_fma_f64 v[33:34], -v[39:40], v[41:42], 1.0
	v_fma_f64 v[33:34], v[33:34], v[41:42], v[41:42]
	v_mul_f64 v[41:42], v[51:52], v[33:34]
	v_mul_f64 v[53:54], v[39:40], v[41:42]
	v_fma_f64 v[37:38], v[41:42], v[39:40], -v[53:54]
	v_fma_f64 v[37:38], v[41:42], v[35:36], v[37:38]
	v_add_f64 v[55:56], v[53:54], v[37:38]
	v_add_f64 v[58:59], v[51:52], -v[55:56]
	v_add_f64 v[49:50], v[55:56], -v[53:54]
	;; [unrolled: 1-line block ×5, first 2 shown]
	v_add_f64 v[31:32], v[31:32], v[51:52]
	v_add_f64 v[31:32], v[37:38], v[31:32]
	;; [unrolled: 1-line block ×3, first 2 shown]
	v_mul_f64 v[49:50], v[33:34], v[37:38]
	v_add_f64 v[55:56], v[58:59], -v[37:38]
	v_mul_f64 v[51:52], v[39:40], v[49:50]
	v_add_f64 v[31:32], v[31:32], v[55:56]
	v_fma_f64 v[39:40], v[49:50], v[39:40], -v[51:52]
	v_fma_f64 v[35:36], v[49:50], v[35:36], v[39:40]
	v_add_f64 v[39:40], v[51:52], v[35:36]
	v_add_f64 v[53:54], v[37:38], -v[39:40]
	v_add_f64 v[51:52], v[39:40], -v[51:52]
	;; [unrolled: 1-line block ×5, first 2 shown]
	v_mov_b32_e32 v39, 0x6b47b09a
	v_mov_b32_e32 v40, 0x3fc38538
	v_add_f64 v[31:32], v[31:32], v[37:38]
	v_add_f64 v[37:38], v[41:42], v[49:50]
	v_add_f64 v[31:32], v[35:36], v[31:32]
	v_add_f64 v[35:36], v[37:38], -v[41:42]
	v_add_f64 v[31:32], v[53:54], v[31:32]
	v_add_f64 v[35:36], v[49:50], -v[35:36]
	v_mul_f64 v[31:32], v[33:34], v[31:32]
	v_add_f64 v[31:32], v[35:36], v[31:32]
	v_add_f64 v[33:34], v[37:38], v[31:32]
	v_mul_f64 v[35:36], v[33:34], v[33:34]
	v_fma_f64 v[39:40], v[35:36], s[24:25], v[39:40]
	s_mov_b32 s24, 0xd7f4df2e
	s_mov_b32 s25, 0x3fc7474d
	v_mul_f64 v[41:42], v[33:34], v[35:36]
	v_fma_f64 v[39:40], v[35:36], v[39:40], s[24:25]
	s_mov_b32 s24, 0x16291751
	s_mov_b32 s25, 0x3fcc71c0
	v_fma_f64 v[39:40], v[35:36], v[39:40], s[24:25]
	s_mov_b32 s24, 0x9b27acf1
	s_mov_b32 s25, 0x3fd24924
	;; [unrolled: 3-line block ×3, first 2 shown]
	v_fma_f64 v[39:40], v[35:36], v[39:40], s[24:25]
	v_cmp_nge_f64_e64 s[24:25], -1.0, v[23:24]
	v_fma_f64 v[35:36], v[35:36], v[39:40], s[26:27]
	v_ldexp_f64 v[39:40], v[33:34], 1
	v_add_f64 v[33:34], v[33:34], -v[37:38]
	s_mov_b32 s26, 0
	s_mov_b32 s27, 0x7ff00000
	v_cmp_neq_f64_e64 s[26:27], s[26:27], v[23:24]
	v_mul_f64 v[35:36], v[41:42], v[35:36]
	v_cvt_f64_i32_e32 v[41:42], v61
	v_add_f64 v[31:32], v[31:32], -v[33:34]
	v_mul_f64 v[49:50], v[41:42], s[30:31]
	s_and_b64 s[24:25], s[24:25], s[26:27]
	v_add_f64 v[37:38], v[39:40], v[35:36]
	v_ldexp_f64 v[31:32], v[31:32], 1
	v_add_f64 v[33:34], v[37:38], -v[39:40]
	v_fma_f64 v[39:40], v[41:42], s[30:31], -v[49:50]
	v_add_f64 v[33:34], v[35:36], -v[33:34]
	v_fma_f64 v[35:36], v[41:42], s[34:35], v[39:40]
	v_add_f64 v[31:32], v[31:32], v[33:34]
	v_add_f64 v[33:34], v[49:50], v[35:36]
	;; [unrolled: 1-line block ×3, first 2 shown]
	v_add_f64 v[49:50], v[33:34], -v[49:50]
	v_add_f64 v[41:42], v[33:34], v[39:40]
	v_add_f64 v[37:38], v[39:40], -v[37:38]
	v_add_f64 v[35:36], v[35:36], -v[49:50]
	;; [unrolled: 1-line block ×6, first 2 shown]
	v_add_f64 v[39:40], v[35:36], v[31:32]
	v_add_f64 v[33:34], v[33:34], -v[53:54]
	v_add_f64 v[33:34], v[37:38], v[33:34]
	v_add_f64 v[37:38], v[39:40], -v[35:36]
	;; [unrolled: 2-line block ×3, first 2 shown]
	v_add_f64 v[31:32], v[31:32], -v[37:38]
	v_add_f64 v[49:50], v[41:42], v[33:34]
	v_add_f64 v[35:36], v[35:36], -v[39:40]
	v_add_f64 v[37:38], v[49:50], -v[41:42]
	v_add_f64 v[31:32], v[31:32], v[35:36]
	v_add_f64 v[33:34], v[33:34], -v[37:38]
	v_add_f64 v[31:32], v[31:32], v[33:34]
	v_mov_b32_e32 v33, 0x7ff80000
	v_mov_b32_e32 v34, 0xfff00000
	v_add_f64 v[31:32], v[49:50], v[31:32]
	v_cndmask_b32_e64 v31, 0, v31, s[24:25]
	v_cmp_ngt_f64_e64 s[24:25], -1.0, v[23:24]
	v_cndmask_b32_e64 v32, v60, v32, s[26:27]
	v_cndmask_b32_e64 v32, v33, v32, s[24:25]
	v_cmp_neq_f64_e64 s[24:25], -1.0, v[23:24]
	v_cndmask_b32_e64 v32, v34, v32, s[24:25]
	v_add_f64 v[49:50], v[21:22], v[31:32]
.LBB41_26:
	s_or_b64 exec, exec, s[28:29]
	v_max_f64 v[31:32], v[13:14], v[13:14]
	v_max_f64 v[21:22], v[49:50], v[49:50]
	v_cmp_u_f64_e64 s[24:25], v[49:50], v[49:50]
	v_cmp_u_f64_e64 s[26:27], v[13:14], v[13:14]
	v_min_f64 v[23:24], v[21:22], v[31:32]
	v_max_f64 v[21:22], v[21:22], v[31:32]
	v_cndmask_b32_e64 v23, v23, v49, s[24:25]
	v_cndmask_b32_e64 v24, v24, v50, s[24:25]
	;; [unrolled: 1-line block ×8, first 2 shown]
	v_cmp_neq_f64_e64 s[24:25], v[23:24], v[21:22]
	v_cmp_class_f64_e64 s[28:29], v[23:24], s33
	s_or_b64 s[24:25], s[24:25], s[28:29]
	s_and_saveexec_b64 s[30:31], s[24:25]
	s_cbranch_execz .LBB41_28
; %bb.27:
	v_add_f64 v[23:24], v[23:24], -v[21:22]
	s_mov_b32 s24, 0x652b82fe
	s_mov_b32 s25, 0x3ff71547
	;; [unrolled: 1-line block ×6, first 2 shown]
	v_mov_b32_e32 v37, 0xfca7ab0c
	v_mul_f64 v[33:34], v[23:24], s[24:25]
	s_mov_b32 s24, 0x6a5dcb37
	v_mov_b32_e32 v38, 0x3e928af3
	s_mov_b32 s25, 0x3e5ade15
	s_mov_b32 s28, 0
	;; [unrolled: 1-line block ×3, first 2 shown]
	v_cmp_ngt_f64_e64 s[28:29], s[28:29], v[23:24]
	v_mov_b32_e32 v62, 0x7ff00000
	v_rndne_f64_e32 v[33:34], v[33:34]
	v_fma_f64 v[35:36], v[33:34], s[34:35], v[23:24]
	s_mov_b32 s35, 0x3fe62e42
	v_fma_f64 v[35:36], v[33:34], s[36:37], v[35:36]
	v_cvt_i32_f64_e32 v33, v[33:34]
	s_mov_b32 s37, 0x3c7abc9e
	v_fma_f64 v[37:38], v[35:36], s[24:25], v[37:38]
	s_mov_b32 s24, 0x623fde64
	s_mov_b32 s25, 0x3ec71dee
	v_fma_f64 v[37:38], v[35:36], v[37:38], s[24:25]
	s_mov_b32 s24, 0x7c89e6b0
	;; [unrolled: 3-line block ×9, first 2 shown]
	s_mov_b32 s25, 0x40900000
	v_cmp_nlt_f64_e64 s[24:25], s[24:25], v[23:24]
	v_fma_f64 v[37:38], v[35:36], v[37:38], 1.0
	v_fma_f64 v[35:36], v[35:36], v[37:38], 1.0
	v_ldexp_f64 v[33:34], v[35:36], v33
	v_cndmask_b32_e64 v34, v62, v34, s[24:25]
	s_and_b64 s[24:25], s[28:29], s[24:25]
	v_cndmask_b32_e64 v24, 0, v34, s[28:29]
	v_cndmask_b32_e64 v23, 0, v33, s[24:25]
	v_add_f64 v[33:34], v[23:24], 1.0
	s_mov_b32 s29, 0x3fe55555
	s_mov_b32 s28, 0x55555555
	v_frexp_mant_f64_e32 v[37:38], v[33:34]
	v_frexp_exp_i32_f64_e32 v41, v[33:34]
	v_add_f64 v[35:36], v[33:34], -1.0
	v_cmp_gt_f64_e64 s[24:25], s[28:29], v[37:38]
	s_mov_b32 s28, 0x55555780
	v_add_f64 v[39:40], v[35:36], -v[33:34]
	v_add_f64 v[35:36], v[23:24], -v[35:36]
	v_subbrev_co_u32_e64 v63, s[24:25], 0, v41, s[24:25]
	v_sub_u32_e32 v41, 0, v63
	v_ldexp_f64 v[33:34], v[33:34], v41
	v_add_f64 v[37:38], v[39:40], 1.0
	s_mov_b32 s24, 0xbf559e2b
	s_mov_b32 s25, 0x3fc3ab76
	v_add_f64 v[39:40], v[33:34], 1.0
	v_add_f64 v[35:36], v[35:36], v[37:38]
	v_add_f64 v[51:52], v[33:34], -1.0
	v_add_f64 v[37:38], v[39:40], -1.0
	v_ldexp_f64 v[35:36], v[35:36], v41
	v_add_f64 v[53:54], v[51:52], 1.0
	v_add_f64 v[37:38], v[33:34], -v[37:38]
	v_add_f64 v[33:34], v[33:34], -v[53:54]
	v_add_f64 v[37:38], v[35:36], v[37:38]
	v_add_f64 v[33:34], v[35:36], v[33:34]
	;; [unrolled: 1-line block ×4, first 2 shown]
	v_rcp_f64_e32 v[49:50], v[41:42]
	v_add_f64 v[39:40], v[41:42], -v[39:40]
	v_add_f64 v[51:52], v[53:54], -v[51:52]
	;; [unrolled: 1-line block ×4, first 2 shown]
	v_fma_f64 v[55:56], -v[41:42], v[49:50], 1.0
	v_fma_f64 v[49:50], v[55:56], v[49:50], v[49:50]
	v_fma_f64 v[35:36], -v[41:42], v[49:50], 1.0
	v_fma_f64 v[35:36], v[35:36], v[49:50], v[49:50]
	v_mul_f64 v[49:50], v[53:54], v[35:36]
	v_mul_f64 v[55:56], v[41:42], v[49:50]
	v_fma_f64 v[39:40], v[49:50], v[41:42], -v[55:56]
	v_fma_f64 v[39:40], v[49:50], v[37:38], v[39:40]
	v_add_f64 v[58:59], v[55:56], v[39:40]
	v_add_f64 v[60:61], v[53:54], -v[58:59]
	v_add_f64 v[51:52], v[58:59], -v[55:56]
	;; [unrolled: 1-line block ×5, first 2 shown]
	v_add_f64 v[33:34], v[33:34], v[53:54]
	v_add_f64 v[33:34], v[39:40], v[33:34]
	;; [unrolled: 1-line block ×3, first 2 shown]
	v_mul_f64 v[51:52], v[35:36], v[39:40]
	v_add_f64 v[58:59], v[60:61], -v[39:40]
	v_mul_f64 v[53:54], v[41:42], v[51:52]
	v_add_f64 v[33:34], v[33:34], v[58:59]
	v_fma_f64 v[41:42], v[51:52], v[41:42], -v[53:54]
	v_fma_f64 v[37:38], v[51:52], v[37:38], v[41:42]
	v_add_f64 v[41:42], v[53:54], v[37:38]
	v_add_f64 v[55:56], v[39:40], -v[41:42]
	v_add_f64 v[53:54], v[41:42], -v[53:54]
	;; [unrolled: 1-line block ×5, first 2 shown]
	v_mov_b32_e32 v41, 0x6b47b09a
	v_mov_b32_e32 v42, 0x3fc38538
	v_add_f64 v[33:34], v[33:34], v[39:40]
	v_add_f64 v[39:40], v[49:50], v[51:52]
	v_add_f64 v[33:34], v[37:38], v[33:34]
	v_add_f64 v[37:38], v[39:40], -v[49:50]
	v_add_f64 v[33:34], v[55:56], v[33:34]
	v_add_f64 v[37:38], v[51:52], -v[37:38]
	v_mul_f64 v[33:34], v[35:36], v[33:34]
	v_add_f64 v[33:34], v[37:38], v[33:34]
	v_add_f64 v[35:36], v[39:40], v[33:34]
	v_mul_f64 v[37:38], v[35:36], v[35:36]
	v_fma_f64 v[41:42], v[37:38], s[24:25], v[41:42]
	s_mov_b32 s24, 0xd7f4df2e
	s_mov_b32 s25, 0x3fc7474d
	v_mul_f64 v[49:50], v[35:36], v[37:38]
	v_fma_f64 v[41:42], v[37:38], v[41:42], s[24:25]
	s_mov_b32 s24, 0x16291751
	s_mov_b32 s25, 0x3fcc71c0
	v_fma_f64 v[41:42], v[37:38], v[41:42], s[24:25]
	s_mov_b32 s24, 0x9b27acf1
	s_mov_b32 s25, 0x3fd24924
	;; [unrolled: 3-line block ×3, first 2 shown]
	v_fma_f64 v[41:42], v[37:38], v[41:42], s[24:25]
	v_cmp_nge_f64_e64 s[24:25], -1.0, v[23:24]
	v_fma_f64 v[37:38], v[37:38], v[41:42], s[28:29]
	v_ldexp_f64 v[41:42], v[35:36], 1
	v_add_f64 v[35:36], v[35:36], -v[39:40]
	s_mov_b32 s28, 0
	s_mov_b32 s29, 0x7ff00000
	v_cmp_neq_f64_e64 s[28:29], s[28:29], v[23:24]
	v_mul_f64 v[37:38], v[49:50], v[37:38]
	v_cvt_f64_i32_e32 v[49:50], v63
	v_add_f64 v[33:34], v[33:34], -v[35:36]
	v_mul_f64 v[51:52], v[49:50], s[34:35]
	s_and_b64 s[24:25], s[24:25], s[28:29]
	v_add_f64 v[39:40], v[41:42], v[37:38]
	v_ldexp_f64 v[33:34], v[33:34], 1
	v_add_f64 v[35:36], v[39:40], -v[41:42]
	v_fma_f64 v[41:42], v[49:50], s[34:35], -v[51:52]
	v_add_f64 v[35:36], v[37:38], -v[35:36]
	v_fma_f64 v[37:38], v[49:50], s[36:37], v[41:42]
	v_add_f64 v[33:34], v[33:34], v[35:36]
	v_add_f64 v[35:36], v[51:52], v[37:38]
	;; [unrolled: 1-line block ×3, first 2 shown]
	v_add_f64 v[51:52], v[35:36], -v[51:52]
	v_add_f64 v[49:50], v[35:36], v[41:42]
	v_add_f64 v[39:40], v[41:42], -v[39:40]
	v_add_f64 v[37:38], v[37:38], -v[51:52]
	;; [unrolled: 1-line block ×6, first 2 shown]
	v_add_f64 v[41:42], v[37:38], v[33:34]
	v_add_f64 v[35:36], v[35:36], -v[55:56]
	v_add_f64 v[35:36], v[39:40], v[35:36]
	v_add_f64 v[39:40], v[41:42], -v[37:38]
	;; [unrolled: 2-line block ×3, first 2 shown]
	v_add_f64 v[33:34], v[33:34], -v[39:40]
	v_add_f64 v[51:52], v[49:50], v[35:36]
	v_add_f64 v[37:38], v[37:38], -v[41:42]
	v_add_f64 v[39:40], v[51:52], -v[49:50]
	v_add_f64 v[33:34], v[33:34], v[37:38]
	v_add_f64 v[35:36], v[35:36], -v[39:40]
	v_add_f64 v[33:34], v[33:34], v[35:36]
	v_mov_b32_e32 v35, 0x7ff80000
	v_mov_b32_e32 v36, 0xfff00000
	v_add_f64 v[33:34], v[51:52], v[33:34]
	v_cndmask_b32_e64 v33, 0, v33, s[24:25]
	v_cmp_ngt_f64_e64 s[24:25], -1.0, v[23:24]
	v_cndmask_b32_e64 v34, v62, v34, s[28:29]
	v_cndmask_b32_e64 v34, v35, v34, s[24:25]
	v_cmp_neq_f64_e64 s[24:25], -1.0, v[23:24]
	v_cndmask_b32_e64 v34, v36, v34, s[24:25]
	v_add_f64 v[49:50], v[21:22], v[33:34]
.LBB41_28:
	s_or_b64 exec, exec, s[30:31]
	v_max_f64 v[33:34], v[15:16], v[15:16]
	v_max_f64 v[21:22], v[49:50], v[49:50]
	v_cmp_u_f64_e64 s[28:29], v[49:50], v[49:50]
	v_cmp_u_f64_e64 s[24:25], v[15:16], v[15:16]
	v_min_f64 v[23:24], v[21:22], v[33:34]
	v_max_f64 v[21:22], v[21:22], v[33:34]
	v_cndmask_b32_e64 v23, v23, v49, s[28:29]
	v_cndmask_b32_e64 v24, v24, v50, s[28:29]
	v_cndmask_b32_e64 v21, v21, v49, s[28:29]
	v_cndmask_b32_e64 v22, v22, v50, s[28:29]
	v_cndmask_b32_e64 v24, v24, v16, s[24:25]
	v_cndmask_b32_e64 v23, v23, v15, s[24:25]
	v_cndmask_b32_e64 v22, v22, v16, s[24:25]
	v_cndmask_b32_e64 v21, v21, v15, s[24:25]
	v_cmp_neq_f64_e64 s[28:29], v[23:24], v[21:22]
	v_cmp_class_f64_e64 s[30:31], v[23:24], s33
	s_or_b64 s[28:29], s[28:29], s[30:31]
	s_and_saveexec_b64 s[34:35], s[28:29]
	s_cbranch_execz .LBB41_30
; %bb.29:
	v_add_f64 v[23:24], v[23:24], -v[21:22]
	s_mov_b32 s28, 0x652b82fe
	s_mov_b32 s29, 0x3ff71547
	;; [unrolled: 1-line block ×6, first 2 shown]
	v_mov_b32_e32 v39, 0xfca7ab0c
	v_mul_f64 v[35:36], v[23:24], s[28:29]
	s_mov_b32 s28, 0x6a5dcb37
	v_mov_b32_e32 v40, 0x3e928af3
	s_mov_b32 s29, 0x3e5ade15
	s_mov_b32 s30, 0
	;; [unrolled: 1-line block ×3, first 2 shown]
	v_cmp_ngt_f64_e64 s[30:31], s[30:31], v[23:24]
	v_mov_b32_e32 v64, 0x7ff00000
	v_rndne_f64_e32 v[35:36], v[35:36]
	v_fma_f64 v[37:38], v[35:36], s[36:37], v[23:24]
	s_mov_b32 s37, 0x3fe62e42
	v_fma_f64 v[37:38], v[35:36], s[42:43], v[37:38]
	v_cvt_i32_f64_e32 v35, v[35:36]
	s_mov_b32 s43, 0x3c7abc9e
	v_fma_f64 v[39:40], v[37:38], s[28:29], v[39:40]
	s_mov_b32 s28, 0x623fde64
	s_mov_b32 s29, 0x3ec71dee
	v_fma_f64 v[39:40], v[37:38], v[39:40], s[28:29]
	s_mov_b32 s28, 0x7c89e6b0
	s_mov_b32 s29, 0x3efa0199
	v_fma_f64 v[39:40], v[37:38], v[39:40], s[28:29]
	s_mov_b32 s28, 0x14761f6e
	s_mov_b32 s29, 0x3f2a01a0
	v_fma_f64 v[39:40], v[37:38], v[39:40], s[28:29]
	s_mov_b32 s28, 0x1852b7b0
	s_mov_b32 s29, 0x3f56c16c
	v_fma_f64 v[39:40], v[37:38], v[39:40], s[28:29]
	s_mov_b32 s28, 0x11122322
	s_mov_b32 s29, 0x3f811111
	v_fma_f64 v[39:40], v[37:38], v[39:40], s[28:29]
	s_mov_b32 s28, 0x555502a1
	s_mov_b32 s29, 0x3fa55555
	v_fma_f64 v[39:40], v[37:38], v[39:40], s[28:29]
	s_mov_b32 s28, 0x55555511
	s_mov_b32 s29, 0x3fc55555
	v_fma_f64 v[39:40], v[37:38], v[39:40], s[28:29]
	s_mov_b32 s28, 11
	s_mov_b32 s29, 0x3fe00000
	v_fma_f64 v[39:40], v[37:38], v[39:40], s[28:29]
	s_mov_b32 s28, 0
	s_mov_b32 s29, 0x40900000
	v_cmp_nlt_f64_e64 s[28:29], s[28:29], v[23:24]
	v_fma_f64 v[39:40], v[37:38], v[39:40], 1.0
	v_fma_f64 v[37:38], v[37:38], v[39:40], 1.0
	v_ldexp_f64 v[35:36], v[37:38], v35
	v_cndmask_b32_e64 v36, v64, v36, s[28:29]
	s_and_b64 s[28:29], s[30:31], s[28:29]
	v_cndmask_b32_e64 v24, 0, v36, s[30:31]
	v_cndmask_b32_e64 v23, 0, v35, s[28:29]
	v_add_f64 v[35:36], v[23:24], 1.0
	s_mov_b32 s31, 0x3fe55555
	s_mov_b32 s30, 0x55555555
	v_frexp_mant_f64_e32 v[39:40], v[35:36]
	v_frexp_exp_i32_f64_e32 v49, v[35:36]
	v_add_f64 v[37:38], v[35:36], -1.0
	v_cmp_gt_f64_e64 s[28:29], s[30:31], v[39:40]
	s_mov_b32 s30, 0x55555780
	v_add_f64 v[41:42], v[37:38], -v[35:36]
	v_add_f64 v[37:38], v[23:24], -v[37:38]
	v_subbrev_co_u32_e64 v65, s[28:29], 0, v49, s[28:29]
	v_sub_u32_e32 v49, 0, v65
	v_ldexp_f64 v[35:36], v[35:36], v49
	v_add_f64 v[39:40], v[41:42], 1.0
	s_mov_b32 s28, 0xbf559e2b
	s_mov_b32 s29, 0x3fc3ab76
	v_add_f64 v[41:42], v[35:36], 1.0
	v_add_f64 v[37:38], v[37:38], v[39:40]
	v_add_f64 v[53:54], v[35:36], -1.0
	v_add_f64 v[39:40], v[41:42], -1.0
	v_ldexp_f64 v[37:38], v[37:38], v49
	v_add_f64 v[55:56], v[53:54], 1.0
	v_add_f64 v[39:40], v[35:36], -v[39:40]
	v_add_f64 v[35:36], v[35:36], -v[55:56]
	v_add_f64 v[39:40], v[37:38], v[39:40]
	v_add_f64 v[35:36], v[37:38], v[35:36]
	;; [unrolled: 1-line block ×4, first 2 shown]
	v_rcp_f64_e32 v[51:52], v[49:50]
	v_add_f64 v[41:42], v[49:50], -v[41:42]
	v_add_f64 v[53:54], v[55:56], -v[53:54]
	;; [unrolled: 1-line block ×4, first 2 shown]
	v_fma_f64 v[58:59], -v[49:50], v[51:52], 1.0
	v_fma_f64 v[51:52], v[58:59], v[51:52], v[51:52]
	v_fma_f64 v[37:38], -v[49:50], v[51:52], 1.0
	v_fma_f64 v[37:38], v[37:38], v[51:52], v[51:52]
	v_mul_f64 v[51:52], v[55:56], v[37:38]
	v_mul_f64 v[58:59], v[49:50], v[51:52]
	v_fma_f64 v[41:42], v[51:52], v[49:50], -v[58:59]
	v_fma_f64 v[41:42], v[51:52], v[39:40], v[41:42]
	v_add_f64 v[60:61], v[58:59], v[41:42]
	v_add_f64 v[62:63], v[55:56], -v[60:61]
	v_add_f64 v[53:54], v[60:61], -v[58:59]
	;; [unrolled: 1-line block ×5, first 2 shown]
	v_add_f64 v[35:36], v[35:36], v[55:56]
	v_add_f64 v[35:36], v[41:42], v[35:36]
	;; [unrolled: 1-line block ×3, first 2 shown]
	v_mul_f64 v[53:54], v[37:38], v[41:42]
	v_add_f64 v[60:61], v[62:63], -v[41:42]
	v_mul_f64 v[55:56], v[49:50], v[53:54]
	v_add_f64 v[35:36], v[35:36], v[60:61]
	v_fma_f64 v[49:50], v[53:54], v[49:50], -v[55:56]
	v_fma_f64 v[39:40], v[53:54], v[39:40], v[49:50]
	v_add_f64 v[49:50], v[55:56], v[39:40]
	v_add_f64 v[58:59], v[41:42], -v[49:50]
	v_add_f64 v[55:56], v[49:50], -v[55:56]
	;; [unrolled: 1-line block ×5, first 2 shown]
	v_mov_b32_e32 v49, 0x6b47b09a
	v_mov_b32_e32 v50, 0x3fc38538
	v_add_f64 v[35:36], v[35:36], v[41:42]
	v_add_f64 v[41:42], v[51:52], v[53:54]
	;; [unrolled: 1-line block ×3, first 2 shown]
	v_add_f64 v[39:40], v[41:42], -v[51:52]
	v_add_f64 v[35:36], v[58:59], v[35:36]
	v_add_f64 v[39:40], v[53:54], -v[39:40]
	v_mul_f64 v[35:36], v[37:38], v[35:36]
	v_add_f64 v[35:36], v[39:40], v[35:36]
	v_add_f64 v[37:38], v[41:42], v[35:36]
	v_mul_f64 v[39:40], v[37:38], v[37:38]
	v_fma_f64 v[49:50], v[39:40], s[28:29], v[49:50]
	s_mov_b32 s28, 0xd7f4df2e
	s_mov_b32 s29, 0x3fc7474d
	v_mul_f64 v[51:52], v[37:38], v[39:40]
	v_fma_f64 v[49:50], v[39:40], v[49:50], s[28:29]
	s_mov_b32 s28, 0x16291751
	s_mov_b32 s29, 0x3fcc71c0
	v_fma_f64 v[49:50], v[39:40], v[49:50], s[28:29]
	s_mov_b32 s28, 0x9b27acf1
	s_mov_b32 s29, 0x3fd24924
	;; [unrolled: 3-line block ×3, first 2 shown]
	v_fma_f64 v[49:50], v[39:40], v[49:50], s[28:29]
	v_cmp_nge_f64_e64 s[28:29], -1.0, v[23:24]
	v_fma_f64 v[39:40], v[39:40], v[49:50], s[30:31]
	v_ldexp_f64 v[49:50], v[37:38], 1
	v_add_f64 v[37:38], v[37:38], -v[41:42]
	s_mov_b32 s30, 0
	s_mov_b32 s31, 0x7ff00000
	v_cmp_neq_f64_e64 s[30:31], s[30:31], v[23:24]
	v_mul_f64 v[39:40], v[51:52], v[39:40]
	v_cvt_f64_i32_e32 v[51:52], v65
	v_add_f64 v[35:36], v[35:36], -v[37:38]
	v_mul_f64 v[53:54], v[51:52], s[36:37]
	s_and_b64 s[28:29], s[28:29], s[30:31]
	v_add_f64 v[41:42], v[49:50], v[39:40]
	v_ldexp_f64 v[35:36], v[35:36], 1
	v_add_f64 v[37:38], v[41:42], -v[49:50]
	v_fma_f64 v[49:50], v[51:52], s[36:37], -v[53:54]
	v_add_f64 v[37:38], v[39:40], -v[37:38]
	v_fma_f64 v[39:40], v[51:52], s[42:43], v[49:50]
	v_add_f64 v[35:36], v[35:36], v[37:38]
	v_add_f64 v[37:38], v[53:54], v[39:40]
	;; [unrolled: 1-line block ×3, first 2 shown]
	v_add_f64 v[53:54], v[37:38], -v[53:54]
	v_add_f64 v[51:52], v[37:38], v[49:50]
	v_add_f64 v[41:42], v[49:50], -v[41:42]
	v_add_f64 v[39:40], v[39:40], -v[53:54]
	;; [unrolled: 1-line block ×6, first 2 shown]
	v_add_f64 v[49:50], v[39:40], v[35:36]
	v_add_f64 v[37:38], v[37:38], -v[58:59]
	v_add_f64 v[37:38], v[41:42], v[37:38]
	v_add_f64 v[41:42], v[49:50], -v[39:40]
	v_add_f64 v[37:38], v[49:50], v[37:38]
	v_add_f64 v[49:50], v[49:50], -v[41:42]
	v_add_f64 v[35:36], v[35:36], -v[41:42]
	v_add_f64 v[53:54], v[51:52], v[37:38]
	v_add_f64 v[39:40], v[39:40], -v[49:50]
	v_add_f64 v[41:42], v[53:54], -v[51:52]
	v_add_f64 v[35:36], v[35:36], v[39:40]
	v_add_f64 v[37:38], v[37:38], -v[41:42]
	v_add_f64 v[35:36], v[35:36], v[37:38]
	v_mov_b32_e32 v37, 0x7ff80000
	v_mov_b32_e32 v38, 0xfff00000
	v_add_f64 v[35:36], v[53:54], v[35:36]
	v_cndmask_b32_e64 v35, 0, v35, s[28:29]
	v_cmp_ngt_f64_e64 s[28:29], -1.0, v[23:24]
	v_cndmask_b32_e64 v36, v64, v36, s[30:31]
	v_cndmask_b32_e64 v36, v37, v36, s[28:29]
	v_cmp_neq_f64_e64 s[28:29], -1.0, v[23:24]
	v_cndmask_b32_e64 v36, v38, v36, s[28:29]
	v_add_f64 v[49:50], v[21:22], v[35:36]
.LBB41_30:
	s_or_b64 exec, exec, s[34:35]
	v_max_f64 v[35:36], v[9:10], v[9:10]
	v_max_f64 v[21:22], v[49:50], v[49:50]
	v_cmp_u_f64_e64 s[28:29], v[49:50], v[49:50]
	v_cmp_u_f64_e64 s[30:31], v[9:10], v[9:10]
	v_min_f64 v[23:24], v[21:22], v[35:36]
	v_max_f64 v[21:22], v[21:22], v[35:36]
	v_cndmask_b32_e64 v23, v23, v49, s[28:29]
	v_cndmask_b32_e64 v24, v24, v50, s[28:29]
	;; [unrolled: 1-line block ×8, first 2 shown]
	v_cmp_neq_f64_e64 s[28:29], v[23:24], v[21:22]
	v_cmp_class_f64_e64 s[34:35], v[23:24], s33
	s_or_b64 s[28:29], s[28:29], s[34:35]
	s_and_saveexec_b64 s[36:37], s[28:29]
	s_cbranch_execz .LBB41_32
; %bb.31:
	v_add_f64 v[23:24], v[23:24], -v[21:22]
	s_mov_b32 s28, 0x652b82fe
	s_mov_b32 s29, 0x3ff71547
	s_mov_b32 s43, 0xbfe62e42
	s_mov_b32 s42, 0xfefa39ef
	s_mov_b32 s45, 0xbc7abc9e
	s_mov_b32 s44, 0x3b39803f
	v_mov_b32_e32 v41, 0xfca7ab0c
	v_mul_f64 v[37:38], v[23:24], s[28:29]
	s_mov_b32 s28, 0x6a5dcb37
	v_mov_b32_e32 v42, 0x3e928af3
	s_mov_b32 s29, 0x3e5ade15
	s_mov_b32 s34, 0
	;; [unrolled: 1-line block ×3, first 2 shown]
	v_cmp_ngt_f64_e64 s[34:35], s[34:35], v[23:24]
	v_mov_b32_e32 v66, 0x7ff00000
	v_rndne_f64_e32 v[37:38], v[37:38]
	v_fma_f64 v[39:40], v[37:38], s[42:43], v[23:24]
	s_mov_b32 s43, 0x3fe62e42
	v_fma_f64 v[39:40], v[37:38], s[44:45], v[39:40]
	v_cvt_i32_f64_e32 v37, v[37:38]
	s_mov_b32 s45, 0x3c7abc9e
	v_fma_f64 v[41:42], v[39:40], s[28:29], v[41:42]
	s_mov_b32 s28, 0x623fde64
	s_mov_b32 s29, 0x3ec71dee
	v_fma_f64 v[41:42], v[39:40], v[41:42], s[28:29]
	s_mov_b32 s28, 0x7c89e6b0
	s_mov_b32 s29, 0x3efa0199
	v_fma_f64 v[41:42], v[39:40], v[41:42], s[28:29]
	s_mov_b32 s28, 0x14761f6e
	s_mov_b32 s29, 0x3f2a01a0
	v_fma_f64 v[41:42], v[39:40], v[41:42], s[28:29]
	s_mov_b32 s28, 0x1852b7b0
	s_mov_b32 s29, 0x3f56c16c
	v_fma_f64 v[41:42], v[39:40], v[41:42], s[28:29]
	s_mov_b32 s28, 0x11122322
	s_mov_b32 s29, 0x3f811111
	v_fma_f64 v[41:42], v[39:40], v[41:42], s[28:29]
	s_mov_b32 s28, 0x555502a1
	s_mov_b32 s29, 0x3fa55555
	v_fma_f64 v[41:42], v[39:40], v[41:42], s[28:29]
	s_mov_b32 s28, 0x55555511
	s_mov_b32 s29, 0x3fc55555
	v_fma_f64 v[41:42], v[39:40], v[41:42], s[28:29]
	s_mov_b32 s28, 11
	s_mov_b32 s29, 0x3fe00000
	v_fma_f64 v[41:42], v[39:40], v[41:42], s[28:29]
	s_mov_b32 s28, 0
	s_mov_b32 s29, 0x40900000
	v_cmp_nlt_f64_e64 s[28:29], s[28:29], v[23:24]
	v_fma_f64 v[41:42], v[39:40], v[41:42], 1.0
	v_fma_f64 v[39:40], v[39:40], v[41:42], 1.0
	v_ldexp_f64 v[37:38], v[39:40], v37
	v_cndmask_b32_e64 v38, v66, v38, s[28:29]
	s_and_b64 s[28:29], s[34:35], s[28:29]
	v_cndmask_b32_e64 v24, 0, v38, s[34:35]
	v_cndmask_b32_e64 v23, 0, v37, s[28:29]
	v_add_f64 v[37:38], v[23:24], 1.0
	s_mov_b32 s35, 0x3fe55555
	s_mov_b32 s34, 0x55555555
	v_frexp_mant_f64_e32 v[41:42], v[37:38]
	v_frexp_exp_i32_f64_e32 v51, v[37:38]
	v_add_f64 v[39:40], v[37:38], -1.0
	v_cmp_gt_f64_e64 s[28:29], s[34:35], v[41:42]
	s_mov_b32 s34, 0x55555780
	v_add_f64 v[49:50], v[39:40], -v[37:38]
	v_add_f64 v[39:40], v[23:24], -v[39:40]
	v_subbrev_co_u32_e64 v67, s[28:29], 0, v51, s[28:29]
	v_sub_u32_e32 v51, 0, v67
	v_ldexp_f64 v[37:38], v[37:38], v51
	v_add_f64 v[41:42], v[49:50], 1.0
	s_mov_b32 s28, 0xbf559e2b
	s_mov_b32 s29, 0x3fc3ab76
	v_add_f64 v[49:50], v[37:38], 1.0
	v_add_f64 v[39:40], v[39:40], v[41:42]
	v_add_f64 v[55:56], v[37:38], -1.0
	v_add_f64 v[41:42], v[49:50], -1.0
	v_ldexp_f64 v[39:40], v[39:40], v51
	v_add_f64 v[58:59], v[55:56], 1.0
	v_add_f64 v[41:42], v[37:38], -v[41:42]
	v_add_f64 v[37:38], v[37:38], -v[58:59]
	v_add_f64 v[41:42], v[39:40], v[41:42]
	v_add_f64 v[37:38], v[39:40], v[37:38]
	;; [unrolled: 1-line block ×4, first 2 shown]
	v_rcp_f64_e32 v[53:54], v[51:52]
	v_add_f64 v[49:50], v[51:52], -v[49:50]
	v_add_f64 v[55:56], v[58:59], -v[55:56]
	;; [unrolled: 1-line block ×4, first 2 shown]
	v_fma_f64 v[60:61], -v[51:52], v[53:54], 1.0
	v_fma_f64 v[53:54], v[60:61], v[53:54], v[53:54]
	v_fma_f64 v[39:40], -v[51:52], v[53:54], 1.0
	v_fma_f64 v[39:40], v[39:40], v[53:54], v[53:54]
	v_mul_f64 v[53:54], v[58:59], v[39:40]
	v_mul_f64 v[60:61], v[51:52], v[53:54]
	v_fma_f64 v[49:50], v[53:54], v[51:52], -v[60:61]
	v_fma_f64 v[49:50], v[53:54], v[41:42], v[49:50]
	v_add_f64 v[62:63], v[60:61], v[49:50]
	v_add_f64 v[64:65], v[58:59], -v[62:63]
	v_add_f64 v[55:56], v[62:63], -v[60:61]
	;; [unrolled: 1-line block ×5, first 2 shown]
	v_add_f64 v[37:38], v[37:38], v[58:59]
	v_add_f64 v[37:38], v[49:50], v[37:38]
	;; [unrolled: 1-line block ×3, first 2 shown]
	v_mul_f64 v[55:56], v[39:40], v[49:50]
	v_add_f64 v[62:63], v[64:65], -v[49:50]
	v_mul_f64 v[58:59], v[51:52], v[55:56]
	v_add_f64 v[37:38], v[37:38], v[62:63]
	v_fma_f64 v[51:52], v[55:56], v[51:52], -v[58:59]
	v_fma_f64 v[41:42], v[55:56], v[41:42], v[51:52]
	v_add_f64 v[51:52], v[58:59], v[41:42]
	v_add_f64 v[60:61], v[49:50], -v[51:52]
	v_add_f64 v[58:59], v[51:52], -v[58:59]
	;; [unrolled: 1-line block ×5, first 2 shown]
	v_mov_b32_e32 v51, 0x6b47b09a
	v_mov_b32_e32 v52, 0x3fc38538
	v_add_f64 v[37:38], v[37:38], v[49:50]
	v_add_f64 v[49:50], v[53:54], v[55:56]
	;; [unrolled: 1-line block ×3, first 2 shown]
	v_add_f64 v[41:42], v[49:50], -v[53:54]
	v_add_f64 v[37:38], v[60:61], v[37:38]
	v_add_f64 v[41:42], v[55:56], -v[41:42]
	v_mul_f64 v[37:38], v[39:40], v[37:38]
	v_add_f64 v[37:38], v[41:42], v[37:38]
	v_add_f64 v[39:40], v[49:50], v[37:38]
	v_mul_f64 v[41:42], v[39:40], v[39:40]
	v_fma_f64 v[51:52], v[41:42], s[28:29], v[51:52]
	s_mov_b32 s28, 0xd7f4df2e
	s_mov_b32 s29, 0x3fc7474d
	v_mul_f64 v[53:54], v[39:40], v[41:42]
	v_fma_f64 v[51:52], v[41:42], v[51:52], s[28:29]
	s_mov_b32 s28, 0x16291751
	s_mov_b32 s29, 0x3fcc71c0
	v_fma_f64 v[51:52], v[41:42], v[51:52], s[28:29]
	s_mov_b32 s28, 0x9b27acf1
	s_mov_b32 s29, 0x3fd24924
	;; [unrolled: 3-line block ×3, first 2 shown]
	v_fma_f64 v[51:52], v[41:42], v[51:52], s[28:29]
	v_cmp_nge_f64_e64 s[28:29], -1.0, v[23:24]
	v_fma_f64 v[41:42], v[41:42], v[51:52], s[34:35]
	v_ldexp_f64 v[51:52], v[39:40], 1
	v_add_f64 v[39:40], v[39:40], -v[49:50]
	s_mov_b32 s34, 0
	s_mov_b32 s35, 0x7ff00000
	v_cmp_neq_f64_e64 s[34:35], s[34:35], v[23:24]
	v_mul_f64 v[41:42], v[53:54], v[41:42]
	v_cvt_f64_i32_e32 v[53:54], v67
	v_add_f64 v[37:38], v[37:38], -v[39:40]
	v_mul_f64 v[55:56], v[53:54], s[42:43]
	s_and_b64 s[28:29], s[28:29], s[34:35]
	v_add_f64 v[49:50], v[51:52], v[41:42]
	v_ldexp_f64 v[37:38], v[37:38], 1
	v_add_f64 v[39:40], v[49:50], -v[51:52]
	v_fma_f64 v[51:52], v[53:54], s[42:43], -v[55:56]
	v_add_f64 v[39:40], v[41:42], -v[39:40]
	v_fma_f64 v[41:42], v[53:54], s[44:45], v[51:52]
	v_add_f64 v[37:38], v[37:38], v[39:40]
	v_add_f64 v[39:40], v[55:56], v[41:42]
	;; [unrolled: 1-line block ×3, first 2 shown]
	v_add_f64 v[55:56], v[39:40], -v[55:56]
	v_add_f64 v[53:54], v[39:40], v[51:52]
	v_add_f64 v[49:50], v[51:52], -v[49:50]
	v_add_f64 v[41:42], v[41:42], -v[55:56]
	;; [unrolled: 1-line block ×6, first 2 shown]
	v_add_f64 v[51:52], v[41:42], v[37:38]
	v_add_f64 v[39:40], v[39:40], -v[60:61]
	v_add_f64 v[39:40], v[49:50], v[39:40]
	v_add_f64 v[49:50], v[51:52], -v[41:42]
	;; [unrolled: 2-line block ×3, first 2 shown]
	v_add_f64 v[37:38], v[37:38], -v[49:50]
	v_add_f64 v[55:56], v[53:54], v[39:40]
	v_add_f64 v[41:42], v[41:42], -v[51:52]
	v_add_f64 v[49:50], v[55:56], -v[53:54]
	v_add_f64 v[37:38], v[37:38], v[41:42]
	v_add_f64 v[39:40], v[39:40], -v[49:50]
	v_add_f64 v[37:38], v[37:38], v[39:40]
	v_mov_b32_e32 v39, 0x7ff80000
	v_mov_b32_e32 v40, 0xfff00000
	v_add_f64 v[37:38], v[55:56], v[37:38]
	v_cndmask_b32_e64 v37, 0, v37, s[28:29]
	v_cmp_ngt_f64_e64 s[28:29], -1.0, v[23:24]
	v_cndmask_b32_e64 v38, v66, v38, s[34:35]
	v_cndmask_b32_e64 v38, v39, v38, s[28:29]
	v_cmp_neq_f64_e64 s[28:29], -1.0, v[23:24]
	v_cndmask_b32_e64 v38, v40, v38, s[28:29]
	v_add_f64 v[49:50], v[21:22], v[37:38]
.LBB41_32:
	s_or_b64 exec, exec, s[36:37]
	v_max_f64 v[37:38], v[11:12], v[11:12]
	v_max_f64 v[21:22], v[49:50], v[49:50]
	v_cmp_u_f64_e64 s[34:35], v[49:50], v[49:50]
	v_cmp_u_f64_e64 s[28:29], v[11:12], v[11:12]
	v_min_f64 v[23:24], v[21:22], v[37:38]
	v_max_f64 v[21:22], v[21:22], v[37:38]
	v_cndmask_b32_e64 v23, v23, v49, s[34:35]
	v_cndmask_b32_e64 v24, v24, v50, s[34:35]
	;; [unrolled: 1-line block ×8, first 2 shown]
	v_cmp_neq_f64_e64 s[34:35], v[23:24], v[21:22]
	v_cmp_class_f64_e64 s[36:37], v[23:24], s33
	s_or_b64 s[34:35], s[34:35], s[36:37]
	s_and_saveexec_b64 s[42:43], s[34:35]
	s_cbranch_execz .LBB41_34
; %bb.33:
	v_add_f64 v[23:24], v[23:24], -v[21:22]
	s_mov_b32 s34, 0x652b82fe
	s_mov_b32 s35, 0x3ff71547
	;; [unrolled: 1-line block ×6, first 2 shown]
	v_mov_b32_e32 v49, 0xfca7ab0c
	v_mul_f64 v[39:40], v[23:24], s[34:35]
	s_mov_b32 s34, 0x6a5dcb37
	v_mov_b32_e32 v50, 0x3e928af3
	s_mov_b32 s35, 0x3e5ade15
	s_mov_b32 s36, 0
	;; [unrolled: 1-line block ×3, first 2 shown]
	v_cmp_ngt_f64_e64 s[36:37], s[36:37], v[23:24]
	v_mov_b32_e32 v68, 0x7ff00000
	v_rndne_f64_e32 v[39:40], v[39:40]
	v_fma_f64 v[41:42], v[39:40], s[44:45], v[23:24]
	s_mov_b32 s45, 0x3fe62e42
	v_fma_f64 v[41:42], v[39:40], s[46:47], v[41:42]
	v_cvt_i32_f64_e32 v39, v[39:40]
	s_mov_b32 s47, 0x3c7abc9e
	v_fma_f64 v[49:50], v[41:42], s[34:35], v[49:50]
	s_mov_b32 s34, 0x623fde64
	s_mov_b32 s35, 0x3ec71dee
	v_fma_f64 v[49:50], v[41:42], v[49:50], s[34:35]
	s_mov_b32 s34, 0x7c89e6b0
	;; [unrolled: 3-line block ×9, first 2 shown]
	s_mov_b32 s35, 0x40900000
	v_cmp_nlt_f64_e64 s[34:35], s[34:35], v[23:24]
	v_fma_f64 v[49:50], v[41:42], v[49:50], 1.0
	v_fma_f64 v[41:42], v[41:42], v[49:50], 1.0
	v_ldexp_f64 v[39:40], v[41:42], v39
	v_cndmask_b32_e64 v40, v68, v40, s[34:35]
	s_and_b64 s[34:35], s[36:37], s[34:35]
	v_cndmask_b32_e64 v24, 0, v40, s[36:37]
	v_cndmask_b32_e64 v23, 0, v39, s[34:35]
	v_add_f64 v[39:40], v[23:24], 1.0
	s_mov_b32 s37, 0x3fe55555
	s_mov_b32 s36, 0x55555555
	v_frexp_mant_f64_e32 v[49:50], v[39:40]
	v_frexp_exp_i32_f64_e32 v53, v[39:40]
	v_add_f64 v[41:42], v[39:40], -1.0
	v_cmp_gt_f64_e64 s[34:35], s[36:37], v[49:50]
	s_mov_b32 s36, 0x55555780
	v_add_f64 v[51:52], v[41:42], -v[39:40]
	v_add_f64 v[41:42], v[23:24], -v[41:42]
	v_subbrev_co_u32_e64 v69, s[34:35], 0, v53, s[34:35]
	v_sub_u32_e32 v53, 0, v69
	v_ldexp_f64 v[39:40], v[39:40], v53
	v_add_f64 v[49:50], v[51:52], 1.0
	s_mov_b32 s34, 0xbf559e2b
	s_mov_b32 s35, 0x3fc3ab76
	v_add_f64 v[51:52], v[39:40], 1.0
	v_add_f64 v[41:42], v[41:42], v[49:50]
	v_add_f64 v[58:59], v[39:40], -1.0
	v_add_f64 v[49:50], v[51:52], -1.0
	v_ldexp_f64 v[41:42], v[41:42], v53
	v_add_f64 v[60:61], v[58:59], 1.0
	v_add_f64 v[49:50], v[39:40], -v[49:50]
	v_add_f64 v[39:40], v[39:40], -v[60:61]
	v_add_f64 v[49:50], v[41:42], v[49:50]
	v_add_f64 v[39:40], v[41:42], v[39:40]
	;; [unrolled: 1-line block ×4, first 2 shown]
	v_rcp_f64_e32 v[55:56], v[53:54]
	v_add_f64 v[51:52], v[53:54], -v[51:52]
	v_add_f64 v[58:59], v[60:61], -v[58:59]
	;; [unrolled: 1-line block ×4, first 2 shown]
	v_fma_f64 v[62:63], -v[53:54], v[55:56], 1.0
	v_fma_f64 v[55:56], v[62:63], v[55:56], v[55:56]
	v_fma_f64 v[41:42], -v[53:54], v[55:56], 1.0
	v_fma_f64 v[41:42], v[41:42], v[55:56], v[55:56]
	v_mul_f64 v[55:56], v[60:61], v[41:42]
	v_mul_f64 v[62:63], v[53:54], v[55:56]
	v_fma_f64 v[51:52], v[55:56], v[53:54], -v[62:63]
	v_fma_f64 v[51:52], v[55:56], v[49:50], v[51:52]
	v_add_f64 v[64:65], v[62:63], v[51:52]
	v_add_f64 v[66:67], v[60:61], -v[64:65]
	v_add_f64 v[58:59], v[64:65], -v[62:63]
	;; [unrolled: 1-line block ×5, first 2 shown]
	v_add_f64 v[39:40], v[39:40], v[60:61]
	v_add_f64 v[39:40], v[51:52], v[39:40]
	;; [unrolled: 1-line block ×3, first 2 shown]
	v_mul_f64 v[58:59], v[41:42], v[51:52]
	v_add_f64 v[64:65], v[66:67], -v[51:52]
	v_mul_f64 v[60:61], v[53:54], v[58:59]
	v_add_f64 v[39:40], v[39:40], v[64:65]
	v_fma_f64 v[53:54], v[58:59], v[53:54], -v[60:61]
	v_fma_f64 v[49:50], v[58:59], v[49:50], v[53:54]
	v_add_f64 v[53:54], v[60:61], v[49:50]
	v_add_f64 v[62:63], v[51:52], -v[53:54]
	v_add_f64 v[60:61], v[53:54], -v[60:61]
	;; [unrolled: 1-line block ×5, first 2 shown]
	v_mov_b32_e32 v53, 0x6b47b09a
	v_mov_b32_e32 v54, 0x3fc38538
	v_add_f64 v[39:40], v[39:40], v[51:52]
	v_add_f64 v[51:52], v[55:56], v[58:59]
	;; [unrolled: 1-line block ×3, first 2 shown]
	v_add_f64 v[49:50], v[51:52], -v[55:56]
	v_add_f64 v[39:40], v[62:63], v[39:40]
	v_add_f64 v[49:50], v[58:59], -v[49:50]
	v_mul_f64 v[39:40], v[41:42], v[39:40]
	v_add_f64 v[39:40], v[49:50], v[39:40]
	v_add_f64 v[41:42], v[51:52], v[39:40]
	v_mul_f64 v[49:50], v[41:42], v[41:42]
	v_fma_f64 v[53:54], v[49:50], s[34:35], v[53:54]
	s_mov_b32 s34, 0xd7f4df2e
	s_mov_b32 s35, 0x3fc7474d
	v_mul_f64 v[55:56], v[41:42], v[49:50]
	v_fma_f64 v[53:54], v[49:50], v[53:54], s[34:35]
	s_mov_b32 s34, 0x16291751
	s_mov_b32 s35, 0x3fcc71c0
	v_fma_f64 v[53:54], v[49:50], v[53:54], s[34:35]
	s_mov_b32 s34, 0x9b27acf1
	s_mov_b32 s35, 0x3fd24924
	;; [unrolled: 3-line block ×3, first 2 shown]
	v_fma_f64 v[53:54], v[49:50], v[53:54], s[34:35]
	v_cmp_nge_f64_e64 s[34:35], -1.0, v[23:24]
	v_fma_f64 v[49:50], v[49:50], v[53:54], s[36:37]
	v_ldexp_f64 v[53:54], v[41:42], 1
	v_add_f64 v[41:42], v[41:42], -v[51:52]
	s_mov_b32 s36, 0
	s_mov_b32 s37, 0x7ff00000
	v_cmp_neq_f64_e64 s[36:37], s[36:37], v[23:24]
	v_mul_f64 v[49:50], v[55:56], v[49:50]
	v_cvt_f64_i32_e32 v[55:56], v69
	v_add_f64 v[39:40], v[39:40], -v[41:42]
	v_mul_f64 v[58:59], v[55:56], s[44:45]
	s_and_b64 s[34:35], s[34:35], s[36:37]
	v_add_f64 v[51:52], v[53:54], v[49:50]
	v_ldexp_f64 v[39:40], v[39:40], 1
	v_add_f64 v[41:42], v[51:52], -v[53:54]
	v_fma_f64 v[53:54], v[55:56], s[44:45], -v[58:59]
	v_add_f64 v[41:42], v[49:50], -v[41:42]
	v_fma_f64 v[49:50], v[55:56], s[46:47], v[53:54]
	v_add_f64 v[39:40], v[39:40], v[41:42]
	v_add_f64 v[41:42], v[58:59], v[49:50]
	v_add_f64 v[53:54], v[51:52], v[39:40]
	v_add_f64 v[58:59], v[41:42], -v[58:59]
	v_add_f64 v[55:56], v[41:42], v[53:54]
	v_add_f64 v[51:52], v[53:54], -v[51:52]
	v_add_f64 v[49:50], v[49:50], -v[58:59]
	;; [unrolled: 1-line block ×6, first 2 shown]
	v_add_f64 v[53:54], v[49:50], v[39:40]
	v_add_f64 v[41:42], v[41:42], -v[62:63]
	v_add_f64 v[41:42], v[51:52], v[41:42]
	v_add_f64 v[51:52], v[53:54], -v[49:50]
	;; [unrolled: 2-line block ×3, first 2 shown]
	v_add_f64 v[39:40], v[39:40], -v[51:52]
	v_add_f64 v[58:59], v[55:56], v[41:42]
	v_add_f64 v[49:50], v[49:50], -v[53:54]
	v_add_f64 v[51:52], v[58:59], -v[55:56]
	v_add_f64 v[39:40], v[39:40], v[49:50]
	v_add_f64 v[41:42], v[41:42], -v[51:52]
	v_add_f64 v[39:40], v[39:40], v[41:42]
	v_mov_b32_e32 v41, 0x7ff80000
	v_mov_b32_e32 v42, 0xfff00000
	v_add_f64 v[39:40], v[58:59], v[39:40]
	v_cndmask_b32_e64 v39, 0, v39, s[34:35]
	v_cmp_ngt_f64_e64 s[34:35], -1.0, v[23:24]
	v_cndmask_b32_e64 v40, v68, v40, s[36:37]
	v_cndmask_b32_e64 v40, v41, v40, s[34:35]
	v_cmp_neq_f64_e64 s[34:35], -1.0, v[23:24]
	v_cndmask_b32_e64 v40, v42, v40, s[34:35]
	v_add_f64 v[49:50], v[21:22], v[39:40]
.LBB41_34:
	s_or_b64 exec, exec, s[42:43]
	v_max_f64 v[39:40], v[5:6], v[5:6]
	v_max_f64 v[21:22], v[49:50], v[49:50]
	v_cmp_u_f64_e64 s[34:35], v[49:50], v[49:50]
	v_cmp_u_f64_e64 s[36:37], v[5:6], v[5:6]
	v_min_f64 v[23:24], v[21:22], v[39:40]
	v_max_f64 v[21:22], v[21:22], v[39:40]
	v_cndmask_b32_e64 v23, v23, v49, s[34:35]
	v_cndmask_b32_e64 v24, v24, v50, s[34:35]
	;; [unrolled: 1-line block ×8, first 2 shown]
	v_cmp_neq_f64_e64 s[34:35], v[23:24], v[21:22]
	v_cmp_class_f64_e64 s[42:43], v[23:24], s33
	s_or_b64 s[34:35], s[34:35], s[42:43]
	s_and_saveexec_b64 s[44:45], s[34:35]
	s_cbranch_execz .LBB41_36
; %bb.35:
	v_add_f64 v[23:24], v[23:24], -v[21:22]
	s_mov_b32 s34, 0x652b82fe
	s_mov_b32 s35, 0x3ff71547
	;; [unrolled: 1-line block ×6, first 2 shown]
	v_mov_b32_e32 v51, 0xfca7ab0c
	v_mul_f64 v[41:42], v[23:24], s[34:35]
	s_mov_b32 s34, 0x6a5dcb37
	v_mov_b32_e32 v52, 0x3e928af3
	s_mov_b32 s35, 0x3e5ade15
	s_mov_b32 s42, 0
	;; [unrolled: 1-line block ×3, first 2 shown]
	v_cmp_ngt_f64_e64 s[42:43], s[42:43], v[23:24]
	v_mov_b32_e32 v70, 0x7ff00000
	v_rndne_f64_e32 v[41:42], v[41:42]
	v_fma_f64 v[49:50], v[41:42], s[46:47], v[23:24]
	s_mov_b32 s47, 0x3fe62e42
	v_fma_f64 v[49:50], v[41:42], s[48:49], v[49:50]
	v_cvt_i32_f64_e32 v41, v[41:42]
	s_mov_b32 s49, 0x3c7abc9e
	v_fma_f64 v[51:52], v[49:50], s[34:35], v[51:52]
	s_mov_b32 s34, 0x623fde64
	s_mov_b32 s35, 0x3ec71dee
	v_fma_f64 v[51:52], v[49:50], v[51:52], s[34:35]
	s_mov_b32 s34, 0x7c89e6b0
	;; [unrolled: 3-line block ×9, first 2 shown]
	s_mov_b32 s35, 0x40900000
	v_cmp_nlt_f64_e64 s[34:35], s[34:35], v[23:24]
	v_fma_f64 v[51:52], v[49:50], v[51:52], 1.0
	v_fma_f64 v[49:50], v[49:50], v[51:52], 1.0
	v_ldexp_f64 v[41:42], v[49:50], v41
	v_cndmask_b32_e64 v42, v70, v42, s[34:35]
	s_and_b64 s[34:35], s[42:43], s[34:35]
	v_cndmask_b32_e64 v24, 0, v42, s[42:43]
	v_cndmask_b32_e64 v23, 0, v41, s[34:35]
	v_add_f64 v[41:42], v[23:24], 1.0
	s_mov_b32 s43, 0x3fe55555
	s_mov_b32 s42, 0x55555555
	v_frexp_mant_f64_e32 v[51:52], v[41:42]
	v_frexp_exp_i32_f64_e32 v55, v[41:42]
	v_add_f64 v[49:50], v[41:42], -1.0
	v_cmp_gt_f64_e64 s[34:35], s[42:43], v[51:52]
	s_mov_b32 s42, 0x55555780
	v_add_f64 v[53:54], v[49:50], -v[41:42]
	v_add_f64 v[49:50], v[23:24], -v[49:50]
	v_subbrev_co_u32_e64 v71, s[34:35], 0, v55, s[34:35]
	v_sub_u32_e32 v55, 0, v71
	v_ldexp_f64 v[41:42], v[41:42], v55
	v_add_f64 v[51:52], v[53:54], 1.0
	s_mov_b32 s34, 0xbf559e2b
	s_mov_b32 s35, 0x3fc3ab76
	v_add_f64 v[53:54], v[41:42], 1.0
	v_add_f64 v[49:50], v[49:50], v[51:52]
	v_add_f64 v[60:61], v[41:42], -1.0
	v_add_f64 v[51:52], v[53:54], -1.0
	v_ldexp_f64 v[49:50], v[49:50], v55
	v_add_f64 v[62:63], v[60:61], 1.0
	v_add_f64 v[51:52], v[41:42], -v[51:52]
	v_add_f64 v[41:42], v[41:42], -v[62:63]
	v_add_f64 v[51:52], v[49:50], v[51:52]
	v_add_f64 v[41:42], v[49:50], v[41:42]
	;; [unrolled: 1-line block ×4, first 2 shown]
	v_rcp_f64_e32 v[58:59], v[55:56]
	v_add_f64 v[53:54], v[55:56], -v[53:54]
	v_add_f64 v[60:61], v[62:63], -v[60:61]
	;; [unrolled: 1-line block ×4, first 2 shown]
	v_fma_f64 v[64:65], -v[55:56], v[58:59], 1.0
	v_fma_f64 v[58:59], v[64:65], v[58:59], v[58:59]
	v_fma_f64 v[49:50], -v[55:56], v[58:59], 1.0
	v_fma_f64 v[49:50], v[49:50], v[58:59], v[58:59]
	v_mul_f64 v[58:59], v[62:63], v[49:50]
	v_mul_f64 v[64:65], v[55:56], v[58:59]
	v_fma_f64 v[53:54], v[58:59], v[55:56], -v[64:65]
	v_fma_f64 v[53:54], v[58:59], v[51:52], v[53:54]
	v_add_f64 v[66:67], v[64:65], v[53:54]
	v_add_f64 v[68:69], v[62:63], -v[66:67]
	v_add_f64 v[60:61], v[66:67], -v[64:65]
	;; [unrolled: 1-line block ×5, first 2 shown]
	v_add_f64 v[41:42], v[41:42], v[62:63]
	v_add_f64 v[41:42], v[53:54], v[41:42]
	;; [unrolled: 1-line block ×3, first 2 shown]
	v_mul_f64 v[60:61], v[49:50], v[53:54]
	v_add_f64 v[66:67], v[68:69], -v[53:54]
	v_mul_f64 v[62:63], v[55:56], v[60:61]
	v_add_f64 v[41:42], v[41:42], v[66:67]
	v_fma_f64 v[55:56], v[60:61], v[55:56], -v[62:63]
	v_fma_f64 v[51:52], v[60:61], v[51:52], v[55:56]
	v_add_f64 v[55:56], v[62:63], v[51:52]
	v_add_f64 v[64:65], v[53:54], -v[55:56]
	v_add_f64 v[62:63], v[55:56], -v[62:63]
	;; [unrolled: 1-line block ×5, first 2 shown]
	v_mov_b32_e32 v55, 0x6b47b09a
	v_mov_b32_e32 v56, 0x3fc38538
	v_add_f64 v[41:42], v[41:42], v[53:54]
	v_add_f64 v[53:54], v[58:59], v[60:61]
	;; [unrolled: 1-line block ×3, first 2 shown]
	v_add_f64 v[51:52], v[53:54], -v[58:59]
	v_add_f64 v[41:42], v[64:65], v[41:42]
	v_add_f64 v[51:52], v[60:61], -v[51:52]
	v_mul_f64 v[41:42], v[49:50], v[41:42]
	v_add_f64 v[41:42], v[51:52], v[41:42]
	v_add_f64 v[49:50], v[53:54], v[41:42]
	v_mul_f64 v[51:52], v[49:50], v[49:50]
	v_fma_f64 v[55:56], v[51:52], s[34:35], v[55:56]
	s_mov_b32 s34, 0xd7f4df2e
	s_mov_b32 s35, 0x3fc7474d
	v_mul_f64 v[58:59], v[49:50], v[51:52]
	v_fma_f64 v[55:56], v[51:52], v[55:56], s[34:35]
	s_mov_b32 s34, 0x16291751
	s_mov_b32 s35, 0x3fcc71c0
	v_fma_f64 v[55:56], v[51:52], v[55:56], s[34:35]
	s_mov_b32 s34, 0x9b27acf1
	s_mov_b32 s35, 0x3fd24924
	;; [unrolled: 3-line block ×3, first 2 shown]
	v_fma_f64 v[55:56], v[51:52], v[55:56], s[34:35]
	v_cmp_nge_f64_e64 s[34:35], -1.0, v[23:24]
	v_fma_f64 v[51:52], v[51:52], v[55:56], s[42:43]
	v_ldexp_f64 v[55:56], v[49:50], 1
	v_add_f64 v[49:50], v[49:50], -v[53:54]
	s_mov_b32 s42, 0
	s_mov_b32 s43, 0x7ff00000
	v_cmp_neq_f64_e64 s[42:43], s[42:43], v[23:24]
	v_mul_f64 v[51:52], v[58:59], v[51:52]
	v_cvt_f64_i32_e32 v[58:59], v71
	v_add_f64 v[41:42], v[41:42], -v[49:50]
	v_mul_f64 v[60:61], v[58:59], s[46:47]
	s_and_b64 s[34:35], s[34:35], s[42:43]
	v_add_f64 v[53:54], v[55:56], v[51:52]
	v_ldexp_f64 v[41:42], v[41:42], 1
	v_add_f64 v[49:50], v[53:54], -v[55:56]
	v_fma_f64 v[55:56], v[58:59], s[46:47], -v[60:61]
	v_add_f64 v[49:50], v[51:52], -v[49:50]
	v_fma_f64 v[51:52], v[58:59], s[48:49], v[55:56]
	v_add_f64 v[41:42], v[41:42], v[49:50]
	v_add_f64 v[49:50], v[60:61], v[51:52]
	;; [unrolled: 1-line block ×3, first 2 shown]
	v_add_f64 v[60:61], v[49:50], -v[60:61]
	v_add_f64 v[58:59], v[49:50], v[55:56]
	v_add_f64 v[53:54], v[55:56], -v[53:54]
	v_add_f64 v[51:52], v[51:52], -v[60:61]
	;; [unrolled: 1-line block ×6, first 2 shown]
	v_add_f64 v[55:56], v[51:52], v[41:42]
	v_add_f64 v[49:50], v[49:50], -v[64:65]
	v_add_f64 v[49:50], v[53:54], v[49:50]
	v_add_f64 v[53:54], v[55:56], -v[51:52]
	;; [unrolled: 2-line block ×3, first 2 shown]
	v_add_f64 v[41:42], v[41:42], -v[53:54]
	v_add_f64 v[60:61], v[58:59], v[49:50]
	v_add_f64 v[51:52], v[51:52], -v[55:56]
	v_add_f64 v[53:54], v[60:61], -v[58:59]
	v_add_f64 v[41:42], v[41:42], v[51:52]
	v_add_f64 v[49:50], v[49:50], -v[53:54]
	v_add_f64 v[41:42], v[41:42], v[49:50]
	v_mov_b32_e32 v49, 0x7ff80000
	v_mov_b32_e32 v50, 0xfff00000
	v_add_f64 v[41:42], v[60:61], v[41:42]
	v_cndmask_b32_e64 v41, 0, v41, s[34:35]
	v_cmp_ngt_f64_e64 s[34:35], -1.0, v[23:24]
	v_cndmask_b32_e64 v42, v70, v42, s[42:43]
	v_cndmask_b32_e64 v42, v49, v42, s[34:35]
	v_cmp_neq_f64_e64 s[34:35], -1.0, v[23:24]
	v_cndmask_b32_e64 v42, v50, v42, s[34:35]
	v_add_f64 v[49:50], v[21:22], v[41:42]
.LBB41_36:
	s_or_b64 exec, exec, s[44:45]
	v_max_f64 v[41:42], v[7:8], v[7:8]
	v_max_f64 v[21:22], v[49:50], v[49:50]
	v_cmp_u_f64_e64 s[42:43], v[49:50], v[49:50]
	v_cmp_u_f64_e64 s[34:35], v[7:8], v[7:8]
	v_min_f64 v[23:24], v[21:22], v[41:42]
	v_max_f64 v[21:22], v[21:22], v[41:42]
	v_cndmask_b32_e64 v23, v23, v49, s[42:43]
	v_cndmask_b32_e64 v24, v24, v50, s[42:43]
	;; [unrolled: 1-line block ×8, first 2 shown]
	v_cmp_neq_f64_e64 s[42:43], v[23:24], v[21:22]
	v_cmp_class_f64_e64 s[44:45], v[23:24], s33
	s_or_b64 s[42:43], s[42:43], s[44:45]
	s_and_saveexec_b64 s[46:47], s[42:43]
	s_cbranch_execz .LBB41_38
; %bb.37:
	v_add_f64 v[23:24], v[23:24], -v[21:22]
	s_mov_b32 s42, 0x652b82fe
	s_mov_b32 s43, 0x3ff71547
	;; [unrolled: 1-line block ×6, first 2 shown]
	v_mov_b32_e32 v53, 0xfca7ab0c
	v_mul_f64 v[49:50], v[23:24], s[42:43]
	s_mov_b32 s42, 0x6a5dcb37
	v_mov_b32_e32 v54, 0x3e928af3
	s_mov_b32 s43, 0x3e5ade15
	s_mov_b32 s44, 0
	;; [unrolled: 1-line block ×3, first 2 shown]
	v_cmp_ngt_f64_e64 s[44:45], s[44:45], v[23:24]
	v_mov_b32_e32 v72, 0x7ff00000
	v_rndne_f64_e32 v[49:50], v[49:50]
	v_fma_f64 v[51:52], v[49:50], s[48:49], v[23:24]
	s_mov_b32 s49, 0x3fe62e42
	v_fma_f64 v[51:52], v[49:50], s[50:51], v[51:52]
	v_cvt_i32_f64_e32 v49, v[49:50]
	s_mov_b32 s51, 0x3c7abc9e
	v_fma_f64 v[53:54], v[51:52], s[42:43], v[53:54]
	s_mov_b32 s42, 0x623fde64
	s_mov_b32 s43, 0x3ec71dee
	v_fma_f64 v[53:54], v[51:52], v[53:54], s[42:43]
	s_mov_b32 s42, 0x7c89e6b0
	;; [unrolled: 3-line block ×9, first 2 shown]
	s_mov_b32 s43, 0x40900000
	v_cmp_nlt_f64_e64 s[42:43], s[42:43], v[23:24]
	v_fma_f64 v[53:54], v[51:52], v[53:54], 1.0
	v_fma_f64 v[51:52], v[51:52], v[53:54], 1.0
	v_ldexp_f64 v[49:50], v[51:52], v49
	v_cndmask_b32_e64 v50, v72, v50, s[42:43]
	s_and_b64 s[42:43], s[44:45], s[42:43]
	v_cndmask_b32_e64 v24, 0, v50, s[44:45]
	v_cndmask_b32_e64 v23, 0, v49, s[42:43]
	v_add_f64 v[49:50], v[23:24], 1.0
	s_mov_b32 s45, 0x3fe55555
	s_mov_b32 s44, 0x55555555
	v_frexp_mant_f64_e32 v[53:54], v[49:50]
	v_frexp_exp_i32_f64_e32 v58, v[49:50]
	v_add_f64 v[51:52], v[49:50], -1.0
	v_cmp_gt_f64_e64 s[42:43], s[44:45], v[53:54]
	s_mov_b32 s44, 0x55555780
	v_add_f64 v[55:56], v[51:52], -v[49:50]
	v_add_f64 v[51:52], v[23:24], -v[51:52]
	v_subbrev_co_u32_e64 v73, s[42:43], 0, v58, s[42:43]
	v_sub_u32_e32 v58, 0, v73
	v_ldexp_f64 v[49:50], v[49:50], v58
	v_add_f64 v[53:54], v[55:56], 1.0
	s_mov_b32 s42, 0xbf559e2b
	s_mov_b32 s43, 0x3fc3ab76
	v_add_f64 v[55:56], v[49:50], 1.0
	v_add_f64 v[51:52], v[51:52], v[53:54]
	v_add_f64 v[62:63], v[49:50], -1.0
	v_add_f64 v[53:54], v[55:56], -1.0
	v_ldexp_f64 v[51:52], v[51:52], v58
	v_add_f64 v[64:65], v[62:63], 1.0
	v_add_f64 v[53:54], v[49:50], -v[53:54]
	v_add_f64 v[49:50], v[49:50], -v[64:65]
	v_add_f64 v[53:54], v[51:52], v[53:54]
	v_add_f64 v[49:50], v[51:52], v[49:50]
	;; [unrolled: 1-line block ×4, first 2 shown]
	v_rcp_f64_e32 v[60:61], v[58:59]
	v_add_f64 v[55:56], v[58:59], -v[55:56]
	v_add_f64 v[62:63], v[64:65], -v[62:63]
	;; [unrolled: 1-line block ×4, first 2 shown]
	v_fma_f64 v[66:67], -v[58:59], v[60:61], 1.0
	v_fma_f64 v[60:61], v[66:67], v[60:61], v[60:61]
	v_fma_f64 v[51:52], -v[58:59], v[60:61], 1.0
	v_fma_f64 v[51:52], v[51:52], v[60:61], v[60:61]
	v_mul_f64 v[60:61], v[64:65], v[51:52]
	v_mul_f64 v[66:67], v[58:59], v[60:61]
	v_fma_f64 v[55:56], v[60:61], v[58:59], -v[66:67]
	v_fma_f64 v[55:56], v[60:61], v[53:54], v[55:56]
	v_add_f64 v[68:69], v[66:67], v[55:56]
	v_add_f64 v[70:71], v[64:65], -v[68:69]
	v_add_f64 v[62:63], v[68:69], -v[66:67]
	;; [unrolled: 1-line block ×5, first 2 shown]
	v_add_f64 v[49:50], v[49:50], v[64:65]
	v_add_f64 v[49:50], v[55:56], v[49:50]
	v_add_f64 v[55:56], v[70:71], v[49:50]
	v_mul_f64 v[62:63], v[51:52], v[55:56]
	v_add_f64 v[68:69], v[70:71], -v[55:56]
	v_mul_f64 v[64:65], v[58:59], v[62:63]
	v_add_f64 v[49:50], v[49:50], v[68:69]
	v_fma_f64 v[58:59], v[62:63], v[58:59], -v[64:65]
	v_fma_f64 v[53:54], v[62:63], v[53:54], v[58:59]
	v_add_f64 v[58:59], v[64:65], v[53:54]
	v_add_f64 v[66:67], v[55:56], -v[58:59]
	v_add_f64 v[64:65], v[58:59], -v[64:65]
	;; [unrolled: 1-line block ×5, first 2 shown]
	v_mov_b32_e32 v58, 0x6b47b09a
	v_mov_b32_e32 v59, 0x3fc38538
	v_add_f64 v[49:50], v[49:50], v[55:56]
	v_add_f64 v[55:56], v[60:61], v[62:63]
	;; [unrolled: 1-line block ×3, first 2 shown]
	v_add_f64 v[53:54], v[55:56], -v[60:61]
	v_add_f64 v[49:50], v[66:67], v[49:50]
	v_add_f64 v[53:54], v[62:63], -v[53:54]
	v_mul_f64 v[49:50], v[51:52], v[49:50]
	v_add_f64 v[49:50], v[53:54], v[49:50]
	v_add_f64 v[51:52], v[55:56], v[49:50]
	v_mul_f64 v[53:54], v[51:52], v[51:52]
	v_fma_f64 v[58:59], v[53:54], s[42:43], v[58:59]
	s_mov_b32 s42, 0xd7f4df2e
	s_mov_b32 s43, 0x3fc7474d
	v_mul_f64 v[60:61], v[51:52], v[53:54]
	v_fma_f64 v[58:59], v[53:54], v[58:59], s[42:43]
	s_mov_b32 s42, 0x16291751
	s_mov_b32 s43, 0x3fcc71c0
	v_fma_f64 v[58:59], v[53:54], v[58:59], s[42:43]
	s_mov_b32 s42, 0x9b27acf1
	s_mov_b32 s43, 0x3fd24924
	;; [unrolled: 3-line block ×3, first 2 shown]
	v_fma_f64 v[58:59], v[53:54], v[58:59], s[42:43]
	v_cmp_nge_f64_e64 s[42:43], -1.0, v[23:24]
	v_fma_f64 v[53:54], v[53:54], v[58:59], s[44:45]
	v_ldexp_f64 v[58:59], v[51:52], 1
	v_add_f64 v[51:52], v[51:52], -v[55:56]
	s_mov_b32 s44, 0
	s_mov_b32 s45, 0x7ff00000
	v_cmp_neq_f64_e64 s[44:45], s[44:45], v[23:24]
	v_mul_f64 v[53:54], v[60:61], v[53:54]
	v_cvt_f64_i32_e32 v[60:61], v73
	v_add_f64 v[49:50], v[49:50], -v[51:52]
	v_mul_f64 v[62:63], v[60:61], s[48:49]
	s_and_b64 s[42:43], s[42:43], s[44:45]
	v_add_f64 v[55:56], v[58:59], v[53:54]
	v_ldexp_f64 v[49:50], v[49:50], 1
	v_add_f64 v[51:52], v[55:56], -v[58:59]
	v_fma_f64 v[58:59], v[60:61], s[48:49], -v[62:63]
	v_add_f64 v[51:52], v[53:54], -v[51:52]
	v_fma_f64 v[53:54], v[60:61], s[50:51], v[58:59]
	v_add_f64 v[49:50], v[49:50], v[51:52]
	v_add_f64 v[51:52], v[62:63], v[53:54]
	;; [unrolled: 1-line block ×3, first 2 shown]
	v_add_f64 v[62:63], v[51:52], -v[62:63]
	v_add_f64 v[60:61], v[51:52], v[58:59]
	v_add_f64 v[55:56], v[58:59], -v[55:56]
	v_add_f64 v[53:54], v[53:54], -v[62:63]
	;; [unrolled: 1-line block ×6, first 2 shown]
	v_add_f64 v[58:59], v[53:54], v[49:50]
	v_add_f64 v[51:52], v[51:52], -v[66:67]
	v_add_f64 v[51:52], v[55:56], v[51:52]
	v_add_f64 v[55:56], v[58:59], -v[53:54]
	v_add_f64 v[51:52], v[58:59], v[51:52]
	v_add_f64 v[58:59], v[58:59], -v[55:56]
	v_add_f64 v[49:50], v[49:50], -v[55:56]
	v_add_f64 v[62:63], v[60:61], v[51:52]
	v_add_f64 v[53:54], v[53:54], -v[58:59]
	v_add_f64 v[55:56], v[62:63], -v[60:61]
	v_add_f64 v[49:50], v[49:50], v[53:54]
	v_add_f64 v[51:52], v[51:52], -v[55:56]
	v_add_f64 v[49:50], v[49:50], v[51:52]
	v_mov_b32_e32 v51, 0x7ff80000
	v_mov_b32_e32 v52, 0xfff00000
	v_add_f64 v[49:50], v[62:63], v[49:50]
	v_cndmask_b32_e64 v49, 0, v49, s[42:43]
	v_cmp_ngt_f64_e64 s[42:43], -1.0, v[23:24]
	v_cndmask_b32_e64 v50, v72, v50, s[44:45]
	v_cndmask_b32_e64 v50, v51, v50, s[42:43]
	v_cmp_neq_f64_e64 s[42:43], -1.0, v[23:24]
	v_cndmask_b32_e64 v50, v52, v50, s[42:43]
	v_add_f64 v[49:50], v[21:22], v[49:50]
.LBB41_38:
	s_or_b64 exec, exec, s[46:47]
	s_load_dwordx2 s[46:47], s[4:5], 0x20
	v_lshrrev_b32_e32 v21, 2, v0
	v_and_b32_e32 v21, 24, v21
	v_lshl_add_u32 v21, v0, 3, v21
	v_cmp_gt_u32_e64 s[4:5], 64, v0
	ds_write_b64 v21, v[49:50]
	s_waitcnt lgkmcnt(0)
	s_barrier
	s_and_saveexec_b64 s[48:49], s[4:5]
	s_cbranch_execz .LBB41_70
; %bb.39:
	v_lshrrev_b32_e32 v21, 1, v0
	v_and_b32_e32 v21, 56, v21
	v_lshlrev_b32_e32 v22, 4, v0
	v_add_u32_e32 v58, v21, v22
	ds_read2_b64 v[21:24], v58 offset1:1
	s_waitcnt lgkmcnt(0)
	v_max_f64 v[53:54], v[23:24], v[23:24]
	v_max_f64 v[51:52], v[21:22], v[21:22]
	v_cmp_u_f64_e64 s[4:5], v[21:22], v[21:22]
	v_cmp_u_f64_e64 s[42:43], v[23:24], v[23:24]
	v_min_f64 v[55:56], v[51:52], v[53:54]
	v_max_f64 v[53:54], v[51:52], v[53:54]
	v_cndmask_b32_e64 v55, v55, v21, s[4:5]
	v_cndmask_b32_e64 v56, v56, v22, s[4:5]
	v_cndmask_b32_e64 v53, v53, v21, s[4:5]
	v_cndmask_b32_e64 v54, v54, v22, s[4:5]
	v_cndmask_b32_e64 v56, v56, v24, s[42:43]
	v_cndmask_b32_e64 v55, v55, v23, s[42:43]
	v_cndmask_b32_e64 v54, v54, v24, s[42:43]
	v_cndmask_b32_e64 v53, v53, v23, s[42:43]
	v_cmp_neq_f64_e64 s[42:43], v[55:56], v[53:54]
	v_cmp_class_f64_e64 s[44:45], v[55:56], s33
	v_mov_b32_e32 v24, v22
	v_mov_b32_e32 v23, v21
	s_or_b64 s[42:43], s[42:43], s[44:45]
	s_and_saveexec_b64 s[50:51], s[42:43]
	s_cbranch_execz .LBB41_41
; %bb.40:
	v_add_f64 v[23:24], v[55:56], -v[53:54]
	s_mov_b32 s42, 0x652b82fe
	s_mov_b32 s43, 0x3ff71547
	;; [unrolled: 1-line block ×6, first 2 shown]
	v_mov_b32_e32 v61, 0xfca7ab0c
	v_mul_f64 v[55:56], v[23:24], s[42:43]
	s_mov_b32 s42, 0x6a5dcb37
	v_mov_b32_e32 v62, 0x3e928af3
	s_mov_b32 s43, 0x3e5ade15
	s_mov_b32 s44, 0
	;; [unrolled: 1-line block ×3, first 2 shown]
	v_cmp_ngt_f64_e64 s[44:45], s[44:45], v[23:24]
	v_mov_b32_e32 v79, 0x7ff00000
	v_rndne_f64_e32 v[55:56], v[55:56]
	v_fma_f64 v[59:60], v[55:56], s[52:53], v[23:24]
	s_mov_b32 s53, 0x3fe62e42
	v_fma_f64 v[59:60], v[55:56], s[54:55], v[59:60]
	v_cvt_i32_f64_e32 v55, v[55:56]
	s_mov_b32 s55, 0x3c7abc9e
	v_fma_f64 v[61:62], v[59:60], s[42:43], v[61:62]
	s_mov_b32 s42, 0x623fde64
	s_mov_b32 s43, 0x3ec71dee
	v_fma_f64 v[61:62], v[59:60], v[61:62], s[42:43]
	s_mov_b32 s42, 0x7c89e6b0
	;; [unrolled: 3-line block ×9, first 2 shown]
	s_mov_b32 s43, 0x40900000
	v_cmp_nlt_f64_e64 s[42:43], s[42:43], v[23:24]
	v_fma_f64 v[61:62], v[59:60], v[61:62], 1.0
	v_fma_f64 v[59:60], v[59:60], v[61:62], 1.0
	v_ldexp_f64 v[55:56], v[59:60], v55
	v_cndmask_b32_e64 v56, v79, v56, s[42:43]
	s_and_b64 s[42:43], s[44:45], s[42:43]
	v_cndmask_b32_e64 v24, 0, v56, s[44:45]
	v_cndmask_b32_e64 v23, 0, v55, s[42:43]
	v_add_f64 v[55:56], v[23:24], 1.0
	s_mov_b32 s45, 0x3fe55555
	s_mov_b32 s44, 0x55555555
	v_frexp_mant_f64_e32 v[61:62], v[55:56]
	v_frexp_exp_i32_f64_e32 v65, v[55:56]
	v_add_f64 v[59:60], v[55:56], -1.0
	v_cmp_gt_f64_e64 s[42:43], s[44:45], v[61:62]
	s_mov_b32 s44, 0x55555780
	v_add_f64 v[63:64], v[59:60], -v[55:56]
	v_add_f64 v[59:60], v[23:24], -v[59:60]
	v_subbrev_co_u32_e64 v80, s[42:43], 0, v65, s[42:43]
	v_sub_u32_e32 v65, 0, v80
	v_ldexp_f64 v[55:56], v[55:56], v65
	v_add_f64 v[61:62], v[63:64], 1.0
	s_mov_b32 s42, 0xbf559e2b
	s_mov_b32 s43, 0x3fc3ab76
	v_add_f64 v[63:64], v[55:56], 1.0
	v_add_f64 v[59:60], v[59:60], v[61:62]
	v_add_f64 v[69:70], v[55:56], -1.0
	v_add_f64 v[61:62], v[63:64], -1.0
	v_ldexp_f64 v[59:60], v[59:60], v65
	v_add_f64 v[71:72], v[69:70], 1.0
	v_add_f64 v[61:62], v[55:56], -v[61:62]
	v_add_f64 v[55:56], v[55:56], -v[71:72]
	v_add_f64 v[61:62], v[59:60], v[61:62]
	v_add_f64 v[55:56], v[59:60], v[55:56]
	;; [unrolled: 1-line block ×4, first 2 shown]
	v_rcp_f64_e32 v[67:68], v[65:66]
	v_add_f64 v[63:64], v[65:66], -v[63:64]
	v_add_f64 v[69:70], v[71:72], -v[69:70]
	;; [unrolled: 1-line block ×4, first 2 shown]
	v_fma_f64 v[73:74], -v[65:66], v[67:68], 1.0
	v_fma_f64 v[67:68], v[73:74], v[67:68], v[67:68]
	v_fma_f64 v[59:60], -v[65:66], v[67:68], 1.0
	v_fma_f64 v[59:60], v[59:60], v[67:68], v[67:68]
	v_mul_f64 v[67:68], v[71:72], v[59:60]
	v_mul_f64 v[73:74], v[65:66], v[67:68]
	v_fma_f64 v[63:64], v[67:68], v[65:66], -v[73:74]
	v_fma_f64 v[63:64], v[67:68], v[61:62], v[63:64]
	v_add_f64 v[75:76], v[73:74], v[63:64]
	v_add_f64 v[77:78], v[71:72], -v[75:76]
	v_add_f64 v[69:70], v[75:76], -v[73:74]
	;; [unrolled: 1-line block ×5, first 2 shown]
	v_add_f64 v[55:56], v[55:56], v[71:72]
	v_add_f64 v[55:56], v[63:64], v[55:56]
	;; [unrolled: 1-line block ×3, first 2 shown]
	v_mul_f64 v[69:70], v[59:60], v[63:64]
	v_add_f64 v[75:76], v[77:78], -v[63:64]
	v_mul_f64 v[71:72], v[65:66], v[69:70]
	v_add_f64 v[55:56], v[55:56], v[75:76]
	v_fma_f64 v[65:66], v[69:70], v[65:66], -v[71:72]
	v_fma_f64 v[61:62], v[69:70], v[61:62], v[65:66]
	v_add_f64 v[65:66], v[71:72], v[61:62]
	v_add_f64 v[73:74], v[63:64], -v[65:66]
	v_add_f64 v[71:72], v[65:66], -v[71:72]
	v_add_f64 v[63:64], v[63:64], -v[73:74]
	v_add_f64 v[61:62], v[71:72], -v[61:62]
	v_add_f64 v[63:64], v[63:64], -v[65:66]
	v_mov_b32_e32 v65, 0x6b47b09a
	v_mov_b32_e32 v66, 0x3fc38538
	v_add_f64 v[55:56], v[55:56], v[63:64]
	v_add_f64 v[63:64], v[67:68], v[69:70]
	;; [unrolled: 1-line block ×3, first 2 shown]
	v_add_f64 v[61:62], v[63:64], -v[67:68]
	v_add_f64 v[55:56], v[73:74], v[55:56]
	v_add_f64 v[61:62], v[69:70], -v[61:62]
	v_mul_f64 v[55:56], v[59:60], v[55:56]
	v_add_f64 v[55:56], v[61:62], v[55:56]
	v_add_f64 v[59:60], v[63:64], v[55:56]
	v_mul_f64 v[61:62], v[59:60], v[59:60]
	v_fma_f64 v[65:66], v[61:62], s[42:43], v[65:66]
	s_mov_b32 s42, 0xd7f4df2e
	s_mov_b32 s43, 0x3fc7474d
	v_mul_f64 v[67:68], v[59:60], v[61:62]
	v_fma_f64 v[65:66], v[61:62], v[65:66], s[42:43]
	s_mov_b32 s42, 0x16291751
	s_mov_b32 s43, 0x3fcc71c0
	v_fma_f64 v[65:66], v[61:62], v[65:66], s[42:43]
	s_mov_b32 s42, 0x9b27acf1
	s_mov_b32 s43, 0x3fd24924
	;; [unrolled: 3-line block ×3, first 2 shown]
	v_fma_f64 v[65:66], v[61:62], v[65:66], s[42:43]
	v_cmp_nge_f64_e64 s[42:43], -1.0, v[23:24]
	v_fma_f64 v[61:62], v[61:62], v[65:66], s[44:45]
	v_ldexp_f64 v[65:66], v[59:60], 1
	v_add_f64 v[59:60], v[59:60], -v[63:64]
	s_mov_b32 s44, 0
	s_mov_b32 s45, 0x7ff00000
	v_cmp_neq_f64_e64 s[44:45], s[44:45], v[23:24]
	v_mul_f64 v[61:62], v[67:68], v[61:62]
	v_cvt_f64_i32_e32 v[67:68], v80
	v_add_f64 v[55:56], v[55:56], -v[59:60]
	v_mul_f64 v[69:70], v[67:68], s[52:53]
	s_and_b64 s[42:43], s[42:43], s[44:45]
	v_add_f64 v[63:64], v[65:66], v[61:62]
	v_ldexp_f64 v[55:56], v[55:56], 1
	v_add_f64 v[59:60], v[63:64], -v[65:66]
	v_fma_f64 v[65:66], v[67:68], s[52:53], -v[69:70]
	v_add_f64 v[59:60], v[61:62], -v[59:60]
	v_fma_f64 v[61:62], v[67:68], s[54:55], v[65:66]
	v_add_f64 v[55:56], v[55:56], v[59:60]
	v_add_f64 v[59:60], v[69:70], v[61:62]
	;; [unrolled: 1-line block ×3, first 2 shown]
	v_add_f64 v[69:70], v[59:60], -v[69:70]
	v_add_f64 v[67:68], v[59:60], v[65:66]
	v_add_f64 v[63:64], v[65:66], -v[63:64]
	v_add_f64 v[61:62], v[61:62], -v[69:70]
	;; [unrolled: 1-line block ×6, first 2 shown]
	v_add_f64 v[65:66], v[61:62], v[55:56]
	v_add_f64 v[59:60], v[59:60], -v[73:74]
	v_add_f64 v[59:60], v[63:64], v[59:60]
	v_add_f64 v[63:64], v[65:66], -v[61:62]
	;; [unrolled: 2-line block ×3, first 2 shown]
	v_add_f64 v[55:56], v[55:56], -v[63:64]
	v_add_f64 v[69:70], v[67:68], v[59:60]
	v_add_f64 v[61:62], v[61:62], -v[65:66]
	v_add_f64 v[63:64], v[69:70], -v[67:68]
	v_add_f64 v[55:56], v[55:56], v[61:62]
	v_add_f64 v[59:60], v[59:60], -v[63:64]
	v_add_f64 v[55:56], v[55:56], v[59:60]
	v_mov_b32_e32 v59, 0x7ff80000
	v_mov_b32_e32 v60, 0xfff00000
	v_add_f64 v[55:56], v[69:70], v[55:56]
	v_cndmask_b32_e64 v55, 0, v55, s[42:43]
	v_cmp_ngt_f64_e64 s[42:43], -1.0, v[23:24]
	v_cndmask_b32_e64 v56, v79, v56, s[44:45]
	v_cndmask_b32_e64 v56, v59, v56, s[42:43]
	v_cmp_neq_f64_e64 s[42:43], -1.0, v[23:24]
	v_cndmask_b32_e64 v56, v60, v56, s[42:43]
	v_add_f64 v[23:24], v[53:54], v[55:56]
.LBB41_41:
	s_or_b64 exec, exec, s[50:51]
	v_mbcnt_lo_u32_b32 v53, -1, 0
	v_mbcnt_hi_u32_b32 v59, -1, v53
	v_and_b32_e32 v60, 15, v59
	v_mov_b32_dpp v53, v23 row_shr:1 row_mask:0xf bank_mask:0xf
	v_mov_b32_dpp v54, v24 row_shr:1 row_mask:0xf bank_mask:0xf
	v_cmp_ne_u32_e64 s[42:43], 0, v60
	v_mov_b32_e32 v55, v23
	v_mov_b32_e32 v56, v24
	s_and_saveexec_b64 s[44:45], s[42:43]
	s_xor_b64 s[50:51], exec, s[44:45]
	s_cbranch_execz .LBB41_45
; %bb.42:
	v_max_f64 v[55:56], v[53:54], v[53:54]
	v_max_f64 v[61:62], v[23:24], v[23:24]
	v_cmp_u_f64_e64 s[42:43], v[53:54], v[53:54]
	v_cmp_u_f64_e64 s[44:45], v[23:24], v[23:24]
	v_min_f64 v[63:64], v[55:56], v[61:62]
	v_max_f64 v[55:56], v[55:56], v[61:62]
	v_cndmask_b32_e64 v61, v64, v54, s[42:43]
	v_cndmask_b32_e64 v62, v63, v53, s[42:43]
	v_cndmask_b32_e64 v63, v56, v54, s[42:43]
	v_cndmask_b32_e64 v64, v55, v53, s[42:43]
	v_cndmask_b32_e64 v56, v61, v24, s[44:45]
	v_cndmask_b32_e64 v55, v62, v23, s[44:45]
	v_cndmask_b32_e64 v24, v63, v24, s[44:45]
	v_cndmask_b32_e64 v23, v64, v23, s[44:45]
	v_cmp_neq_f64_e64 s[42:43], v[55:56], v[23:24]
	v_cmp_class_f64_e64 s[44:45], v[55:56], s33
	s_or_b64 s[42:43], s[42:43], s[44:45]
	s_and_saveexec_b64 s[52:53], s[42:43]
	s_cbranch_execz .LBB41_44
; %bb.43:
	v_add_f64 v[53:54], v[55:56], -v[23:24]
	s_mov_b32 s42, 0x652b82fe
	s_mov_b32 s43, 0x3ff71547
	;; [unrolled: 1-line block ×6, first 2 shown]
	v_mov_b32_e32 v63, 0xfca7ab0c
	v_mul_f64 v[55:56], v[53:54], s[42:43]
	s_mov_b32 s42, 0x6a5dcb37
	v_mov_b32_e32 v64, 0x3e928af3
	s_mov_b32 s43, 0x3e5ade15
	s_mov_b32 s44, 0
	;; [unrolled: 1-line block ×3, first 2 shown]
	v_cmp_ngt_f64_e64 s[44:45], s[44:45], v[53:54]
	v_mov_b32_e32 v79, 0x7ff00000
	v_rndne_f64_e32 v[55:56], v[55:56]
	v_fma_f64 v[61:62], v[55:56], s[54:55], v[53:54]
	s_mov_b32 s55, 0x3fe62e42
	v_fma_f64 v[61:62], v[55:56], s[56:57], v[61:62]
	v_cvt_i32_f64_e32 v55, v[55:56]
	s_mov_b32 s57, 0x3c7abc9e
	v_fma_f64 v[63:64], v[61:62], s[42:43], v[63:64]
	s_mov_b32 s42, 0x623fde64
	s_mov_b32 s43, 0x3ec71dee
	v_fma_f64 v[63:64], v[61:62], v[63:64], s[42:43]
	s_mov_b32 s42, 0x7c89e6b0
	;; [unrolled: 3-line block ×9, first 2 shown]
	s_mov_b32 s43, 0x40900000
	v_cmp_nlt_f64_e64 s[42:43], s[42:43], v[53:54]
	v_fma_f64 v[63:64], v[61:62], v[63:64], 1.0
	v_fma_f64 v[61:62], v[61:62], v[63:64], 1.0
	v_ldexp_f64 v[55:56], v[61:62], v55
	v_cndmask_b32_e64 v56, v79, v56, s[42:43]
	s_and_b64 s[42:43], s[44:45], s[42:43]
	v_cndmask_b32_e64 v53, 0, v55, s[42:43]
	v_cndmask_b32_e64 v54, 0, v56, s[44:45]
	v_add_f64 v[55:56], v[53:54], 1.0
	s_mov_b32 s45, 0x3fe55555
	s_mov_b32 s44, 0x55555555
	v_add_f64 v[61:62], v[55:56], -1.0
	v_frexp_exp_i32_f64_e32 v65, v[55:56]
	v_add_f64 v[63:64], v[61:62], -v[55:56]
	v_add_f64 v[61:62], v[53:54], -v[61:62]
	v_add_f64 v[63:64], v[63:64], 1.0
	v_add_f64 v[61:62], v[61:62], v[63:64]
	v_frexp_mant_f64_e32 v[63:64], v[55:56]
	v_cmp_gt_f64_e64 s[42:43], s[44:45], v[63:64]
	s_mov_b32 s44, 0x55555780
	v_subbrev_co_u32_e64 v80, s[42:43], 0, v65, s[42:43]
	v_sub_u32_e32 v63, 0, v80
	v_ldexp_f64 v[55:56], v[55:56], v63
	v_ldexp_f64 v[61:62], v[61:62], v63
	s_mov_b32 s42, 0xbf559e2b
	s_mov_b32 s43, 0x3fc3ab76
	v_add_f64 v[63:64], v[55:56], -1.0
	v_add_f64 v[65:66], v[63:64], 1.0
	v_add_f64 v[65:66], v[55:56], -v[65:66]
	v_add_f64 v[65:66], v[61:62], v[65:66]
	v_add_f64 v[67:68], v[63:64], v[65:66]
	v_add_f64 v[63:64], v[67:68], -v[63:64]
	v_add_f64 v[63:64], v[65:66], -v[63:64]
	v_add_f64 v[65:66], v[55:56], 1.0
	v_add_f64 v[69:70], v[65:66], -1.0
	v_add_f64 v[55:56], v[55:56], -v[69:70]
	v_add_f64 v[55:56], v[61:62], v[55:56]
	v_add_f64 v[61:62], v[65:66], v[55:56]
	v_add_f64 v[65:66], v[61:62], -v[65:66]
	v_add_f64 v[55:56], v[55:56], -v[65:66]
	v_rcp_f64_e32 v[65:66], v[61:62]
	v_fma_f64 v[69:70], -v[61:62], v[65:66], 1.0
	v_fma_f64 v[65:66], v[69:70], v[65:66], v[65:66]
	v_fma_f64 v[69:70], -v[61:62], v[65:66], 1.0
	v_fma_f64 v[65:66], v[69:70], v[65:66], v[65:66]
	v_mul_f64 v[69:70], v[67:68], v[65:66]
	v_mul_f64 v[71:72], v[61:62], v[69:70]
	v_fma_f64 v[73:74], v[69:70], v[61:62], -v[71:72]
	v_fma_f64 v[73:74], v[69:70], v[55:56], v[73:74]
	v_add_f64 v[75:76], v[71:72], v[73:74]
	v_add_f64 v[77:78], v[67:68], -v[75:76]
	v_add_f64 v[71:72], v[75:76], -v[71:72]
	;; [unrolled: 1-line block ×4, first 2 shown]
	v_add_f64 v[63:64], v[63:64], v[67:68]
	v_add_f64 v[67:68], v[71:72], -v[73:74]
	v_add_f64 v[63:64], v[67:68], v[63:64]
	v_add_f64 v[67:68], v[77:78], v[63:64]
	v_add_f64 v[71:72], v[77:78], -v[67:68]
	v_add_f64 v[63:64], v[63:64], v[71:72]
	v_mul_f64 v[71:72], v[65:66], v[67:68]
	v_mul_f64 v[73:74], v[61:62], v[71:72]
	v_fma_f64 v[61:62], v[71:72], v[61:62], -v[73:74]
	v_fma_f64 v[55:56], v[71:72], v[55:56], v[61:62]
	v_add_f64 v[61:62], v[73:74], v[55:56]
	v_add_f64 v[75:76], v[67:68], -v[61:62]
	v_add_f64 v[73:74], v[61:62], -v[73:74]
	;; [unrolled: 1-line block ×5, first 2 shown]
	v_cvt_f64_i32_e32 v[67:68], v80
	v_add_f64 v[61:62], v[63:64], v[61:62]
	v_add_f64 v[55:56], v[55:56], v[61:62]
	;; [unrolled: 1-line block ×4, first 2 shown]
	v_add_f64 v[63:64], v[61:62], -v[69:70]
	v_mul_f64 v[69:70], v[67:68], s[54:55]
	v_mul_f64 v[55:56], v[65:66], v[55:56]
	v_add_f64 v[63:64], v[71:72], -v[63:64]
	v_mov_b32_e32 v65, 0x6b47b09a
	v_mov_b32_e32 v66, 0x3fc38538
	v_fma_f64 v[71:72], v[67:68], s[54:55], -v[69:70]
	v_add_f64 v[55:56], v[63:64], v[55:56]
	v_fma_f64 v[67:68], v[67:68], s[56:57], v[71:72]
	v_add_f64 v[63:64], v[61:62], v[55:56]
	v_add_f64 v[71:72], v[69:70], v[67:68]
	v_add_f64 v[61:62], v[63:64], -v[61:62]
	v_add_f64 v[69:70], v[71:72], -v[69:70]
	;; [unrolled: 1-line block ×3, first 2 shown]
	v_mul_f64 v[61:62], v[63:64], v[63:64]
	v_add_f64 v[67:68], v[67:68], -v[69:70]
	v_ldexp_f64 v[69:70], v[63:64], 1
	v_ldexp_f64 v[55:56], v[55:56], 1
	v_fma_f64 v[65:66], v[61:62], s[42:43], v[65:66]
	s_mov_b32 s42, 0xd7f4df2e
	s_mov_b32 s43, 0x3fc7474d
	v_fma_f64 v[65:66], v[61:62], v[65:66], s[42:43]
	s_mov_b32 s42, 0x16291751
	s_mov_b32 s43, 0x3fcc71c0
	;; [unrolled: 3-line block ×5, first 2 shown]
	v_cmp_neq_f64_e64 s[42:43], s[42:43], v[53:54]
	v_fma_f64 v[65:66], v[61:62], v[65:66], s[44:45]
	v_mul_f64 v[61:62], v[63:64], v[61:62]
	v_cmp_ngt_f64_e64 s[44:45], -1.0, v[53:54]
	v_mul_f64 v[61:62], v[61:62], v[65:66]
	v_add_f64 v[63:64], v[69:70], v[61:62]
	v_add_f64 v[65:66], v[63:64], -v[69:70]
	v_add_f64 v[61:62], v[61:62], -v[65:66]
	v_add_f64 v[55:56], v[55:56], v[61:62]
	v_add_f64 v[61:62], v[63:64], v[55:56]
	v_add_f64 v[63:64], v[61:62], -v[63:64]
	v_add_f64 v[55:56], v[55:56], -v[63:64]
	v_add_f64 v[63:64], v[71:72], v[61:62]
	v_add_f64 v[65:66], v[63:64], -v[71:72]
	v_add_f64 v[69:70], v[63:64], -v[65:66]
	;; [unrolled: 1-line block ×3, first 2 shown]
	v_add_f64 v[65:66], v[67:68], v[55:56]
	v_add_f64 v[69:70], v[71:72], -v[69:70]
	v_add_f64 v[61:62], v[61:62], v[69:70]
	v_add_f64 v[69:70], v[65:66], -v[67:68]
	;; [unrolled: 2-line block ×3, first 2 shown]
	v_add_f64 v[55:56], v[55:56], -v[69:70]
	v_add_f64 v[65:66], v[63:64], v[61:62]
	v_add_f64 v[67:68], v[67:68], -v[71:72]
	v_add_f64 v[63:64], v[65:66], -v[63:64]
	v_add_f64 v[55:56], v[55:56], v[67:68]
	v_add_f64 v[61:62], v[61:62], -v[63:64]
	v_add_f64 v[55:56], v[55:56], v[61:62]
	v_mov_b32_e32 v61, 0x7ff80000
	v_add_f64 v[55:56], v[65:66], v[55:56]
	v_cndmask_b32_e64 v56, v79, v56, s[42:43]
	v_cndmask_b32_e64 v56, v61, v56, s[44:45]
	v_cmp_nge_f64_e64 s[44:45], -1.0, v[53:54]
	s_and_b64 s[42:43], s[44:45], s[42:43]
	v_cndmask_b32_e64 v55, 0, v55, s[42:43]
	v_cmp_neq_f64_e64 s[42:43], -1.0, v[53:54]
	v_mov_b32_e32 v53, 0xfff00000
	v_cndmask_b32_e64 v56, v53, v56, s[42:43]
	v_add_f64 v[53:54], v[23:24], v[55:56]
.LBB41_44:
	s_or_b64 exec, exec, s[52:53]
	v_mov_b32_e32 v23, v53
	v_mov_b32_e32 v55, v53
	;; [unrolled: 1-line block ×4, first 2 shown]
.LBB41_45:
	s_or_b64 exec, exec, s[50:51]
	v_mov_b32_dpp v53, v55 row_shr:2 row_mask:0xf bank_mask:0xf
	v_mov_b32_dpp v54, v56 row_shr:2 row_mask:0xf bank_mask:0xf
	v_cmp_lt_u32_e64 s[42:43], 1, v60
	s_and_saveexec_b64 s[50:51], s[42:43]
	s_cbranch_execz .LBB41_49
; %bb.46:
	v_max_f64 v[55:56], v[53:54], v[53:54]
	v_max_f64 v[61:62], v[23:24], v[23:24]
	v_cmp_u_f64_e64 s[42:43], v[53:54], v[53:54]
	v_cmp_u_f64_e64 s[44:45], v[23:24], v[23:24]
	v_min_f64 v[63:64], v[55:56], v[61:62]
	v_max_f64 v[55:56], v[55:56], v[61:62]
	v_cndmask_b32_e64 v61, v64, v54, s[42:43]
	v_cndmask_b32_e64 v62, v63, v53, s[42:43]
	;; [unrolled: 1-line block ×8, first 2 shown]
	v_cmp_neq_f64_e64 s[42:43], v[55:56], v[23:24]
	v_cmp_class_f64_e64 s[44:45], v[55:56], s33
	s_or_b64 s[42:43], s[42:43], s[44:45]
	s_and_saveexec_b64 s[52:53], s[42:43]
	s_cbranch_execz .LBB41_48
; %bb.47:
	v_add_f64 v[53:54], v[55:56], -v[23:24]
	s_mov_b32 s42, 0x652b82fe
	s_mov_b32 s43, 0x3ff71547
	;; [unrolled: 1-line block ×6, first 2 shown]
	v_mov_b32_e32 v63, 0xfca7ab0c
	v_mul_f64 v[55:56], v[53:54], s[42:43]
	s_mov_b32 s42, 0x6a5dcb37
	v_mov_b32_e32 v64, 0x3e928af3
	s_mov_b32 s43, 0x3e5ade15
	s_mov_b32 s44, 0
	;; [unrolled: 1-line block ×3, first 2 shown]
	v_cmp_ngt_f64_e64 s[44:45], s[44:45], v[53:54]
	v_mov_b32_e32 v79, 0x7ff00000
	v_rndne_f64_e32 v[55:56], v[55:56]
	v_fma_f64 v[61:62], v[55:56], s[54:55], v[53:54]
	s_mov_b32 s55, 0x3fe62e42
	v_fma_f64 v[61:62], v[55:56], s[56:57], v[61:62]
	v_cvt_i32_f64_e32 v55, v[55:56]
	s_mov_b32 s57, 0x3c7abc9e
	v_fma_f64 v[63:64], v[61:62], s[42:43], v[63:64]
	s_mov_b32 s42, 0x623fde64
	s_mov_b32 s43, 0x3ec71dee
	v_fma_f64 v[63:64], v[61:62], v[63:64], s[42:43]
	s_mov_b32 s42, 0x7c89e6b0
	;; [unrolled: 3-line block ×9, first 2 shown]
	s_mov_b32 s43, 0x40900000
	v_cmp_nlt_f64_e64 s[42:43], s[42:43], v[53:54]
	v_fma_f64 v[63:64], v[61:62], v[63:64], 1.0
	v_fma_f64 v[61:62], v[61:62], v[63:64], 1.0
	v_ldexp_f64 v[55:56], v[61:62], v55
	v_cndmask_b32_e64 v56, v79, v56, s[42:43]
	s_and_b64 s[42:43], s[44:45], s[42:43]
	v_cndmask_b32_e64 v53, 0, v55, s[42:43]
	v_cndmask_b32_e64 v54, 0, v56, s[44:45]
	v_add_f64 v[55:56], v[53:54], 1.0
	s_mov_b32 s45, 0x3fe55555
	s_mov_b32 s44, 0x55555555
	v_add_f64 v[61:62], v[55:56], -1.0
	v_frexp_exp_i32_f64_e32 v65, v[55:56]
	v_add_f64 v[63:64], v[61:62], -v[55:56]
	v_add_f64 v[61:62], v[53:54], -v[61:62]
	v_add_f64 v[63:64], v[63:64], 1.0
	v_add_f64 v[61:62], v[61:62], v[63:64]
	v_frexp_mant_f64_e32 v[63:64], v[55:56]
	v_cmp_gt_f64_e64 s[42:43], s[44:45], v[63:64]
	s_mov_b32 s44, 0x55555780
	v_subbrev_co_u32_e64 v80, s[42:43], 0, v65, s[42:43]
	v_sub_u32_e32 v63, 0, v80
	v_ldexp_f64 v[55:56], v[55:56], v63
	v_ldexp_f64 v[61:62], v[61:62], v63
	s_mov_b32 s42, 0xbf559e2b
	s_mov_b32 s43, 0x3fc3ab76
	v_add_f64 v[63:64], v[55:56], -1.0
	v_add_f64 v[65:66], v[63:64], 1.0
	v_add_f64 v[65:66], v[55:56], -v[65:66]
	v_add_f64 v[65:66], v[61:62], v[65:66]
	v_add_f64 v[67:68], v[63:64], v[65:66]
	v_add_f64 v[63:64], v[67:68], -v[63:64]
	v_add_f64 v[63:64], v[65:66], -v[63:64]
	v_add_f64 v[65:66], v[55:56], 1.0
	v_add_f64 v[69:70], v[65:66], -1.0
	v_add_f64 v[55:56], v[55:56], -v[69:70]
	v_add_f64 v[55:56], v[61:62], v[55:56]
	v_add_f64 v[61:62], v[65:66], v[55:56]
	v_add_f64 v[65:66], v[61:62], -v[65:66]
	v_add_f64 v[55:56], v[55:56], -v[65:66]
	v_rcp_f64_e32 v[65:66], v[61:62]
	v_fma_f64 v[69:70], -v[61:62], v[65:66], 1.0
	v_fma_f64 v[65:66], v[69:70], v[65:66], v[65:66]
	v_fma_f64 v[69:70], -v[61:62], v[65:66], 1.0
	v_fma_f64 v[65:66], v[69:70], v[65:66], v[65:66]
	v_mul_f64 v[69:70], v[67:68], v[65:66]
	v_mul_f64 v[71:72], v[61:62], v[69:70]
	v_fma_f64 v[73:74], v[69:70], v[61:62], -v[71:72]
	v_fma_f64 v[73:74], v[69:70], v[55:56], v[73:74]
	v_add_f64 v[75:76], v[71:72], v[73:74]
	v_add_f64 v[77:78], v[67:68], -v[75:76]
	v_add_f64 v[71:72], v[75:76], -v[71:72]
	;; [unrolled: 1-line block ×4, first 2 shown]
	v_add_f64 v[63:64], v[63:64], v[67:68]
	v_add_f64 v[67:68], v[71:72], -v[73:74]
	v_add_f64 v[63:64], v[67:68], v[63:64]
	v_add_f64 v[67:68], v[77:78], v[63:64]
	v_add_f64 v[71:72], v[77:78], -v[67:68]
	v_add_f64 v[63:64], v[63:64], v[71:72]
	v_mul_f64 v[71:72], v[65:66], v[67:68]
	v_mul_f64 v[73:74], v[61:62], v[71:72]
	v_fma_f64 v[61:62], v[71:72], v[61:62], -v[73:74]
	v_fma_f64 v[55:56], v[71:72], v[55:56], v[61:62]
	v_add_f64 v[61:62], v[73:74], v[55:56]
	v_add_f64 v[75:76], v[67:68], -v[61:62]
	v_add_f64 v[73:74], v[61:62], -v[73:74]
	;; [unrolled: 1-line block ×5, first 2 shown]
	v_cvt_f64_i32_e32 v[67:68], v80
	v_add_f64 v[61:62], v[63:64], v[61:62]
	v_add_f64 v[55:56], v[55:56], v[61:62]
	;; [unrolled: 1-line block ×4, first 2 shown]
	v_add_f64 v[63:64], v[61:62], -v[69:70]
	v_mul_f64 v[69:70], v[67:68], s[54:55]
	v_mul_f64 v[55:56], v[65:66], v[55:56]
	v_add_f64 v[63:64], v[71:72], -v[63:64]
	v_mov_b32_e32 v65, 0x6b47b09a
	v_mov_b32_e32 v66, 0x3fc38538
	v_fma_f64 v[71:72], v[67:68], s[54:55], -v[69:70]
	v_add_f64 v[55:56], v[63:64], v[55:56]
	v_fma_f64 v[67:68], v[67:68], s[56:57], v[71:72]
	v_add_f64 v[63:64], v[61:62], v[55:56]
	v_add_f64 v[71:72], v[69:70], v[67:68]
	v_add_f64 v[61:62], v[63:64], -v[61:62]
	v_add_f64 v[69:70], v[71:72], -v[69:70]
	;; [unrolled: 1-line block ×3, first 2 shown]
	v_mul_f64 v[61:62], v[63:64], v[63:64]
	v_add_f64 v[67:68], v[67:68], -v[69:70]
	v_ldexp_f64 v[69:70], v[63:64], 1
	v_ldexp_f64 v[55:56], v[55:56], 1
	v_fma_f64 v[65:66], v[61:62], s[42:43], v[65:66]
	s_mov_b32 s42, 0xd7f4df2e
	s_mov_b32 s43, 0x3fc7474d
	v_fma_f64 v[65:66], v[61:62], v[65:66], s[42:43]
	s_mov_b32 s42, 0x16291751
	s_mov_b32 s43, 0x3fcc71c0
	;; [unrolled: 3-line block ×5, first 2 shown]
	v_cmp_neq_f64_e64 s[42:43], s[42:43], v[53:54]
	v_fma_f64 v[65:66], v[61:62], v[65:66], s[44:45]
	v_mul_f64 v[61:62], v[63:64], v[61:62]
	v_cmp_ngt_f64_e64 s[44:45], -1.0, v[53:54]
	v_mul_f64 v[61:62], v[61:62], v[65:66]
	v_add_f64 v[63:64], v[69:70], v[61:62]
	v_add_f64 v[65:66], v[63:64], -v[69:70]
	v_add_f64 v[61:62], v[61:62], -v[65:66]
	v_add_f64 v[55:56], v[55:56], v[61:62]
	v_add_f64 v[61:62], v[63:64], v[55:56]
	v_add_f64 v[63:64], v[61:62], -v[63:64]
	v_add_f64 v[55:56], v[55:56], -v[63:64]
	v_add_f64 v[63:64], v[71:72], v[61:62]
	v_add_f64 v[65:66], v[63:64], -v[71:72]
	v_add_f64 v[69:70], v[63:64], -v[65:66]
	;; [unrolled: 1-line block ×3, first 2 shown]
	v_add_f64 v[65:66], v[67:68], v[55:56]
	v_add_f64 v[69:70], v[71:72], -v[69:70]
	v_add_f64 v[61:62], v[61:62], v[69:70]
	v_add_f64 v[69:70], v[65:66], -v[67:68]
	v_add_f64 v[61:62], v[65:66], v[61:62]
	v_add_f64 v[71:72], v[65:66], -v[69:70]
	v_add_f64 v[55:56], v[55:56], -v[69:70]
	v_add_f64 v[65:66], v[63:64], v[61:62]
	v_add_f64 v[67:68], v[67:68], -v[71:72]
	v_add_f64 v[63:64], v[65:66], -v[63:64]
	v_add_f64 v[55:56], v[55:56], v[67:68]
	v_add_f64 v[61:62], v[61:62], -v[63:64]
	v_add_f64 v[55:56], v[55:56], v[61:62]
	v_mov_b32_e32 v61, 0x7ff80000
	v_add_f64 v[55:56], v[65:66], v[55:56]
	v_cndmask_b32_e64 v56, v79, v56, s[42:43]
	v_cndmask_b32_e64 v56, v61, v56, s[44:45]
	v_cmp_nge_f64_e64 s[44:45], -1.0, v[53:54]
	s_and_b64 s[42:43], s[44:45], s[42:43]
	v_cndmask_b32_e64 v55, 0, v55, s[42:43]
	v_cmp_neq_f64_e64 s[42:43], -1.0, v[53:54]
	v_mov_b32_e32 v53, 0xfff00000
	v_cndmask_b32_e64 v56, v53, v56, s[42:43]
	v_add_f64 v[53:54], v[23:24], v[55:56]
.LBB41_48:
	s_or_b64 exec, exec, s[52:53]
	v_mov_b32_e32 v23, v53
	v_mov_b32_e32 v24, v54
	;; [unrolled: 1-line block ×4, first 2 shown]
.LBB41_49:
	s_or_b64 exec, exec, s[50:51]
	v_mov_b32_dpp v53, v55 row_shr:4 row_mask:0xf bank_mask:0xf
	v_mov_b32_dpp v54, v56 row_shr:4 row_mask:0xf bank_mask:0xf
	v_cmp_lt_u32_e64 s[42:43], 3, v60
	s_and_saveexec_b64 s[50:51], s[42:43]
	s_cbranch_execz .LBB41_53
; %bb.50:
	v_max_f64 v[55:56], v[53:54], v[53:54]
	v_max_f64 v[61:62], v[23:24], v[23:24]
	v_cmp_u_f64_e64 s[42:43], v[53:54], v[53:54]
	v_cmp_u_f64_e64 s[44:45], v[23:24], v[23:24]
	v_min_f64 v[63:64], v[55:56], v[61:62]
	v_max_f64 v[55:56], v[55:56], v[61:62]
	v_cndmask_b32_e64 v61, v64, v54, s[42:43]
	v_cndmask_b32_e64 v62, v63, v53, s[42:43]
	;; [unrolled: 1-line block ×8, first 2 shown]
	v_cmp_neq_f64_e64 s[42:43], v[55:56], v[23:24]
	v_cmp_class_f64_e64 s[44:45], v[55:56], s33
	s_or_b64 s[42:43], s[42:43], s[44:45]
	s_and_saveexec_b64 s[52:53], s[42:43]
	s_cbranch_execz .LBB41_52
; %bb.51:
	v_add_f64 v[53:54], v[55:56], -v[23:24]
	s_mov_b32 s42, 0x652b82fe
	s_mov_b32 s43, 0x3ff71547
	;; [unrolled: 1-line block ×6, first 2 shown]
	v_mov_b32_e32 v63, 0xfca7ab0c
	v_mul_f64 v[55:56], v[53:54], s[42:43]
	s_mov_b32 s42, 0x6a5dcb37
	v_mov_b32_e32 v64, 0x3e928af3
	s_mov_b32 s43, 0x3e5ade15
	s_mov_b32 s44, 0
	;; [unrolled: 1-line block ×3, first 2 shown]
	v_cmp_ngt_f64_e64 s[44:45], s[44:45], v[53:54]
	v_mov_b32_e32 v79, 0x7ff00000
	v_rndne_f64_e32 v[55:56], v[55:56]
	v_fma_f64 v[61:62], v[55:56], s[54:55], v[53:54]
	s_mov_b32 s55, 0x3fe62e42
	v_fma_f64 v[61:62], v[55:56], s[56:57], v[61:62]
	v_cvt_i32_f64_e32 v55, v[55:56]
	s_mov_b32 s57, 0x3c7abc9e
	v_fma_f64 v[63:64], v[61:62], s[42:43], v[63:64]
	s_mov_b32 s42, 0x623fde64
	s_mov_b32 s43, 0x3ec71dee
	v_fma_f64 v[63:64], v[61:62], v[63:64], s[42:43]
	s_mov_b32 s42, 0x7c89e6b0
	;; [unrolled: 3-line block ×9, first 2 shown]
	s_mov_b32 s43, 0x40900000
	v_cmp_nlt_f64_e64 s[42:43], s[42:43], v[53:54]
	v_fma_f64 v[63:64], v[61:62], v[63:64], 1.0
	v_fma_f64 v[61:62], v[61:62], v[63:64], 1.0
	v_ldexp_f64 v[55:56], v[61:62], v55
	v_cndmask_b32_e64 v56, v79, v56, s[42:43]
	s_and_b64 s[42:43], s[44:45], s[42:43]
	v_cndmask_b32_e64 v53, 0, v55, s[42:43]
	v_cndmask_b32_e64 v54, 0, v56, s[44:45]
	v_add_f64 v[55:56], v[53:54], 1.0
	s_mov_b32 s45, 0x3fe55555
	s_mov_b32 s44, 0x55555555
	v_add_f64 v[61:62], v[55:56], -1.0
	v_frexp_exp_i32_f64_e32 v65, v[55:56]
	v_add_f64 v[63:64], v[61:62], -v[55:56]
	v_add_f64 v[61:62], v[53:54], -v[61:62]
	v_add_f64 v[63:64], v[63:64], 1.0
	v_add_f64 v[61:62], v[61:62], v[63:64]
	v_frexp_mant_f64_e32 v[63:64], v[55:56]
	v_cmp_gt_f64_e64 s[42:43], s[44:45], v[63:64]
	s_mov_b32 s44, 0x55555780
	v_subbrev_co_u32_e64 v80, s[42:43], 0, v65, s[42:43]
	v_sub_u32_e32 v63, 0, v80
	v_ldexp_f64 v[55:56], v[55:56], v63
	v_ldexp_f64 v[61:62], v[61:62], v63
	s_mov_b32 s42, 0xbf559e2b
	s_mov_b32 s43, 0x3fc3ab76
	v_add_f64 v[63:64], v[55:56], -1.0
	v_add_f64 v[65:66], v[63:64], 1.0
	v_add_f64 v[65:66], v[55:56], -v[65:66]
	v_add_f64 v[65:66], v[61:62], v[65:66]
	v_add_f64 v[67:68], v[63:64], v[65:66]
	v_add_f64 v[63:64], v[67:68], -v[63:64]
	v_add_f64 v[63:64], v[65:66], -v[63:64]
	v_add_f64 v[65:66], v[55:56], 1.0
	v_add_f64 v[69:70], v[65:66], -1.0
	v_add_f64 v[55:56], v[55:56], -v[69:70]
	v_add_f64 v[55:56], v[61:62], v[55:56]
	v_add_f64 v[61:62], v[65:66], v[55:56]
	v_add_f64 v[65:66], v[61:62], -v[65:66]
	v_add_f64 v[55:56], v[55:56], -v[65:66]
	v_rcp_f64_e32 v[65:66], v[61:62]
	v_fma_f64 v[69:70], -v[61:62], v[65:66], 1.0
	v_fma_f64 v[65:66], v[69:70], v[65:66], v[65:66]
	v_fma_f64 v[69:70], -v[61:62], v[65:66], 1.0
	v_fma_f64 v[65:66], v[69:70], v[65:66], v[65:66]
	v_mul_f64 v[69:70], v[67:68], v[65:66]
	v_mul_f64 v[71:72], v[61:62], v[69:70]
	v_fma_f64 v[73:74], v[69:70], v[61:62], -v[71:72]
	v_fma_f64 v[73:74], v[69:70], v[55:56], v[73:74]
	v_add_f64 v[75:76], v[71:72], v[73:74]
	v_add_f64 v[77:78], v[67:68], -v[75:76]
	v_add_f64 v[71:72], v[75:76], -v[71:72]
	;; [unrolled: 1-line block ×4, first 2 shown]
	v_add_f64 v[63:64], v[63:64], v[67:68]
	v_add_f64 v[67:68], v[71:72], -v[73:74]
	v_add_f64 v[63:64], v[67:68], v[63:64]
	v_add_f64 v[67:68], v[77:78], v[63:64]
	v_add_f64 v[71:72], v[77:78], -v[67:68]
	v_add_f64 v[63:64], v[63:64], v[71:72]
	v_mul_f64 v[71:72], v[65:66], v[67:68]
	v_mul_f64 v[73:74], v[61:62], v[71:72]
	v_fma_f64 v[61:62], v[71:72], v[61:62], -v[73:74]
	v_fma_f64 v[55:56], v[71:72], v[55:56], v[61:62]
	v_add_f64 v[61:62], v[73:74], v[55:56]
	v_add_f64 v[75:76], v[67:68], -v[61:62]
	v_add_f64 v[73:74], v[61:62], -v[73:74]
	;; [unrolled: 1-line block ×5, first 2 shown]
	v_cvt_f64_i32_e32 v[67:68], v80
	v_add_f64 v[61:62], v[63:64], v[61:62]
	v_add_f64 v[55:56], v[55:56], v[61:62]
	;; [unrolled: 1-line block ×4, first 2 shown]
	v_add_f64 v[63:64], v[61:62], -v[69:70]
	v_mul_f64 v[69:70], v[67:68], s[54:55]
	v_mul_f64 v[55:56], v[65:66], v[55:56]
	v_add_f64 v[63:64], v[71:72], -v[63:64]
	v_mov_b32_e32 v65, 0x6b47b09a
	v_mov_b32_e32 v66, 0x3fc38538
	v_fma_f64 v[71:72], v[67:68], s[54:55], -v[69:70]
	v_add_f64 v[55:56], v[63:64], v[55:56]
	v_fma_f64 v[67:68], v[67:68], s[56:57], v[71:72]
	v_add_f64 v[63:64], v[61:62], v[55:56]
	v_add_f64 v[71:72], v[69:70], v[67:68]
	v_add_f64 v[61:62], v[63:64], -v[61:62]
	v_add_f64 v[69:70], v[71:72], -v[69:70]
	;; [unrolled: 1-line block ×3, first 2 shown]
	v_mul_f64 v[61:62], v[63:64], v[63:64]
	v_add_f64 v[67:68], v[67:68], -v[69:70]
	v_ldexp_f64 v[69:70], v[63:64], 1
	v_ldexp_f64 v[55:56], v[55:56], 1
	v_fma_f64 v[65:66], v[61:62], s[42:43], v[65:66]
	s_mov_b32 s42, 0xd7f4df2e
	s_mov_b32 s43, 0x3fc7474d
	v_fma_f64 v[65:66], v[61:62], v[65:66], s[42:43]
	s_mov_b32 s42, 0x16291751
	s_mov_b32 s43, 0x3fcc71c0
	;; [unrolled: 3-line block ×5, first 2 shown]
	v_cmp_neq_f64_e64 s[42:43], s[42:43], v[53:54]
	v_fma_f64 v[65:66], v[61:62], v[65:66], s[44:45]
	v_mul_f64 v[61:62], v[63:64], v[61:62]
	v_cmp_ngt_f64_e64 s[44:45], -1.0, v[53:54]
	v_mul_f64 v[61:62], v[61:62], v[65:66]
	v_add_f64 v[63:64], v[69:70], v[61:62]
	v_add_f64 v[65:66], v[63:64], -v[69:70]
	v_add_f64 v[61:62], v[61:62], -v[65:66]
	v_add_f64 v[55:56], v[55:56], v[61:62]
	v_add_f64 v[61:62], v[63:64], v[55:56]
	v_add_f64 v[63:64], v[61:62], -v[63:64]
	v_add_f64 v[55:56], v[55:56], -v[63:64]
	v_add_f64 v[63:64], v[71:72], v[61:62]
	v_add_f64 v[65:66], v[63:64], -v[71:72]
	v_add_f64 v[69:70], v[63:64], -v[65:66]
	;; [unrolled: 1-line block ×3, first 2 shown]
	v_add_f64 v[65:66], v[67:68], v[55:56]
	v_add_f64 v[69:70], v[71:72], -v[69:70]
	v_add_f64 v[61:62], v[61:62], v[69:70]
	v_add_f64 v[69:70], v[65:66], -v[67:68]
	;; [unrolled: 2-line block ×3, first 2 shown]
	v_add_f64 v[55:56], v[55:56], -v[69:70]
	v_add_f64 v[65:66], v[63:64], v[61:62]
	v_add_f64 v[67:68], v[67:68], -v[71:72]
	v_add_f64 v[63:64], v[65:66], -v[63:64]
	v_add_f64 v[55:56], v[55:56], v[67:68]
	v_add_f64 v[61:62], v[61:62], -v[63:64]
	v_add_f64 v[55:56], v[55:56], v[61:62]
	v_mov_b32_e32 v61, 0x7ff80000
	v_add_f64 v[55:56], v[65:66], v[55:56]
	v_cndmask_b32_e64 v56, v79, v56, s[42:43]
	v_cndmask_b32_e64 v56, v61, v56, s[44:45]
	v_cmp_nge_f64_e64 s[44:45], -1.0, v[53:54]
	s_and_b64 s[42:43], s[44:45], s[42:43]
	v_cndmask_b32_e64 v55, 0, v55, s[42:43]
	v_cmp_neq_f64_e64 s[42:43], -1.0, v[53:54]
	v_mov_b32_e32 v53, 0xfff00000
	v_cndmask_b32_e64 v56, v53, v56, s[42:43]
	v_add_f64 v[53:54], v[23:24], v[55:56]
.LBB41_52:
	s_or_b64 exec, exec, s[52:53]
	v_mov_b32_e32 v23, v53
	v_mov_b32_e32 v24, v54
	;; [unrolled: 1-line block ×4, first 2 shown]
.LBB41_53:
	s_or_b64 exec, exec, s[50:51]
	v_mov_b32_dpp v53, v55 row_shr:8 row_mask:0xf bank_mask:0xf
	v_mov_b32_dpp v54, v56 row_shr:8 row_mask:0xf bank_mask:0xf
	v_cmp_lt_u32_e64 s[42:43], 7, v60
	s_and_saveexec_b64 s[50:51], s[42:43]
	s_cbranch_execz .LBB41_57
; %bb.54:
	v_max_f64 v[55:56], v[53:54], v[53:54]
	v_max_f64 v[60:61], v[23:24], v[23:24]
	v_cmp_u_f64_e64 s[42:43], v[53:54], v[53:54]
	v_cmp_u_f64_e64 s[44:45], v[23:24], v[23:24]
	v_min_f64 v[62:63], v[55:56], v[60:61]
	v_max_f64 v[55:56], v[55:56], v[60:61]
	v_cndmask_b32_e64 v60, v63, v54, s[42:43]
	v_cndmask_b32_e64 v61, v62, v53, s[42:43]
	;; [unrolled: 1-line block ×8, first 2 shown]
	v_cmp_neq_f64_e64 s[42:43], v[55:56], v[23:24]
	v_cmp_class_f64_e64 s[44:45], v[55:56], s33
	s_or_b64 s[42:43], s[42:43], s[44:45]
	s_and_saveexec_b64 s[52:53], s[42:43]
	s_cbranch_execz .LBB41_56
; %bb.55:
	v_add_f64 v[53:54], v[55:56], -v[23:24]
	s_mov_b32 s42, 0x652b82fe
	s_mov_b32 s43, 0x3ff71547
	;; [unrolled: 1-line block ×6, first 2 shown]
	v_mov_b32_e32 v62, 0xfca7ab0c
	v_mul_f64 v[55:56], v[53:54], s[42:43]
	s_mov_b32 s42, 0x6a5dcb37
	v_mov_b32_e32 v63, 0x3e928af3
	s_mov_b32 s43, 0x3e5ade15
	s_mov_b32 s44, 0
	;; [unrolled: 1-line block ×3, first 2 shown]
	v_cmp_ngt_f64_e64 s[44:45], s[44:45], v[53:54]
	v_mov_b32_e32 v80, 0x7ff00000
	v_rndne_f64_e32 v[55:56], v[55:56]
	v_fma_f64 v[60:61], v[55:56], s[54:55], v[53:54]
	s_mov_b32 s55, 0x3fe62e42
	v_fma_f64 v[60:61], v[55:56], s[56:57], v[60:61]
	v_cvt_i32_f64_e32 v55, v[55:56]
	s_mov_b32 s57, 0x3c7abc9e
	v_fma_f64 v[62:63], v[60:61], s[42:43], v[62:63]
	s_mov_b32 s42, 0x623fde64
	s_mov_b32 s43, 0x3ec71dee
	v_fma_f64 v[62:63], v[60:61], v[62:63], s[42:43]
	s_mov_b32 s42, 0x7c89e6b0
	;; [unrolled: 3-line block ×9, first 2 shown]
	s_mov_b32 s43, 0x40900000
	v_cmp_nlt_f64_e64 s[42:43], s[42:43], v[53:54]
	v_fma_f64 v[62:63], v[60:61], v[62:63], 1.0
	v_fma_f64 v[60:61], v[60:61], v[62:63], 1.0
	v_ldexp_f64 v[55:56], v[60:61], v55
	v_cndmask_b32_e64 v56, v80, v56, s[42:43]
	s_and_b64 s[42:43], s[44:45], s[42:43]
	v_cndmask_b32_e64 v54, 0, v56, s[44:45]
	v_cndmask_b32_e64 v53, 0, v55, s[42:43]
	v_add_f64 v[55:56], v[53:54], 1.0
	s_mov_b32 s45, 0x3fe55555
	s_mov_b32 s44, 0x55555555
	v_frexp_mant_f64_e32 v[62:63], v[55:56]
	v_frexp_exp_i32_f64_e32 v66, v[55:56]
	v_add_f64 v[60:61], v[55:56], -1.0
	v_cmp_gt_f64_e64 s[42:43], s[44:45], v[62:63]
	s_mov_b32 s44, 0x55555780
	v_add_f64 v[64:65], v[60:61], -v[55:56]
	v_add_f64 v[60:61], v[53:54], -v[60:61]
	v_subbrev_co_u32_e64 v81, s[42:43], 0, v66, s[42:43]
	v_sub_u32_e32 v66, 0, v81
	v_ldexp_f64 v[55:56], v[55:56], v66
	v_add_f64 v[62:63], v[64:65], 1.0
	s_mov_b32 s42, 0xbf559e2b
	s_mov_b32 s43, 0x3fc3ab76
	v_add_f64 v[64:65], v[55:56], 1.0
	v_add_f64 v[60:61], v[60:61], v[62:63]
	v_add_f64 v[70:71], v[55:56], -1.0
	v_add_f64 v[62:63], v[64:65], -1.0
	v_ldexp_f64 v[60:61], v[60:61], v66
	v_add_f64 v[72:73], v[70:71], 1.0
	v_add_f64 v[62:63], v[55:56], -v[62:63]
	v_add_f64 v[55:56], v[55:56], -v[72:73]
	v_add_f64 v[62:63], v[60:61], v[62:63]
	v_add_f64 v[55:56], v[60:61], v[55:56]
	;; [unrolled: 1-line block ×4, first 2 shown]
	v_rcp_f64_e32 v[68:69], v[66:67]
	v_add_f64 v[64:65], v[66:67], -v[64:65]
	v_add_f64 v[70:71], v[72:73], -v[70:71]
	;; [unrolled: 1-line block ×4, first 2 shown]
	v_fma_f64 v[74:75], -v[66:67], v[68:69], 1.0
	v_fma_f64 v[68:69], v[74:75], v[68:69], v[68:69]
	v_fma_f64 v[60:61], -v[66:67], v[68:69], 1.0
	v_fma_f64 v[60:61], v[60:61], v[68:69], v[68:69]
	v_mul_f64 v[68:69], v[72:73], v[60:61]
	v_mul_f64 v[74:75], v[66:67], v[68:69]
	v_fma_f64 v[64:65], v[68:69], v[66:67], -v[74:75]
	v_fma_f64 v[64:65], v[68:69], v[62:63], v[64:65]
	v_add_f64 v[76:77], v[74:75], v[64:65]
	v_add_f64 v[78:79], v[72:73], -v[76:77]
	v_add_f64 v[70:71], v[76:77], -v[74:75]
	;; [unrolled: 1-line block ×5, first 2 shown]
	v_add_f64 v[55:56], v[55:56], v[72:73]
	v_add_f64 v[55:56], v[64:65], v[55:56]
	;; [unrolled: 1-line block ×3, first 2 shown]
	v_mul_f64 v[70:71], v[60:61], v[64:65]
	v_add_f64 v[76:77], v[78:79], -v[64:65]
	v_mul_f64 v[72:73], v[66:67], v[70:71]
	v_add_f64 v[55:56], v[55:56], v[76:77]
	v_fma_f64 v[66:67], v[70:71], v[66:67], -v[72:73]
	v_fma_f64 v[62:63], v[70:71], v[62:63], v[66:67]
	v_add_f64 v[66:67], v[72:73], v[62:63]
	v_add_f64 v[74:75], v[64:65], -v[66:67]
	v_add_f64 v[72:73], v[66:67], -v[72:73]
	;; [unrolled: 1-line block ×5, first 2 shown]
	v_mov_b32_e32 v66, 0x6b47b09a
	v_mov_b32_e32 v67, 0x3fc38538
	v_add_f64 v[55:56], v[55:56], v[64:65]
	v_add_f64 v[64:65], v[68:69], v[70:71]
	;; [unrolled: 1-line block ×3, first 2 shown]
	v_add_f64 v[62:63], v[64:65], -v[68:69]
	v_add_f64 v[55:56], v[74:75], v[55:56]
	v_add_f64 v[62:63], v[70:71], -v[62:63]
	v_mul_f64 v[55:56], v[60:61], v[55:56]
	v_add_f64 v[55:56], v[62:63], v[55:56]
	v_add_f64 v[60:61], v[64:65], v[55:56]
	v_mul_f64 v[62:63], v[60:61], v[60:61]
	v_fma_f64 v[66:67], v[62:63], s[42:43], v[66:67]
	s_mov_b32 s42, 0xd7f4df2e
	s_mov_b32 s43, 0x3fc7474d
	v_mul_f64 v[68:69], v[60:61], v[62:63]
	v_fma_f64 v[66:67], v[62:63], v[66:67], s[42:43]
	s_mov_b32 s42, 0x16291751
	s_mov_b32 s43, 0x3fcc71c0
	v_fma_f64 v[66:67], v[62:63], v[66:67], s[42:43]
	s_mov_b32 s42, 0x9b27acf1
	s_mov_b32 s43, 0x3fd24924
	;; [unrolled: 3-line block ×3, first 2 shown]
	v_fma_f64 v[66:67], v[62:63], v[66:67], s[42:43]
	v_cmp_nge_f64_e64 s[42:43], -1.0, v[53:54]
	v_fma_f64 v[62:63], v[62:63], v[66:67], s[44:45]
	v_ldexp_f64 v[66:67], v[60:61], 1
	v_add_f64 v[60:61], v[60:61], -v[64:65]
	s_mov_b32 s44, 0
	s_mov_b32 s45, 0x7ff00000
	v_cmp_neq_f64_e64 s[44:45], s[44:45], v[53:54]
	v_mul_f64 v[62:63], v[68:69], v[62:63]
	v_cvt_f64_i32_e32 v[68:69], v81
	v_add_f64 v[55:56], v[55:56], -v[60:61]
	v_mul_f64 v[70:71], v[68:69], s[54:55]
	s_and_b64 s[42:43], s[42:43], s[44:45]
	v_add_f64 v[64:65], v[66:67], v[62:63]
	v_ldexp_f64 v[55:56], v[55:56], 1
	v_add_f64 v[60:61], v[64:65], -v[66:67]
	v_fma_f64 v[66:67], v[68:69], s[54:55], -v[70:71]
	v_add_f64 v[60:61], v[62:63], -v[60:61]
	v_fma_f64 v[62:63], v[68:69], s[56:57], v[66:67]
	v_add_f64 v[55:56], v[55:56], v[60:61]
	v_add_f64 v[60:61], v[70:71], v[62:63]
	;; [unrolled: 1-line block ×3, first 2 shown]
	v_add_f64 v[70:71], v[60:61], -v[70:71]
	v_add_f64 v[68:69], v[60:61], v[66:67]
	v_add_f64 v[64:65], v[66:67], -v[64:65]
	v_add_f64 v[62:63], v[62:63], -v[70:71]
	;; [unrolled: 1-line block ×6, first 2 shown]
	v_add_f64 v[66:67], v[62:63], v[55:56]
	v_add_f64 v[60:61], v[60:61], -v[74:75]
	v_add_f64 v[60:61], v[64:65], v[60:61]
	v_add_f64 v[64:65], v[66:67], -v[62:63]
	;; [unrolled: 2-line block ×3, first 2 shown]
	v_add_f64 v[55:56], v[55:56], -v[64:65]
	v_add_f64 v[70:71], v[68:69], v[60:61]
	v_add_f64 v[62:63], v[62:63], -v[66:67]
	v_add_f64 v[64:65], v[70:71], -v[68:69]
	v_add_f64 v[55:56], v[55:56], v[62:63]
	v_add_f64 v[60:61], v[60:61], -v[64:65]
	v_add_f64 v[55:56], v[55:56], v[60:61]
	v_mov_b32_e32 v60, 0x7ff80000
	v_mov_b32_e32 v61, 0xfff00000
	v_add_f64 v[55:56], v[70:71], v[55:56]
	v_cndmask_b32_e64 v55, 0, v55, s[42:43]
	v_cmp_ngt_f64_e64 s[42:43], -1.0, v[53:54]
	v_cndmask_b32_e64 v56, v80, v56, s[44:45]
	v_cndmask_b32_e64 v56, v60, v56, s[42:43]
	v_cmp_neq_f64_e64 s[42:43], -1.0, v[53:54]
	v_cndmask_b32_e64 v56, v61, v56, s[42:43]
	v_add_f64 v[53:54], v[23:24], v[55:56]
.LBB41_56:
	s_or_b64 exec, exec, s[52:53]
	v_mov_b32_e32 v23, v53
	v_mov_b32_e32 v24, v54
	;; [unrolled: 1-line block ×4, first 2 shown]
.LBB41_57:
	s_or_b64 exec, exec, s[50:51]
	v_and_b32_e32 v60, 16, v59
	v_mov_b32_dpp v53, v55 row_bcast:15 row_mask:0xf bank_mask:0xf
	v_mov_b32_dpp v54, v56 row_bcast:15 row_mask:0xf bank_mask:0xf
	v_cmp_ne_u32_e64 s[42:43], 0, v60
	s_and_saveexec_b64 s[50:51], s[42:43]
	s_cbranch_execz .LBB41_61
; %bb.58:
	v_max_f64 v[55:56], v[53:54], v[53:54]
	v_max_f64 v[60:61], v[23:24], v[23:24]
	v_cmp_u_f64_e64 s[42:43], v[53:54], v[53:54]
	v_cmp_u_f64_e64 s[44:45], v[23:24], v[23:24]
	v_min_f64 v[62:63], v[55:56], v[60:61]
	v_max_f64 v[55:56], v[55:56], v[60:61]
	v_cndmask_b32_e64 v60, v63, v54, s[42:43]
	v_cndmask_b32_e64 v61, v62, v53, s[42:43]
	;; [unrolled: 1-line block ×8, first 2 shown]
	v_cmp_neq_f64_e64 s[42:43], v[55:56], v[23:24]
	v_cmp_class_f64_e64 s[44:45], v[55:56], s33
	s_or_b64 s[42:43], s[42:43], s[44:45]
	s_and_saveexec_b64 s[52:53], s[42:43]
	s_cbranch_execz .LBB41_60
; %bb.59:
	v_add_f64 v[53:54], v[55:56], -v[23:24]
	s_mov_b32 s42, 0x652b82fe
	s_mov_b32 s43, 0x3ff71547
	;; [unrolled: 1-line block ×6, first 2 shown]
	v_mov_b32_e32 v62, 0xfca7ab0c
	v_mul_f64 v[55:56], v[53:54], s[42:43]
	s_mov_b32 s42, 0x6a5dcb37
	v_mov_b32_e32 v63, 0x3e928af3
	s_mov_b32 s43, 0x3e5ade15
	s_mov_b32 s44, 0
	;; [unrolled: 1-line block ×3, first 2 shown]
	v_cmp_ngt_f64_e64 s[44:45], s[44:45], v[53:54]
	v_mov_b32_e32 v80, 0x7ff00000
	v_rndne_f64_e32 v[55:56], v[55:56]
	v_fma_f64 v[60:61], v[55:56], s[54:55], v[53:54]
	s_mov_b32 s55, 0x3fe62e42
	v_fma_f64 v[60:61], v[55:56], s[56:57], v[60:61]
	v_cvt_i32_f64_e32 v55, v[55:56]
	s_mov_b32 s57, 0x3c7abc9e
	v_fma_f64 v[62:63], v[60:61], s[42:43], v[62:63]
	s_mov_b32 s42, 0x623fde64
	s_mov_b32 s43, 0x3ec71dee
	v_fma_f64 v[62:63], v[60:61], v[62:63], s[42:43]
	s_mov_b32 s42, 0x7c89e6b0
	;; [unrolled: 3-line block ×9, first 2 shown]
	s_mov_b32 s43, 0x40900000
	v_cmp_nlt_f64_e64 s[42:43], s[42:43], v[53:54]
	v_fma_f64 v[62:63], v[60:61], v[62:63], 1.0
	v_fma_f64 v[60:61], v[60:61], v[62:63], 1.0
	v_ldexp_f64 v[55:56], v[60:61], v55
	v_cndmask_b32_e64 v56, v80, v56, s[42:43]
	s_and_b64 s[42:43], s[44:45], s[42:43]
	v_cndmask_b32_e64 v54, 0, v56, s[44:45]
	v_cndmask_b32_e64 v53, 0, v55, s[42:43]
	v_add_f64 v[55:56], v[53:54], 1.0
	s_mov_b32 s45, 0x3fe55555
	s_mov_b32 s44, 0x55555555
	v_frexp_mant_f64_e32 v[62:63], v[55:56]
	v_frexp_exp_i32_f64_e32 v66, v[55:56]
	v_add_f64 v[60:61], v[55:56], -1.0
	v_cmp_gt_f64_e64 s[42:43], s[44:45], v[62:63]
	s_mov_b32 s44, 0x55555780
	v_add_f64 v[64:65], v[60:61], -v[55:56]
	v_add_f64 v[60:61], v[53:54], -v[60:61]
	v_subbrev_co_u32_e64 v81, s[42:43], 0, v66, s[42:43]
	v_sub_u32_e32 v66, 0, v81
	v_ldexp_f64 v[55:56], v[55:56], v66
	v_add_f64 v[62:63], v[64:65], 1.0
	s_mov_b32 s42, 0xbf559e2b
	s_mov_b32 s43, 0x3fc3ab76
	v_add_f64 v[64:65], v[55:56], 1.0
	v_add_f64 v[60:61], v[60:61], v[62:63]
	v_add_f64 v[70:71], v[55:56], -1.0
	v_add_f64 v[62:63], v[64:65], -1.0
	v_ldexp_f64 v[60:61], v[60:61], v66
	v_add_f64 v[72:73], v[70:71], 1.0
	v_add_f64 v[62:63], v[55:56], -v[62:63]
	v_add_f64 v[55:56], v[55:56], -v[72:73]
	v_add_f64 v[62:63], v[60:61], v[62:63]
	v_add_f64 v[55:56], v[60:61], v[55:56]
	;; [unrolled: 1-line block ×4, first 2 shown]
	v_rcp_f64_e32 v[68:69], v[66:67]
	v_add_f64 v[64:65], v[66:67], -v[64:65]
	v_add_f64 v[70:71], v[72:73], -v[70:71]
	;; [unrolled: 1-line block ×4, first 2 shown]
	v_fma_f64 v[74:75], -v[66:67], v[68:69], 1.0
	v_fma_f64 v[68:69], v[74:75], v[68:69], v[68:69]
	v_fma_f64 v[60:61], -v[66:67], v[68:69], 1.0
	v_fma_f64 v[60:61], v[60:61], v[68:69], v[68:69]
	v_mul_f64 v[68:69], v[72:73], v[60:61]
	v_mul_f64 v[74:75], v[66:67], v[68:69]
	v_fma_f64 v[64:65], v[68:69], v[66:67], -v[74:75]
	v_fma_f64 v[64:65], v[68:69], v[62:63], v[64:65]
	v_add_f64 v[76:77], v[74:75], v[64:65]
	v_add_f64 v[78:79], v[72:73], -v[76:77]
	v_add_f64 v[70:71], v[76:77], -v[74:75]
	;; [unrolled: 1-line block ×5, first 2 shown]
	v_add_f64 v[55:56], v[55:56], v[72:73]
	v_add_f64 v[55:56], v[64:65], v[55:56]
	;; [unrolled: 1-line block ×3, first 2 shown]
	v_mul_f64 v[70:71], v[60:61], v[64:65]
	v_add_f64 v[76:77], v[78:79], -v[64:65]
	v_mul_f64 v[72:73], v[66:67], v[70:71]
	v_add_f64 v[55:56], v[55:56], v[76:77]
	v_fma_f64 v[66:67], v[70:71], v[66:67], -v[72:73]
	v_fma_f64 v[62:63], v[70:71], v[62:63], v[66:67]
	v_add_f64 v[66:67], v[72:73], v[62:63]
	v_add_f64 v[74:75], v[64:65], -v[66:67]
	v_add_f64 v[72:73], v[66:67], -v[72:73]
	;; [unrolled: 1-line block ×5, first 2 shown]
	v_mov_b32_e32 v66, 0x6b47b09a
	v_mov_b32_e32 v67, 0x3fc38538
	v_add_f64 v[55:56], v[55:56], v[64:65]
	v_add_f64 v[64:65], v[68:69], v[70:71]
	;; [unrolled: 1-line block ×3, first 2 shown]
	v_add_f64 v[62:63], v[64:65], -v[68:69]
	v_add_f64 v[55:56], v[74:75], v[55:56]
	v_add_f64 v[62:63], v[70:71], -v[62:63]
	v_mul_f64 v[55:56], v[60:61], v[55:56]
	v_add_f64 v[55:56], v[62:63], v[55:56]
	v_add_f64 v[60:61], v[64:65], v[55:56]
	v_mul_f64 v[62:63], v[60:61], v[60:61]
	v_fma_f64 v[66:67], v[62:63], s[42:43], v[66:67]
	s_mov_b32 s42, 0xd7f4df2e
	s_mov_b32 s43, 0x3fc7474d
	v_mul_f64 v[68:69], v[60:61], v[62:63]
	v_fma_f64 v[66:67], v[62:63], v[66:67], s[42:43]
	s_mov_b32 s42, 0x16291751
	s_mov_b32 s43, 0x3fcc71c0
	v_fma_f64 v[66:67], v[62:63], v[66:67], s[42:43]
	s_mov_b32 s42, 0x9b27acf1
	s_mov_b32 s43, 0x3fd24924
	;; [unrolled: 3-line block ×3, first 2 shown]
	v_fma_f64 v[66:67], v[62:63], v[66:67], s[42:43]
	v_cmp_nge_f64_e64 s[42:43], -1.0, v[53:54]
	v_fma_f64 v[62:63], v[62:63], v[66:67], s[44:45]
	v_ldexp_f64 v[66:67], v[60:61], 1
	v_add_f64 v[60:61], v[60:61], -v[64:65]
	s_mov_b32 s44, 0
	s_mov_b32 s45, 0x7ff00000
	v_cmp_neq_f64_e64 s[44:45], s[44:45], v[53:54]
	v_mul_f64 v[62:63], v[68:69], v[62:63]
	v_cvt_f64_i32_e32 v[68:69], v81
	v_add_f64 v[55:56], v[55:56], -v[60:61]
	v_mul_f64 v[70:71], v[68:69], s[54:55]
	s_and_b64 s[42:43], s[42:43], s[44:45]
	v_add_f64 v[64:65], v[66:67], v[62:63]
	v_ldexp_f64 v[55:56], v[55:56], 1
	v_add_f64 v[60:61], v[64:65], -v[66:67]
	v_fma_f64 v[66:67], v[68:69], s[54:55], -v[70:71]
	v_add_f64 v[60:61], v[62:63], -v[60:61]
	v_fma_f64 v[62:63], v[68:69], s[56:57], v[66:67]
	v_add_f64 v[55:56], v[55:56], v[60:61]
	v_add_f64 v[60:61], v[70:71], v[62:63]
	;; [unrolled: 1-line block ×3, first 2 shown]
	v_add_f64 v[70:71], v[60:61], -v[70:71]
	v_add_f64 v[68:69], v[60:61], v[66:67]
	v_add_f64 v[64:65], v[66:67], -v[64:65]
	v_add_f64 v[62:63], v[62:63], -v[70:71]
	;; [unrolled: 1-line block ×6, first 2 shown]
	v_add_f64 v[66:67], v[62:63], v[55:56]
	v_add_f64 v[60:61], v[60:61], -v[74:75]
	v_add_f64 v[60:61], v[64:65], v[60:61]
	v_add_f64 v[64:65], v[66:67], -v[62:63]
	;; [unrolled: 2-line block ×3, first 2 shown]
	v_add_f64 v[55:56], v[55:56], -v[64:65]
	v_add_f64 v[70:71], v[68:69], v[60:61]
	v_add_f64 v[62:63], v[62:63], -v[66:67]
	v_add_f64 v[64:65], v[70:71], -v[68:69]
	v_add_f64 v[55:56], v[55:56], v[62:63]
	v_add_f64 v[60:61], v[60:61], -v[64:65]
	v_add_f64 v[55:56], v[55:56], v[60:61]
	v_mov_b32_e32 v60, 0x7ff80000
	v_mov_b32_e32 v61, 0xfff00000
	v_add_f64 v[55:56], v[70:71], v[55:56]
	v_cndmask_b32_e64 v55, 0, v55, s[42:43]
	v_cmp_ngt_f64_e64 s[42:43], -1.0, v[53:54]
	v_cndmask_b32_e64 v56, v80, v56, s[44:45]
	v_cndmask_b32_e64 v56, v60, v56, s[42:43]
	v_cmp_neq_f64_e64 s[42:43], -1.0, v[53:54]
	v_cndmask_b32_e64 v56, v61, v56, s[42:43]
	v_add_f64 v[53:54], v[23:24], v[55:56]
.LBB41_60:
	s_or_b64 exec, exec, s[52:53]
	v_mov_b32_e32 v23, v53
	v_mov_b32_e32 v55, v53
	;; [unrolled: 1-line block ×4, first 2 shown]
.LBB41_61:
	s_or_b64 exec, exec, s[50:51]
	v_mov_b32_dpp v53, v55 row_bcast:31 row_mask:0xf bank_mask:0xf
	v_mov_b32_dpp v54, v56 row_bcast:31 row_mask:0xf bank_mask:0xf
	v_cmp_lt_u32_e64 s[42:43], 31, v59
	s_and_saveexec_b64 s[50:51], s[42:43]
	s_cbranch_execz .LBB41_65
; %bb.62:
	v_max_f64 v[55:56], v[53:54], v[53:54]
	v_max_f64 v[60:61], v[23:24], v[23:24]
	v_cmp_u_f64_e64 s[42:43], v[53:54], v[53:54]
	v_cmp_u_f64_e64 s[44:45], v[23:24], v[23:24]
	v_min_f64 v[62:63], v[55:56], v[60:61]
	v_max_f64 v[55:56], v[55:56], v[60:61]
	v_cndmask_b32_e64 v60, v63, v54, s[42:43]
	v_cndmask_b32_e64 v61, v62, v53, s[42:43]
	v_cndmask_b32_e64 v62, v56, v54, s[42:43]
	v_cndmask_b32_e64 v63, v55, v53, s[42:43]
	v_cndmask_b32_e64 v56, v60, v24, s[44:45]
	v_cndmask_b32_e64 v55, v61, v23, s[44:45]
	v_cndmask_b32_e64 v24, v62, v24, s[44:45]
	v_cndmask_b32_e64 v23, v63, v23, s[44:45]
	v_cmp_neq_f64_e64 s[42:43], v[55:56], v[23:24]
	v_cmp_class_f64_e64 s[44:45], v[55:56], s33
	s_or_b64 s[42:43], s[42:43], s[44:45]
	s_and_saveexec_b64 s[52:53], s[42:43]
	s_cbranch_execz .LBB41_64
; %bb.63:
	v_add_f64 v[53:54], v[55:56], -v[23:24]
	s_mov_b32 s42, 0x652b82fe
	s_mov_b32 s43, 0x3ff71547
	s_mov_b32 s55, 0xbfe62e42
	s_mov_b32 s54, 0xfefa39ef
	s_mov_b32 s57, 0xbc7abc9e
	s_mov_b32 s56, 0x3b39803f
	v_mov_b32_e32 v62, 0xfca7ab0c
	v_mul_f64 v[55:56], v[53:54], s[42:43]
	s_mov_b32 s42, 0x6a5dcb37
	v_mov_b32_e32 v63, 0x3e928af3
	s_mov_b32 s43, 0x3e5ade15
	s_mov_b32 s44, 0
	;; [unrolled: 1-line block ×3, first 2 shown]
	v_cmp_ngt_f64_e64 s[44:45], s[44:45], v[53:54]
	v_mov_b32_e32 v80, 0x7ff00000
	v_rndne_f64_e32 v[55:56], v[55:56]
	v_fma_f64 v[60:61], v[55:56], s[54:55], v[53:54]
	s_mov_b32 s55, 0x3fe62e42
	v_fma_f64 v[60:61], v[55:56], s[56:57], v[60:61]
	v_cvt_i32_f64_e32 v55, v[55:56]
	s_mov_b32 s57, 0x3c7abc9e
	v_fma_f64 v[62:63], v[60:61], s[42:43], v[62:63]
	s_mov_b32 s42, 0x623fde64
	s_mov_b32 s43, 0x3ec71dee
	v_fma_f64 v[62:63], v[60:61], v[62:63], s[42:43]
	s_mov_b32 s42, 0x7c89e6b0
	s_mov_b32 s43, 0x3efa0199
	v_fma_f64 v[62:63], v[60:61], v[62:63], s[42:43]
	s_mov_b32 s42, 0x14761f6e
	s_mov_b32 s43, 0x3f2a01a0
	v_fma_f64 v[62:63], v[60:61], v[62:63], s[42:43]
	s_mov_b32 s42, 0x1852b7b0
	s_mov_b32 s43, 0x3f56c16c
	v_fma_f64 v[62:63], v[60:61], v[62:63], s[42:43]
	s_mov_b32 s42, 0x11122322
	s_mov_b32 s43, 0x3f811111
	v_fma_f64 v[62:63], v[60:61], v[62:63], s[42:43]
	s_mov_b32 s42, 0x555502a1
	s_mov_b32 s43, 0x3fa55555
	v_fma_f64 v[62:63], v[60:61], v[62:63], s[42:43]
	s_mov_b32 s42, 0x55555511
	s_mov_b32 s43, 0x3fc55555
	v_fma_f64 v[62:63], v[60:61], v[62:63], s[42:43]
	s_mov_b32 s42, 11
	s_mov_b32 s43, 0x3fe00000
	v_fma_f64 v[62:63], v[60:61], v[62:63], s[42:43]
	s_mov_b32 s42, 0
	s_mov_b32 s43, 0x40900000
	v_cmp_nlt_f64_e64 s[42:43], s[42:43], v[53:54]
	v_fma_f64 v[62:63], v[60:61], v[62:63], 1.0
	v_fma_f64 v[60:61], v[60:61], v[62:63], 1.0
	v_ldexp_f64 v[55:56], v[60:61], v55
	v_cndmask_b32_e64 v56, v80, v56, s[42:43]
	s_and_b64 s[42:43], s[44:45], s[42:43]
	v_cndmask_b32_e64 v54, 0, v56, s[44:45]
	v_cndmask_b32_e64 v53, 0, v55, s[42:43]
	v_add_f64 v[55:56], v[53:54], 1.0
	s_mov_b32 s45, 0x3fe55555
	s_mov_b32 s44, 0x55555555
	v_frexp_mant_f64_e32 v[62:63], v[55:56]
	v_frexp_exp_i32_f64_e32 v66, v[55:56]
	v_add_f64 v[60:61], v[55:56], -1.0
	v_cmp_gt_f64_e64 s[42:43], s[44:45], v[62:63]
	s_mov_b32 s44, 0x55555780
	v_add_f64 v[64:65], v[60:61], -v[55:56]
	v_add_f64 v[60:61], v[53:54], -v[60:61]
	v_subbrev_co_u32_e64 v81, s[42:43], 0, v66, s[42:43]
	v_sub_u32_e32 v66, 0, v81
	v_ldexp_f64 v[55:56], v[55:56], v66
	v_add_f64 v[62:63], v[64:65], 1.0
	s_mov_b32 s42, 0xbf559e2b
	s_mov_b32 s43, 0x3fc3ab76
	v_add_f64 v[64:65], v[55:56], 1.0
	v_add_f64 v[60:61], v[60:61], v[62:63]
	v_add_f64 v[70:71], v[55:56], -1.0
	v_add_f64 v[62:63], v[64:65], -1.0
	v_ldexp_f64 v[60:61], v[60:61], v66
	v_add_f64 v[72:73], v[70:71], 1.0
	v_add_f64 v[62:63], v[55:56], -v[62:63]
	v_add_f64 v[55:56], v[55:56], -v[72:73]
	v_add_f64 v[62:63], v[60:61], v[62:63]
	v_add_f64 v[55:56], v[60:61], v[55:56]
	;; [unrolled: 1-line block ×4, first 2 shown]
	v_rcp_f64_e32 v[68:69], v[66:67]
	v_add_f64 v[64:65], v[66:67], -v[64:65]
	v_add_f64 v[70:71], v[72:73], -v[70:71]
	;; [unrolled: 1-line block ×4, first 2 shown]
	v_fma_f64 v[74:75], -v[66:67], v[68:69], 1.0
	v_fma_f64 v[68:69], v[74:75], v[68:69], v[68:69]
	v_fma_f64 v[60:61], -v[66:67], v[68:69], 1.0
	v_fma_f64 v[60:61], v[60:61], v[68:69], v[68:69]
	v_mul_f64 v[68:69], v[72:73], v[60:61]
	v_mul_f64 v[74:75], v[66:67], v[68:69]
	v_fma_f64 v[64:65], v[68:69], v[66:67], -v[74:75]
	v_fma_f64 v[64:65], v[68:69], v[62:63], v[64:65]
	v_add_f64 v[76:77], v[74:75], v[64:65]
	v_add_f64 v[78:79], v[72:73], -v[76:77]
	v_add_f64 v[70:71], v[76:77], -v[74:75]
	;; [unrolled: 1-line block ×5, first 2 shown]
	v_add_f64 v[55:56], v[55:56], v[72:73]
	v_add_f64 v[55:56], v[64:65], v[55:56]
	;; [unrolled: 1-line block ×3, first 2 shown]
	v_mul_f64 v[70:71], v[60:61], v[64:65]
	v_add_f64 v[76:77], v[78:79], -v[64:65]
	v_mul_f64 v[72:73], v[66:67], v[70:71]
	v_add_f64 v[55:56], v[55:56], v[76:77]
	v_fma_f64 v[66:67], v[70:71], v[66:67], -v[72:73]
	v_fma_f64 v[62:63], v[70:71], v[62:63], v[66:67]
	v_add_f64 v[66:67], v[72:73], v[62:63]
	v_add_f64 v[74:75], v[64:65], -v[66:67]
	v_add_f64 v[72:73], v[66:67], -v[72:73]
	;; [unrolled: 1-line block ×5, first 2 shown]
	v_mov_b32_e32 v66, 0x6b47b09a
	v_mov_b32_e32 v67, 0x3fc38538
	v_add_f64 v[55:56], v[55:56], v[64:65]
	v_add_f64 v[64:65], v[68:69], v[70:71]
	v_add_f64 v[55:56], v[62:63], v[55:56]
	v_add_f64 v[62:63], v[64:65], -v[68:69]
	v_add_f64 v[55:56], v[74:75], v[55:56]
	v_add_f64 v[62:63], v[70:71], -v[62:63]
	v_mul_f64 v[55:56], v[60:61], v[55:56]
	v_add_f64 v[55:56], v[62:63], v[55:56]
	v_add_f64 v[60:61], v[64:65], v[55:56]
	v_mul_f64 v[62:63], v[60:61], v[60:61]
	v_fma_f64 v[66:67], v[62:63], s[42:43], v[66:67]
	s_mov_b32 s42, 0xd7f4df2e
	s_mov_b32 s43, 0x3fc7474d
	v_mul_f64 v[68:69], v[60:61], v[62:63]
	v_fma_f64 v[66:67], v[62:63], v[66:67], s[42:43]
	s_mov_b32 s42, 0x16291751
	s_mov_b32 s43, 0x3fcc71c0
	v_fma_f64 v[66:67], v[62:63], v[66:67], s[42:43]
	s_mov_b32 s42, 0x9b27acf1
	s_mov_b32 s43, 0x3fd24924
	;; [unrolled: 3-line block ×3, first 2 shown]
	v_fma_f64 v[66:67], v[62:63], v[66:67], s[42:43]
	v_cmp_nge_f64_e64 s[42:43], -1.0, v[53:54]
	v_fma_f64 v[62:63], v[62:63], v[66:67], s[44:45]
	v_ldexp_f64 v[66:67], v[60:61], 1
	v_add_f64 v[60:61], v[60:61], -v[64:65]
	s_mov_b32 s44, 0
	s_mov_b32 s45, 0x7ff00000
	v_cmp_neq_f64_e64 s[44:45], s[44:45], v[53:54]
	v_mul_f64 v[62:63], v[68:69], v[62:63]
	v_cvt_f64_i32_e32 v[68:69], v81
	v_add_f64 v[55:56], v[55:56], -v[60:61]
	v_mul_f64 v[70:71], v[68:69], s[54:55]
	s_and_b64 s[42:43], s[42:43], s[44:45]
	v_add_f64 v[64:65], v[66:67], v[62:63]
	v_ldexp_f64 v[55:56], v[55:56], 1
	v_add_f64 v[60:61], v[64:65], -v[66:67]
	v_fma_f64 v[66:67], v[68:69], s[54:55], -v[70:71]
	v_add_f64 v[60:61], v[62:63], -v[60:61]
	v_fma_f64 v[62:63], v[68:69], s[56:57], v[66:67]
	v_add_f64 v[55:56], v[55:56], v[60:61]
	v_add_f64 v[60:61], v[70:71], v[62:63]
	;; [unrolled: 1-line block ×3, first 2 shown]
	v_add_f64 v[70:71], v[60:61], -v[70:71]
	v_add_f64 v[68:69], v[60:61], v[66:67]
	v_add_f64 v[64:65], v[66:67], -v[64:65]
	v_add_f64 v[62:63], v[62:63], -v[70:71]
	;; [unrolled: 1-line block ×6, first 2 shown]
	v_add_f64 v[66:67], v[62:63], v[55:56]
	v_add_f64 v[60:61], v[60:61], -v[74:75]
	v_add_f64 v[60:61], v[64:65], v[60:61]
	v_add_f64 v[64:65], v[66:67], -v[62:63]
	;; [unrolled: 2-line block ×3, first 2 shown]
	v_add_f64 v[55:56], v[55:56], -v[64:65]
	v_add_f64 v[70:71], v[68:69], v[60:61]
	v_add_f64 v[62:63], v[62:63], -v[66:67]
	v_add_f64 v[64:65], v[70:71], -v[68:69]
	v_add_f64 v[55:56], v[55:56], v[62:63]
	v_add_f64 v[60:61], v[60:61], -v[64:65]
	v_add_f64 v[55:56], v[55:56], v[60:61]
	v_mov_b32_e32 v60, 0x7ff80000
	v_mov_b32_e32 v61, 0xfff00000
	v_add_f64 v[55:56], v[70:71], v[55:56]
	v_cndmask_b32_e64 v55, 0, v55, s[42:43]
	v_cmp_ngt_f64_e64 s[42:43], -1.0, v[53:54]
	v_cndmask_b32_e64 v56, v80, v56, s[44:45]
	v_cndmask_b32_e64 v56, v60, v56, s[42:43]
	v_cmp_neq_f64_e64 s[42:43], -1.0, v[53:54]
	v_cndmask_b32_e64 v56, v61, v56, s[42:43]
	v_add_f64 v[53:54], v[23:24], v[55:56]
.LBB41_64:
	s_or_b64 exec, exec, s[52:53]
	v_mov_b32_e32 v23, v53
	v_mov_b32_e32 v24, v54
.LBB41_65:
	s_or_b64 exec, exec, s[50:51]
	v_add_u32_e32 v53, -1, v59
	v_and_b32_e32 v54, 64, v59
	v_cmp_lt_i32_e64 s[42:43], v53, v54
	v_cndmask_b32_e64 v53, v53, v59, s[42:43]
	v_lshlrev_b32_e32 v53, 2, v53
	ds_bpermute_b32 v23, v53, v23
	ds_bpermute_b32 v24, v53, v24
	s_waitcnt lgkmcnt(0)
	v_max_f64 v[53:54], v[23:24], v[23:24]
	v_cmp_u_f64_e64 s[42:43], v[23:24], v[23:24]
	v_min_f64 v[55:56], v[53:54], v[51:52]
	v_max_f64 v[51:52], v[53:54], v[51:52]
	v_cndmask_b32_e64 v53, v55, v23, s[42:43]
	v_cndmask_b32_e64 v54, v56, v24, s[42:43]
	;; [unrolled: 1-line block ×8, first 2 shown]
	v_cmp_neq_f64_e64 s[4:5], v[51:52], v[21:22]
	v_cmp_class_f64_e64 s[42:43], v[51:52], s33
	s_or_b64 s[4:5], s[4:5], s[42:43]
	s_and_saveexec_b64 s[44:45], s[4:5]
	s_cbranch_execz .LBB41_67
; %bb.66:
	v_add_f64 v[23:24], v[51:52], -v[21:22]
	s_mov_b32 s4, 0x652b82fe
	s_mov_b32 s5, 0x3ff71547
	s_mov_b32 s51, 0xbfe62e42
	s_mov_b32 s50, 0xfefa39ef
	s_mov_b32 s53, 0xbc7abc9e
	s_mov_b32 s52, 0x3b39803f
	v_mov_b32_e32 v55, 0xfca7ab0c
	v_mul_f64 v[51:52], v[23:24], s[4:5]
	s_mov_b32 s4, 0x6a5dcb37
	v_mov_b32_e32 v56, 0x3e928af3
	s_mov_b32 s5, 0x3e5ade15
	s_mov_b32 s42, 0
	s_mov_b32 s43, 0xc090cc00
	v_cmp_ngt_f64_e64 s[42:43], s[42:43], v[23:24]
	v_mov_b32_e32 v75, 0x7ff00000
	v_rndne_f64_e32 v[51:52], v[51:52]
	v_fma_f64 v[53:54], v[51:52], s[50:51], v[23:24]
	s_mov_b32 s51, 0x3fe62e42
	v_fma_f64 v[53:54], v[51:52], s[52:53], v[53:54]
	v_cvt_i32_f64_e32 v51, v[51:52]
	s_mov_b32 s53, 0x3c7abc9e
	v_fma_f64 v[55:56], v[53:54], s[4:5], v[55:56]
	s_mov_b32 s4, 0x623fde64
	s_mov_b32 s5, 0x3ec71dee
	v_fma_f64 v[55:56], v[53:54], v[55:56], s[4:5]
	s_mov_b32 s4, 0x7c89e6b0
	;; [unrolled: 3-line block ×9, first 2 shown]
	s_mov_b32 s5, 0x40900000
	v_cmp_nlt_f64_e64 s[4:5], s[4:5], v[23:24]
	v_fma_f64 v[55:56], v[53:54], v[55:56], 1.0
	v_fma_f64 v[53:54], v[53:54], v[55:56], 1.0
	v_ldexp_f64 v[51:52], v[53:54], v51
	v_cndmask_b32_e64 v52, v75, v52, s[4:5]
	s_and_b64 s[4:5], s[42:43], s[4:5]
	v_cndmask_b32_e64 v24, 0, v52, s[42:43]
	v_cndmask_b32_e64 v23, 0, v51, s[4:5]
	v_add_f64 v[51:52], v[23:24], 1.0
	s_mov_b32 s43, 0x3fe55555
	s_mov_b32 s42, 0x55555555
	v_frexp_mant_f64_e32 v[55:56], v[51:52]
	v_frexp_exp_i32_f64_e32 v61, v[51:52]
	v_add_f64 v[53:54], v[51:52], -1.0
	v_cmp_gt_f64_e64 s[4:5], s[42:43], v[55:56]
	s_mov_b32 s42, 0x55555780
	v_add_f64 v[59:60], v[53:54], -v[51:52]
	v_add_f64 v[53:54], v[23:24], -v[53:54]
	v_subbrev_co_u32_e64 v76, s[4:5], 0, v61, s[4:5]
	v_sub_u32_e32 v61, 0, v76
	v_ldexp_f64 v[51:52], v[51:52], v61
	v_add_f64 v[55:56], v[59:60], 1.0
	s_mov_b32 s4, 0xbf559e2b
	s_mov_b32 s5, 0x3fc3ab76
	v_add_f64 v[59:60], v[51:52], 1.0
	v_add_f64 v[53:54], v[53:54], v[55:56]
	v_add_f64 v[65:66], v[51:52], -1.0
	v_add_f64 v[55:56], v[59:60], -1.0
	v_ldexp_f64 v[53:54], v[53:54], v61
	v_add_f64 v[67:68], v[65:66], 1.0
	v_add_f64 v[55:56], v[51:52], -v[55:56]
	v_add_f64 v[51:52], v[51:52], -v[67:68]
	v_add_f64 v[55:56], v[53:54], v[55:56]
	v_add_f64 v[51:52], v[53:54], v[51:52]
	;; [unrolled: 1-line block ×4, first 2 shown]
	v_rcp_f64_e32 v[63:64], v[61:62]
	v_add_f64 v[59:60], v[61:62], -v[59:60]
	v_add_f64 v[65:66], v[67:68], -v[65:66]
	v_add_f64 v[55:56], v[55:56], -v[59:60]
	v_add_f64 v[51:52], v[51:52], -v[65:66]
	v_fma_f64 v[69:70], -v[61:62], v[63:64], 1.0
	v_fma_f64 v[63:64], v[69:70], v[63:64], v[63:64]
	v_fma_f64 v[53:54], -v[61:62], v[63:64], 1.0
	v_fma_f64 v[53:54], v[53:54], v[63:64], v[63:64]
	v_mul_f64 v[63:64], v[67:68], v[53:54]
	v_mul_f64 v[69:70], v[61:62], v[63:64]
	v_fma_f64 v[59:60], v[63:64], v[61:62], -v[69:70]
	v_fma_f64 v[59:60], v[63:64], v[55:56], v[59:60]
	v_add_f64 v[71:72], v[69:70], v[59:60]
	v_add_f64 v[73:74], v[67:68], -v[71:72]
	v_add_f64 v[65:66], v[71:72], -v[69:70]
	v_add_f64 v[67:68], v[67:68], -v[73:74]
	v_add_f64 v[59:60], v[65:66], -v[59:60]
	v_add_f64 v[67:68], v[67:68], -v[71:72]
	v_add_f64 v[51:52], v[51:52], v[67:68]
	v_add_f64 v[51:52], v[59:60], v[51:52]
	;; [unrolled: 1-line block ×3, first 2 shown]
	v_mul_f64 v[65:66], v[53:54], v[59:60]
	v_add_f64 v[71:72], v[73:74], -v[59:60]
	v_mul_f64 v[67:68], v[61:62], v[65:66]
	v_add_f64 v[51:52], v[51:52], v[71:72]
	v_fma_f64 v[61:62], v[65:66], v[61:62], -v[67:68]
	v_fma_f64 v[55:56], v[65:66], v[55:56], v[61:62]
	v_add_f64 v[61:62], v[67:68], v[55:56]
	v_add_f64 v[69:70], v[59:60], -v[61:62]
	v_add_f64 v[67:68], v[61:62], -v[67:68]
	;; [unrolled: 1-line block ×5, first 2 shown]
	v_mov_b32_e32 v61, 0x6b47b09a
	v_mov_b32_e32 v62, 0x3fc38538
	v_add_f64 v[51:52], v[51:52], v[59:60]
	v_add_f64 v[59:60], v[63:64], v[65:66]
	;; [unrolled: 1-line block ×3, first 2 shown]
	v_add_f64 v[55:56], v[59:60], -v[63:64]
	v_add_f64 v[51:52], v[69:70], v[51:52]
	v_add_f64 v[55:56], v[65:66], -v[55:56]
	v_mul_f64 v[51:52], v[53:54], v[51:52]
	v_add_f64 v[51:52], v[55:56], v[51:52]
	v_add_f64 v[53:54], v[59:60], v[51:52]
	v_mul_f64 v[55:56], v[53:54], v[53:54]
	v_fma_f64 v[61:62], v[55:56], s[4:5], v[61:62]
	s_mov_b32 s4, 0xd7f4df2e
	s_mov_b32 s5, 0x3fc7474d
	v_mul_f64 v[63:64], v[53:54], v[55:56]
	v_fma_f64 v[61:62], v[55:56], v[61:62], s[4:5]
	s_mov_b32 s4, 0x16291751
	s_mov_b32 s5, 0x3fcc71c0
	v_fma_f64 v[61:62], v[55:56], v[61:62], s[4:5]
	s_mov_b32 s4, 0x9b27acf1
	s_mov_b32 s5, 0x3fd24924
	v_fma_f64 v[61:62], v[55:56], v[61:62], s[4:5]
	s_mov_b32 s4, 0x998ef7b6
	s_mov_b32 s5, 0x3fd99999
	v_fma_f64 v[61:62], v[55:56], v[61:62], s[4:5]
	v_cmp_nge_f64_e64 s[4:5], -1.0, v[23:24]
	v_fma_f64 v[55:56], v[55:56], v[61:62], s[42:43]
	v_ldexp_f64 v[61:62], v[53:54], 1
	v_add_f64 v[53:54], v[53:54], -v[59:60]
	s_mov_b32 s42, 0
	s_mov_b32 s43, 0x7ff00000
	v_cmp_neq_f64_e64 s[42:43], s[42:43], v[23:24]
	v_mul_f64 v[55:56], v[63:64], v[55:56]
	v_cvt_f64_i32_e32 v[63:64], v76
	v_add_f64 v[51:52], v[51:52], -v[53:54]
	v_mul_f64 v[65:66], v[63:64], s[50:51]
	s_and_b64 s[4:5], s[4:5], s[42:43]
	v_add_f64 v[59:60], v[61:62], v[55:56]
	v_ldexp_f64 v[51:52], v[51:52], 1
	v_add_f64 v[53:54], v[59:60], -v[61:62]
	v_fma_f64 v[61:62], v[63:64], s[50:51], -v[65:66]
	v_add_f64 v[53:54], v[55:56], -v[53:54]
	v_fma_f64 v[55:56], v[63:64], s[52:53], v[61:62]
	v_add_f64 v[51:52], v[51:52], v[53:54]
	v_add_f64 v[53:54], v[65:66], v[55:56]
	;; [unrolled: 1-line block ×3, first 2 shown]
	v_add_f64 v[65:66], v[53:54], -v[65:66]
	v_add_f64 v[63:64], v[53:54], v[61:62]
	v_add_f64 v[59:60], v[61:62], -v[59:60]
	v_add_f64 v[55:56], v[55:56], -v[65:66]
	;; [unrolled: 1-line block ×6, first 2 shown]
	v_add_f64 v[61:62], v[55:56], v[51:52]
	v_add_f64 v[53:54], v[53:54], -v[69:70]
	v_add_f64 v[53:54], v[59:60], v[53:54]
	v_add_f64 v[59:60], v[61:62], -v[55:56]
	;; [unrolled: 2-line block ×3, first 2 shown]
	v_add_f64 v[51:52], v[51:52], -v[59:60]
	v_add_f64 v[65:66], v[63:64], v[53:54]
	v_add_f64 v[55:56], v[55:56], -v[61:62]
	v_add_f64 v[59:60], v[65:66], -v[63:64]
	v_add_f64 v[51:52], v[51:52], v[55:56]
	v_add_f64 v[53:54], v[53:54], -v[59:60]
	v_add_f64 v[51:52], v[51:52], v[53:54]
	v_mov_b32_e32 v53, 0x7ff80000
	v_mov_b32_e32 v54, 0xfff00000
	v_add_f64 v[51:52], v[65:66], v[51:52]
	v_cndmask_b32_e64 v51, 0, v51, s[4:5]
	v_cmp_ngt_f64_e64 s[4:5], -1.0, v[23:24]
	v_cndmask_b32_e64 v52, v75, v52, s[42:43]
	v_cndmask_b32_e64 v52, v53, v52, s[4:5]
	v_cmp_neq_f64_e64 s[4:5], -1.0, v[23:24]
	v_cndmask_b32_e64 v52, v54, v52, s[4:5]
	v_add_f64 v[23:24], v[21:22], v[51:52]
.LBB41_67:
	s_or_b64 exec, exec, s[44:45]
	v_cmp_eq_u32_e64 s[4:5], 0, v0
	v_cndmask_b32_e64 v24, v24, v50, s[4:5]
	v_cndmask_b32_e64 v23, v23, v49, s[4:5]
	; wave barrier
	ds_write_b64 v58, v[23:24]
	; wave barrier
	ds_read_b64 v[21:22], v58 offset:8
	v_max_f64 v[49:50], v[23:24], v[23:24]
	v_cmp_u_f64_e64 s[4:5], v[23:24], v[23:24]
	s_waitcnt lgkmcnt(0)
	v_max_f64 v[51:52], v[21:22], v[21:22]
	v_cmp_u_f64_e64 s[42:43], v[21:22], v[21:22]
	v_min_f64 v[53:54], v[49:50], v[51:52]
	v_max_f64 v[49:50], v[49:50], v[51:52]
	v_cndmask_b32_e64 v51, v53, v23, s[4:5]
	v_cndmask_b32_e64 v52, v54, v24, s[4:5]
	;; [unrolled: 1-line block ×8, first 2 shown]
	v_cmp_neq_f64_e64 s[4:5], v[49:50], v[21:22]
	v_cmp_class_f64_e64 s[42:43], v[49:50], s33
	s_or_b64 s[4:5], s[4:5], s[42:43]
	s_and_saveexec_b64 s[44:45], s[4:5]
	s_cbranch_execz .LBB41_69
; %bb.68:
	v_add_f64 v[23:24], v[49:50], -v[21:22]
	s_mov_b32 s4, 0x652b82fe
	s_mov_b32 s5, 0x3ff71547
	;; [unrolled: 1-line block ×6, first 2 shown]
	v_mov_b32_e32 v53, 0xfca7ab0c
	v_mul_f64 v[49:50], v[23:24], s[4:5]
	s_mov_b32 s4, 0x6a5dcb37
	v_mov_b32_e32 v54, 0x3e928af3
	s_mov_b32 s5, 0x3e5ade15
	s_mov_b32 s42, 0
	;; [unrolled: 1-line block ×3, first 2 shown]
	v_cmp_ngt_f64_e64 s[42:43], s[42:43], v[23:24]
	v_mov_b32_e32 v73, 0x7ff00000
	v_rndne_f64_e32 v[49:50], v[49:50]
	v_fma_f64 v[51:52], v[49:50], s[50:51], v[23:24]
	s_mov_b32 s51, 0x3fe62e42
	v_fma_f64 v[51:52], v[49:50], s[52:53], v[51:52]
	v_cvt_i32_f64_e32 v49, v[49:50]
	s_mov_b32 s53, 0x3c7abc9e
	v_fma_f64 v[53:54], v[51:52], s[4:5], v[53:54]
	s_mov_b32 s4, 0x623fde64
	s_mov_b32 s5, 0x3ec71dee
	v_fma_f64 v[53:54], v[51:52], v[53:54], s[4:5]
	s_mov_b32 s4, 0x7c89e6b0
	;; [unrolled: 3-line block ×9, first 2 shown]
	s_mov_b32 s5, 0x40900000
	v_cmp_nlt_f64_e64 s[4:5], s[4:5], v[23:24]
	v_fma_f64 v[53:54], v[51:52], v[53:54], 1.0
	v_fma_f64 v[51:52], v[51:52], v[53:54], 1.0
	v_ldexp_f64 v[49:50], v[51:52], v49
	v_cndmask_b32_e64 v50, v73, v50, s[4:5]
	s_and_b64 s[4:5], s[42:43], s[4:5]
	v_cndmask_b32_e64 v24, 0, v50, s[42:43]
	v_cndmask_b32_e64 v23, 0, v49, s[4:5]
	v_add_f64 v[49:50], v[23:24], 1.0
	s_mov_b32 s43, 0x3fe55555
	s_mov_b32 s42, 0x55555555
	v_frexp_mant_f64_e32 v[53:54], v[49:50]
	v_frexp_exp_i32_f64_e32 v59, v[49:50]
	v_add_f64 v[51:52], v[49:50], -1.0
	v_cmp_gt_f64_e64 s[4:5], s[42:43], v[53:54]
	s_mov_b32 s42, 0x55555780
	v_add_f64 v[55:56], v[51:52], -v[49:50]
	v_add_f64 v[51:52], v[23:24], -v[51:52]
	v_subbrev_co_u32_e64 v74, s[4:5], 0, v59, s[4:5]
	v_sub_u32_e32 v59, 0, v74
	v_ldexp_f64 v[49:50], v[49:50], v59
	v_add_f64 v[53:54], v[55:56], 1.0
	s_mov_b32 s4, 0xbf559e2b
	s_mov_b32 s5, 0x3fc3ab76
	v_add_f64 v[55:56], v[49:50], 1.0
	v_add_f64 v[51:52], v[51:52], v[53:54]
	v_add_f64 v[63:64], v[49:50], -1.0
	v_add_f64 v[53:54], v[55:56], -1.0
	v_ldexp_f64 v[51:52], v[51:52], v59
	v_add_f64 v[65:66], v[63:64], 1.0
	v_add_f64 v[53:54], v[49:50], -v[53:54]
	v_add_f64 v[49:50], v[49:50], -v[65:66]
	v_add_f64 v[53:54], v[51:52], v[53:54]
	v_add_f64 v[49:50], v[51:52], v[49:50]
	;; [unrolled: 1-line block ×4, first 2 shown]
	v_rcp_f64_e32 v[61:62], v[59:60]
	v_add_f64 v[55:56], v[59:60], -v[55:56]
	v_add_f64 v[63:64], v[65:66], -v[63:64]
	;; [unrolled: 1-line block ×4, first 2 shown]
	v_fma_f64 v[67:68], -v[59:60], v[61:62], 1.0
	v_fma_f64 v[61:62], v[67:68], v[61:62], v[61:62]
	v_fma_f64 v[51:52], -v[59:60], v[61:62], 1.0
	v_fma_f64 v[51:52], v[51:52], v[61:62], v[61:62]
	v_mul_f64 v[61:62], v[65:66], v[51:52]
	v_mul_f64 v[67:68], v[59:60], v[61:62]
	v_fma_f64 v[55:56], v[61:62], v[59:60], -v[67:68]
	v_fma_f64 v[55:56], v[61:62], v[53:54], v[55:56]
	v_add_f64 v[69:70], v[67:68], v[55:56]
	v_add_f64 v[71:72], v[65:66], -v[69:70]
	v_add_f64 v[63:64], v[69:70], -v[67:68]
	;; [unrolled: 1-line block ×5, first 2 shown]
	v_add_f64 v[49:50], v[49:50], v[65:66]
	v_add_f64 v[49:50], v[55:56], v[49:50]
	v_add_f64 v[55:56], v[71:72], v[49:50]
	v_mul_f64 v[63:64], v[51:52], v[55:56]
	v_add_f64 v[69:70], v[71:72], -v[55:56]
	v_mul_f64 v[65:66], v[59:60], v[63:64]
	v_add_f64 v[49:50], v[49:50], v[69:70]
	v_fma_f64 v[59:60], v[63:64], v[59:60], -v[65:66]
	v_fma_f64 v[53:54], v[63:64], v[53:54], v[59:60]
	v_add_f64 v[59:60], v[65:66], v[53:54]
	v_add_f64 v[67:68], v[55:56], -v[59:60]
	v_add_f64 v[65:66], v[59:60], -v[65:66]
	;; [unrolled: 1-line block ×5, first 2 shown]
	v_mov_b32_e32 v59, 0x6b47b09a
	v_mov_b32_e32 v60, 0x3fc38538
	v_add_f64 v[49:50], v[49:50], v[55:56]
	v_add_f64 v[55:56], v[61:62], v[63:64]
	;; [unrolled: 1-line block ×3, first 2 shown]
	v_add_f64 v[53:54], v[55:56], -v[61:62]
	v_add_f64 v[49:50], v[67:68], v[49:50]
	v_add_f64 v[53:54], v[63:64], -v[53:54]
	v_mul_f64 v[49:50], v[51:52], v[49:50]
	v_add_f64 v[49:50], v[53:54], v[49:50]
	v_add_f64 v[51:52], v[55:56], v[49:50]
	v_mul_f64 v[53:54], v[51:52], v[51:52]
	v_fma_f64 v[59:60], v[53:54], s[4:5], v[59:60]
	s_mov_b32 s4, 0xd7f4df2e
	s_mov_b32 s5, 0x3fc7474d
	v_mul_f64 v[61:62], v[51:52], v[53:54]
	v_fma_f64 v[59:60], v[53:54], v[59:60], s[4:5]
	s_mov_b32 s4, 0x16291751
	s_mov_b32 s5, 0x3fcc71c0
	v_fma_f64 v[59:60], v[53:54], v[59:60], s[4:5]
	s_mov_b32 s4, 0x9b27acf1
	s_mov_b32 s5, 0x3fd24924
	;; [unrolled: 3-line block ×3, first 2 shown]
	v_fma_f64 v[59:60], v[53:54], v[59:60], s[4:5]
	v_cmp_nge_f64_e64 s[4:5], -1.0, v[23:24]
	v_fma_f64 v[53:54], v[53:54], v[59:60], s[42:43]
	v_ldexp_f64 v[59:60], v[51:52], 1
	v_add_f64 v[51:52], v[51:52], -v[55:56]
	s_mov_b32 s42, 0
	s_mov_b32 s43, 0x7ff00000
	v_cmp_neq_f64_e64 s[42:43], s[42:43], v[23:24]
	v_mul_f64 v[53:54], v[61:62], v[53:54]
	v_cvt_f64_i32_e32 v[61:62], v74
	v_add_f64 v[49:50], v[49:50], -v[51:52]
	v_mul_f64 v[63:64], v[61:62], s[50:51]
	s_and_b64 s[4:5], s[4:5], s[42:43]
	v_add_f64 v[55:56], v[59:60], v[53:54]
	v_ldexp_f64 v[49:50], v[49:50], 1
	v_add_f64 v[51:52], v[55:56], -v[59:60]
	v_fma_f64 v[59:60], v[61:62], s[50:51], -v[63:64]
	v_add_f64 v[51:52], v[53:54], -v[51:52]
	v_fma_f64 v[53:54], v[61:62], s[52:53], v[59:60]
	v_add_f64 v[49:50], v[49:50], v[51:52]
	v_add_f64 v[51:52], v[63:64], v[53:54]
	;; [unrolled: 1-line block ×3, first 2 shown]
	v_add_f64 v[63:64], v[51:52], -v[63:64]
	v_add_f64 v[61:62], v[51:52], v[59:60]
	v_add_f64 v[55:56], v[59:60], -v[55:56]
	v_add_f64 v[53:54], v[53:54], -v[63:64]
	;; [unrolled: 1-line block ×6, first 2 shown]
	v_add_f64 v[59:60], v[53:54], v[49:50]
	v_add_f64 v[51:52], v[51:52], -v[67:68]
	v_add_f64 v[51:52], v[55:56], v[51:52]
	v_add_f64 v[55:56], v[59:60], -v[53:54]
	;; [unrolled: 2-line block ×3, first 2 shown]
	v_add_f64 v[49:50], v[49:50], -v[55:56]
	v_add_f64 v[63:64], v[61:62], v[51:52]
	v_add_f64 v[53:54], v[53:54], -v[59:60]
	v_add_f64 v[55:56], v[63:64], -v[61:62]
	v_add_f64 v[49:50], v[49:50], v[53:54]
	v_add_f64 v[51:52], v[51:52], -v[55:56]
	v_add_f64 v[49:50], v[49:50], v[51:52]
	v_mov_b32_e32 v51, 0x7ff80000
	v_mov_b32_e32 v52, 0xfff00000
	v_add_f64 v[49:50], v[63:64], v[49:50]
	v_cndmask_b32_e64 v49, 0, v49, s[4:5]
	v_cmp_ngt_f64_e64 s[4:5], -1.0, v[23:24]
	v_cndmask_b32_e64 v50, v73, v50, s[42:43]
	v_cndmask_b32_e64 v50, v51, v50, s[4:5]
	v_cmp_neq_f64_e64 s[4:5], -1.0, v[23:24]
	v_cndmask_b32_e64 v50, v52, v50, s[4:5]
	v_add_f64 v[23:24], v[21:22], v[49:50]
.LBB41_69:
	s_or_b64 exec, exec, s[44:45]
	ds_write_b64 v58, v[23:24] offset:8
.LBB41_70:
	s_or_b64 exec, exec, s[48:49]
	v_mul_u32_u24_e32 v49, 0x48, v0
	v_cmp_ne_u32_e64 s[4:5], 0, v0
	s_waitcnt lgkmcnt(0)
	s_barrier
	s_and_saveexec_b64 s[42:43], s[4:5]
	s_cbranch_execz .LBB41_74
; %bb.71:
	v_add_u32_e32 v0, -1, v0
	v_lshrrev_b32_e32 v21, 2, v0
	v_and_b32_e32 v21, 0x3ffffff8, v21
	v_lshl_add_u32 v0, v0, 3, v21
	ds_read_b64 v[21:22], v0
	s_waitcnt lgkmcnt(0)
	v_max_f64 v[23:24], v[21:22], v[21:22]
	v_cmp_u_f64_e64 s[4:5], v[21:22], v[21:22]
	v_min_f64 v[43:44], v[23:24], v[47:48]
	v_max_f64 v[23:24], v[23:24], v[47:48]
	v_cndmask_b32_e64 v0, v43, v21, s[4:5]
	v_cndmask_b32_e64 v43, v44, v22, s[4:5]
	v_cndmask_b32_e64 v44, v23, v21, s[4:5]
	v_cndmask_b32_e64 v45, v24, v22, s[4:5]
	v_cndmask_b32_e64 v24, v43, v2, s[38:39]
	v_cndmask_b32_e64 v23, v0, v1, s[38:39]
	v_cndmask_b32_e64 v2, v45, v2, s[38:39]
	v_cndmask_b32_e64 v1, v44, v1, s[38:39]
	v_cmp_neq_f64_e64 s[4:5], v[23:24], v[1:2]
	v_cmp_class_f64_e64 s[38:39], v[23:24], s33
	s_or_b64 s[4:5], s[4:5], s[38:39]
	s_and_saveexec_b64 s[44:45], s[4:5]
	s_cbranch_execz .LBB41_73
; %bb.72:
	v_add_f64 v[21:22], v[23:24], -v[1:2]
	s_mov_b32 s4, 0x652b82fe
	s_mov_b32 s5, 0x3ff71547
	;; [unrolled: 1-line block ×6, first 2 shown]
	v_mov_b32_e32 v45, 0xfca7ab0c
	v_mul_f64 v[23:24], v[21:22], s[4:5]
	s_mov_b32 s4, 0x6a5dcb37
	v_mov_b32_e32 v46, 0x3e928af3
	s_mov_b32 s5, 0x3e5ade15
	s_mov_b32 s38, 0
	s_mov_b32 s39, 0xc090cc00
	v_cmp_ngt_f64_e64 s[38:39], s[38:39], v[21:22]
	v_rndne_f64_e32 v[23:24], v[23:24]
	v_fma_f64 v[43:44], v[23:24], s[48:49], v[21:22]
	v_cvt_i32_f64_e32 v0, v[23:24]
	s_mov_b32 s49, 0x3fe62e42
	v_fma_f64 v[43:44], v[23:24], s[50:51], v[43:44]
	s_mov_b32 s51, 0x3c7abc9e
	v_fma_f64 v[45:46], v[43:44], s[4:5], v[45:46]
	s_mov_b32 s4, 0x623fde64
	s_mov_b32 s5, 0x3ec71dee
	v_fma_f64 v[45:46], v[43:44], v[45:46], s[4:5]
	s_mov_b32 s4, 0x7c89e6b0
	;; [unrolled: 3-line block ×9, first 2 shown]
	s_mov_b32 s5, 0x40900000
	v_cmp_nlt_f64_e64 s[4:5], s[4:5], v[21:22]
	v_fma_f64 v[45:46], v[43:44], v[45:46], 1.0
	v_fma_f64 v[43:44], v[43:44], v[45:46], 1.0
	v_ldexp_f64 v[23:24], v[43:44], v0
	v_mov_b32_e32 v0, 0x7ff00000
	v_cndmask_b32_e64 v24, v0, v24, s[4:5]
	s_and_b64 s[4:5], s[38:39], s[4:5]
	v_cndmask_b32_e64 v22, 0, v24, s[38:39]
	v_cndmask_b32_e64 v21, 0, v23, s[4:5]
	v_add_f64 v[23:24], v[21:22], 1.0
	s_mov_b32 s39, 0x3fe55555
	s_mov_b32 s38, 0x55555555
	v_frexp_mant_f64_e32 v[45:46], v[23:24]
	v_frexp_exp_i32_f64_e32 v50, v[23:24]
	v_add_f64 v[43:44], v[23:24], -1.0
	v_cmp_gt_f64_e64 s[4:5], s[38:39], v[45:46]
	s_mov_b32 s38, 0x55555780
	v_add_f64 v[47:48], v[43:44], -v[23:24]
	v_add_f64 v[43:44], v[21:22], -v[43:44]
	v_subbrev_co_u32_e64 v56, s[4:5], 0, v50, s[4:5]
	v_sub_u32_e32 v50, 0, v56
	v_ldexp_f64 v[23:24], v[23:24], v50
	v_add_f64 v[45:46], v[47:48], 1.0
	s_mov_b32 s4, 0xbf559e2b
	s_mov_b32 s5, 0x3fc3ab76
	v_add_f64 v[47:48], v[23:24], 1.0
	v_add_f64 v[43:44], v[43:44], v[45:46]
	v_add_f64 v[54:55], v[23:24], -1.0
	v_add_f64 v[45:46], v[47:48], -1.0
	v_ldexp_f64 v[43:44], v[43:44], v50
	v_add_f64 v[58:59], v[54:55], 1.0
	v_add_f64 v[45:46], v[23:24], -v[45:46]
	v_add_f64 v[23:24], v[23:24], -v[58:59]
	v_add_f64 v[45:46], v[43:44], v[45:46]
	v_add_f64 v[23:24], v[43:44], v[23:24]
	;; [unrolled: 1-line block ×4, first 2 shown]
	v_rcp_f64_e32 v[52:53], v[50:51]
	v_add_f64 v[47:48], v[50:51], -v[47:48]
	v_add_f64 v[54:55], v[58:59], -v[54:55]
	v_add_f64 v[45:46], v[45:46], -v[47:48]
	v_add_f64 v[23:24], v[23:24], -v[54:55]
	v_fma_f64 v[60:61], -v[50:51], v[52:53], 1.0
	v_fma_f64 v[52:53], v[60:61], v[52:53], v[52:53]
	v_fma_f64 v[43:44], -v[50:51], v[52:53], 1.0
	v_fma_f64 v[43:44], v[43:44], v[52:53], v[52:53]
	v_mul_f64 v[52:53], v[58:59], v[43:44]
	v_mul_f64 v[60:61], v[50:51], v[52:53]
	v_fma_f64 v[47:48], v[52:53], v[50:51], -v[60:61]
	v_fma_f64 v[47:48], v[52:53], v[45:46], v[47:48]
	v_add_f64 v[62:63], v[60:61], v[47:48]
	v_add_f64 v[64:65], v[58:59], -v[62:63]
	v_add_f64 v[54:55], v[62:63], -v[60:61]
	;; [unrolled: 1-line block ×5, first 2 shown]
	v_add_f64 v[23:24], v[23:24], v[58:59]
	v_add_f64 v[23:24], v[47:48], v[23:24]
	;; [unrolled: 1-line block ×3, first 2 shown]
	v_mul_f64 v[54:55], v[43:44], v[47:48]
	v_add_f64 v[62:63], v[64:65], -v[47:48]
	v_mul_f64 v[58:59], v[50:51], v[54:55]
	v_add_f64 v[23:24], v[23:24], v[62:63]
	v_fma_f64 v[50:51], v[54:55], v[50:51], -v[58:59]
	v_fma_f64 v[45:46], v[54:55], v[45:46], v[50:51]
	v_add_f64 v[50:51], v[58:59], v[45:46]
	v_add_f64 v[60:61], v[47:48], -v[50:51]
	v_add_f64 v[58:59], v[50:51], -v[58:59]
	;; [unrolled: 1-line block ×5, first 2 shown]
	v_mov_b32_e32 v50, 0x6b47b09a
	v_mov_b32_e32 v51, 0x3fc38538
	v_add_f64 v[23:24], v[23:24], v[47:48]
	v_add_f64 v[47:48], v[52:53], v[54:55]
	;; [unrolled: 1-line block ×3, first 2 shown]
	v_add_f64 v[45:46], v[47:48], -v[52:53]
	v_add_f64 v[23:24], v[60:61], v[23:24]
	v_add_f64 v[45:46], v[54:55], -v[45:46]
	v_mul_f64 v[23:24], v[43:44], v[23:24]
	v_add_f64 v[23:24], v[45:46], v[23:24]
	v_add_f64 v[43:44], v[47:48], v[23:24]
	v_mul_f64 v[45:46], v[43:44], v[43:44]
	v_fma_f64 v[50:51], v[45:46], s[4:5], v[50:51]
	s_mov_b32 s4, 0xd7f4df2e
	s_mov_b32 s5, 0x3fc7474d
	v_mul_f64 v[52:53], v[43:44], v[45:46]
	v_fma_f64 v[50:51], v[45:46], v[50:51], s[4:5]
	s_mov_b32 s4, 0x16291751
	s_mov_b32 s5, 0x3fcc71c0
	v_fma_f64 v[50:51], v[45:46], v[50:51], s[4:5]
	s_mov_b32 s4, 0x9b27acf1
	s_mov_b32 s5, 0x3fd24924
	;; [unrolled: 3-line block ×3, first 2 shown]
	v_fma_f64 v[50:51], v[45:46], v[50:51], s[4:5]
	v_cmp_nge_f64_e64 s[4:5], -1.0, v[21:22]
	v_fma_f64 v[45:46], v[45:46], v[50:51], s[38:39]
	v_ldexp_f64 v[50:51], v[43:44], 1
	v_add_f64 v[43:44], v[43:44], -v[47:48]
	s_mov_b32 s38, 0
	s_mov_b32 s39, 0x7ff00000
	v_cmp_neq_f64_e64 s[38:39], s[38:39], v[21:22]
	v_mul_f64 v[45:46], v[52:53], v[45:46]
	v_cvt_f64_i32_e32 v[52:53], v56
	v_add_f64 v[23:24], v[23:24], -v[43:44]
	v_mul_f64 v[54:55], v[52:53], s[48:49]
	s_and_b64 s[4:5], s[4:5], s[38:39]
	v_add_f64 v[47:48], v[50:51], v[45:46]
	v_ldexp_f64 v[23:24], v[23:24], 1
	v_add_f64 v[43:44], v[47:48], -v[50:51]
	v_fma_f64 v[50:51], v[52:53], s[48:49], -v[54:55]
	v_add_f64 v[43:44], v[45:46], -v[43:44]
	v_fma_f64 v[45:46], v[52:53], s[50:51], v[50:51]
	v_add_f64 v[23:24], v[23:24], v[43:44]
	v_add_f64 v[43:44], v[54:55], v[45:46]
	;; [unrolled: 1-line block ×3, first 2 shown]
	v_add_f64 v[54:55], v[43:44], -v[54:55]
	v_add_f64 v[52:53], v[43:44], v[50:51]
	v_add_f64 v[47:48], v[50:51], -v[47:48]
	v_add_f64 v[45:46], v[45:46], -v[54:55]
	;; [unrolled: 1-line block ×6, first 2 shown]
	v_add_f64 v[50:51], v[45:46], v[23:24]
	v_add_f64 v[43:44], v[43:44], -v[60:61]
	v_add_f64 v[43:44], v[47:48], v[43:44]
	v_add_f64 v[47:48], v[50:51], -v[45:46]
	;; [unrolled: 2-line block ×3, first 2 shown]
	v_add_f64 v[23:24], v[23:24], -v[47:48]
	v_add_f64 v[54:55], v[52:53], v[43:44]
	v_add_f64 v[45:46], v[45:46], -v[50:51]
	v_add_f64 v[47:48], v[54:55], -v[52:53]
	v_add_f64 v[23:24], v[23:24], v[45:46]
	v_add_f64 v[43:44], v[43:44], -v[47:48]
	v_add_f64 v[23:24], v[23:24], v[43:44]
	v_mov_b32_e32 v43, 0x7ff80000
	v_mov_b32_e32 v44, 0xfff00000
	v_add_f64 v[23:24], v[54:55], v[23:24]
	v_cndmask_b32_e64 v23, 0, v23, s[4:5]
	v_cmp_ngt_f64_e64 s[4:5], -1.0, v[21:22]
	v_cndmask_b32_e64 v0, v0, v24, s[38:39]
	v_cndmask_b32_e64 v0, v43, v0, s[4:5]
	v_cmp_neq_f64_e64 s[4:5], -1.0, v[21:22]
	v_cndmask_b32_e64 v24, v44, v0, s[4:5]
	v_add_f64 v[21:22], v[1:2], v[23:24]
.LBB41_73:
	s_or_b64 exec, exec, s[44:45]
	v_max_f64 v[0:1], v[21:22], v[21:22]
	;;#ASMSTART
	;;#ASMEND
	v_min_f64 v[43:44], v[0:1], v[29:30]
	v_max_f64 v[45:46], v[0:1], v[29:30]
	v_mov_b32_e32 v1, v21
	v_mov_b32_e32 v2, v22
.LBB41_74:
	s_or_b64 exec, exec, s[42:43]
	v_cmp_u_f64_e64 s[4:5], v[1:2], v[1:2]
	v_cndmask_b32_e64 v0, v43, v1, s[4:5]
	v_cndmask_b32_e64 v23, v0, v3, s[18:19]
	;; [unrolled: 1-line block ×8, first 2 shown]
	v_cmp_neq_f64_e64 s[4:5], v[23:24], v[21:22]
	v_cmp_class_f64_e64 s[18:19], v[23:24], s33
	v_mov_b32_e32 v4, v2
	v_mov_b32_e32 v3, v1
	s_or_b64 s[4:5], s[4:5], s[18:19]
	s_and_saveexec_b64 s[38:39], s[4:5]
	s_cbranch_execz .LBB41_76
; %bb.75:
	v_add_f64 v[3:4], v[23:24], -v[21:22]
	s_mov_b32 s4, 0x652b82fe
	s_mov_b32 s5, 0x3ff71547
	;; [unrolled: 1-line block ×6, first 2 shown]
	v_mov_b32_e32 v43, 0xfca7ab0c
	v_mul_f64 v[23:24], v[3:4], s[4:5]
	s_mov_b32 s4, 0x6a5dcb37
	v_mov_b32_e32 v44, 0x3e928af3
	s_mov_b32 s5, 0x3e5ade15
	s_mov_b32 s18, 0
	;; [unrolled: 1-line block ×3, first 2 shown]
	v_cmp_ngt_f64_e64 s[18:19], s[18:19], v[3:4]
	v_rndne_f64_e32 v[23:24], v[23:24]
	v_fma_f64 v[29:30], v[23:24], s[42:43], v[3:4]
	v_cvt_i32_f64_e32 v0, v[23:24]
	s_mov_b32 s43, 0x3fe62e42
	v_fma_f64 v[29:30], v[23:24], s[44:45], v[29:30]
	s_mov_b32 s45, 0x3c7abc9e
	v_fma_f64 v[43:44], v[29:30], s[4:5], v[43:44]
	s_mov_b32 s4, 0x623fde64
	s_mov_b32 s5, 0x3ec71dee
	v_fma_f64 v[43:44], v[29:30], v[43:44], s[4:5]
	s_mov_b32 s4, 0x7c89e6b0
	;; [unrolled: 3-line block ×9, first 2 shown]
	s_mov_b32 s5, 0x40900000
	v_cmp_nlt_f64_e64 s[4:5], s[4:5], v[3:4]
	v_fma_f64 v[43:44], v[29:30], v[43:44], 1.0
	v_fma_f64 v[29:30], v[29:30], v[43:44], 1.0
	v_ldexp_f64 v[23:24], v[29:30], v0
	v_mov_b32_e32 v0, 0x7ff00000
	v_cndmask_b32_e64 v24, v0, v24, s[4:5]
	s_and_b64 s[4:5], s[18:19], s[4:5]
	v_cndmask_b32_e64 v4, 0, v24, s[18:19]
	v_cndmask_b32_e64 v3, 0, v23, s[4:5]
	v_add_f64 v[23:24], v[3:4], 1.0
	s_mov_b32 s19, 0x3fe55555
	s_mov_b32 s18, 0x55555555
	v_frexp_mant_f64_e32 v[43:44], v[23:24]
	v_frexp_exp_i32_f64_e32 v47, v[23:24]
	v_add_f64 v[29:30], v[23:24], -1.0
	v_cmp_gt_f64_e64 s[4:5], s[18:19], v[43:44]
	s_mov_b32 s18, 0x55555780
	v_add_f64 v[45:46], v[29:30], -v[23:24]
	v_add_f64 v[29:30], v[3:4], -v[29:30]
	v_subbrev_co_u32_e64 v56, s[4:5], 0, v47, s[4:5]
	v_sub_u32_e32 v47, 0, v56
	v_ldexp_f64 v[23:24], v[23:24], v47
	v_add_f64 v[43:44], v[45:46], 1.0
	s_mov_b32 s4, 0xbf559e2b
	s_mov_b32 s5, 0x3fc3ab76
	v_add_f64 v[45:46], v[23:24], 1.0
	v_add_f64 v[29:30], v[29:30], v[43:44]
	v_add_f64 v[52:53], v[23:24], -1.0
	v_add_f64 v[43:44], v[45:46], -1.0
	v_ldexp_f64 v[29:30], v[29:30], v47
	v_add_f64 v[54:55], v[52:53], 1.0
	v_add_f64 v[43:44], v[23:24], -v[43:44]
	v_add_f64 v[23:24], v[23:24], -v[54:55]
	v_add_f64 v[43:44], v[29:30], v[43:44]
	v_add_f64 v[23:24], v[29:30], v[23:24]
	;; [unrolled: 1-line block ×4, first 2 shown]
	v_rcp_f64_e32 v[50:51], v[47:48]
	v_add_f64 v[45:46], v[47:48], -v[45:46]
	v_add_f64 v[52:53], v[54:55], -v[52:53]
	;; [unrolled: 1-line block ×4, first 2 shown]
	v_fma_f64 v[58:59], -v[47:48], v[50:51], 1.0
	v_fma_f64 v[50:51], v[58:59], v[50:51], v[50:51]
	v_fma_f64 v[29:30], -v[47:48], v[50:51], 1.0
	v_fma_f64 v[29:30], v[29:30], v[50:51], v[50:51]
	v_mul_f64 v[50:51], v[54:55], v[29:30]
	v_mul_f64 v[58:59], v[47:48], v[50:51]
	v_fma_f64 v[45:46], v[50:51], v[47:48], -v[58:59]
	v_fma_f64 v[45:46], v[50:51], v[43:44], v[45:46]
	v_add_f64 v[60:61], v[58:59], v[45:46]
	v_add_f64 v[62:63], v[54:55], -v[60:61]
	v_add_f64 v[52:53], v[60:61], -v[58:59]
	;; [unrolled: 1-line block ×5, first 2 shown]
	v_add_f64 v[23:24], v[23:24], v[54:55]
	v_add_f64 v[23:24], v[45:46], v[23:24]
	;; [unrolled: 1-line block ×3, first 2 shown]
	v_mul_f64 v[52:53], v[29:30], v[45:46]
	v_add_f64 v[60:61], v[62:63], -v[45:46]
	v_mul_f64 v[54:55], v[47:48], v[52:53]
	v_add_f64 v[23:24], v[23:24], v[60:61]
	v_fma_f64 v[47:48], v[52:53], v[47:48], -v[54:55]
	v_fma_f64 v[43:44], v[52:53], v[43:44], v[47:48]
	v_add_f64 v[47:48], v[54:55], v[43:44]
	v_add_f64 v[58:59], v[45:46], -v[47:48]
	v_add_f64 v[54:55], v[47:48], -v[54:55]
	;; [unrolled: 1-line block ×5, first 2 shown]
	v_mov_b32_e32 v47, 0x6b47b09a
	v_mov_b32_e32 v48, 0x3fc38538
	v_add_f64 v[23:24], v[23:24], v[45:46]
	v_add_f64 v[45:46], v[50:51], v[52:53]
	;; [unrolled: 1-line block ×3, first 2 shown]
	v_add_f64 v[43:44], v[45:46], -v[50:51]
	v_add_f64 v[23:24], v[58:59], v[23:24]
	v_add_f64 v[43:44], v[52:53], -v[43:44]
	v_mul_f64 v[23:24], v[29:30], v[23:24]
	v_add_f64 v[23:24], v[43:44], v[23:24]
	v_add_f64 v[29:30], v[45:46], v[23:24]
	v_mul_f64 v[43:44], v[29:30], v[29:30]
	v_fma_f64 v[47:48], v[43:44], s[4:5], v[47:48]
	s_mov_b32 s4, 0xd7f4df2e
	s_mov_b32 s5, 0x3fc7474d
	v_mul_f64 v[50:51], v[29:30], v[43:44]
	v_fma_f64 v[47:48], v[43:44], v[47:48], s[4:5]
	s_mov_b32 s4, 0x16291751
	s_mov_b32 s5, 0x3fcc71c0
	v_fma_f64 v[47:48], v[43:44], v[47:48], s[4:5]
	s_mov_b32 s4, 0x9b27acf1
	s_mov_b32 s5, 0x3fd24924
	;; [unrolled: 3-line block ×3, first 2 shown]
	v_fma_f64 v[47:48], v[43:44], v[47:48], s[4:5]
	v_cmp_nge_f64_e64 s[4:5], -1.0, v[3:4]
	v_fma_f64 v[43:44], v[43:44], v[47:48], s[18:19]
	v_ldexp_f64 v[47:48], v[29:30], 1
	v_add_f64 v[29:30], v[29:30], -v[45:46]
	s_mov_b32 s18, 0
	s_mov_b32 s19, 0x7ff00000
	v_cmp_neq_f64_e64 s[18:19], s[18:19], v[3:4]
	v_mul_f64 v[43:44], v[50:51], v[43:44]
	v_cvt_f64_i32_e32 v[50:51], v56
	v_add_f64 v[23:24], v[23:24], -v[29:30]
	v_mul_f64 v[52:53], v[50:51], s[42:43]
	s_and_b64 s[4:5], s[4:5], s[18:19]
	v_add_f64 v[45:46], v[47:48], v[43:44]
	v_ldexp_f64 v[23:24], v[23:24], 1
	v_add_f64 v[29:30], v[45:46], -v[47:48]
	v_fma_f64 v[47:48], v[50:51], s[42:43], -v[52:53]
	v_add_f64 v[29:30], v[43:44], -v[29:30]
	v_fma_f64 v[43:44], v[50:51], s[44:45], v[47:48]
	v_add_f64 v[23:24], v[23:24], v[29:30]
	v_add_f64 v[29:30], v[52:53], v[43:44]
	v_add_f64 v[47:48], v[45:46], v[23:24]
	v_add_f64 v[52:53], v[29:30], -v[52:53]
	v_add_f64 v[50:51], v[29:30], v[47:48]
	v_add_f64 v[45:46], v[47:48], -v[45:46]
	v_add_f64 v[43:44], v[43:44], -v[52:53]
	;; [unrolled: 1-line block ×6, first 2 shown]
	v_add_f64 v[47:48], v[43:44], v[23:24]
	v_add_f64 v[29:30], v[29:30], -v[58:59]
	v_add_f64 v[29:30], v[45:46], v[29:30]
	v_add_f64 v[45:46], v[47:48], -v[43:44]
	;; [unrolled: 2-line block ×3, first 2 shown]
	v_add_f64 v[23:24], v[23:24], -v[45:46]
	v_add_f64 v[52:53], v[50:51], v[29:30]
	v_add_f64 v[43:44], v[43:44], -v[47:48]
	v_add_f64 v[45:46], v[52:53], -v[50:51]
	v_add_f64 v[23:24], v[23:24], v[43:44]
	v_add_f64 v[29:30], v[29:30], -v[45:46]
	v_add_f64 v[23:24], v[23:24], v[29:30]
	v_mov_b32_e32 v29, 0x7ff80000
	v_mov_b32_e32 v30, 0xfff00000
	v_add_f64 v[23:24], v[52:53], v[23:24]
	v_cndmask_b32_e64 v23, 0, v23, s[4:5]
	v_cmp_ngt_f64_e64 s[4:5], -1.0, v[3:4]
	v_cndmask_b32_e64 v0, v0, v24, s[18:19]
	v_cndmask_b32_e64 v0, v29, v0, s[4:5]
	v_cmp_neq_f64_e64 s[4:5], -1.0, v[3:4]
	v_cndmask_b32_e64 v24, v30, v0, s[4:5]
	v_add_f64 v[3:4], v[21:22], v[23:24]
.LBB41_76:
	s_or_b64 exec, exec, s[38:39]
	v_max_f64 v[21:22], v[3:4], v[3:4]
	v_cmp_u_f64_e64 s[4:5], v[3:4], v[3:4]
	v_min_f64 v[23:24], v[21:22], v[25:26]
	v_max_f64 v[21:22], v[21:22], v[25:26]
	v_cndmask_b32_e64 v0, v23, v3, s[4:5]
	v_cndmask_b32_e64 v23, v24, v4, s[4:5]
	;; [unrolled: 1-line block ×8, first 2 shown]
	v_cmp_neq_f64_e64 s[4:5], v[23:24], v[21:22]
	v_cmp_class_f64_e64 s[18:19], v[23:24], s33
	v_mov_b32_e32 v18, v4
	v_mov_b32_e32 v17, v3
	s_or_b64 s[4:5], s[4:5], s[18:19]
	s_and_saveexec_b64 s[22:23], s[4:5]
	s_cbranch_execz .LBB41_78
; %bb.77:
	v_add_f64 v[17:18], v[23:24], -v[21:22]
	s_mov_b32 s4, 0x652b82fe
	s_mov_b32 s5, 0x3ff71547
	;; [unrolled: 1-line block ×6, first 2 shown]
	v_mov_b32_e32 v29, 0xfca7ab0c
	v_mul_f64 v[23:24], v[17:18], s[4:5]
	s_mov_b32 s4, 0x6a5dcb37
	v_mov_b32_e32 v30, 0x3e928af3
	s_mov_b32 s5, 0x3e5ade15
	s_mov_b32 s18, 0
	;; [unrolled: 1-line block ×3, first 2 shown]
	v_cmp_ngt_f64_e64 s[18:19], s[18:19], v[17:18]
	v_rndne_f64_e32 v[23:24], v[23:24]
	v_fma_f64 v[25:26], v[23:24], s[38:39], v[17:18]
	v_cvt_i32_f64_e32 v0, v[23:24]
	s_mov_b32 s39, 0x3fe62e42
	v_fma_f64 v[25:26], v[23:24], s[42:43], v[25:26]
	s_mov_b32 s43, 0x3c7abc9e
	v_fma_f64 v[29:30], v[25:26], s[4:5], v[29:30]
	s_mov_b32 s4, 0x623fde64
	s_mov_b32 s5, 0x3ec71dee
	v_fma_f64 v[29:30], v[25:26], v[29:30], s[4:5]
	s_mov_b32 s4, 0x7c89e6b0
	;; [unrolled: 3-line block ×9, first 2 shown]
	s_mov_b32 s5, 0x40900000
	v_cmp_nlt_f64_e64 s[4:5], s[4:5], v[17:18]
	v_fma_f64 v[29:30], v[25:26], v[29:30], 1.0
	v_fma_f64 v[25:26], v[25:26], v[29:30], 1.0
	v_ldexp_f64 v[23:24], v[25:26], v0
	v_mov_b32_e32 v0, 0x7ff00000
	v_cndmask_b32_e64 v24, v0, v24, s[4:5]
	s_and_b64 s[4:5], s[18:19], s[4:5]
	v_cndmask_b32_e64 v18, 0, v24, s[18:19]
	v_cndmask_b32_e64 v17, 0, v23, s[4:5]
	v_add_f64 v[23:24], v[17:18], 1.0
	s_mov_b32 s19, 0x3fe55555
	s_mov_b32 s18, 0x55555555
	v_frexp_mant_f64_e32 v[29:30], v[23:24]
	v_frexp_exp_i32_f64_e32 v45, v[23:24]
	v_add_f64 v[25:26], v[23:24], -1.0
	v_cmp_gt_f64_e64 s[4:5], s[18:19], v[29:30]
	s_mov_b32 s18, 0x55555780
	v_add_f64 v[43:44], v[25:26], -v[23:24]
	v_add_f64 v[25:26], v[17:18], -v[25:26]
	v_subbrev_co_u32_e64 v56, s[4:5], 0, v45, s[4:5]
	v_sub_u32_e32 v45, 0, v56
	v_ldexp_f64 v[23:24], v[23:24], v45
	v_add_f64 v[29:30], v[43:44], 1.0
	s_mov_b32 s4, 0xbf559e2b
	s_mov_b32 s5, 0x3fc3ab76
	v_add_f64 v[43:44], v[23:24], 1.0
	v_add_f64 v[25:26], v[25:26], v[29:30]
	v_add_f64 v[50:51], v[23:24], -1.0
	v_add_f64 v[29:30], v[43:44], -1.0
	v_ldexp_f64 v[25:26], v[25:26], v45
	v_add_f64 v[52:53], v[50:51], 1.0
	v_add_f64 v[29:30], v[23:24], -v[29:30]
	v_add_f64 v[23:24], v[23:24], -v[52:53]
	v_add_f64 v[29:30], v[25:26], v[29:30]
	v_add_f64 v[23:24], v[25:26], v[23:24]
	;; [unrolled: 1-line block ×4, first 2 shown]
	v_rcp_f64_e32 v[47:48], v[45:46]
	v_add_f64 v[43:44], v[45:46], -v[43:44]
	v_add_f64 v[50:51], v[52:53], -v[50:51]
	;; [unrolled: 1-line block ×4, first 2 shown]
	v_fma_f64 v[54:55], -v[45:46], v[47:48], 1.0
	v_fma_f64 v[47:48], v[54:55], v[47:48], v[47:48]
	v_fma_f64 v[25:26], -v[45:46], v[47:48], 1.0
	v_fma_f64 v[25:26], v[25:26], v[47:48], v[47:48]
	v_mul_f64 v[47:48], v[52:53], v[25:26]
	v_mul_f64 v[54:55], v[45:46], v[47:48]
	v_fma_f64 v[43:44], v[47:48], v[45:46], -v[54:55]
	v_fma_f64 v[43:44], v[47:48], v[29:30], v[43:44]
	v_add_f64 v[58:59], v[54:55], v[43:44]
	v_add_f64 v[60:61], v[52:53], -v[58:59]
	v_add_f64 v[50:51], v[58:59], -v[54:55]
	v_add_f64 v[52:53], v[52:53], -v[60:61]
	v_add_f64 v[43:44], v[50:51], -v[43:44]
	v_add_f64 v[52:53], v[52:53], -v[58:59]
	v_add_f64 v[23:24], v[23:24], v[52:53]
	v_add_f64 v[23:24], v[43:44], v[23:24]
	;; [unrolled: 1-line block ×3, first 2 shown]
	v_mul_f64 v[50:51], v[25:26], v[43:44]
	v_add_f64 v[58:59], v[60:61], -v[43:44]
	v_mul_f64 v[52:53], v[45:46], v[50:51]
	v_add_f64 v[23:24], v[23:24], v[58:59]
	v_fma_f64 v[45:46], v[50:51], v[45:46], -v[52:53]
	v_fma_f64 v[29:30], v[50:51], v[29:30], v[45:46]
	v_add_f64 v[45:46], v[52:53], v[29:30]
	v_add_f64 v[54:55], v[43:44], -v[45:46]
	v_add_f64 v[52:53], v[45:46], -v[52:53]
	;; [unrolled: 1-line block ×5, first 2 shown]
	v_mov_b32_e32 v45, 0x6b47b09a
	v_mov_b32_e32 v46, 0x3fc38538
	v_add_f64 v[23:24], v[23:24], v[43:44]
	v_add_f64 v[43:44], v[47:48], v[50:51]
	;; [unrolled: 1-line block ×3, first 2 shown]
	v_add_f64 v[29:30], v[43:44], -v[47:48]
	v_add_f64 v[23:24], v[54:55], v[23:24]
	v_add_f64 v[29:30], v[50:51], -v[29:30]
	v_mul_f64 v[23:24], v[25:26], v[23:24]
	v_add_f64 v[23:24], v[29:30], v[23:24]
	v_add_f64 v[25:26], v[43:44], v[23:24]
	v_mul_f64 v[29:30], v[25:26], v[25:26]
	v_fma_f64 v[45:46], v[29:30], s[4:5], v[45:46]
	s_mov_b32 s4, 0xd7f4df2e
	s_mov_b32 s5, 0x3fc7474d
	v_mul_f64 v[47:48], v[25:26], v[29:30]
	v_fma_f64 v[45:46], v[29:30], v[45:46], s[4:5]
	s_mov_b32 s4, 0x16291751
	s_mov_b32 s5, 0x3fcc71c0
	v_fma_f64 v[45:46], v[29:30], v[45:46], s[4:5]
	s_mov_b32 s4, 0x9b27acf1
	s_mov_b32 s5, 0x3fd24924
	;; [unrolled: 3-line block ×3, first 2 shown]
	v_fma_f64 v[45:46], v[29:30], v[45:46], s[4:5]
	v_cmp_nge_f64_e64 s[4:5], -1.0, v[17:18]
	v_fma_f64 v[29:30], v[29:30], v[45:46], s[18:19]
	v_ldexp_f64 v[45:46], v[25:26], 1
	v_add_f64 v[25:26], v[25:26], -v[43:44]
	s_mov_b32 s18, 0
	s_mov_b32 s19, 0x7ff00000
	v_cmp_neq_f64_e64 s[18:19], s[18:19], v[17:18]
	v_mul_f64 v[29:30], v[47:48], v[29:30]
	v_cvt_f64_i32_e32 v[47:48], v56
	v_add_f64 v[23:24], v[23:24], -v[25:26]
	v_mul_f64 v[50:51], v[47:48], s[38:39]
	s_and_b64 s[4:5], s[4:5], s[18:19]
	v_add_f64 v[43:44], v[45:46], v[29:30]
	v_ldexp_f64 v[23:24], v[23:24], 1
	v_add_f64 v[25:26], v[43:44], -v[45:46]
	v_fma_f64 v[45:46], v[47:48], s[38:39], -v[50:51]
	v_add_f64 v[25:26], v[29:30], -v[25:26]
	v_fma_f64 v[29:30], v[47:48], s[42:43], v[45:46]
	v_add_f64 v[23:24], v[23:24], v[25:26]
	v_add_f64 v[25:26], v[50:51], v[29:30]
	;; [unrolled: 1-line block ×3, first 2 shown]
	v_add_f64 v[50:51], v[25:26], -v[50:51]
	v_add_f64 v[47:48], v[25:26], v[45:46]
	v_add_f64 v[43:44], v[45:46], -v[43:44]
	v_add_f64 v[29:30], v[29:30], -v[50:51]
	;; [unrolled: 1-line block ×6, first 2 shown]
	v_add_f64 v[45:46], v[29:30], v[23:24]
	v_add_f64 v[25:26], v[25:26], -v[54:55]
	v_add_f64 v[25:26], v[43:44], v[25:26]
	v_add_f64 v[43:44], v[45:46], -v[29:30]
	;; [unrolled: 2-line block ×3, first 2 shown]
	v_add_f64 v[23:24], v[23:24], -v[43:44]
	v_add_f64 v[50:51], v[47:48], v[25:26]
	v_add_f64 v[29:30], v[29:30], -v[45:46]
	v_add_f64 v[43:44], v[50:51], -v[47:48]
	v_add_f64 v[23:24], v[23:24], v[29:30]
	v_add_f64 v[25:26], v[25:26], -v[43:44]
	v_add_f64 v[23:24], v[23:24], v[25:26]
	v_mov_b32_e32 v25, 0x7ff80000
	v_mov_b32_e32 v26, 0xfff00000
	v_add_f64 v[23:24], v[50:51], v[23:24]
	v_cndmask_b32_e64 v23, 0, v23, s[4:5]
	v_cmp_ngt_f64_e64 s[4:5], -1.0, v[17:18]
	v_cndmask_b32_e64 v0, v0, v24, s[18:19]
	v_cndmask_b32_e64 v0, v25, v0, s[4:5]
	v_cmp_neq_f64_e64 s[4:5], -1.0, v[17:18]
	v_cndmask_b32_e64 v24, v26, v0, s[4:5]
	v_add_f64 v[17:18], v[21:22], v[23:24]
.LBB41_78:
	s_or_b64 exec, exec, s[22:23]
	v_max_f64 v[21:22], v[17:18], v[17:18]
	v_cmp_u_f64_e64 s[4:5], v[17:18], v[17:18]
	v_min_f64 v[23:24], v[21:22], v[27:28]
	v_max_f64 v[21:22], v[21:22], v[27:28]
	v_cndmask_b32_e64 v0, v23, v17, s[4:5]
	v_cndmask_b32_e64 v23, v24, v18, s[4:5]
	;; [unrolled: 1-line block ×8, first 2 shown]
	v_cmp_neq_f64_e64 s[4:5], v[23:24], v[21:22]
	v_cmp_class_f64_e64 s[18:19], v[23:24], s33
	v_mov_b32_e32 v20, v18
	v_mov_b32_e32 v19, v17
	s_or_b64 s[4:5], s[4:5], s[18:19]
	s_and_saveexec_b64 s[20:21], s[4:5]
	s_cbranch_execz .LBB41_80
; %bb.79:
	v_add_f64 v[19:20], v[23:24], -v[21:22]
	s_mov_b32 s4, 0x652b82fe
	s_mov_b32 s5, 0x3ff71547
	s_mov_b32 s23, 0xbfe62e42
	s_mov_b32 s22, 0xfefa39ef
	s_mov_b32 s39, 0xbc7abc9e
	s_mov_b32 s38, 0x3b39803f
	v_mov_b32_e32 v27, 0xfca7ab0c
	v_mul_f64 v[23:24], v[19:20], s[4:5]
	s_mov_b32 s4, 0x6a5dcb37
	v_mov_b32_e32 v28, 0x3e928af3
	s_mov_b32 s5, 0x3e5ade15
	s_mov_b32 s18, 0
	s_mov_b32 s19, 0xc090cc00
	v_cmp_ngt_f64_e64 s[18:19], s[18:19], v[19:20]
	v_rndne_f64_e32 v[23:24], v[23:24]
	v_fma_f64 v[25:26], v[23:24], s[22:23], v[19:20]
	v_cvt_i32_f64_e32 v0, v[23:24]
	s_mov_b32 s23, 0x3fe62e42
	v_fma_f64 v[25:26], v[23:24], s[38:39], v[25:26]
	s_mov_b32 s39, 0x3c7abc9e
	v_fma_f64 v[27:28], v[25:26], s[4:5], v[27:28]
	s_mov_b32 s4, 0x623fde64
	s_mov_b32 s5, 0x3ec71dee
	v_fma_f64 v[27:28], v[25:26], v[27:28], s[4:5]
	s_mov_b32 s4, 0x7c89e6b0
	;; [unrolled: 3-line block ×9, first 2 shown]
	s_mov_b32 s5, 0x40900000
	v_cmp_nlt_f64_e64 s[4:5], s[4:5], v[19:20]
	v_fma_f64 v[27:28], v[25:26], v[27:28], 1.0
	v_fma_f64 v[25:26], v[25:26], v[27:28], 1.0
	v_ldexp_f64 v[23:24], v[25:26], v0
	v_mov_b32_e32 v0, 0x7ff00000
	v_cndmask_b32_e64 v24, v0, v24, s[4:5]
	s_and_b64 s[4:5], s[18:19], s[4:5]
	v_cndmask_b32_e64 v20, 0, v24, s[18:19]
	v_cndmask_b32_e64 v19, 0, v23, s[4:5]
	v_add_f64 v[23:24], v[19:20], 1.0
	s_mov_b32 s19, 0x3fe55555
	s_mov_b32 s18, 0x55555555
	v_frexp_mant_f64_e32 v[27:28], v[23:24]
	v_frexp_exp_i32_f64_e32 v43, v[23:24]
	v_add_f64 v[25:26], v[23:24], -1.0
	v_cmp_gt_f64_e64 s[4:5], s[18:19], v[27:28]
	s_mov_b32 s18, 0x55555780
	v_add_f64 v[29:30], v[25:26], -v[23:24]
	v_add_f64 v[25:26], v[19:20], -v[25:26]
	v_subbrev_co_u32_e64 v56, s[4:5], 0, v43, s[4:5]
	v_sub_u32_e32 v43, 0, v56
	v_ldexp_f64 v[23:24], v[23:24], v43
	v_add_f64 v[27:28], v[29:30], 1.0
	s_mov_b32 s4, 0xbf559e2b
	s_mov_b32 s5, 0x3fc3ab76
	v_add_f64 v[29:30], v[23:24], 1.0
	v_add_f64 v[25:26], v[25:26], v[27:28]
	v_add_f64 v[47:48], v[23:24], -1.0
	v_add_f64 v[27:28], v[29:30], -1.0
	v_ldexp_f64 v[25:26], v[25:26], v43
	v_add_f64 v[50:51], v[47:48], 1.0
	v_add_f64 v[27:28], v[23:24], -v[27:28]
	v_add_f64 v[23:24], v[23:24], -v[50:51]
	v_add_f64 v[27:28], v[25:26], v[27:28]
	v_add_f64 v[23:24], v[25:26], v[23:24]
	;; [unrolled: 1-line block ×4, first 2 shown]
	v_rcp_f64_e32 v[45:46], v[43:44]
	v_add_f64 v[29:30], v[43:44], -v[29:30]
	v_add_f64 v[47:48], v[50:51], -v[47:48]
	;; [unrolled: 1-line block ×4, first 2 shown]
	v_fma_f64 v[52:53], -v[43:44], v[45:46], 1.0
	v_fma_f64 v[45:46], v[52:53], v[45:46], v[45:46]
	v_fma_f64 v[25:26], -v[43:44], v[45:46], 1.0
	v_fma_f64 v[25:26], v[25:26], v[45:46], v[45:46]
	v_mul_f64 v[45:46], v[50:51], v[25:26]
	v_mul_f64 v[52:53], v[43:44], v[45:46]
	v_fma_f64 v[29:30], v[45:46], v[43:44], -v[52:53]
	v_fma_f64 v[29:30], v[45:46], v[27:28], v[29:30]
	v_add_f64 v[54:55], v[52:53], v[29:30]
	v_add_f64 v[58:59], v[50:51], -v[54:55]
	v_add_f64 v[47:48], v[54:55], -v[52:53]
	;; [unrolled: 1-line block ×5, first 2 shown]
	v_add_f64 v[23:24], v[23:24], v[50:51]
	v_add_f64 v[23:24], v[29:30], v[23:24]
	;; [unrolled: 1-line block ×3, first 2 shown]
	v_mul_f64 v[47:48], v[25:26], v[29:30]
	v_add_f64 v[54:55], v[58:59], -v[29:30]
	v_mul_f64 v[50:51], v[43:44], v[47:48]
	v_add_f64 v[23:24], v[23:24], v[54:55]
	v_fma_f64 v[43:44], v[47:48], v[43:44], -v[50:51]
	v_fma_f64 v[27:28], v[47:48], v[27:28], v[43:44]
	v_add_f64 v[43:44], v[50:51], v[27:28]
	v_add_f64 v[52:53], v[29:30], -v[43:44]
	v_add_f64 v[50:51], v[43:44], -v[50:51]
	;; [unrolled: 1-line block ×5, first 2 shown]
	v_mov_b32_e32 v43, 0x6b47b09a
	v_mov_b32_e32 v44, 0x3fc38538
	v_add_f64 v[23:24], v[23:24], v[29:30]
	v_add_f64 v[29:30], v[45:46], v[47:48]
	;; [unrolled: 1-line block ×3, first 2 shown]
	v_add_f64 v[27:28], v[29:30], -v[45:46]
	v_add_f64 v[23:24], v[52:53], v[23:24]
	v_add_f64 v[27:28], v[47:48], -v[27:28]
	v_mul_f64 v[23:24], v[25:26], v[23:24]
	v_add_f64 v[23:24], v[27:28], v[23:24]
	v_add_f64 v[25:26], v[29:30], v[23:24]
	v_mul_f64 v[27:28], v[25:26], v[25:26]
	v_fma_f64 v[43:44], v[27:28], s[4:5], v[43:44]
	s_mov_b32 s4, 0xd7f4df2e
	s_mov_b32 s5, 0x3fc7474d
	v_mul_f64 v[45:46], v[25:26], v[27:28]
	v_fma_f64 v[43:44], v[27:28], v[43:44], s[4:5]
	s_mov_b32 s4, 0x16291751
	s_mov_b32 s5, 0x3fcc71c0
	v_fma_f64 v[43:44], v[27:28], v[43:44], s[4:5]
	s_mov_b32 s4, 0x9b27acf1
	s_mov_b32 s5, 0x3fd24924
	v_fma_f64 v[43:44], v[27:28], v[43:44], s[4:5]
	s_mov_b32 s4, 0x998ef7b6
	s_mov_b32 s5, 0x3fd99999
	v_fma_f64 v[43:44], v[27:28], v[43:44], s[4:5]
	v_cmp_nge_f64_e64 s[4:5], -1.0, v[19:20]
	v_fma_f64 v[27:28], v[27:28], v[43:44], s[18:19]
	v_ldexp_f64 v[43:44], v[25:26], 1
	v_add_f64 v[25:26], v[25:26], -v[29:30]
	s_mov_b32 s18, 0
	s_mov_b32 s19, 0x7ff00000
	v_cmp_neq_f64_e64 s[18:19], s[18:19], v[19:20]
	v_mul_f64 v[27:28], v[45:46], v[27:28]
	v_cvt_f64_i32_e32 v[45:46], v56
	v_add_f64 v[23:24], v[23:24], -v[25:26]
	v_mul_f64 v[47:48], v[45:46], s[22:23]
	s_and_b64 s[4:5], s[4:5], s[18:19]
	v_add_f64 v[29:30], v[43:44], v[27:28]
	v_ldexp_f64 v[23:24], v[23:24], 1
	v_add_f64 v[25:26], v[29:30], -v[43:44]
	v_fma_f64 v[43:44], v[45:46], s[22:23], -v[47:48]
	v_add_f64 v[25:26], v[27:28], -v[25:26]
	v_fma_f64 v[27:28], v[45:46], s[38:39], v[43:44]
	v_add_f64 v[23:24], v[23:24], v[25:26]
	v_add_f64 v[25:26], v[47:48], v[27:28]
	;; [unrolled: 1-line block ×3, first 2 shown]
	v_add_f64 v[47:48], v[25:26], -v[47:48]
	v_add_f64 v[45:46], v[25:26], v[43:44]
	v_add_f64 v[29:30], v[43:44], -v[29:30]
	v_add_f64 v[27:28], v[27:28], -v[47:48]
	;; [unrolled: 1-line block ×6, first 2 shown]
	v_add_f64 v[43:44], v[27:28], v[23:24]
	v_add_f64 v[25:26], v[25:26], -v[52:53]
	v_add_f64 v[25:26], v[29:30], v[25:26]
	v_add_f64 v[29:30], v[43:44], -v[27:28]
	;; [unrolled: 2-line block ×3, first 2 shown]
	v_add_f64 v[23:24], v[23:24], -v[29:30]
	v_add_f64 v[47:48], v[45:46], v[25:26]
	v_add_f64 v[27:28], v[27:28], -v[43:44]
	v_add_f64 v[29:30], v[47:48], -v[45:46]
	v_add_f64 v[23:24], v[23:24], v[27:28]
	v_add_f64 v[25:26], v[25:26], -v[29:30]
	v_add_f64 v[23:24], v[23:24], v[25:26]
	v_mov_b32_e32 v25, 0x7ff80000
	v_mov_b32_e32 v26, 0xfff00000
	v_add_f64 v[23:24], v[47:48], v[23:24]
	v_cndmask_b32_e64 v23, 0, v23, s[4:5]
	v_cmp_ngt_f64_e64 s[4:5], -1.0, v[19:20]
	v_cndmask_b32_e64 v0, v0, v24, s[18:19]
	v_cndmask_b32_e64 v0, v25, v0, s[4:5]
	v_cmp_neq_f64_e64 s[4:5], -1.0, v[19:20]
	v_cndmask_b32_e64 v24, v26, v0, s[4:5]
	v_add_f64 v[19:20], v[21:22], v[23:24]
.LBB41_80:
	s_or_b64 exec, exec, s[20:21]
	v_max_f64 v[21:22], v[19:20], v[19:20]
	v_cmp_u_f64_e64 s[4:5], v[19:20], v[19:20]
	v_min_f64 v[23:24], v[21:22], v[31:32]
	v_max_f64 v[21:22], v[21:22], v[31:32]
	v_cndmask_b32_e64 v0, v23, v19, s[4:5]
	v_cndmask_b32_e64 v23, v24, v20, s[4:5]
	;; [unrolled: 1-line block ×8, first 2 shown]
	v_cmp_neq_f64_e64 s[4:5], v[23:24], v[21:22]
	v_cmp_class_f64_e64 s[18:19], v[23:24], s33
	v_mov_b32_e32 v13, v19
	v_mov_b32_e32 v14, v20
	s_or_b64 s[4:5], s[4:5], s[18:19]
	s_and_saveexec_b64 s[20:21], s[4:5]
	s_cbranch_execz .LBB41_82
; %bb.81:
	v_add_f64 v[13:14], v[23:24], -v[21:22]
	s_mov_b32 s4, 0x652b82fe
	s_mov_b32 s5, 0x3ff71547
	s_mov_b32 s23, 0xbfe62e42
	s_mov_b32 s22, 0xfefa39ef
	s_mov_b32 s27, 0xbc7abc9e
	s_mov_b32 s26, 0x3b39803f
	v_mov_b32_e32 v27, 0xfca7ab0c
	v_mul_f64 v[23:24], v[13:14], s[4:5]
	s_mov_b32 s4, 0x6a5dcb37
	v_mov_b32_e32 v28, 0x3e928af3
	s_mov_b32 s5, 0x3e5ade15
	s_mov_b32 s18, 0
	;; [unrolled: 1-line block ×3, first 2 shown]
	v_cmp_ngt_f64_e64 s[18:19], s[18:19], v[13:14]
	v_rndne_f64_e32 v[23:24], v[23:24]
	v_fma_f64 v[25:26], v[23:24], s[22:23], v[13:14]
	v_cvt_i32_f64_e32 v0, v[23:24]
	s_mov_b32 s23, 0x3fe62e42
	v_fma_f64 v[25:26], v[23:24], s[26:27], v[25:26]
	s_mov_b32 s27, 0x3c7abc9e
	v_fma_f64 v[27:28], v[25:26], s[4:5], v[27:28]
	s_mov_b32 s4, 0x623fde64
	s_mov_b32 s5, 0x3ec71dee
	v_fma_f64 v[27:28], v[25:26], v[27:28], s[4:5]
	s_mov_b32 s4, 0x7c89e6b0
	;; [unrolled: 3-line block ×9, first 2 shown]
	s_mov_b32 s5, 0x40900000
	v_cmp_nlt_f64_e64 s[4:5], s[4:5], v[13:14]
	v_fma_f64 v[27:28], v[25:26], v[27:28], 1.0
	v_fma_f64 v[25:26], v[25:26], v[27:28], 1.0
	v_ldexp_f64 v[23:24], v[25:26], v0
	v_mov_b32_e32 v0, 0x7ff00000
	v_cndmask_b32_e64 v24, v0, v24, s[4:5]
	s_and_b64 s[4:5], s[18:19], s[4:5]
	v_cndmask_b32_e64 v14, 0, v24, s[18:19]
	v_cndmask_b32_e64 v13, 0, v23, s[4:5]
	v_add_f64 v[23:24], v[13:14], 1.0
	s_mov_b32 s19, 0x3fe55555
	s_mov_b32 s18, 0x55555555
	v_frexp_mant_f64_e32 v[27:28], v[23:24]
	v_frexp_exp_i32_f64_e32 v31, v[23:24]
	v_add_f64 v[25:26], v[23:24], -1.0
	v_cmp_gt_f64_e64 s[4:5], s[18:19], v[27:28]
	s_mov_b32 s18, 0x55555780
	v_add_f64 v[29:30], v[25:26], -v[23:24]
	v_add_f64 v[25:26], v[13:14], -v[25:26]
	v_subbrev_co_u32_e64 v56, s[4:5], 0, v31, s[4:5]
	v_sub_u32_e32 v31, 0, v56
	v_ldexp_f64 v[23:24], v[23:24], v31
	v_add_f64 v[27:28], v[29:30], 1.0
	s_mov_b32 s4, 0xbf559e2b
	s_mov_b32 s5, 0x3fc3ab76
	v_add_f64 v[29:30], v[23:24], 1.0
	v_add_f64 v[25:26], v[25:26], v[27:28]
	v_add_f64 v[45:46], v[23:24], -1.0
	v_add_f64 v[27:28], v[29:30], -1.0
	v_ldexp_f64 v[25:26], v[25:26], v31
	v_add_f64 v[47:48], v[45:46], 1.0
	v_add_f64 v[27:28], v[23:24], -v[27:28]
	v_add_f64 v[23:24], v[23:24], -v[47:48]
	v_add_f64 v[27:28], v[25:26], v[27:28]
	v_add_f64 v[23:24], v[25:26], v[23:24]
	;; [unrolled: 1-line block ×4, first 2 shown]
	v_rcp_f64_e32 v[43:44], v[31:32]
	v_add_f64 v[29:30], v[31:32], -v[29:30]
	v_add_f64 v[45:46], v[47:48], -v[45:46]
	;; [unrolled: 1-line block ×4, first 2 shown]
	v_fma_f64 v[50:51], -v[31:32], v[43:44], 1.0
	v_fma_f64 v[43:44], v[50:51], v[43:44], v[43:44]
	v_fma_f64 v[25:26], -v[31:32], v[43:44], 1.0
	v_fma_f64 v[25:26], v[25:26], v[43:44], v[43:44]
	v_mul_f64 v[43:44], v[47:48], v[25:26]
	v_mul_f64 v[50:51], v[31:32], v[43:44]
	v_fma_f64 v[29:30], v[43:44], v[31:32], -v[50:51]
	v_fma_f64 v[29:30], v[43:44], v[27:28], v[29:30]
	v_add_f64 v[52:53], v[50:51], v[29:30]
	v_add_f64 v[54:55], v[47:48], -v[52:53]
	v_add_f64 v[45:46], v[52:53], -v[50:51]
	;; [unrolled: 1-line block ×5, first 2 shown]
	v_add_f64 v[23:24], v[23:24], v[47:48]
	v_add_f64 v[23:24], v[29:30], v[23:24]
	;; [unrolled: 1-line block ×3, first 2 shown]
	v_mul_f64 v[45:46], v[25:26], v[29:30]
	v_add_f64 v[52:53], v[54:55], -v[29:30]
	v_mul_f64 v[47:48], v[31:32], v[45:46]
	v_add_f64 v[23:24], v[23:24], v[52:53]
	v_fma_f64 v[31:32], v[45:46], v[31:32], -v[47:48]
	v_fma_f64 v[27:28], v[45:46], v[27:28], v[31:32]
	v_add_f64 v[31:32], v[47:48], v[27:28]
	v_add_f64 v[50:51], v[29:30], -v[31:32]
	v_add_f64 v[47:48], v[31:32], -v[47:48]
	;; [unrolled: 1-line block ×5, first 2 shown]
	v_mov_b32_e32 v31, 0x6b47b09a
	v_mov_b32_e32 v32, 0x3fc38538
	v_add_f64 v[23:24], v[23:24], v[29:30]
	v_add_f64 v[29:30], v[43:44], v[45:46]
	;; [unrolled: 1-line block ×3, first 2 shown]
	v_add_f64 v[27:28], v[29:30], -v[43:44]
	v_add_f64 v[23:24], v[50:51], v[23:24]
	v_add_f64 v[27:28], v[45:46], -v[27:28]
	v_mul_f64 v[23:24], v[25:26], v[23:24]
	v_add_f64 v[23:24], v[27:28], v[23:24]
	v_add_f64 v[25:26], v[29:30], v[23:24]
	v_mul_f64 v[27:28], v[25:26], v[25:26]
	v_fma_f64 v[31:32], v[27:28], s[4:5], v[31:32]
	s_mov_b32 s4, 0xd7f4df2e
	s_mov_b32 s5, 0x3fc7474d
	v_mul_f64 v[43:44], v[25:26], v[27:28]
	v_fma_f64 v[31:32], v[27:28], v[31:32], s[4:5]
	s_mov_b32 s4, 0x16291751
	s_mov_b32 s5, 0x3fcc71c0
	v_fma_f64 v[31:32], v[27:28], v[31:32], s[4:5]
	s_mov_b32 s4, 0x9b27acf1
	s_mov_b32 s5, 0x3fd24924
	;; [unrolled: 3-line block ×3, first 2 shown]
	v_fma_f64 v[31:32], v[27:28], v[31:32], s[4:5]
	v_cmp_nge_f64_e64 s[4:5], -1.0, v[13:14]
	v_fma_f64 v[27:28], v[27:28], v[31:32], s[18:19]
	v_ldexp_f64 v[31:32], v[25:26], 1
	v_add_f64 v[25:26], v[25:26], -v[29:30]
	s_mov_b32 s18, 0
	s_mov_b32 s19, 0x7ff00000
	v_cmp_neq_f64_e64 s[18:19], s[18:19], v[13:14]
	v_mul_f64 v[27:28], v[43:44], v[27:28]
	v_cvt_f64_i32_e32 v[43:44], v56
	v_add_f64 v[23:24], v[23:24], -v[25:26]
	v_mul_f64 v[45:46], v[43:44], s[22:23]
	s_and_b64 s[4:5], s[4:5], s[18:19]
	v_add_f64 v[29:30], v[31:32], v[27:28]
	v_ldexp_f64 v[23:24], v[23:24], 1
	v_add_f64 v[25:26], v[29:30], -v[31:32]
	v_fma_f64 v[31:32], v[43:44], s[22:23], -v[45:46]
	v_add_f64 v[25:26], v[27:28], -v[25:26]
	v_fma_f64 v[27:28], v[43:44], s[26:27], v[31:32]
	v_add_f64 v[23:24], v[23:24], v[25:26]
	v_add_f64 v[25:26], v[45:46], v[27:28]
	v_add_f64 v[31:32], v[29:30], v[23:24]
	v_add_f64 v[45:46], v[25:26], -v[45:46]
	v_add_f64 v[43:44], v[25:26], v[31:32]
	v_add_f64 v[29:30], v[31:32], -v[29:30]
	v_add_f64 v[27:28], v[27:28], -v[45:46]
	;; [unrolled: 1-line block ×6, first 2 shown]
	v_add_f64 v[31:32], v[27:28], v[23:24]
	v_add_f64 v[25:26], v[25:26], -v[50:51]
	v_add_f64 v[25:26], v[29:30], v[25:26]
	v_add_f64 v[29:30], v[31:32], -v[27:28]
	;; [unrolled: 2-line block ×3, first 2 shown]
	v_add_f64 v[23:24], v[23:24], -v[29:30]
	v_add_f64 v[45:46], v[43:44], v[25:26]
	v_add_f64 v[27:28], v[27:28], -v[31:32]
	v_add_f64 v[29:30], v[45:46], -v[43:44]
	v_add_f64 v[23:24], v[23:24], v[27:28]
	v_add_f64 v[25:26], v[25:26], -v[29:30]
	v_add_f64 v[23:24], v[23:24], v[25:26]
	v_mov_b32_e32 v25, 0x7ff80000
	v_mov_b32_e32 v26, 0xfff00000
	v_add_f64 v[23:24], v[45:46], v[23:24]
	v_cndmask_b32_e64 v23, 0, v23, s[4:5]
	v_cmp_ngt_f64_e64 s[4:5], -1.0, v[13:14]
	v_cndmask_b32_e64 v0, v0, v24, s[18:19]
	v_cndmask_b32_e64 v0, v25, v0, s[4:5]
	v_cmp_neq_f64_e64 s[4:5], -1.0, v[13:14]
	v_cndmask_b32_e64 v24, v26, v0, s[4:5]
	v_add_f64 v[13:14], v[21:22], v[23:24]
.LBB41_82:
	s_or_b64 exec, exec, s[20:21]
	v_max_f64 v[21:22], v[13:14], v[13:14]
	v_cmp_u_f64_e64 s[4:5], v[13:14], v[13:14]
	s_movk_i32 s26, 0x1f8
	v_min_f64 v[23:24], v[21:22], v[33:34]
	v_max_f64 v[21:22], v[21:22], v[33:34]
	v_cndmask_b32_e64 v0, v23, v13, s[4:5]
	v_cndmask_b32_e64 v23, v24, v14, s[4:5]
	;; [unrolled: 1-line block ×8, first 2 shown]
	v_cmp_neq_f64_e64 s[4:5], v[23:24], v[21:22]
	v_cmp_class_f64_e64 s[18:19], v[23:24], s26
	v_mov_b32_e32 v16, v14
	v_mov_b32_e32 v15, v13
	s_or_b64 s[4:5], s[4:5], s[18:19]
	s_and_saveexec_b64 s[20:21], s[4:5]
	s_cbranch_execz .LBB41_84
; %bb.83:
	v_add_f64 v[15:16], v[23:24], -v[21:22]
	s_mov_b32 s4, 0x652b82fe
	s_mov_b32 s5, 0x3ff71547
	;; [unrolled: 1-line block ×6, first 2 shown]
	v_mov_b32_e32 v27, 0xfca7ab0c
	v_mul_f64 v[23:24], v[15:16], s[4:5]
	s_mov_b32 s4, 0x6a5dcb37
	v_mov_b32_e32 v28, 0x3e928af3
	s_mov_b32 s5, 0x3e5ade15
	s_mov_b32 s18, 0
	;; [unrolled: 1-line block ×3, first 2 shown]
	v_cmp_ngt_f64_e64 s[18:19], s[18:19], v[15:16]
	v_rndne_f64_e32 v[23:24], v[23:24]
	v_fma_f64 v[25:26], v[23:24], s[22:23], v[15:16]
	v_cvt_i32_f64_e32 v0, v[23:24]
	s_mov_b32 s23, 0x3fe62e42
	v_fma_f64 v[25:26], v[23:24], s[24:25], v[25:26]
	s_mov_b32 s25, 0x3c7abc9e
	v_fma_f64 v[27:28], v[25:26], s[4:5], v[27:28]
	s_mov_b32 s4, 0x623fde64
	s_mov_b32 s5, 0x3ec71dee
	v_fma_f64 v[27:28], v[25:26], v[27:28], s[4:5]
	s_mov_b32 s4, 0x7c89e6b0
	;; [unrolled: 3-line block ×9, first 2 shown]
	s_mov_b32 s5, 0x40900000
	v_cmp_nlt_f64_e64 s[4:5], s[4:5], v[15:16]
	v_fma_f64 v[27:28], v[25:26], v[27:28], 1.0
	v_fma_f64 v[25:26], v[25:26], v[27:28], 1.0
	v_ldexp_f64 v[23:24], v[25:26], v0
	v_mov_b32_e32 v0, 0x7ff00000
	v_cndmask_b32_e64 v24, v0, v24, s[4:5]
	s_and_b64 s[4:5], s[18:19], s[4:5]
	v_cndmask_b32_e64 v16, 0, v24, s[18:19]
	v_cndmask_b32_e64 v15, 0, v23, s[4:5]
	v_add_f64 v[23:24], v[15:16], 1.0
	s_mov_b32 s19, 0x3fe55555
	s_mov_b32 s18, 0x55555555
	v_frexp_mant_f64_e32 v[27:28], v[23:24]
	v_frexp_exp_i32_f64_e32 v31, v[23:24]
	v_add_f64 v[25:26], v[23:24], -1.0
	v_cmp_gt_f64_e64 s[4:5], s[18:19], v[27:28]
	s_mov_b32 s18, 0x55555780
	v_add_f64 v[29:30], v[25:26], -v[23:24]
	v_add_f64 v[25:26], v[15:16], -v[25:26]
	v_subbrev_co_u32_e64 v54, s[4:5], 0, v31, s[4:5]
	v_sub_u32_e32 v31, 0, v54
	v_ldexp_f64 v[23:24], v[23:24], v31
	v_add_f64 v[27:28], v[29:30], 1.0
	s_mov_b32 s4, 0xbf559e2b
	s_mov_b32 s5, 0x3fc3ab76
	v_add_f64 v[29:30], v[23:24], 1.0
	v_add_f64 v[25:26], v[25:26], v[27:28]
	v_add_f64 v[43:44], v[23:24], -1.0
	v_add_f64 v[27:28], v[29:30], -1.0
	v_ldexp_f64 v[25:26], v[25:26], v31
	v_add_f64 v[45:46], v[43:44], 1.0
	v_add_f64 v[27:28], v[23:24], -v[27:28]
	v_add_f64 v[23:24], v[23:24], -v[45:46]
	v_add_f64 v[27:28], v[25:26], v[27:28]
	v_add_f64 v[23:24], v[25:26], v[23:24]
	;; [unrolled: 1-line block ×4, first 2 shown]
	v_rcp_f64_e32 v[33:34], v[31:32]
	v_add_f64 v[29:30], v[31:32], -v[29:30]
	v_add_f64 v[43:44], v[45:46], -v[43:44]
	;; [unrolled: 1-line block ×4, first 2 shown]
	v_fma_f64 v[47:48], -v[31:32], v[33:34], 1.0
	v_fma_f64 v[33:34], v[47:48], v[33:34], v[33:34]
	v_fma_f64 v[25:26], -v[31:32], v[33:34], 1.0
	v_fma_f64 v[25:26], v[25:26], v[33:34], v[33:34]
	v_mul_f64 v[33:34], v[45:46], v[25:26]
	v_mul_f64 v[47:48], v[31:32], v[33:34]
	v_fma_f64 v[29:30], v[33:34], v[31:32], -v[47:48]
	v_fma_f64 v[29:30], v[33:34], v[27:28], v[29:30]
	v_add_f64 v[50:51], v[47:48], v[29:30]
	v_add_f64 v[52:53], v[45:46], -v[50:51]
	v_add_f64 v[43:44], v[50:51], -v[47:48]
	;; [unrolled: 1-line block ×5, first 2 shown]
	v_add_f64 v[23:24], v[23:24], v[45:46]
	v_add_f64 v[23:24], v[29:30], v[23:24]
	;; [unrolled: 1-line block ×3, first 2 shown]
	v_mul_f64 v[43:44], v[25:26], v[29:30]
	v_add_f64 v[50:51], v[52:53], -v[29:30]
	v_mul_f64 v[45:46], v[31:32], v[43:44]
	v_add_f64 v[23:24], v[23:24], v[50:51]
	v_fma_f64 v[31:32], v[43:44], v[31:32], -v[45:46]
	v_fma_f64 v[27:28], v[43:44], v[27:28], v[31:32]
	v_add_f64 v[31:32], v[45:46], v[27:28]
	v_add_f64 v[47:48], v[29:30], -v[31:32]
	v_add_f64 v[45:46], v[31:32], -v[45:46]
	;; [unrolled: 1-line block ×5, first 2 shown]
	v_mov_b32_e32 v31, 0x6b47b09a
	v_mov_b32_e32 v32, 0x3fc38538
	v_add_f64 v[23:24], v[23:24], v[29:30]
	v_add_f64 v[29:30], v[33:34], v[43:44]
	;; [unrolled: 1-line block ×3, first 2 shown]
	v_add_f64 v[27:28], v[29:30], -v[33:34]
	v_add_f64 v[23:24], v[47:48], v[23:24]
	v_add_f64 v[27:28], v[43:44], -v[27:28]
	v_mul_f64 v[23:24], v[25:26], v[23:24]
	v_add_f64 v[23:24], v[27:28], v[23:24]
	v_add_f64 v[25:26], v[29:30], v[23:24]
	v_mul_f64 v[27:28], v[25:26], v[25:26]
	v_fma_f64 v[31:32], v[27:28], s[4:5], v[31:32]
	s_mov_b32 s4, 0xd7f4df2e
	s_mov_b32 s5, 0x3fc7474d
	v_mul_f64 v[33:34], v[25:26], v[27:28]
	v_fma_f64 v[31:32], v[27:28], v[31:32], s[4:5]
	s_mov_b32 s4, 0x16291751
	s_mov_b32 s5, 0x3fcc71c0
	v_fma_f64 v[31:32], v[27:28], v[31:32], s[4:5]
	s_mov_b32 s4, 0x9b27acf1
	s_mov_b32 s5, 0x3fd24924
	;; [unrolled: 3-line block ×3, first 2 shown]
	v_fma_f64 v[31:32], v[27:28], v[31:32], s[4:5]
	v_cmp_nge_f64_e64 s[4:5], -1.0, v[15:16]
	v_fma_f64 v[27:28], v[27:28], v[31:32], s[18:19]
	v_ldexp_f64 v[31:32], v[25:26], 1
	v_add_f64 v[25:26], v[25:26], -v[29:30]
	s_mov_b32 s18, 0
	s_mov_b32 s19, 0x7ff00000
	v_cmp_neq_f64_e64 s[18:19], s[18:19], v[15:16]
	v_mul_f64 v[27:28], v[33:34], v[27:28]
	v_cvt_f64_i32_e32 v[33:34], v54
	v_add_f64 v[23:24], v[23:24], -v[25:26]
	v_mul_f64 v[43:44], v[33:34], s[22:23]
	s_and_b64 s[4:5], s[4:5], s[18:19]
	v_add_f64 v[29:30], v[31:32], v[27:28]
	v_ldexp_f64 v[23:24], v[23:24], 1
	v_add_f64 v[25:26], v[29:30], -v[31:32]
	v_fma_f64 v[31:32], v[33:34], s[22:23], -v[43:44]
	v_add_f64 v[25:26], v[27:28], -v[25:26]
	v_fma_f64 v[27:28], v[33:34], s[24:25], v[31:32]
	v_add_f64 v[23:24], v[23:24], v[25:26]
	v_add_f64 v[25:26], v[43:44], v[27:28]
	v_add_f64 v[31:32], v[29:30], v[23:24]
	v_add_f64 v[43:44], v[25:26], -v[43:44]
	v_add_f64 v[33:34], v[25:26], v[31:32]
	v_add_f64 v[29:30], v[31:32], -v[29:30]
	v_add_f64 v[27:28], v[27:28], -v[43:44]
	;; [unrolled: 1-line block ×6, first 2 shown]
	v_add_f64 v[31:32], v[27:28], v[23:24]
	v_add_f64 v[25:26], v[25:26], -v[47:48]
	v_add_f64 v[25:26], v[29:30], v[25:26]
	v_add_f64 v[29:30], v[31:32], -v[27:28]
	;; [unrolled: 2-line block ×3, first 2 shown]
	v_add_f64 v[23:24], v[23:24], -v[29:30]
	v_add_f64 v[43:44], v[33:34], v[25:26]
	v_add_f64 v[27:28], v[27:28], -v[31:32]
	v_add_f64 v[29:30], v[43:44], -v[33:34]
	v_add_f64 v[23:24], v[23:24], v[27:28]
	v_add_f64 v[25:26], v[25:26], -v[29:30]
	v_add_f64 v[23:24], v[23:24], v[25:26]
	v_mov_b32_e32 v25, 0x7ff80000
	v_mov_b32_e32 v26, 0xfff00000
	v_add_f64 v[23:24], v[43:44], v[23:24]
	v_cndmask_b32_e64 v23, 0, v23, s[4:5]
	v_cmp_ngt_f64_e64 s[4:5], -1.0, v[15:16]
	v_cndmask_b32_e64 v0, v0, v24, s[18:19]
	v_cndmask_b32_e64 v0, v25, v0, s[4:5]
	v_cmp_neq_f64_e64 s[4:5], -1.0, v[15:16]
	v_cndmask_b32_e64 v24, v26, v0, s[4:5]
	v_add_f64 v[15:16], v[21:22], v[23:24]
.LBB41_84:
	s_or_b64 exec, exec, s[20:21]
	v_max_f64 v[21:22], v[15:16], v[15:16]
	v_cmp_u_f64_e64 s[4:5], v[15:16], v[15:16]
	v_min_f64 v[23:24], v[21:22], v[35:36]
	v_max_f64 v[21:22], v[21:22], v[35:36]
	v_cndmask_b32_e64 v0, v23, v15, s[4:5]
	v_cndmask_b32_e64 v23, v24, v16, s[4:5]
	;; [unrolled: 1-line block ×8, first 2 shown]
	v_cmp_neq_f64_e64 s[4:5], v[23:24], v[21:22]
	v_cmp_class_f64_e64 s[18:19], v[23:24], s26
	v_mov_b32_e32 v9, v15
	v_mov_b32_e32 v10, v16
	s_or_b64 s[4:5], s[4:5], s[18:19]
	s_and_saveexec_b64 s[20:21], s[4:5]
	s_cbranch_execz .LBB41_86
; %bb.85:
	v_add_f64 v[9:10], v[23:24], -v[21:22]
	s_mov_b32 s4, 0x652b82fe
	s_mov_b32 s5, 0x3ff71547
	;; [unrolled: 1-line block ×6, first 2 shown]
	v_mov_b32_e32 v27, 0xfca7ab0c
	v_mul_f64 v[23:24], v[9:10], s[4:5]
	s_mov_b32 s4, 0x6a5dcb37
	v_mov_b32_e32 v28, 0x3e928af3
	s_mov_b32 s5, 0x3e5ade15
	s_mov_b32 s18, 0
	;; [unrolled: 1-line block ×3, first 2 shown]
	v_cmp_ngt_f64_e64 s[18:19], s[18:19], v[9:10]
	v_rndne_f64_e32 v[23:24], v[23:24]
	v_fma_f64 v[25:26], v[23:24], s[22:23], v[9:10]
	v_cvt_i32_f64_e32 v0, v[23:24]
	s_mov_b32 s23, 0x3fe62e42
	v_fma_f64 v[25:26], v[23:24], s[24:25], v[25:26]
	s_mov_b32 s25, 0x3c7abc9e
	v_fma_f64 v[27:28], v[25:26], s[4:5], v[27:28]
	s_mov_b32 s4, 0x623fde64
	s_mov_b32 s5, 0x3ec71dee
	v_fma_f64 v[27:28], v[25:26], v[27:28], s[4:5]
	s_mov_b32 s4, 0x7c89e6b0
	;; [unrolled: 3-line block ×9, first 2 shown]
	s_mov_b32 s5, 0x40900000
	v_cmp_nlt_f64_e64 s[4:5], s[4:5], v[9:10]
	v_fma_f64 v[27:28], v[25:26], v[27:28], 1.0
	v_fma_f64 v[25:26], v[25:26], v[27:28], 1.0
	v_ldexp_f64 v[23:24], v[25:26], v0
	v_mov_b32_e32 v0, 0x7ff00000
	v_cndmask_b32_e64 v24, v0, v24, s[4:5]
	s_and_b64 s[4:5], s[18:19], s[4:5]
	v_cndmask_b32_e64 v10, 0, v24, s[18:19]
	v_cndmask_b32_e64 v9, 0, v23, s[4:5]
	v_add_f64 v[23:24], v[9:10], 1.0
	s_mov_b32 s19, 0x3fe55555
	s_mov_b32 s18, 0x55555555
	v_frexp_mant_f64_e32 v[27:28], v[23:24]
	v_frexp_exp_i32_f64_e32 v31, v[23:24]
	v_add_f64 v[25:26], v[23:24], -1.0
	v_cmp_gt_f64_e64 s[4:5], s[18:19], v[27:28]
	s_mov_b32 s18, 0x55555780
	v_add_f64 v[29:30], v[25:26], -v[23:24]
	v_add_f64 v[25:26], v[9:10], -v[25:26]
	v_subbrev_co_u32_e64 v52, s[4:5], 0, v31, s[4:5]
	v_sub_u32_e32 v31, 0, v52
	v_ldexp_f64 v[23:24], v[23:24], v31
	v_add_f64 v[27:28], v[29:30], 1.0
	s_mov_b32 s4, 0xbf559e2b
	s_mov_b32 s5, 0x3fc3ab76
	v_add_f64 v[29:30], v[23:24], 1.0
	v_add_f64 v[25:26], v[25:26], v[27:28]
	v_add_f64 v[35:36], v[23:24], -1.0
	v_add_f64 v[27:28], v[29:30], -1.0
	v_ldexp_f64 v[25:26], v[25:26], v31
	v_add_f64 v[43:44], v[35:36], 1.0
	v_add_f64 v[27:28], v[23:24], -v[27:28]
	v_add_f64 v[23:24], v[23:24], -v[43:44]
	v_add_f64 v[27:28], v[25:26], v[27:28]
	v_add_f64 v[23:24], v[25:26], v[23:24]
	;; [unrolled: 1-line block ×4, first 2 shown]
	v_rcp_f64_e32 v[33:34], v[31:32]
	v_add_f64 v[29:30], v[31:32], -v[29:30]
	v_add_f64 v[35:36], v[43:44], -v[35:36]
	v_add_f64 v[27:28], v[27:28], -v[29:30]
	v_add_f64 v[23:24], v[23:24], -v[35:36]
	v_fma_f64 v[45:46], -v[31:32], v[33:34], 1.0
	v_fma_f64 v[33:34], v[45:46], v[33:34], v[33:34]
	v_fma_f64 v[25:26], -v[31:32], v[33:34], 1.0
	v_fma_f64 v[25:26], v[25:26], v[33:34], v[33:34]
	v_mul_f64 v[33:34], v[43:44], v[25:26]
	v_mul_f64 v[45:46], v[31:32], v[33:34]
	v_fma_f64 v[29:30], v[33:34], v[31:32], -v[45:46]
	v_fma_f64 v[29:30], v[33:34], v[27:28], v[29:30]
	v_add_f64 v[47:48], v[45:46], v[29:30]
	v_add_f64 v[50:51], v[43:44], -v[47:48]
	v_add_f64 v[35:36], v[47:48], -v[45:46]
	;; [unrolled: 1-line block ×5, first 2 shown]
	v_add_f64 v[23:24], v[23:24], v[43:44]
	v_add_f64 v[23:24], v[29:30], v[23:24]
	;; [unrolled: 1-line block ×3, first 2 shown]
	v_mul_f64 v[35:36], v[25:26], v[29:30]
	v_add_f64 v[47:48], v[50:51], -v[29:30]
	v_mul_f64 v[43:44], v[31:32], v[35:36]
	v_add_f64 v[23:24], v[23:24], v[47:48]
	v_fma_f64 v[31:32], v[35:36], v[31:32], -v[43:44]
	v_fma_f64 v[27:28], v[35:36], v[27:28], v[31:32]
	v_add_f64 v[31:32], v[43:44], v[27:28]
	v_add_f64 v[45:46], v[29:30], -v[31:32]
	v_add_f64 v[43:44], v[31:32], -v[43:44]
	;; [unrolled: 1-line block ×5, first 2 shown]
	v_mov_b32_e32 v31, 0x6b47b09a
	v_mov_b32_e32 v32, 0x3fc38538
	v_add_f64 v[23:24], v[23:24], v[29:30]
	v_add_f64 v[29:30], v[33:34], v[35:36]
	;; [unrolled: 1-line block ×3, first 2 shown]
	v_add_f64 v[27:28], v[29:30], -v[33:34]
	v_add_f64 v[23:24], v[45:46], v[23:24]
	v_add_f64 v[27:28], v[35:36], -v[27:28]
	v_mul_f64 v[23:24], v[25:26], v[23:24]
	v_add_f64 v[23:24], v[27:28], v[23:24]
	v_add_f64 v[25:26], v[29:30], v[23:24]
	v_mul_f64 v[27:28], v[25:26], v[25:26]
	v_fma_f64 v[31:32], v[27:28], s[4:5], v[31:32]
	s_mov_b32 s4, 0xd7f4df2e
	s_mov_b32 s5, 0x3fc7474d
	v_mul_f64 v[33:34], v[25:26], v[27:28]
	v_fma_f64 v[31:32], v[27:28], v[31:32], s[4:5]
	s_mov_b32 s4, 0x16291751
	s_mov_b32 s5, 0x3fcc71c0
	v_fma_f64 v[31:32], v[27:28], v[31:32], s[4:5]
	s_mov_b32 s4, 0x9b27acf1
	s_mov_b32 s5, 0x3fd24924
	;; [unrolled: 3-line block ×3, first 2 shown]
	v_fma_f64 v[31:32], v[27:28], v[31:32], s[4:5]
	v_cmp_nge_f64_e64 s[4:5], -1.0, v[9:10]
	v_fma_f64 v[27:28], v[27:28], v[31:32], s[18:19]
	v_ldexp_f64 v[31:32], v[25:26], 1
	v_add_f64 v[25:26], v[25:26], -v[29:30]
	s_mov_b32 s18, 0
	s_mov_b32 s19, 0x7ff00000
	v_cmp_neq_f64_e64 s[18:19], s[18:19], v[9:10]
	v_mul_f64 v[27:28], v[33:34], v[27:28]
	v_cvt_f64_i32_e32 v[33:34], v52
	v_add_f64 v[23:24], v[23:24], -v[25:26]
	v_mul_f64 v[35:36], v[33:34], s[22:23]
	s_and_b64 s[4:5], s[4:5], s[18:19]
	v_add_f64 v[29:30], v[31:32], v[27:28]
	v_ldexp_f64 v[23:24], v[23:24], 1
	v_add_f64 v[25:26], v[29:30], -v[31:32]
	v_fma_f64 v[31:32], v[33:34], s[22:23], -v[35:36]
	v_add_f64 v[25:26], v[27:28], -v[25:26]
	v_fma_f64 v[27:28], v[33:34], s[24:25], v[31:32]
	v_add_f64 v[23:24], v[23:24], v[25:26]
	v_add_f64 v[25:26], v[35:36], v[27:28]
	;; [unrolled: 1-line block ×3, first 2 shown]
	v_add_f64 v[35:36], v[25:26], -v[35:36]
	v_add_f64 v[33:34], v[25:26], v[31:32]
	v_add_f64 v[29:30], v[31:32], -v[29:30]
	v_add_f64 v[27:28], v[27:28], -v[35:36]
	v_add_f64 v[43:44], v[33:34], -v[25:26]
	v_add_f64 v[23:24], v[23:24], -v[29:30]
	v_add_f64 v[45:46], v[33:34], -v[43:44]
	v_add_f64 v[29:30], v[31:32], -v[43:44]
	v_add_f64 v[31:32], v[27:28], v[23:24]
	v_add_f64 v[25:26], v[25:26], -v[45:46]
	v_add_f64 v[25:26], v[29:30], v[25:26]
	v_add_f64 v[29:30], v[31:32], -v[27:28]
	;; [unrolled: 2-line block ×3, first 2 shown]
	v_add_f64 v[23:24], v[23:24], -v[29:30]
	v_add_f64 v[35:36], v[33:34], v[25:26]
	v_add_f64 v[27:28], v[27:28], -v[31:32]
	v_add_f64 v[29:30], v[35:36], -v[33:34]
	v_add_f64 v[23:24], v[23:24], v[27:28]
	v_add_f64 v[25:26], v[25:26], -v[29:30]
	v_add_f64 v[23:24], v[23:24], v[25:26]
	v_mov_b32_e32 v25, 0x7ff80000
	v_mov_b32_e32 v26, 0xfff00000
	v_add_f64 v[23:24], v[35:36], v[23:24]
	v_cndmask_b32_e64 v23, 0, v23, s[4:5]
	v_cmp_ngt_f64_e64 s[4:5], -1.0, v[9:10]
	v_cndmask_b32_e64 v0, v0, v24, s[18:19]
	v_cndmask_b32_e64 v0, v25, v0, s[4:5]
	v_cmp_neq_f64_e64 s[4:5], -1.0, v[9:10]
	v_cndmask_b32_e64 v24, v26, v0, s[4:5]
	v_add_f64 v[9:10], v[21:22], v[23:24]
.LBB41_86:
	s_or_b64 exec, exec, s[20:21]
	v_max_f64 v[21:22], v[9:10], v[9:10]
	v_cmp_u_f64_e64 s[4:5], v[9:10], v[9:10]
	v_min_f64 v[23:24], v[21:22], v[37:38]
	v_max_f64 v[21:22], v[21:22], v[37:38]
	v_cndmask_b32_e64 v0, v23, v9, s[4:5]
	v_cndmask_b32_e64 v23, v24, v10, s[4:5]
	;; [unrolled: 1-line block ×8, first 2 shown]
	v_cmp_neq_f64_e64 s[4:5], v[23:24], v[21:22]
	v_cmp_class_f64_e64 s[18:19], v[23:24], s26
	v_mov_b32_e32 v12, v10
	v_mov_b32_e32 v11, v9
	s_or_b64 s[4:5], s[4:5], s[18:19]
	s_and_saveexec_b64 s[20:21], s[4:5]
	s_cbranch_execz .LBB41_88
; %bb.87:
	v_add_f64 v[11:12], v[23:24], -v[21:22]
	s_mov_b32 s4, 0x652b82fe
	s_mov_b32 s5, 0x3ff71547
	;; [unrolled: 1-line block ×6, first 2 shown]
	v_mov_b32_e32 v27, 0xfca7ab0c
	v_mul_f64 v[23:24], v[11:12], s[4:5]
	s_mov_b32 s4, 0x6a5dcb37
	v_mov_b32_e32 v28, 0x3e928af3
	s_mov_b32 s5, 0x3e5ade15
	s_mov_b32 s18, 0
	;; [unrolled: 1-line block ×3, first 2 shown]
	v_cmp_ngt_f64_e64 s[18:19], s[18:19], v[11:12]
	v_rndne_f64_e32 v[23:24], v[23:24]
	v_fma_f64 v[25:26], v[23:24], s[22:23], v[11:12]
	v_cvt_i32_f64_e32 v0, v[23:24]
	s_mov_b32 s23, 0x3fe62e42
	v_fma_f64 v[25:26], v[23:24], s[24:25], v[25:26]
	s_mov_b32 s25, 0x3c7abc9e
	v_fma_f64 v[27:28], v[25:26], s[4:5], v[27:28]
	s_mov_b32 s4, 0x623fde64
	s_mov_b32 s5, 0x3ec71dee
	v_fma_f64 v[27:28], v[25:26], v[27:28], s[4:5]
	s_mov_b32 s4, 0x7c89e6b0
	;; [unrolled: 3-line block ×9, first 2 shown]
	s_mov_b32 s5, 0x40900000
	v_cmp_nlt_f64_e64 s[4:5], s[4:5], v[11:12]
	v_fma_f64 v[27:28], v[25:26], v[27:28], 1.0
	v_fma_f64 v[25:26], v[25:26], v[27:28], 1.0
	v_ldexp_f64 v[23:24], v[25:26], v0
	v_mov_b32_e32 v0, 0x7ff00000
	v_cndmask_b32_e64 v24, v0, v24, s[4:5]
	s_and_b64 s[4:5], s[18:19], s[4:5]
	v_cndmask_b32_e64 v12, 0, v24, s[18:19]
	v_cndmask_b32_e64 v11, 0, v23, s[4:5]
	v_add_f64 v[23:24], v[11:12], 1.0
	s_mov_b32 s19, 0x3fe55555
	s_mov_b32 s18, 0x55555555
	v_frexp_mant_f64_e32 v[27:28], v[23:24]
	v_frexp_exp_i32_f64_e32 v31, v[23:24]
	v_add_f64 v[25:26], v[23:24], -1.0
	v_cmp_gt_f64_e64 s[4:5], s[18:19], v[27:28]
	s_mov_b32 s18, 0x55555780
	v_add_f64 v[29:30], v[25:26], -v[23:24]
	v_add_f64 v[25:26], v[11:12], -v[25:26]
	v_subbrev_co_u32_e64 v50, s[4:5], 0, v31, s[4:5]
	v_sub_u32_e32 v31, 0, v50
	v_ldexp_f64 v[23:24], v[23:24], v31
	v_add_f64 v[27:28], v[29:30], 1.0
	s_mov_b32 s4, 0xbf559e2b
	s_mov_b32 s5, 0x3fc3ab76
	v_add_f64 v[29:30], v[23:24], 1.0
	v_add_f64 v[25:26], v[25:26], v[27:28]
	v_add_f64 v[35:36], v[23:24], -1.0
	v_add_f64 v[27:28], v[29:30], -1.0
	v_ldexp_f64 v[25:26], v[25:26], v31
	v_add_f64 v[37:38], v[35:36], 1.0
	v_add_f64 v[27:28], v[23:24], -v[27:28]
	v_add_f64 v[23:24], v[23:24], -v[37:38]
	v_add_f64 v[27:28], v[25:26], v[27:28]
	v_add_f64 v[23:24], v[25:26], v[23:24]
	v_add_f64 v[31:32], v[29:30], v[27:28]
	v_add_f64 v[37:38], v[35:36], v[23:24]
	v_rcp_f64_e32 v[33:34], v[31:32]
	v_add_f64 v[29:30], v[31:32], -v[29:30]
	v_add_f64 v[35:36], v[37:38], -v[35:36]
	v_add_f64 v[27:28], v[27:28], -v[29:30]
	v_add_f64 v[23:24], v[23:24], -v[35:36]
	v_fma_f64 v[43:44], -v[31:32], v[33:34], 1.0
	v_fma_f64 v[33:34], v[43:44], v[33:34], v[33:34]
	v_fma_f64 v[25:26], -v[31:32], v[33:34], 1.0
	v_fma_f64 v[25:26], v[25:26], v[33:34], v[33:34]
	v_mul_f64 v[33:34], v[37:38], v[25:26]
	v_mul_f64 v[43:44], v[31:32], v[33:34]
	v_fma_f64 v[29:30], v[33:34], v[31:32], -v[43:44]
	v_fma_f64 v[29:30], v[33:34], v[27:28], v[29:30]
	v_add_f64 v[45:46], v[43:44], v[29:30]
	v_add_f64 v[47:48], v[37:38], -v[45:46]
	v_add_f64 v[35:36], v[45:46], -v[43:44]
	;; [unrolled: 1-line block ×5, first 2 shown]
	v_add_f64 v[23:24], v[23:24], v[37:38]
	v_add_f64 v[23:24], v[29:30], v[23:24]
	;; [unrolled: 1-line block ×3, first 2 shown]
	v_mul_f64 v[35:36], v[25:26], v[29:30]
	v_add_f64 v[45:46], v[47:48], -v[29:30]
	v_mul_f64 v[37:38], v[31:32], v[35:36]
	v_add_f64 v[23:24], v[23:24], v[45:46]
	v_fma_f64 v[31:32], v[35:36], v[31:32], -v[37:38]
	v_fma_f64 v[27:28], v[35:36], v[27:28], v[31:32]
	v_add_f64 v[31:32], v[37:38], v[27:28]
	v_add_f64 v[43:44], v[29:30], -v[31:32]
	v_add_f64 v[37:38], v[31:32], -v[37:38]
	;; [unrolled: 1-line block ×5, first 2 shown]
	v_mov_b32_e32 v31, 0x6b47b09a
	v_mov_b32_e32 v32, 0x3fc38538
	v_add_f64 v[23:24], v[23:24], v[29:30]
	v_add_f64 v[29:30], v[33:34], v[35:36]
	;; [unrolled: 1-line block ×3, first 2 shown]
	v_add_f64 v[27:28], v[29:30], -v[33:34]
	v_add_f64 v[23:24], v[43:44], v[23:24]
	v_add_f64 v[27:28], v[35:36], -v[27:28]
	v_mul_f64 v[23:24], v[25:26], v[23:24]
	v_add_f64 v[23:24], v[27:28], v[23:24]
	v_add_f64 v[25:26], v[29:30], v[23:24]
	v_mul_f64 v[27:28], v[25:26], v[25:26]
	v_fma_f64 v[31:32], v[27:28], s[4:5], v[31:32]
	s_mov_b32 s4, 0xd7f4df2e
	s_mov_b32 s5, 0x3fc7474d
	v_mul_f64 v[33:34], v[25:26], v[27:28]
	v_fma_f64 v[31:32], v[27:28], v[31:32], s[4:5]
	s_mov_b32 s4, 0x16291751
	s_mov_b32 s5, 0x3fcc71c0
	v_fma_f64 v[31:32], v[27:28], v[31:32], s[4:5]
	s_mov_b32 s4, 0x9b27acf1
	s_mov_b32 s5, 0x3fd24924
	;; [unrolled: 3-line block ×3, first 2 shown]
	v_fma_f64 v[31:32], v[27:28], v[31:32], s[4:5]
	v_cmp_nge_f64_e64 s[4:5], -1.0, v[11:12]
	v_fma_f64 v[27:28], v[27:28], v[31:32], s[18:19]
	v_ldexp_f64 v[31:32], v[25:26], 1
	v_add_f64 v[25:26], v[25:26], -v[29:30]
	s_mov_b32 s18, 0
	s_mov_b32 s19, 0x7ff00000
	v_cmp_neq_f64_e64 s[18:19], s[18:19], v[11:12]
	v_mul_f64 v[27:28], v[33:34], v[27:28]
	v_cvt_f64_i32_e32 v[33:34], v50
	v_add_f64 v[23:24], v[23:24], -v[25:26]
	v_mul_f64 v[35:36], v[33:34], s[22:23]
	s_and_b64 s[4:5], s[4:5], s[18:19]
	v_add_f64 v[29:30], v[31:32], v[27:28]
	v_ldexp_f64 v[23:24], v[23:24], 1
	v_add_f64 v[25:26], v[29:30], -v[31:32]
	v_fma_f64 v[31:32], v[33:34], s[22:23], -v[35:36]
	v_add_f64 v[25:26], v[27:28], -v[25:26]
	v_fma_f64 v[27:28], v[33:34], s[24:25], v[31:32]
	v_add_f64 v[23:24], v[23:24], v[25:26]
	v_add_f64 v[25:26], v[35:36], v[27:28]
	;; [unrolled: 1-line block ×3, first 2 shown]
	v_add_f64 v[35:36], v[25:26], -v[35:36]
	v_add_f64 v[33:34], v[25:26], v[31:32]
	v_add_f64 v[29:30], v[31:32], -v[29:30]
	v_add_f64 v[27:28], v[27:28], -v[35:36]
	;; [unrolled: 1-line block ×6, first 2 shown]
	v_add_f64 v[31:32], v[27:28], v[23:24]
	v_add_f64 v[25:26], v[25:26], -v[43:44]
	v_add_f64 v[25:26], v[29:30], v[25:26]
	v_add_f64 v[29:30], v[31:32], -v[27:28]
	;; [unrolled: 2-line block ×3, first 2 shown]
	v_add_f64 v[23:24], v[23:24], -v[29:30]
	v_add_f64 v[35:36], v[33:34], v[25:26]
	v_add_f64 v[27:28], v[27:28], -v[31:32]
	v_add_f64 v[29:30], v[35:36], -v[33:34]
	v_add_f64 v[23:24], v[23:24], v[27:28]
	v_add_f64 v[25:26], v[25:26], -v[29:30]
	v_add_f64 v[23:24], v[23:24], v[25:26]
	v_mov_b32_e32 v25, 0x7ff80000
	v_mov_b32_e32 v26, 0xfff00000
	v_add_f64 v[23:24], v[35:36], v[23:24]
	v_cndmask_b32_e64 v23, 0, v23, s[4:5]
	v_cmp_ngt_f64_e64 s[4:5], -1.0, v[11:12]
	v_cndmask_b32_e64 v0, v0, v24, s[18:19]
	v_cndmask_b32_e64 v0, v25, v0, s[4:5]
	v_cmp_neq_f64_e64 s[4:5], -1.0, v[11:12]
	v_cndmask_b32_e64 v24, v26, v0, s[4:5]
	v_add_f64 v[11:12], v[21:22], v[23:24]
.LBB41_88:
	s_or_b64 exec, exec, s[20:21]
	v_max_f64 v[21:22], v[11:12], v[11:12]
	v_cmp_u_f64_e64 s[4:5], v[11:12], v[11:12]
	v_min_f64 v[23:24], v[21:22], v[39:40]
	v_max_f64 v[21:22], v[21:22], v[39:40]
	v_cndmask_b32_e64 v0, v23, v11, s[4:5]
	v_cndmask_b32_e64 v23, v24, v12, s[4:5]
	;; [unrolled: 1-line block ×8, first 2 shown]
	v_cmp_neq_f64_e64 s[4:5], v[23:24], v[21:22]
	v_cmp_class_f64_e64 s[18:19], v[23:24], s26
	v_mov_b32_e32 v5, v11
	v_mov_b32_e32 v6, v12
	s_or_b64 s[4:5], s[4:5], s[18:19]
	s_and_saveexec_b64 s[20:21], s[4:5]
	s_cbranch_execz .LBB41_90
; %bb.89:
	v_add_f64 v[5:6], v[23:24], -v[21:22]
	s_mov_b32 s4, 0x652b82fe
	s_mov_b32 s5, 0x3ff71547
	;; [unrolled: 1-line block ×6, first 2 shown]
	v_mov_b32_e32 v27, 0xfca7ab0c
	v_mul_f64 v[23:24], v[5:6], s[4:5]
	s_mov_b32 s4, 0x6a5dcb37
	v_mov_b32_e32 v28, 0x3e928af3
	s_mov_b32 s5, 0x3e5ade15
	s_mov_b32 s18, 0
	s_mov_b32 s19, 0xc090cc00
	v_cmp_ngt_f64_e64 s[18:19], s[18:19], v[5:6]
	v_rndne_f64_e32 v[23:24], v[23:24]
	v_fma_f64 v[25:26], v[23:24], s[22:23], v[5:6]
	v_cvt_i32_f64_e32 v0, v[23:24]
	s_mov_b32 s23, 0x3fe62e42
	v_fma_f64 v[25:26], v[23:24], s[24:25], v[25:26]
	s_mov_b32 s25, 0x3c7abc9e
	v_fma_f64 v[27:28], v[25:26], s[4:5], v[27:28]
	s_mov_b32 s4, 0x623fde64
	s_mov_b32 s5, 0x3ec71dee
	v_fma_f64 v[27:28], v[25:26], v[27:28], s[4:5]
	s_mov_b32 s4, 0x7c89e6b0
	;; [unrolled: 3-line block ×9, first 2 shown]
	s_mov_b32 s5, 0x40900000
	v_cmp_nlt_f64_e64 s[4:5], s[4:5], v[5:6]
	v_fma_f64 v[27:28], v[25:26], v[27:28], 1.0
	v_fma_f64 v[25:26], v[25:26], v[27:28], 1.0
	v_ldexp_f64 v[23:24], v[25:26], v0
	v_mov_b32_e32 v0, 0x7ff00000
	v_cndmask_b32_e64 v24, v0, v24, s[4:5]
	s_and_b64 s[4:5], s[18:19], s[4:5]
	v_cndmask_b32_e64 v6, 0, v24, s[18:19]
	v_cndmask_b32_e64 v5, 0, v23, s[4:5]
	v_add_f64 v[23:24], v[5:6], 1.0
	s_mov_b32 s19, 0x3fe55555
	s_mov_b32 s18, 0x55555555
	v_frexp_mant_f64_e32 v[27:28], v[23:24]
	v_frexp_exp_i32_f64_e32 v31, v[23:24]
	v_add_f64 v[25:26], v[23:24], -1.0
	v_cmp_gt_f64_e64 s[4:5], s[18:19], v[27:28]
	s_mov_b32 s18, 0x55555780
	v_add_f64 v[29:30], v[25:26], -v[23:24]
	v_add_f64 v[25:26], v[5:6], -v[25:26]
	v_subbrev_co_u32_e64 v47, s[4:5], 0, v31, s[4:5]
	v_sub_u32_e32 v31, 0, v47
	v_ldexp_f64 v[23:24], v[23:24], v31
	v_add_f64 v[27:28], v[29:30], 1.0
	s_mov_b32 s4, 0xbf559e2b
	s_mov_b32 s5, 0x3fc3ab76
	v_add_f64 v[29:30], v[23:24], 1.0
	v_add_f64 v[25:26], v[25:26], v[27:28]
	v_add_f64 v[35:36], v[23:24], -1.0
	v_add_f64 v[27:28], v[29:30], -1.0
	v_ldexp_f64 v[25:26], v[25:26], v31
	v_add_f64 v[37:38], v[35:36], 1.0
	v_add_f64 v[27:28], v[23:24], -v[27:28]
	v_add_f64 v[23:24], v[23:24], -v[37:38]
	v_add_f64 v[27:28], v[25:26], v[27:28]
	v_add_f64 v[23:24], v[25:26], v[23:24]
	;; [unrolled: 1-line block ×4, first 2 shown]
	v_rcp_f64_e32 v[33:34], v[31:32]
	v_add_f64 v[29:30], v[31:32], -v[29:30]
	v_add_f64 v[35:36], v[37:38], -v[35:36]
	v_add_f64 v[27:28], v[27:28], -v[29:30]
	v_add_f64 v[23:24], v[23:24], -v[35:36]
	v_fma_f64 v[39:40], -v[31:32], v[33:34], 1.0
	v_fma_f64 v[33:34], v[39:40], v[33:34], v[33:34]
	v_fma_f64 v[25:26], -v[31:32], v[33:34], 1.0
	v_fma_f64 v[25:26], v[25:26], v[33:34], v[33:34]
	v_mul_f64 v[33:34], v[37:38], v[25:26]
	v_mul_f64 v[39:40], v[31:32], v[33:34]
	v_fma_f64 v[29:30], v[33:34], v[31:32], -v[39:40]
	v_fma_f64 v[29:30], v[33:34], v[27:28], v[29:30]
	v_add_f64 v[43:44], v[39:40], v[29:30]
	v_add_f64 v[45:46], v[37:38], -v[43:44]
	v_add_f64 v[35:36], v[43:44], -v[39:40]
	;; [unrolled: 1-line block ×5, first 2 shown]
	v_add_f64 v[23:24], v[23:24], v[37:38]
	v_add_f64 v[23:24], v[29:30], v[23:24]
	;; [unrolled: 1-line block ×3, first 2 shown]
	v_mul_f64 v[35:36], v[25:26], v[29:30]
	v_add_f64 v[43:44], v[45:46], -v[29:30]
	v_mul_f64 v[37:38], v[31:32], v[35:36]
	v_add_f64 v[23:24], v[23:24], v[43:44]
	v_fma_f64 v[31:32], v[35:36], v[31:32], -v[37:38]
	v_fma_f64 v[27:28], v[35:36], v[27:28], v[31:32]
	v_add_f64 v[31:32], v[37:38], v[27:28]
	v_add_f64 v[39:40], v[29:30], -v[31:32]
	v_add_f64 v[37:38], v[31:32], -v[37:38]
	;; [unrolled: 1-line block ×5, first 2 shown]
	v_mov_b32_e32 v31, 0x6b47b09a
	v_mov_b32_e32 v32, 0x3fc38538
	v_add_f64 v[23:24], v[23:24], v[29:30]
	v_add_f64 v[29:30], v[33:34], v[35:36]
	;; [unrolled: 1-line block ×3, first 2 shown]
	v_add_f64 v[27:28], v[29:30], -v[33:34]
	v_add_f64 v[23:24], v[39:40], v[23:24]
	v_add_f64 v[27:28], v[35:36], -v[27:28]
	v_mul_f64 v[23:24], v[25:26], v[23:24]
	v_add_f64 v[23:24], v[27:28], v[23:24]
	v_add_f64 v[25:26], v[29:30], v[23:24]
	v_mul_f64 v[27:28], v[25:26], v[25:26]
	v_fma_f64 v[31:32], v[27:28], s[4:5], v[31:32]
	s_mov_b32 s4, 0xd7f4df2e
	s_mov_b32 s5, 0x3fc7474d
	v_mul_f64 v[33:34], v[25:26], v[27:28]
	v_fma_f64 v[31:32], v[27:28], v[31:32], s[4:5]
	s_mov_b32 s4, 0x16291751
	s_mov_b32 s5, 0x3fcc71c0
	v_fma_f64 v[31:32], v[27:28], v[31:32], s[4:5]
	s_mov_b32 s4, 0x9b27acf1
	s_mov_b32 s5, 0x3fd24924
	;; [unrolled: 3-line block ×3, first 2 shown]
	v_fma_f64 v[31:32], v[27:28], v[31:32], s[4:5]
	v_cmp_nge_f64_e64 s[4:5], -1.0, v[5:6]
	v_fma_f64 v[27:28], v[27:28], v[31:32], s[18:19]
	v_ldexp_f64 v[31:32], v[25:26], 1
	v_add_f64 v[25:26], v[25:26], -v[29:30]
	s_mov_b32 s18, 0
	s_mov_b32 s19, 0x7ff00000
	v_cmp_neq_f64_e64 s[18:19], s[18:19], v[5:6]
	v_mul_f64 v[27:28], v[33:34], v[27:28]
	v_cvt_f64_i32_e32 v[33:34], v47
	v_add_f64 v[23:24], v[23:24], -v[25:26]
	v_mul_f64 v[35:36], v[33:34], s[22:23]
	s_and_b64 s[4:5], s[4:5], s[18:19]
	v_add_f64 v[29:30], v[31:32], v[27:28]
	v_ldexp_f64 v[23:24], v[23:24], 1
	v_add_f64 v[25:26], v[29:30], -v[31:32]
	v_fma_f64 v[31:32], v[33:34], s[22:23], -v[35:36]
	v_add_f64 v[25:26], v[27:28], -v[25:26]
	v_fma_f64 v[27:28], v[33:34], s[24:25], v[31:32]
	v_add_f64 v[23:24], v[23:24], v[25:26]
	v_add_f64 v[25:26], v[35:36], v[27:28]
	;; [unrolled: 1-line block ×3, first 2 shown]
	v_add_f64 v[35:36], v[25:26], -v[35:36]
	v_add_f64 v[33:34], v[25:26], v[31:32]
	v_add_f64 v[29:30], v[31:32], -v[29:30]
	v_add_f64 v[27:28], v[27:28], -v[35:36]
	;; [unrolled: 1-line block ×6, first 2 shown]
	v_add_f64 v[31:32], v[27:28], v[23:24]
	v_add_f64 v[25:26], v[25:26], -v[39:40]
	v_add_f64 v[25:26], v[29:30], v[25:26]
	v_add_f64 v[29:30], v[31:32], -v[27:28]
	;; [unrolled: 2-line block ×3, first 2 shown]
	v_add_f64 v[23:24], v[23:24], -v[29:30]
	v_add_f64 v[35:36], v[33:34], v[25:26]
	v_add_f64 v[27:28], v[27:28], -v[31:32]
	v_add_f64 v[29:30], v[35:36], -v[33:34]
	v_add_f64 v[23:24], v[23:24], v[27:28]
	v_add_f64 v[25:26], v[25:26], -v[29:30]
	v_add_f64 v[23:24], v[23:24], v[25:26]
	v_mov_b32_e32 v25, 0x7ff80000
	v_mov_b32_e32 v26, 0xfff00000
	v_add_f64 v[23:24], v[35:36], v[23:24]
	v_cndmask_b32_e64 v23, 0, v23, s[4:5]
	v_cmp_ngt_f64_e64 s[4:5], -1.0, v[5:6]
	v_cndmask_b32_e64 v0, v0, v24, s[18:19]
	v_cndmask_b32_e64 v0, v25, v0, s[4:5]
	v_cmp_neq_f64_e64 s[4:5], -1.0, v[5:6]
	v_cndmask_b32_e64 v24, v26, v0, s[4:5]
	v_add_f64 v[5:6], v[21:22], v[23:24]
.LBB41_90:
	s_or_b64 exec, exec, s[20:21]
	v_max_f64 v[21:22], v[5:6], v[5:6]
	v_cmp_u_f64_e64 s[4:5], v[5:6], v[5:6]
	s_movk_i32 s18, 0x1f8
	v_min_f64 v[23:24], v[21:22], v[41:42]
	v_max_f64 v[21:22], v[21:22], v[41:42]
	v_cndmask_b32_e64 v0, v23, v5, s[4:5]
	v_cndmask_b32_e64 v23, v24, v6, s[4:5]
	v_cndmask_b32_e64 v21, v21, v5, s[4:5]
	v_cndmask_b32_e64 v22, v22, v6, s[4:5]
	v_cndmask_b32_e64 v24, v23, v8, s[34:35]
	v_cndmask_b32_e64 v23, v0, v7, s[34:35]
	v_cndmask_b32_e64 v22, v22, v8, s[34:35]
	v_cndmask_b32_e64 v21, v21, v7, s[34:35]
	v_cmp_neq_f64_e64 s[4:5], v[23:24], v[21:22]
	v_cmp_class_f64_e64 s[18:19], v[23:24], s18
	v_mov_b32_e32 v8, v6
	v_mov_b32_e32 v7, v5
	s_or_b64 s[4:5], s[4:5], s[18:19]
	s_and_saveexec_b64 s[20:21], s[4:5]
	s_cbranch_execz .LBB41_92
; %bb.91:
	v_add_f64 v[7:8], v[23:24], -v[21:22]
	s_mov_b32 s4, 0x652b82fe
	s_mov_b32 s5, 0x3ff71547
	;; [unrolled: 1-line block ×6, first 2 shown]
	v_mov_b32_e32 v27, 0xfca7ab0c
	v_mul_f64 v[23:24], v[7:8], s[4:5]
	s_mov_b32 s4, 0x6a5dcb37
	v_mov_b32_e32 v28, 0x3e928af3
	s_mov_b32 s5, 0x3e5ade15
	s_mov_b32 s18, 0
	;; [unrolled: 1-line block ×3, first 2 shown]
	v_cmp_ngt_f64_e64 s[18:19], s[18:19], v[7:8]
	v_rndne_f64_e32 v[23:24], v[23:24]
	v_fma_f64 v[25:26], v[23:24], s[22:23], v[7:8]
	v_cvt_i32_f64_e32 v0, v[23:24]
	s_mov_b32 s23, 0x3fe62e42
	v_fma_f64 v[25:26], v[23:24], s[24:25], v[25:26]
	s_mov_b32 s25, 0x3c7abc9e
	v_fma_f64 v[27:28], v[25:26], s[4:5], v[27:28]
	s_mov_b32 s4, 0x623fde64
	s_mov_b32 s5, 0x3ec71dee
	v_fma_f64 v[27:28], v[25:26], v[27:28], s[4:5]
	s_mov_b32 s4, 0x7c89e6b0
	s_mov_b32 s5, 0x3efa0199
	v_fma_f64 v[27:28], v[25:26], v[27:28], s[4:5]
	s_mov_b32 s4, 0x14761f6e
	s_mov_b32 s5, 0x3f2a01a0
	v_fma_f64 v[27:28], v[25:26], v[27:28], s[4:5]
	s_mov_b32 s4, 0x1852b7b0
	s_mov_b32 s5, 0x3f56c16c
	v_fma_f64 v[27:28], v[25:26], v[27:28], s[4:5]
	s_mov_b32 s4, 0x11122322
	s_mov_b32 s5, 0x3f811111
	v_fma_f64 v[27:28], v[25:26], v[27:28], s[4:5]
	s_mov_b32 s4, 0x555502a1
	s_mov_b32 s5, 0x3fa55555
	v_fma_f64 v[27:28], v[25:26], v[27:28], s[4:5]
	s_mov_b32 s4, 0x55555511
	s_mov_b32 s5, 0x3fc55555
	v_fma_f64 v[27:28], v[25:26], v[27:28], s[4:5]
	s_mov_b32 s4, 11
	s_mov_b32 s5, 0x3fe00000
	v_fma_f64 v[27:28], v[25:26], v[27:28], s[4:5]
	s_mov_b32 s4, 0
	s_mov_b32 s5, 0x40900000
	v_cmp_nlt_f64_e64 s[4:5], s[4:5], v[7:8]
	v_fma_f64 v[27:28], v[25:26], v[27:28], 1.0
	v_fma_f64 v[25:26], v[25:26], v[27:28], 1.0
	v_ldexp_f64 v[23:24], v[25:26], v0
	v_mov_b32_e32 v0, 0x7ff00000
	v_cndmask_b32_e64 v24, v0, v24, s[4:5]
	s_and_b64 s[4:5], s[18:19], s[4:5]
	v_cndmask_b32_e64 v8, 0, v24, s[18:19]
	v_cndmask_b32_e64 v7, 0, v23, s[4:5]
	v_add_f64 v[23:24], v[7:8], 1.0
	s_mov_b32 s19, 0x3fe55555
	s_mov_b32 s18, 0x55555555
	v_frexp_mant_f64_e32 v[27:28], v[23:24]
	v_frexp_exp_i32_f64_e32 v31, v[23:24]
	v_add_f64 v[25:26], v[23:24], -1.0
	v_cmp_gt_f64_e64 s[4:5], s[18:19], v[27:28]
	s_mov_b32 s18, 0x55555780
	v_add_f64 v[29:30], v[25:26], -v[23:24]
	v_add_f64 v[25:26], v[7:8], -v[25:26]
	v_subbrev_co_u32_e64 v45, s[4:5], 0, v31, s[4:5]
	v_sub_u32_e32 v31, 0, v45
	v_ldexp_f64 v[23:24], v[23:24], v31
	v_add_f64 v[27:28], v[29:30], 1.0
	s_mov_b32 s4, 0xbf559e2b
	s_mov_b32 s5, 0x3fc3ab76
	v_add_f64 v[29:30], v[23:24], 1.0
	v_add_f64 v[25:26], v[25:26], v[27:28]
	v_add_f64 v[35:36], v[23:24], -1.0
	v_add_f64 v[27:28], v[29:30], -1.0
	v_ldexp_f64 v[25:26], v[25:26], v31
	v_add_f64 v[37:38], v[35:36], 1.0
	v_add_f64 v[27:28], v[23:24], -v[27:28]
	v_add_f64 v[23:24], v[23:24], -v[37:38]
	v_add_f64 v[27:28], v[25:26], v[27:28]
	v_add_f64 v[23:24], v[25:26], v[23:24]
	;; [unrolled: 1-line block ×4, first 2 shown]
	v_rcp_f64_e32 v[33:34], v[31:32]
	v_add_f64 v[29:30], v[31:32], -v[29:30]
	v_add_f64 v[35:36], v[37:38], -v[35:36]
	;; [unrolled: 1-line block ×4, first 2 shown]
	v_fma_f64 v[39:40], -v[31:32], v[33:34], 1.0
	v_fma_f64 v[33:34], v[39:40], v[33:34], v[33:34]
	v_fma_f64 v[25:26], -v[31:32], v[33:34], 1.0
	v_fma_f64 v[25:26], v[25:26], v[33:34], v[33:34]
	v_mul_f64 v[33:34], v[37:38], v[25:26]
	v_mul_f64 v[39:40], v[31:32], v[33:34]
	v_fma_f64 v[29:30], v[33:34], v[31:32], -v[39:40]
	v_fma_f64 v[29:30], v[33:34], v[27:28], v[29:30]
	v_add_f64 v[41:42], v[39:40], v[29:30]
	v_add_f64 v[43:44], v[37:38], -v[41:42]
	v_add_f64 v[35:36], v[41:42], -v[39:40]
	;; [unrolled: 1-line block ×5, first 2 shown]
	v_add_f64 v[23:24], v[23:24], v[37:38]
	v_add_f64 v[23:24], v[29:30], v[23:24]
	;; [unrolled: 1-line block ×3, first 2 shown]
	v_mul_f64 v[35:36], v[25:26], v[29:30]
	v_add_f64 v[41:42], v[43:44], -v[29:30]
	v_mul_f64 v[37:38], v[31:32], v[35:36]
	v_add_f64 v[23:24], v[23:24], v[41:42]
	v_fma_f64 v[31:32], v[35:36], v[31:32], -v[37:38]
	v_fma_f64 v[27:28], v[35:36], v[27:28], v[31:32]
	v_add_f64 v[31:32], v[37:38], v[27:28]
	v_add_f64 v[39:40], v[29:30], -v[31:32]
	v_add_f64 v[37:38], v[31:32], -v[37:38]
	;; [unrolled: 1-line block ×5, first 2 shown]
	v_mov_b32_e32 v31, 0x6b47b09a
	v_mov_b32_e32 v32, 0x3fc38538
	v_add_f64 v[23:24], v[23:24], v[29:30]
	v_add_f64 v[29:30], v[33:34], v[35:36]
	;; [unrolled: 1-line block ×3, first 2 shown]
	v_add_f64 v[27:28], v[29:30], -v[33:34]
	v_add_f64 v[23:24], v[39:40], v[23:24]
	v_add_f64 v[27:28], v[35:36], -v[27:28]
	v_mul_f64 v[23:24], v[25:26], v[23:24]
	v_add_f64 v[23:24], v[27:28], v[23:24]
	v_add_f64 v[25:26], v[29:30], v[23:24]
	v_mul_f64 v[27:28], v[25:26], v[25:26]
	v_fma_f64 v[31:32], v[27:28], s[4:5], v[31:32]
	s_mov_b32 s4, 0xd7f4df2e
	s_mov_b32 s5, 0x3fc7474d
	v_mul_f64 v[33:34], v[25:26], v[27:28]
	v_fma_f64 v[31:32], v[27:28], v[31:32], s[4:5]
	s_mov_b32 s4, 0x16291751
	s_mov_b32 s5, 0x3fcc71c0
	v_fma_f64 v[31:32], v[27:28], v[31:32], s[4:5]
	s_mov_b32 s4, 0x9b27acf1
	s_mov_b32 s5, 0x3fd24924
	v_fma_f64 v[31:32], v[27:28], v[31:32], s[4:5]
	s_mov_b32 s4, 0x998ef7b6
	s_mov_b32 s5, 0x3fd99999
	v_fma_f64 v[31:32], v[27:28], v[31:32], s[4:5]
	v_cmp_nge_f64_e64 s[4:5], -1.0, v[7:8]
	v_fma_f64 v[27:28], v[27:28], v[31:32], s[18:19]
	v_ldexp_f64 v[31:32], v[25:26], 1
	v_add_f64 v[25:26], v[25:26], -v[29:30]
	s_mov_b32 s18, 0
	s_mov_b32 s19, 0x7ff00000
	v_cmp_neq_f64_e64 s[18:19], s[18:19], v[7:8]
	v_mul_f64 v[27:28], v[33:34], v[27:28]
	v_cvt_f64_i32_e32 v[33:34], v45
	v_add_f64 v[23:24], v[23:24], -v[25:26]
	v_mul_f64 v[35:36], v[33:34], s[22:23]
	s_and_b64 s[4:5], s[4:5], s[18:19]
	v_add_f64 v[29:30], v[31:32], v[27:28]
	v_ldexp_f64 v[23:24], v[23:24], 1
	v_add_f64 v[25:26], v[29:30], -v[31:32]
	v_fma_f64 v[31:32], v[33:34], s[22:23], -v[35:36]
	v_add_f64 v[25:26], v[27:28], -v[25:26]
	v_fma_f64 v[27:28], v[33:34], s[24:25], v[31:32]
	v_add_f64 v[23:24], v[23:24], v[25:26]
	v_add_f64 v[25:26], v[35:36], v[27:28]
	;; [unrolled: 1-line block ×3, first 2 shown]
	v_add_f64 v[35:36], v[25:26], -v[35:36]
	v_add_f64 v[33:34], v[25:26], v[31:32]
	v_add_f64 v[29:30], v[31:32], -v[29:30]
	v_add_f64 v[27:28], v[27:28], -v[35:36]
	;; [unrolled: 1-line block ×6, first 2 shown]
	v_add_f64 v[31:32], v[27:28], v[23:24]
	v_add_f64 v[25:26], v[25:26], -v[39:40]
	v_add_f64 v[25:26], v[29:30], v[25:26]
	v_add_f64 v[29:30], v[31:32], -v[27:28]
	;; [unrolled: 2-line block ×3, first 2 shown]
	v_add_f64 v[23:24], v[23:24], -v[29:30]
	v_add_f64 v[35:36], v[33:34], v[25:26]
	v_add_f64 v[27:28], v[27:28], -v[31:32]
	v_add_f64 v[29:30], v[35:36], -v[33:34]
	v_add_f64 v[23:24], v[23:24], v[27:28]
	v_add_f64 v[25:26], v[25:26], -v[29:30]
	v_add_f64 v[23:24], v[23:24], v[25:26]
	v_mov_b32_e32 v25, 0x7ff80000
	v_mov_b32_e32 v26, 0xfff00000
	v_add_f64 v[23:24], v[35:36], v[23:24]
	v_cndmask_b32_e64 v23, 0, v23, s[4:5]
	v_cmp_ngt_f64_e64 s[4:5], -1.0, v[7:8]
	v_cndmask_b32_e64 v0, v0, v24, s[18:19]
	v_cndmask_b32_e64 v0, v25, v0, s[4:5]
	v_cmp_neq_f64_e64 s[4:5], -1.0, v[7:8]
	v_cndmask_b32_e64 v24, v26, v0, s[4:5]
	v_add_f64 v[7:8], v[21:22], v[23:24]
.LBB41_92:
	s_or_b64 exec, exec, s[20:21]
	v_add_u32_e32 v0, v57, v49
	s_barrier
	ds_write_b128 v0, v[1:4]
	ds_write_b128 v0, v[17:20] offset:16
	ds_write_b128 v0, v[13:16] offset:32
	;; [unrolled: 1-line block ×4, first 2 shown]
	s_waitcnt lgkmcnt(0)
	s_barrier
	ds_read2st64_b64 v[12:15], v57 offset0:2 offset1:4
	ds_read2st64_b64 v[8:11], v57 offset0:6 offset1:8
	;; [unrolled: 1-line block ×4, first 2 shown]
	ds_read_b64 v[16:17], v57 offset:9216
	v_mov_b32_e32 v19, s47
	v_add_co_u32_e64 v18, s[4:5], s46, v57
	v_addc_co_u32_e64 v19, s[4:5], 0, v19, s[4:5]
	s_and_saveexec_b64 s[4:5], vcc
	s_cbranch_execnz .LBB41_103
; %bb.93:
	s_or_b64 exec, exec, s[4:5]
	s_and_saveexec_b64 s[4:5], s[0:1]
	s_cbranch_execnz .LBB41_104
.LBB41_94:
	s_or_b64 exec, exec, s[4:5]
	s_and_saveexec_b64 s[0:1], s[2:3]
	s_cbranch_execnz .LBB41_105
.LBB41_95:
	s_or_b64 exec, exec, s[0:1]
	s_and_saveexec_b64 s[0:1], s[40:41]
	s_cbranch_execnz .LBB41_106
.LBB41_96:
	s_or_b64 exec, exec, s[0:1]
	s_and_saveexec_b64 s[0:1], s[6:7]
	s_cbranch_execnz .LBB41_107
.LBB41_97:
	s_or_b64 exec, exec, s[0:1]
	s_and_saveexec_b64 s[0:1], s[8:9]
	s_cbranch_execnz .LBB41_108
.LBB41_98:
	s_or_b64 exec, exec, s[0:1]
	s_and_saveexec_b64 s[0:1], s[10:11]
	s_cbranch_execnz .LBB41_109
.LBB41_99:
	s_or_b64 exec, exec, s[0:1]
	s_and_saveexec_b64 s[0:1], s[12:13]
	s_cbranch_execnz .LBB41_110
.LBB41_100:
	s_or_b64 exec, exec, s[0:1]
	s_and_saveexec_b64 s[0:1], s[14:15]
	s_cbranch_execnz .LBB41_111
.LBB41_101:
	s_or_b64 exec, exec, s[0:1]
	s_and_saveexec_b64 s[0:1], s[16:17]
	s_cbranch_execnz .LBB41_112
.LBB41_102:
	s_endpgm
.LBB41_103:
	ds_read_b64 v[20:21], v57
	s_waitcnt lgkmcnt(0)
	global_store_dwordx2 v[18:19], v[20:21], off
	s_or_b64 exec, exec, s[4:5]
	s_and_saveexec_b64 s[4:5], s[0:1]
	s_cbranch_execz .LBB41_94
.LBB41_104:
	s_waitcnt lgkmcnt(4)
	global_store_dwordx2 v[18:19], v[12:13], off offset:1024
	s_or_b64 exec, exec, s[4:5]
	s_and_saveexec_b64 s[0:1], s[2:3]
	s_cbranch_execz .LBB41_95
.LBB41_105:
	s_waitcnt lgkmcnt(4)
	global_store_dwordx2 v[18:19], v[14:15], off offset:2048
	s_or_b64 exec, exec, s[0:1]
	s_and_saveexec_b64 s[0:1], s[40:41]
	s_cbranch_execz .LBB41_96
.LBB41_106:
	s_waitcnt lgkmcnt(3)
	global_store_dwordx2 v[18:19], v[8:9], off offset:3072
	s_or_b64 exec, exec, s[0:1]
	s_and_saveexec_b64 s[0:1], s[6:7]
	s_cbranch_execz .LBB41_97
.LBB41_107:
	s_waitcnt lgkmcnt(3)
	v_add_co_u32_e32 v8, vcc, 0x1000, v18
	v_addc_co_u32_e32 v9, vcc, 0, v19, vcc
	global_store_dwordx2 v[8:9], v[10:11], off
	s_or_b64 exec, exec, s[0:1]
	s_and_saveexec_b64 s[0:1], s[8:9]
	s_cbranch_execz .LBB41_98
.LBB41_108:
	s_waitcnt lgkmcnt(3)
	v_add_co_u32_e32 v8, vcc, 0x1000, v18
	v_addc_co_u32_e32 v9, vcc, 0, v19, vcc
	s_waitcnt lgkmcnt(2)
	global_store_dwordx2 v[8:9], v[4:5], off offset:1024
	s_or_b64 exec, exec, s[0:1]
	s_and_saveexec_b64 s[0:1], s[10:11]
	s_cbranch_execz .LBB41_99
.LBB41_109:
	s_waitcnt lgkmcnt(2)
	v_add_co_u32_e32 v4, vcc, 0x1000, v18
	v_addc_co_u32_e32 v5, vcc, 0, v19, vcc
	global_store_dwordx2 v[4:5], v[6:7], off offset:2048
	s_or_b64 exec, exec, s[0:1]
	s_and_saveexec_b64 s[0:1], s[12:13]
	s_cbranch_execz .LBB41_100
.LBB41_110:
	s_waitcnt lgkmcnt(2)
	v_add_co_u32_e32 v4, vcc, 0x1000, v18
	v_addc_co_u32_e32 v5, vcc, 0, v19, vcc
	s_waitcnt lgkmcnt(1)
	global_store_dwordx2 v[4:5], v[0:1], off offset:3072
	s_or_b64 exec, exec, s[0:1]
	s_and_saveexec_b64 s[0:1], s[14:15]
	s_cbranch_execz .LBB41_101
.LBB41_111:
	s_waitcnt lgkmcnt(1)
	v_add_co_u32_e32 v0, vcc, 0x2000, v18
	v_addc_co_u32_e32 v1, vcc, 0, v19, vcc
	global_store_dwordx2 v[0:1], v[2:3], off
	s_or_b64 exec, exec, s[0:1]
	s_and_saveexec_b64 s[0:1], s[16:17]
	s_cbranch_execz .LBB41_102
.LBB41_112:
	s_waitcnt lgkmcnt(1)
	v_add_co_u32_e32 v0, vcc, 0x2000, v18
	v_addc_co_u32_e32 v1, vcc, 0, v19, vcc
	s_waitcnt lgkmcnt(0)
	global_store_dwordx2 v[0:1], v[16:17], off offset:1024
	s_endpgm
	.section	.rodata,"a",@progbits
	.p2align	6, 0x0
	.amdhsa_kernel _ZN7rocprim17ROCPRIM_400000_NS6detail17trampoline_kernelINS0_14default_configENS1_20scan_config_selectorIdEEZZNS1_9scan_implILNS1_25lookback_scan_determinismE0ELb0ELb0ES3_PKdPddZZZN2at6native31launch_logcumsumexp_cuda_kernelERKNSB_10TensorBaseESF_lENKUlvE_clEvENKUlvE_clEvEUlddE_dEEDaPvRmT3_T4_T5_mT6_P12ihipStream_tbENKUlT_T0_E_clISt17integral_constantIbLb1EESW_EEDaSR_SS_EUlSR_E0_NS1_11comp_targetILNS1_3genE2ELNS1_11target_archE906ELNS1_3gpuE6ELNS1_3repE0EEENS1_30default_config_static_selectorELNS0_4arch9wavefront6targetE1EEEvT1_
		.amdhsa_group_segment_fixed_size 10240
		.amdhsa_private_segment_fixed_size 0
		.amdhsa_kernarg_size 40
		.amdhsa_user_sgpr_count 6
		.amdhsa_user_sgpr_private_segment_buffer 1
		.amdhsa_user_sgpr_dispatch_ptr 0
		.amdhsa_user_sgpr_queue_ptr 0
		.amdhsa_user_sgpr_kernarg_segment_ptr 1
		.amdhsa_user_sgpr_dispatch_id 0
		.amdhsa_user_sgpr_flat_scratch_init 0
		.amdhsa_user_sgpr_private_segment_size 0
		.amdhsa_uses_dynamic_stack 0
		.amdhsa_system_sgpr_private_segment_wavefront_offset 0
		.amdhsa_system_sgpr_workgroup_id_x 1
		.amdhsa_system_sgpr_workgroup_id_y 0
		.amdhsa_system_sgpr_workgroup_id_z 0
		.amdhsa_system_sgpr_workgroup_info 0
		.amdhsa_system_vgpr_workitem_id 0
		.amdhsa_next_free_vgpr 82
		.amdhsa_next_free_sgpr 98
		.amdhsa_reserve_vcc 1
		.amdhsa_reserve_flat_scratch 0
		.amdhsa_float_round_mode_32 0
		.amdhsa_float_round_mode_16_64 0
		.amdhsa_float_denorm_mode_32 3
		.amdhsa_float_denorm_mode_16_64 3
		.amdhsa_dx10_clamp 1
		.amdhsa_ieee_mode 1
		.amdhsa_fp16_overflow 0
		.amdhsa_exception_fp_ieee_invalid_op 0
		.amdhsa_exception_fp_denorm_src 0
		.amdhsa_exception_fp_ieee_div_zero 0
		.amdhsa_exception_fp_ieee_overflow 0
		.amdhsa_exception_fp_ieee_underflow 0
		.amdhsa_exception_fp_ieee_inexact 0
		.amdhsa_exception_int_div_zero 0
	.end_amdhsa_kernel
	.section	.text._ZN7rocprim17ROCPRIM_400000_NS6detail17trampoline_kernelINS0_14default_configENS1_20scan_config_selectorIdEEZZNS1_9scan_implILNS1_25lookback_scan_determinismE0ELb0ELb0ES3_PKdPddZZZN2at6native31launch_logcumsumexp_cuda_kernelERKNSB_10TensorBaseESF_lENKUlvE_clEvENKUlvE_clEvEUlddE_dEEDaPvRmT3_T4_T5_mT6_P12ihipStream_tbENKUlT_T0_E_clISt17integral_constantIbLb1EESW_EEDaSR_SS_EUlSR_E0_NS1_11comp_targetILNS1_3genE2ELNS1_11target_archE906ELNS1_3gpuE6ELNS1_3repE0EEENS1_30default_config_static_selectorELNS0_4arch9wavefront6targetE1EEEvT1_,"axG",@progbits,_ZN7rocprim17ROCPRIM_400000_NS6detail17trampoline_kernelINS0_14default_configENS1_20scan_config_selectorIdEEZZNS1_9scan_implILNS1_25lookback_scan_determinismE0ELb0ELb0ES3_PKdPddZZZN2at6native31launch_logcumsumexp_cuda_kernelERKNSB_10TensorBaseESF_lENKUlvE_clEvENKUlvE_clEvEUlddE_dEEDaPvRmT3_T4_T5_mT6_P12ihipStream_tbENKUlT_T0_E_clISt17integral_constantIbLb1EESW_EEDaSR_SS_EUlSR_E0_NS1_11comp_targetILNS1_3genE2ELNS1_11target_archE906ELNS1_3gpuE6ELNS1_3repE0EEENS1_30default_config_static_selectorELNS0_4arch9wavefront6targetE1EEEvT1_,comdat
.Lfunc_end41:
	.size	_ZN7rocprim17ROCPRIM_400000_NS6detail17trampoline_kernelINS0_14default_configENS1_20scan_config_selectorIdEEZZNS1_9scan_implILNS1_25lookback_scan_determinismE0ELb0ELb0ES3_PKdPddZZZN2at6native31launch_logcumsumexp_cuda_kernelERKNSB_10TensorBaseESF_lENKUlvE_clEvENKUlvE_clEvEUlddE_dEEDaPvRmT3_T4_T5_mT6_P12ihipStream_tbENKUlT_T0_E_clISt17integral_constantIbLb1EESW_EEDaSR_SS_EUlSR_E0_NS1_11comp_targetILNS1_3genE2ELNS1_11target_archE906ELNS1_3gpuE6ELNS1_3repE0EEENS1_30default_config_static_selectorELNS0_4arch9wavefront6targetE1EEEvT1_, .Lfunc_end41-_ZN7rocprim17ROCPRIM_400000_NS6detail17trampoline_kernelINS0_14default_configENS1_20scan_config_selectorIdEEZZNS1_9scan_implILNS1_25lookback_scan_determinismE0ELb0ELb0ES3_PKdPddZZZN2at6native31launch_logcumsumexp_cuda_kernelERKNSB_10TensorBaseESF_lENKUlvE_clEvENKUlvE_clEvEUlddE_dEEDaPvRmT3_T4_T5_mT6_P12ihipStream_tbENKUlT_T0_E_clISt17integral_constantIbLb1EESW_EEDaSR_SS_EUlSR_E0_NS1_11comp_targetILNS1_3genE2ELNS1_11target_archE906ELNS1_3gpuE6ELNS1_3repE0EEENS1_30default_config_static_selectorELNS0_4arch9wavefront6targetE1EEEvT1_
                                        ; -- End function
	.set _ZN7rocprim17ROCPRIM_400000_NS6detail17trampoline_kernelINS0_14default_configENS1_20scan_config_selectorIdEEZZNS1_9scan_implILNS1_25lookback_scan_determinismE0ELb0ELb0ES3_PKdPddZZZN2at6native31launch_logcumsumexp_cuda_kernelERKNSB_10TensorBaseESF_lENKUlvE_clEvENKUlvE_clEvEUlddE_dEEDaPvRmT3_T4_T5_mT6_P12ihipStream_tbENKUlT_T0_E_clISt17integral_constantIbLb1EESW_EEDaSR_SS_EUlSR_E0_NS1_11comp_targetILNS1_3genE2ELNS1_11target_archE906ELNS1_3gpuE6ELNS1_3repE0EEENS1_30default_config_static_selectorELNS0_4arch9wavefront6targetE1EEEvT1_.num_vgpr, 82
	.set _ZN7rocprim17ROCPRIM_400000_NS6detail17trampoline_kernelINS0_14default_configENS1_20scan_config_selectorIdEEZZNS1_9scan_implILNS1_25lookback_scan_determinismE0ELb0ELb0ES3_PKdPddZZZN2at6native31launch_logcumsumexp_cuda_kernelERKNSB_10TensorBaseESF_lENKUlvE_clEvENKUlvE_clEvEUlddE_dEEDaPvRmT3_T4_T5_mT6_P12ihipStream_tbENKUlT_T0_E_clISt17integral_constantIbLb1EESW_EEDaSR_SS_EUlSR_E0_NS1_11comp_targetILNS1_3genE2ELNS1_11target_archE906ELNS1_3gpuE6ELNS1_3repE0EEENS1_30default_config_static_selectorELNS0_4arch9wavefront6targetE1EEEvT1_.num_agpr, 0
	.set _ZN7rocprim17ROCPRIM_400000_NS6detail17trampoline_kernelINS0_14default_configENS1_20scan_config_selectorIdEEZZNS1_9scan_implILNS1_25lookback_scan_determinismE0ELb0ELb0ES3_PKdPddZZZN2at6native31launch_logcumsumexp_cuda_kernelERKNSB_10TensorBaseESF_lENKUlvE_clEvENKUlvE_clEvEUlddE_dEEDaPvRmT3_T4_T5_mT6_P12ihipStream_tbENKUlT_T0_E_clISt17integral_constantIbLb1EESW_EEDaSR_SS_EUlSR_E0_NS1_11comp_targetILNS1_3genE2ELNS1_11target_archE906ELNS1_3gpuE6ELNS1_3repE0EEENS1_30default_config_static_selectorELNS0_4arch9wavefront6targetE1EEEvT1_.numbered_sgpr, 58
	.set _ZN7rocprim17ROCPRIM_400000_NS6detail17trampoline_kernelINS0_14default_configENS1_20scan_config_selectorIdEEZZNS1_9scan_implILNS1_25lookback_scan_determinismE0ELb0ELb0ES3_PKdPddZZZN2at6native31launch_logcumsumexp_cuda_kernelERKNSB_10TensorBaseESF_lENKUlvE_clEvENKUlvE_clEvEUlddE_dEEDaPvRmT3_T4_T5_mT6_P12ihipStream_tbENKUlT_T0_E_clISt17integral_constantIbLb1EESW_EEDaSR_SS_EUlSR_E0_NS1_11comp_targetILNS1_3genE2ELNS1_11target_archE906ELNS1_3gpuE6ELNS1_3repE0EEENS1_30default_config_static_selectorELNS0_4arch9wavefront6targetE1EEEvT1_.num_named_barrier, 0
	.set _ZN7rocprim17ROCPRIM_400000_NS6detail17trampoline_kernelINS0_14default_configENS1_20scan_config_selectorIdEEZZNS1_9scan_implILNS1_25lookback_scan_determinismE0ELb0ELb0ES3_PKdPddZZZN2at6native31launch_logcumsumexp_cuda_kernelERKNSB_10TensorBaseESF_lENKUlvE_clEvENKUlvE_clEvEUlddE_dEEDaPvRmT3_T4_T5_mT6_P12ihipStream_tbENKUlT_T0_E_clISt17integral_constantIbLb1EESW_EEDaSR_SS_EUlSR_E0_NS1_11comp_targetILNS1_3genE2ELNS1_11target_archE906ELNS1_3gpuE6ELNS1_3repE0EEENS1_30default_config_static_selectorELNS0_4arch9wavefront6targetE1EEEvT1_.private_seg_size, 0
	.set _ZN7rocprim17ROCPRIM_400000_NS6detail17trampoline_kernelINS0_14default_configENS1_20scan_config_selectorIdEEZZNS1_9scan_implILNS1_25lookback_scan_determinismE0ELb0ELb0ES3_PKdPddZZZN2at6native31launch_logcumsumexp_cuda_kernelERKNSB_10TensorBaseESF_lENKUlvE_clEvENKUlvE_clEvEUlddE_dEEDaPvRmT3_T4_T5_mT6_P12ihipStream_tbENKUlT_T0_E_clISt17integral_constantIbLb1EESW_EEDaSR_SS_EUlSR_E0_NS1_11comp_targetILNS1_3genE2ELNS1_11target_archE906ELNS1_3gpuE6ELNS1_3repE0EEENS1_30default_config_static_selectorELNS0_4arch9wavefront6targetE1EEEvT1_.uses_vcc, 1
	.set _ZN7rocprim17ROCPRIM_400000_NS6detail17trampoline_kernelINS0_14default_configENS1_20scan_config_selectorIdEEZZNS1_9scan_implILNS1_25lookback_scan_determinismE0ELb0ELb0ES3_PKdPddZZZN2at6native31launch_logcumsumexp_cuda_kernelERKNSB_10TensorBaseESF_lENKUlvE_clEvENKUlvE_clEvEUlddE_dEEDaPvRmT3_T4_T5_mT6_P12ihipStream_tbENKUlT_T0_E_clISt17integral_constantIbLb1EESW_EEDaSR_SS_EUlSR_E0_NS1_11comp_targetILNS1_3genE2ELNS1_11target_archE906ELNS1_3gpuE6ELNS1_3repE0EEENS1_30default_config_static_selectorELNS0_4arch9wavefront6targetE1EEEvT1_.uses_flat_scratch, 0
	.set _ZN7rocprim17ROCPRIM_400000_NS6detail17trampoline_kernelINS0_14default_configENS1_20scan_config_selectorIdEEZZNS1_9scan_implILNS1_25lookback_scan_determinismE0ELb0ELb0ES3_PKdPddZZZN2at6native31launch_logcumsumexp_cuda_kernelERKNSB_10TensorBaseESF_lENKUlvE_clEvENKUlvE_clEvEUlddE_dEEDaPvRmT3_T4_T5_mT6_P12ihipStream_tbENKUlT_T0_E_clISt17integral_constantIbLb1EESW_EEDaSR_SS_EUlSR_E0_NS1_11comp_targetILNS1_3genE2ELNS1_11target_archE906ELNS1_3gpuE6ELNS1_3repE0EEENS1_30default_config_static_selectorELNS0_4arch9wavefront6targetE1EEEvT1_.has_dyn_sized_stack, 0
	.set _ZN7rocprim17ROCPRIM_400000_NS6detail17trampoline_kernelINS0_14default_configENS1_20scan_config_selectorIdEEZZNS1_9scan_implILNS1_25lookback_scan_determinismE0ELb0ELb0ES3_PKdPddZZZN2at6native31launch_logcumsumexp_cuda_kernelERKNSB_10TensorBaseESF_lENKUlvE_clEvENKUlvE_clEvEUlddE_dEEDaPvRmT3_T4_T5_mT6_P12ihipStream_tbENKUlT_T0_E_clISt17integral_constantIbLb1EESW_EEDaSR_SS_EUlSR_E0_NS1_11comp_targetILNS1_3genE2ELNS1_11target_archE906ELNS1_3gpuE6ELNS1_3repE0EEENS1_30default_config_static_selectorELNS0_4arch9wavefront6targetE1EEEvT1_.has_recursion, 0
	.set _ZN7rocprim17ROCPRIM_400000_NS6detail17trampoline_kernelINS0_14default_configENS1_20scan_config_selectorIdEEZZNS1_9scan_implILNS1_25lookback_scan_determinismE0ELb0ELb0ES3_PKdPddZZZN2at6native31launch_logcumsumexp_cuda_kernelERKNSB_10TensorBaseESF_lENKUlvE_clEvENKUlvE_clEvEUlddE_dEEDaPvRmT3_T4_T5_mT6_P12ihipStream_tbENKUlT_T0_E_clISt17integral_constantIbLb1EESW_EEDaSR_SS_EUlSR_E0_NS1_11comp_targetILNS1_3genE2ELNS1_11target_archE906ELNS1_3gpuE6ELNS1_3repE0EEENS1_30default_config_static_selectorELNS0_4arch9wavefront6targetE1EEEvT1_.has_indirect_call, 0
	.section	.AMDGPU.csdata,"",@progbits
; Kernel info:
; codeLenInByte = 48396
; TotalNumSgprs: 62
; NumVgprs: 82
; ScratchSize: 0
; MemoryBound: 0
; FloatMode: 240
; IeeeMode: 1
; LDSByteSize: 10240 bytes/workgroup (compile time only)
; SGPRBlocks: 12
; VGPRBlocks: 20
; NumSGPRsForWavesPerEU: 102
; NumVGPRsForWavesPerEU: 82
; Occupancy: 3
; WaveLimiterHint : 0
; COMPUTE_PGM_RSRC2:SCRATCH_EN: 0
; COMPUTE_PGM_RSRC2:USER_SGPR: 6
; COMPUTE_PGM_RSRC2:TRAP_HANDLER: 0
; COMPUTE_PGM_RSRC2:TGID_X_EN: 1
; COMPUTE_PGM_RSRC2:TGID_Y_EN: 0
; COMPUTE_PGM_RSRC2:TGID_Z_EN: 0
; COMPUTE_PGM_RSRC2:TIDIG_COMP_CNT: 0
	.section	.text._ZN7rocprim17ROCPRIM_400000_NS6detail17trampoline_kernelINS0_14default_configENS1_20scan_config_selectorIdEEZZNS1_9scan_implILNS1_25lookback_scan_determinismE0ELb0ELb0ES3_PKdPddZZZN2at6native31launch_logcumsumexp_cuda_kernelERKNSB_10TensorBaseESF_lENKUlvE_clEvENKUlvE_clEvEUlddE_dEEDaPvRmT3_T4_T5_mT6_P12ihipStream_tbENKUlT_T0_E_clISt17integral_constantIbLb1EESW_EEDaSR_SS_EUlSR_E0_NS1_11comp_targetILNS1_3genE10ELNS1_11target_archE1201ELNS1_3gpuE5ELNS1_3repE0EEENS1_30default_config_static_selectorELNS0_4arch9wavefront6targetE1EEEvT1_,"axG",@progbits,_ZN7rocprim17ROCPRIM_400000_NS6detail17trampoline_kernelINS0_14default_configENS1_20scan_config_selectorIdEEZZNS1_9scan_implILNS1_25lookback_scan_determinismE0ELb0ELb0ES3_PKdPddZZZN2at6native31launch_logcumsumexp_cuda_kernelERKNSB_10TensorBaseESF_lENKUlvE_clEvENKUlvE_clEvEUlddE_dEEDaPvRmT3_T4_T5_mT6_P12ihipStream_tbENKUlT_T0_E_clISt17integral_constantIbLb1EESW_EEDaSR_SS_EUlSR_E0_NS1_11comp_targetILNS1_3genE10ELNS1_11target_archE1201ELNS1_3gpuE5ELNS1_3repE0EEENS1_30default_config_static_selectorELNS0_4arch9wavefront6targetE1EEEvT1_,comdat
	.globl	_ZN7rocprim17ROCPRIM_400000_NS6detail17trampoline_kernelINS0_14default_configENS1_20scan_config_selectorIdEEZZNS1_9scan_implILNS1_25lookback_scan_determinismE0ELb0ELb0ES3_PKdPddZZZN2at6native31launch_logcumsumexp_cuda_kernelERKNSB_10TensorBaseESF_lENKUlvE_clEvENKUlvE_clEvEUlddE_dEEDaPvRmT3_T4_T5_mT6_P12ihipStream_tbENKUlT_T0_E_clISt17integral_constantIbLb1EESW_EEDaSR_SS_EUlSR_E0_NS1_11comp_targetILNS1_3genE10ELNS1_11target_archE1201ELNS1_3gpuE5ELNS1_3repE0EEENS1_30default_config_static_selectorELNS0_4arch9wavefront6targetE1EEEvT1_ ; -- Begin function _ZN7rocprim17ROCPRIM_400000_NS6detail17trampoline_kernelINS0_14default_configENS1_20scan_config_selectorIdEEZZNS1_9scan_implILNS1_25lookback_scan_determinismE0ELb0ELb0ES3_PKdPddZZZN2at6native31launch_logcumsumexp_cuda_kernelERKNSB_10TensorBaseESF_lENKUlvE_clEvENKUlvE_clEvEUlddE_dEEDaPvRmT3_T4_T5_mT6_P12ihipStream_tbENKUlT_T0_E_clISt17integral_constantIbLb1EESW_EEDaSR_SS_EUlSR_E0_NS1_11comp_targetILNS1_3genE10ELNS1_11target_archE1201ELNS1_3gpuE5ELNS1_3repE0EEENS1_30default_config_static_selectorELNS0_4arch9wavefront6targetE1EEEvT1_
	.p2align	8
	.type	_ZN7rocprim17ROCPRIM_400000_NS6detail17trampoline_kernelINS0_14default_configENS1_20scan_config_selectorIdEEZZNS1_9scan_implILNS1_25lookback_scan_determinismE0ELb0ELb0ES3_PKdPddZZZN2at6native31launch_logcumsumexp_cuda_kernelERKNSB_10TensorBaseESF_lENKUlvE_clEvENKUlvE_clEvEUlddE_dEEDaPvRmT3_T4_T5_mT6_P12ihipStream_tbENKUlT_T0_E_clISt17integral_constantIbLb1EESW_EEDaSR_SS_EUlSR_E0_NS1_11comp_targetILNS1_3genE10ELNS1_11target_archE1201ELNS1_3gpuE5ELNS1_3repE0EEENS1_30default_config_static_selectorELNS0_4arch9wavefront6targetE1EEEvT1_,@function
_ZN7rocprim17ROCPRIM_400000_NS6detail17trampoline_kernelINS0_14default_configENS1_20scan_config_selectorIdEEZZNS1_9scan_implILNS1_25lookback_scan_determinismE0ELb0ELb0ES3_PKdPddZZZN2at6native31launch_logcumsumexp_cuda_kernelERKNSB_10TensorBaseESF_lENKUlvE_clEvENKUlvE_clEvEUlddE_dEEDaPvRmT3_T4_T5_mT6_P12ihipStream_tbENKUlT_T0_E_clISt17integral_constantIbLb1EESW_EEDaSR_SS_EUlSR_E0_NS1_11comp_targetILNS1_3genE10ELNS1_11target_archE1201ELNS1_3gpuE5ELNS1_3repE0EEENS1_30default_config_static_selectorELNS0_4arch9wavefront6targetE1EEEvT1_: ; @_ZN7rocprim17ROCPRIM_400000_NS6detail17trampoline_kernelINS0_14default_configENS1_20scan_config_selectorIdEEZZNS1_9scan_implILNS1_25lookback_scan_determinismE0ELb0ELb0ES3_PKdPddZZZN2at6native31launch_logcumsumexp_cuda_kernelERKNSB_10TensorBaseESF_lENKUlvE_clEvENKUlvE_clEvEUlddE_dEEDaPvRmT3_T4_T5_mT6_P12ihipStream_tbENKUlT_T0_E_clISt17integral_constantIbLb1EESW_EEDaSR_SS_EUlSR_E0_NS1_11comp_targetILNS1_3genE10ELNS1_11target_archE1201ELNS1_3gpuE5ELNS1_3repE0EEENS1_30default_config_static_selectorELNS0_4arch9wavefront6targetE1EEEvT1_
; %bb.0:
	.section	.rodata,"a",@progbits
	.p2align	6, 0x0
	.amdhsa_kernel _ZN7rocprim17ROCPRIM_400000_NS6detail17trampoline_kernelINS0_14default_configENS1_20scan_config_selectorIdEEZZNS1_9scan_implILNS1_25lookback_scan_determinismE0ELb0ELb0ES3_PKdPddZZZN2at6native31launch_logcumsumexp_cuda_kernelERKNSB_10TensorBaseESF_lENKUlvE_clEvENKUlvE_clEvEUlddE_dEEDaPvRmT3_T4_T5_mT6_P12ihipStream_tbENKUlT_T0_E_clISt17integral_constantIbLb1EESW_EEDaSR_SS_EUlSR_E0_NS1_11comp_targetILNS1_3genE10ELNS1_11target_archE1201ELNS1_3gpuE5ELNS1_3repE0EEENS1_30default_config_static_selectorELNS0_4arch9wavefront6targetE1EEEvT1_
		.amdhsa_group_segment_fixed_size 0
		.amdhsa_private_segment_fixed_size 0
		.amdhsa_kernarg_size 40
		.amdhsa_user_sgpr_count 6
		.amdhsa_user_sgpr_private_segment_buffer 1
		.amdhsa_user_sgpr_dispatch_ptr 0
		.amdhsa_user_sgpr_queue_ptr 0
		.amdhsa_user_sgpr_kernarg_segment_ptr 1
		.amdhsa_user_sgpr_dispatch_id 0
		.amdhsa_user_sgpr_flat_scratch_init 0
		.amdhsa_user_sgpr_private_segment_size 0
		.amdhsa_uses_dynamic_stack 0
		.amdhsa_system_sgpr_private_segment_wavefront_offset 0
		.amdhsa_system_sgpr_workgroup_id_x 1
		.amdhsa_system_sgpr_workgroup_id_y 0
		.amdhsa_system_sgpr_workgroup_id_z 0
		.amdhsa_system_sgpr_workgroup_info 0
		.amdhsa_system_vgpr_workitem_id 0
		.amdhsa_next_free_vgpr 1
		.amdhsa_next_free_sgpr 0
		.amdhsa_reserve_vcc 0
		.amdhsa_reserve_flat_scratch 0
		.amdhsa_float_round_mode_32 0
		.amdhsa_float_round_mode_16_64 0
		.amdhsa_float_denorm_mode_32 3
		.amdhsa_float_denorm_mode_16_64 3
		.amdhsa_dx10_clamp 1
		.amdhsa_ieee_mode 1
		.amdhsa_fp16_overflow 0
		.amdhsa_exception_fp_ieee_invalid_op 0
		.amdhsa_exception_fp_denorm_src 0
		.amdhsa_exception_fp_ieee_div_zero 0
		.amdhsa_exception_fp_ieee_overflow 0
		.amdhsa_exception_fp_ieee_underflow 0
		.amdhsa_exception_fp_ieee_inexact 0
		.amdhsa_exception_int_div_zero 0
	.end_amdhsa_kernel
	.section	.text._ZN7rocprim17ROCPRIM_400000_NS6detail17trampoline_kernelINS0_14default_configENS1_20scan_config_selectorIdEEZZNS1_9scan_implILNS1_25lookback_scan_determinismE0ELb0ELb0ES3_PKdPddZZZN2at6native31launch_logcumsumexp_cuda_kernelERKNSB_10TensorBaseESF_lENKUlvE_clEvENKUlvE_clEvEUlddE_dEEDaPvRmT3_T4_T5_mT6_P12ihipStream_tbENKUlT_T0_E_clISt17integral_constantIbLb1EESW_EEDaSR_SS_EUlSR_E0_NS1_11comp_targetILNS1_3genE10ELNS1_11target_archE1201ELNS1_3gpuE5ELNS1_3repE0EEENS1_30default_config_static_selectorELNS0_4arch9wavefront6targetE1EEEvT1_,"axG",@progbits,_ZN7rocprim17ROCPRIM_400000_NS6detail17trampoline_kernelINS0_14default_configENS1_20scan_config_selectorIdEEZZNS1_9scan_implILNS1_25lookback_scan_determinismE0ELb0ELb0ES3_PKdPddZZZN2at6native31launch_logcumsumexp_cuda_kernelERKNSB_10TensorBaseESF_lENKUlvE_clEvENKUlvE_clEvEUlddE_dEEDaPvRmT3_T4_T5_mT6_P12ihipStream_tbENKUlT_T0_E_clISt17integral_constantIbLb1EESW_EEDaSR_SS_EUlSR_E0_NS1_11comp_targetILNS1_3genE10ELNS1_11target_archE1201ELNS1_3gpuE5ELNS1_3repE0EEENS1_30default_config_static_selectorELNS0_4arch9wavefront6targetE1EEEvT1_,comdat
.Lfunc_end42:
	.size	_ZN7rocprim17ROCPRIM_400000_NS6detail17trampoline_kernelINS0_14default_configENS1_20scan_config_selectorIdEEZZNS1_9scan_implILNS1_25lookback_scan_determinismE0ELb0ELb0ES3_PKdPddZZZN2at6native31launch_logcumsumexp_cuda_kernelERKNSB_10TensorBaseESF_lENKUlvE_clEvENKUlvE_clEvEUlddE_dEEDaPvRmT3_T4_T5_mT6_P12ihipStream_tbENKUlT_T0_E_clISt17integral_constantIbLb1EESW_EEDaSR_SS_EUlSR_E0_NS1_11comp_targetILNS1_3genE10ELNS1_11target_archE1201ELNS1_3gpuE5ELNS1_3repE0EEENS1_30default_config_static_selectorELNS0_4arch9wavefront6targetE1EEEvT1_, .Lfunc_end42-_ZN7rocprim17ROCPRIM_400000_NS6detail17trampoline_kernelINS0_14default_configENS1_20scan_config_selectorIdEEZZNS1_9scan_implILNS1_25lookback_scan_determinismE0ELb0ELb0ES3_PKdPddZZZN2at6native31launch_logcumsumexp_cuda_kernelERKNSB_10TensorBaseESF_lENKUlvE_clEvENKUlvE_clEvEUlddE_dEEDaPvRmT3_T4_T5_mT6_P12ihipStream_tbENKUlT_T0_E_clISt17integral_constantIbLb1EESW_EEDaSR_SS_EUlSR_E0_NS1_11comp_targetILNS1_3genE10ELNS1_11target_archE1201ELNS1_3gpuE5ELNS1_3repE0EEENS1_30default_config_static_selectorELNS0_4arch9wavefront6targetE1EEEvT1_
                                        ; -- End function
	.set _ZN7rocprim17ROCPRIM_400000_NS6detail17trampoline_kernelINS0_14default_configENS1_20scan_config_selectorIdEEZZNS1_9scan_implILNS1_25lookback_scan_determinismE0ELb0ELb0ES3_PKdPddZZZN2at6native31launch_logcumsumexp_cuda_kernelERKNSB_10TensorBaseESF_lENKUlvE_clEvENKUlvE_clEvEUlddE_dEEDaPvRmT3_T4_T5_mT6_P12ihipStream_tbENKUlT_T0_E_clISt17integral_constantIbLb1EESW_EEDaSR_SS_EUlSR_E0_NS1_11comp_targetILNS1_3genE10ELNS1_11target_archE1201ELNS1_3gpuE5ELNS1_3repE0EEENS1_30default_config_static_selectorELNS0_4arch9wavefront6targetE1EEEvT1_.num_vgpr, 0
	.set _ZN7rocprim17ROCPRIM_400000_NS6detail17trampoline_kernelINS0_14default_configENS1_20scan_config_selectorIdEEZZNS1_9scan_implILNS1_25lookback_scan_determinismE0ELb0ELb0ES3_PKdPddZZZN2at6native31launch_logcumsumexp_cuda_kernelERKNSB_10TensorBaseESF_lENKUlvE_clEvENKUlvE_clEvEUlddE_dEEDaPvRmT3_T4_T5_mT6_P12ihipStream_tbENKUlT_T0_E_clISt17integral_constantIbLb1EESW_EEDaSR_SS_EUlSR_E0_NS1_11comp_targetILNS1_3genE10ELNS1_11target_archE1201ELNS1_3gpuE5ELNS1_3repE0EEENS1_30default_config_static_selectorELNS0_4arch9wavefront6targetE1EEEvT1_.num_agpr, 0
	.set _ZN7rocprim17ROCPRIM_400000_NS6detail17trampoline_kernelINS0_14default_configENS1_20scan_config_selectorIdEEZZNS1_9scan_implILNS1_25lookback_scan_determinismE0ELb0ELb0ES3_PKdPddZZZN2at6native31launch_logcumsumexp_cuda_kernelERKNSB_10TensorBaseESF_lENKUlvE_clEvENKUlvE_clEvEUlddE_dEEDaPvRmT3_T4_T5_mT6_P12ihipStream_tbENKUlT_T0_E_clISt17integral_constantIbLb1EESW_EEDaSR_SS_EUlSR_E0_NS1_11comp_targetILNS1_3genE10ELNS1_11target_archE1201ELNS1_3gpuE5ELNS1_3repE0EEENS1_30default_config_static_selectorELNS0_4arch9wavefront6targetE1EEEvT1_.numbered_sgpr, 0
	.set _ZN7rocprim17ROCPRIM_400000_NS6detail17trampoline_kernelINS0_14default_configENS1_20scan_config_selectorIdEEZZNS1_9scan_implILNS1_25lookback_scan_determinismE0ELb0ELb0ES3_PKdPddZZZN2at6native31launch_logcumsumexp_cuda_kernelERKNSB_10TensorBaseESF_lENKUlvE_clEvENKUlvE_clEvEUlddE_dEEDaPvRmT3_T4_T5_mT6_P12ihipStream_tbENKUlT_T0_E_clISt17integral_constantIbLb1EESW_EEDaSR_SS_EUlSR_E0_NS1_11comp_targetILNS1_3genE10ELNS1_11target_archE1201ELNS1_3gpuE5ELNS1_3repE0EEENS1_30default_config_static_selectorELNS0_4arch9wavefront6targetE1EEEvT1_.num_named_barrier, 0
	.set _ZN7rocprim17ROCPRIM_400000_NS6detail17trampoline_kernelINS0_14default_configENS1_20scan_config_selectorIdEEZZNS1_9scan_implILNS1_25lookback_scan_determinismE0ELb0ELb0ES3_PKdPddZZZN2at6native31launch_logcumsumexp_cuda_kernelERKNSB_10TensorBaseESF_lENKUlvE_clEvENKUlvE_clEvEUlddE_dEEDaPvRmT3_T4_T5_mT6_P12ihipStream_tbENKUlT_T0_E_clISt17integral_constantIbLb1EESW_EEDaSR_SS_EUlSR_E0_NS1_11comp_targetILNS1_3genE10ELNS1_11target_archE1201ELNS1_3gpuE5ELNS1_3repE0EEENS1_30default_config_static_selectorELNS0_4arch9wavefront6targetE1EEEvT1_.private_seg_size, 0
	.set _ZN7rocprim17ROCPRIM_400000_NS6detail17trampoline_kernelINS0_14default_configENS1_20scan_config_selectorIdEEZZNS1_9scan_implILNS1_25lookback_scan_determinismE0ELb0ELb0ES3_PKdPddZZZN2at6native31launch_logcumsumexp_cuda_kernelERKNSB_10TensorBaseESF_lENKUlvE_clEvENKUlvE_clEvEUlddE_dEEDaPvRmT3_T4_T5_mT6_P12ihipStream_tbENKUlT_T0_E_clISt17integral_constantIbLb1EESW_EEDaSR_SS_EUlSR_E0_NS1_11comp_targetILNS1_3genE10ELNS1_11target_archE1201ELNS1_3gpuE5ELNS1_3repE0EEENS1_30default_config_static_selectorELNS0_4arch9wavefront6targetE1EEEvT1_.uses_vcc, 0
	.set _ZN7rocprim17ROCPRIM_400000_NS6detail17trampoline_kernelINS0_14default_configENS1_20scan_config_selectorIdEEZZNS1_9scan_implILNS1_25lookback_scan_determinismE0ELb0ELb0ES3_PKdPddZZZN2at6native31launch_logcumsumexp_cuda_kernelERKNSB_10TensorBaseESF_lENKUlvE_clEvENKUlvE_clEvEUlddE_dEEDaPvRmT3_T4_T5_mT6_P12ihipStream_tbENKUlT_T0_E_clISt17integral_constantIbLb1EESW_EEDaSR_SS_EUlSR_E0_NS1_11comp_targetILNS1_3genE10ELNS1_11target_archE1201ELNS1_3gpuE5ELNS1_3repE0EEENS1_30default_config_static_selectorELNS0_4arch9wavefront6targetE1EEEvT1_.uses_flat_scratch, 0
	.set _ZN7rocprim17ROCPRIM_400000_NS6detail17trampoline_kernelINS0_14default_configENS1_20scan_config_selectorIdEEZZNS1_9scan_implILNS1_25lookback_scan_determinismE0ELb0ELb0ES3_PKdPddZZZN2at6native31launch_logcumsumexp_cuda_kernelERKNSB_10TensorBaseESF_lENKUlvE_clEvENKUlvE_clEvEUlddE_dEEDaPvRmT3_T4_T5_mT6_P12ihipStream_tbENKUlT_T0_E_clISt17integral_constantIbLb1EESW_EEDaSR_SS_EUlSR_E0_NS1_11comp_targetILNS1_3genE10ELNS1_11target_archE1201ELNS1_3gpuE5ELNS1_3repE0EEENS1_30default_config_static_selectorELNS0_4arch9wavefront6targetE1EEEvT1_.has_dyn_sized_stack, 0
	.set _ZN7rocprim17ROCPRIM_400000_NS6detail17trampoline_kernelINS0_14default_configENS1_20scan_config_selectorIdEEZZNS1_9scan_implILNS1_25lookback_scan_determinismE0ELb0ELb0ES3_PKdPddZZZN2at6native31launch_logcumsumexp_cuda_kernelERKNSB_10TensorBaseESF_lENKUlvE_clEvENKUlvE_clEvEUlddE_dEEDaPvRmT3_T4_T5_mT6_P12ihipStream_tbENKUlT_T0_E_clISt17integral_constantIbLb1EESW_EEDaSR_SS_EUlSR_E0_NS1_11comp_targetILNS1_3genE10ELNS1_11target_archE1201ELNS1_3gpuE5ELNS1_3repE0EEENS1_30default_config_static_selectorELNS0_4arch9wavefront6targetE1EEEvT1_.has_recursion, 0
	.set _ZN7rocprim17ROCPRIM_400000_NS6detail17trampoline_kernelINS0_14default_configENS1_20scan_config_selectorIdEEZZNS1_9scan_implILNS1_25lookback_scan_determinismE0ELb0ELb0ES3_PKdPddZZZN2at6native31launch_logcumsumexp_cuda_kernelERKNSB_10TensorBaseESF_lENKUlvE_clEvENKUlvE_clEvEUlddE_dEEDaPvRmT3_T4_T5_mT6_P12ihipStream_tbENKUlT_T0_E_clISt17integral_constantIbLb1EESW_EEDaSR_SS_EUlSR_E0_NS1_11comp_targetILNS1_3genE10ELNS1_11target_archE1201ELNS1_3gpuE5ELNS1_3repE0EEENS1_30default_config_static_selectorELNS0_4arch9wavefront6targetE1EEEvT1_.has_indirect_call, 0
	.section	.AMDGPU.csdata,"",@progbits
; Kernel info:
; codeLenInByte = 0
; TotalNumSgprs: 4
; NumVgprs: 0
; ScratchSize: 0
; MemoryBound: 0
; FloatMode: 240
; IeeeMode: 1
; LDSByteSize: 0 bytes/workgroup (compile time only)
; SGPRBlocks: 0
; VGPRBlocks: 0
; NumSGPRsForWavesPerEU: 4
; NumVGPRsForWavesPerEU: 1
; Occupancy: 10
; WaveLimiterHint : 0
; COMPUTE_PGM_RSRC2:SCRATCH_EN: 0
; COMPUTE_PGM_RSRC2:USER_SGPR: 6
; COMPUTE_PGM_RSRC2:TRAP_HANDLER: 0
; COMPUTE_PGM_RSRC2:TGID_X_EN: 1
; COMPUTE_PGM_RSRC2:TGID_Y_EN: 0
; COMPUTE_PGM_RSRC2:TGID_Z_EN: 0
; COMPUTE_PGM_RSRC2:TIDIG_COMP_CNT: 0
	.section	.text._ZN7rocprim17ROCPRIM_400000_NS6detail17trampoline_kernelINS0_14default_configENS1_20scan_config_selectorIdEEZZNS1_9scan_implILNS1_25lookback_scan_determinismE0ELb0ELb0ES3_PKdPddZZZN2at6native31launch_logcumsumexp_cuda_kernelERKNSB_10TensorBaseESF_lENKUlvE_clEvENKUlvE_clEvEUlddE_dEEDaPvRmT3_T4_T5_mT6_P12ihipStream_tbENKUlT_T0_E_clISt17integral_constantIbLb1EESW_EEDaSR_SS_EUlSR_E0_NS1_11comp_targetILNS1_3genE10ELNS1_11target_archE1200ELNS1_3gpuE4ELNS1_3repE0EEENS1_30default_config_static_selectorELNS0_4arch9wavefront6targetE1EEEvT1_,"axG",@progbits,_ZN7rocprim17ROCPRIM_400000_NS6detail17trampoline_kernelINS0_14default_configENS1_20scan_config_selectorIdEEZZNS1_9scan_implILNS1_25lookback_scan_determinismE0ELb0ELb0ES3_PKdPddZZZN2at6native31launch_logcumsumexp_cuda_kernelERKNSB_10TensorBaseESF_lENKUlvE_clEvENKUlvE_clEvEUlddE_dEEDaPvRmT3_T4_T5_mT6_P12ihipStream_tbENKUlT_T0_E_clISt17integral_constantIbLb1EESW_EEDaSR_SS_EUlSR_E0_NS1_11comp_targetILNS1_3genE10ELNS1_11target_archE1200ELNS1_3gpuE4ELNS1_3repE0EEENS1_30default_config_static_selectorELNS0_4arch9wavefront6targetE1EEEvT1_,comdat
	.globl	_ZN7rocprim17ROCPRIM_400000_NS6detail17trampoline_kernelINS0_14default_configENS1_20scan_config_selectorIdEEZZNS1_9scan_implILNS1_25lookback_scan_determinismE0ELb0ELb0ES3_PKdPddZZZN2at6native31launch_logcumsumexp_cuda_kernelERKNSB_10TensorBaseESF_lENKUlvE_clEvENKUlvE_clEvEUlddE_dEEDaPvRmT3_T4_T5_mT6_P12ihipStream_tbENKUlT_T0_E_clISt17integral_constantIbLb1EESW_EEDaSR_SS_EUlSR_E0_NS1_11comp_targetILNS1_3genE10ELNS1_11target_archE1200ELNS1_3gpuE4ELNS1_3repE0EEENS1_30default_config_static_selectorELNS0_4arch9wavefront6targetE1EEEvT1_ ; -- Begin function _ZN7rocprim17ROCPRIM_400000_NS6detail17trampoline_kernelINS0_14default_configENS1_20scan_config_selectorIdEEZZNS1_9scan_implILNS1_25lookback_scan_determinismE0ELb0ELb0ES3_PKdPddZZZN2at6native31launch_logcumsumexp_cuda_kernelERKNSB_10TensorBaseESF_lENKUlvE_clEvENKUlvE_clEvEUlddE_dEEDaPvRmT3_T4_T5_mT6_P12ihipStream_tbENKUlT_T0_E_clISt17integral_constantIbLb1EESW_EEDaSR_SS_EUlSR_E0_NS1_11comp_targetILNS1_3genE10ELNS1_11target_archE1200ELNS1_3gpuE4ELNS1_3repE0EEENS1_30default_config_static_selectorELNS0_4arch9wavefront6targetE1EEEvT1_
	.p2align	8
	.type	_ZN7rocprim17ROCPRIM_400000_NS6detail17trampoline_kernelINS0_14default_configENS1_20scan_config_selectorIdEEZZNS1_9scan_implILNS1_25lookback_scan_determinismE0ELb0ELb0ES3_PKdPddZZZN2at6native31launch_logcumsumexp_cuda_kernelERKNSB_10TensorBaseESF_lENKUlvE_clEvENKUlvE_clEvEUlddE_dEEDaPvRmT3_T4_T5_mT6_P12ihipStream_tbENKUlT_T0_E_clISt17integral_constantIbLb1EESW_EEDaSR_SS_EUlSR_E0_NS1_11comp_targetILNS1_3genE10ELNS1_11target_archE1200ELNS1_3gpuE4ELNS1_3repE0EEENS1_30default_config_static_selectorELNS0_4arch9wavefront6targetE1EEEvT1_,@function
_ZN7rocprim17ROCPRIM_400000_NS6detail17trampoline_kernelINS0_14default_configENS1_20scan_config_selectorIdEEZZNS1_9scan_implILNS1_25lookback_scan_determinismE0ELb0ELb0ES3_PKdPddZZZN2at6native31launch_logcumsumexp_cuda_kernelERKNSB_10TensorBaseESF_lENKUlvE_clEvENKUlvE_clEvEUlddE_dEEDaPvRmT3_T4_T5_mT6_P12ihipStream_tbENKUlT_T0_E_clISt17integral_constantIbLb1EESW_EEDaSR_SS_EUlSR_E0_NS1_11comp_targetILNS1_3genE10ELNS1_11target_archE1200ELNS1_3gpuE4ELNS1_3repE0EEENS1_30default_config_static_selectorELNS0_4arch9wavefront6targetE1EEEvT1_: ; @_ZN7rocprim17ROCPRIM_400000_NS6detail17trampoline_kernelINS0_14default_configENS1_20scan_config_selectorIdEEZZNS1_9scan_implILNS1_25lookback_scan_determinismE0ELb0ELb0ES3_PKdPddZZZN2at6native31launch_logcumsumexp_cuda_kernelERKNSB_10TensorBaseESF_lENKUlvE_clEvENKUlvE_clEvEUlddE_dEEDaPvRmT3_T4_T5_mT6_P12ihipStream_tbENKUlT_T0_E_clISt17integral_constantIbLb1EESW_EEDaSR_SS_EUlSR_E0_NS1_11comp_targetILNS1_3genE10ELNS1_11target_archE1200ELNS1_3gpuE4ELNS1_3repE0EEENS1_30default_config_static_selectorELNS0_4arch9wavefront6targetE1EEEvT1_
; %bb.0:
	.section	.rodata,"a",@progbits
	.p2align	6, 0x0
	.amdhsa_kernel _ZN7rocprim17ROCPRIM_400000_NS6detail17trampoline_kernelINS0_14default_configENS1_20scan_config_selectorIdEEZZNS1_9scan_implILNS1_25lookback_scan_determinismE0ELb0ELb0ES3_PKdPddZZZN2at6native31launch_logcumsumexp_cuda_kernelERKNSB_10TensorBaseESF_lENKUlvE_clEvENKUlvE_clEvEUlddE_dEEDaPvRmT3_T4_T5_mT6_P12ihipStream_tbENKUlT_T0_E_clISt17integral_constantIbLb1EESW_EEDaSR_SS_EUlSR_E0_NS1_11comp_targetILNS1_3genE10ELNS1_11target_archE1200ELNS1_3gpuE4ELNS1_3repE0EEENS1_30default_config_static_selectorELNS0_4arch9wavefront6targetE1EEEvT1_
		.amdhsa_group_segment_fixed_size 0
		.amdhsa_private_segment_fixed_size 0
		.amdhsa_kernarg_size 40
		.amdhsa_user_sgpr_count 6
		.amdhsa_user_sgpr_private_segment_buffer 1
		.amdhsa_user_sgpr_dispatch_ptr 0
		.amdhsa_user_sgpr_queue_ptr 0
		.amdhsa_user_sgpr_kernarg_segment_ptr 1
		.amdhsa_user_sgpr_dispatch_id 0
		.amdhsa_user_sgpr_flat_scratch_init 0
		.amdhsa_user_sgpr_private_segment_size 0
		.amdhsa_uses_dynamic_stack 0
		.amdhsa_system_sgpr_private_segment_wavefront_offset 0
		.amdhsa_system_sgpr_workgroup_id_x 1
		.amdhsa_system_sgpr_workgroup_id_y 0
		.amdhsa_system_sgpr_workgroup_id_z 0
		.amdhsa_system_sgpr_workgroup_info 0
		.amdhsa_system_vgpr_workitem_id 0
		.amdhsa_next_free_vgpr 1
		.amdhsa_next_free_sgpr 0
		.amdhsa_reserve_vcc 0
		.amdhsa_reserve_flat_scratch 0
		.amdhsa_float_round_mode_32 0
		.amdhsa_float_round_mode_16_64 0
		.amdhsa_float_denorm_mode_32 3
		.amdhsa_float_denorm_mode_16_64 3
		.amdhsa_dx10_clamp 1
		.amdhsa_ieee_mode 1
		.amdhsa_fp16_overflow 0
		.amdhsa_exception_fp_ieee_invalid_op 0
		.amdhsa_exception_fp_denorm_src 0
		.amdhsa_exception_fp_ieee_div_zero 0
		.amdhsa_exception_fp_ieee_overflow 0
		.amdhsa_exception_fp_ieee_underflow 0
		.amdhsa_exception_fp_ieee_inexact 0
		.amdhsa_exception_int_div_zero 0
	.end_amdhsa_kernel
	.section	.text._ZN7rocprim17ROCPRIM_400000_NS6detail17trampoline_kernelINS0_14default_configENS1_20scan_config_selectorIdEEZZNS1_9scan_implILNS1_25lookback_scan_determinismE0ELb0ELb0ES3_PKdPddZZZN2at6native31launch_logcumsumexp_cuda_kernelERKNSB_10TensorBaseESF_lENKUlvE_clEvENKUlvE_clEvEUlddE_dEEDaPvRmT3_T4_T5_mT6_P12ihipStream_tbENKUlT_T0_E_clISt17integral_constantIbLb1EESW_EEDaSR_SS_EUlSR_E0_NS1_11comp_targetILNS1_3genE10ELNS1_11target_archE1200ELNS1_3gpuE4ELNS1_3repE0EEENS1_30default_config_static_selectorELNS0_4arch9wavefront6targetE1EEEvT1_,"axG",@progbits,_ZN7rocprim17ROCPRIM_400000_NS6detail17trampoline_kernelINS0_14default_configENS1_20scan_config_selectorIdEEZZNS1_9scan_implILNS1_25lookback_scan_determinismE0ELb0ELb0ES3_PKdPddZZZN2at6native31launch_logcumsumexp_cuda_kernelERKNSB_10TensorBaseESF_lENKUlvE_clEvENKUlvE_clEvEUlddE_dEEDaPvRmT3_T4_T5_mT6_P12ihipStream_tbENKUlT_T0_E_clISt17integral_constantIbLb1EESW_EEDaSR_SS_EUlSR_E0_NS1_11comp_targetILNS1_3genE10ELNS1_11target_archE1200ELNS1_3gpuE4ELNS1_3repE0EEENS1_30default_config_static_selectorELNS0_4arch9wavefront6targetE1EEEvT1_,comdat
.Lfunc_end43:
	.size	_ZN7rocprim17ROCPRIM_400000_NS6detail17trampoline_kernelINS0_14default_configENS1_20scan_config_selectorIdEEZZNS1_9scan_implILNS1_25lookback_scan_determinismE0ELb0ELb0ES3_PKdPddZZZN2at6native31launch_logcumsumexp_cuda_kernelERKNSB_10TensorBaseESF_lENKUlvE_clEvENKUlvE_clEvEUlddE_dEEDaPvRmT3_T4_T5_mT6_P12ihipStream_tbENKUlT_T0_E_clISt17integral_constantIbLb1EESW_EEDaSR_SS_EUlSR_E0_NS1_11comp_targetILNS1_3genE10ELNS1_11target_archE1200ELNS1_3gpuE4ELNS1_3repE0EEENS1_30default_config_static_selectorELNS0_4arch9wavefront6targetE1EEEvT1_, .Lfunc_end43-_ZN7rocprim17ROCPRIM_400000_NS6detail17trampoline_kernelINS0_14default_configENS1_20scan_config_selectorIdEEZZNS1_9scan_implILNS1_25lookback_scan_determinismE0ELb0ELb0ES3_PKdPddZZZN2at6native31launch_logcumsumexp_cuda_kernelERKNSB_10TensorBaseESF_lENKUlvE_clEvENKUlvE_clEvEUlddE_dEEDaPvRmT3_T4_T5_mT6_P12ihipStream_tbENKUlT_T0_E_clISt17integral_constantIbLb1EESW_EEDaSR_SS_EUlSR_E0_NS1_11comp_targetILNS1_3genE10ELNS1_11target_archE1200ELNS1_3gpuE4ELNS1_3repE0EEENS1_30default_config_static_selectorELNS0_4arch9wavefront6targetE1EEEvT1_
                                        ; -- End function
	.set _ZN7rocprim17ROCPRIM_400000_NS6detail17trampoline_kernelINS0_14default_configENS1_20scan_config_selectorIdEEZZNS1_9scan_implILNS1_25lookback_scan_determinismE0ELb0ELb0ES3_PKdPddZZZN2at6native31launch_logcumsumexp_cuda_kernelERKNSB_10TensorBaseESF_lENKUlvE_clEvENKUlvE_clEvEUlddE_dEEDaPvRmT3_T4_T5_mT6_P12ihipStream_tbENKUlT_T0_E_clISt17integral_constantIbLb1EESW_EEDaSR_SS_EUlSR_E0_NS1_11comp_targetILNS1_3genE10ELNS1_11target_archE1200ELNS1_3gpuE4ELNS1_3repE0EEENS1_30default_config_static_selectorELNS0_4arch9wavefront6targetE1EEEvT1_.num_vgpr, 0
	.set _ZN7rocprim17ROCPRIM_400000_NS6detail17trampoline_kernelINS0_14default_configENS1_20scan_config_selectorIdEEZZNS1_9scan_implILNS1_25lookback_scan_determinismE0ELb0ELb0ES3_PKdPddZZZN2at6native31launch_logcumsumexp_cuda_kernelERKNSB_10TensorBaseESF_lENKUlvE_clEvENKUlvE_clEvEUlddE_dEEDaPvRmT3_T4_T5_mT6_P12ihipStream_tbENKUlT_T0_E_clISt17integral_constantIbLb1EESW_EEDaSR_SS_EUlSR_E0_NS1_11comp_targetILNS1_3genE10ELNS1_11target_archE1200ELNS1_3gpuE4ELNS1_3repE0EEENS1_30default_config_static_selectorELNS0_4arch9wavefront6targetE1EEEvT1_.num_agpr, 0
	.set _ZN7rocprim17ROCPRIM_400000_NS6detail17trampoline_kernelINS0_14default_configENS1_20scan_config_selectorIdEEZZNS1_9scan_implILNS1_25lookback_scan_determinismE0ELb0ELb0ES3_PKdPddZZZN2at6native31launch_logcumsumexp_cuda_kernelERKNSB_10TensorBaseESF_lENKUlvE_clEvENKUlvE_clEvEUlddE_dEEDaPvRmT3_T4_T5_mT6_P12ihipStream_tbENKUlT_T0_E_clISt17integral_constantIbLb1EESW_EEDaSR_SS_EUlSR_E0_NS1_11comp_targetILNS1_3genE10ELNS1_11target_archE1200ELNS1_3gpuE4ELNS1_3repE0EEENS1_30default_config_static_selectorELNS0_4arch9wavefront6targetE1EEEvT1_.numbered_sgpr, 0
	.set _ZN7rocprim17ROCPRIM_400000_NS6detail17trampoline_kernelINS0_14default_configENS1_20scan_config_selectorIdEEZZNS1_9scan_implILNS1_25lookback_scan_determinismE0ELb0ELb0ES3_PKdPddZZZN2at6native31launch_logcumsumexp_cuda_kernelERKNSB_10TensorBaseESF_lENKUlvE_clEvENKUlvE_clEvEUlddE_dEEDaPvRmT3_T4_T5_mT6_P12ihipStream_tbENKUlT_T0_E_clISt17integral_constantIbLb1EESW_EEDaSR_SS_EUlSR_E0_NS1_11comp_targetILNS1_3genE10ELNS1_11target_archE1200ELNS1_3gpuE4ELNS1_3repE0EEENS1_30default_config_static_selectorELNS0_4arch9wavefront6targetE1EEEvT1_.num_named_barrier, 0
	.set _ZN7rocprim17ROCPRIM_400000_NS6detail17trampoline_kernelINS0_14default_configENS1_20scan_config_selectorIdEEZZNS1_9scan_implILNS1_25lookback_scan_determinismE0ELb0ELb0ES3_PKdPddZZZN2at6native31launch_logcumsumexp_cuda_kernelERKNSB_10TensorBaseESF_lENKUlvE_clEvENKUlvE_clEvEUlddE_dEEDaPvRmT3_T4_T5_mT6_P12ihipStream_tbENKUlT_T0_E_clISt17integral_constantIbLb1EESW_EEDaSR_SS_EUlSR_E0_NS1_11comp_targetILNS1_3genE10ELNS1_11target_archE1200ELNS1_3gpuE4ELNS1_3repE0EEENS1_30default_config_static_selectorELNS0_4arch9wavefront6targetE1EEEvT1_.private_seg_size, 0
	.set _ZN7rocprim17ROCPRIM_400000_NS6detail17trampoline_kernelINS0_14default_configENS1_20scan_config_selectorIdEEZZNS1_9scan_implILNS1_25lookback_scan_determinismE0ELb0ELb0ES3_PKdPddZZZN2at6native31launch_logcumsumexp_cuda_kernelERKNSB_10TensorBaseESF_lENKUlvE_clEvENKUlvE_clEvEUlddE_dEEDaPvRmT3_T4_T5_mT6_P12ihipStream_tbENKUlT_T0_E_clISt17integral_constantIbLb1EESW_EEDaSR_SS_EUlSR_E0_NS1_11comp_targetILNS1_3genE10ELNS1_11target_archE1200ELNS1_3gpuE4ELNS1_3repE0EEENS1_30default_config_static_selectorELNS0_4arch9wavefront6targetE1EEEvT1_.uses_vcc, 0
	.set _ZN7rocprim17ROCPRIM_400000_NS6detail17trampoline_kernelINS0_14default_configENS1_20scan_config_selectorIdEEZZNS1_9scan_implILNS1_25lookback_scan_determinismE0ELb0ELb0ES3_PKdPddZZZN2at6native31launch_logcumsumexp_cuda_kernelERKNSB_10TensorBaseESF_lENKUlvE_clEvENKUlvE_clEvEUlddE_dEEDaPvRmT3_T4_T5_mT6_P12ihipStream_tbENKUlT_T0_E_clISt17integral_constantIbLb1EESW_EEDaSR_SS_EUlSR_E0_NS1_11comp_targetILNS1_3genE10ELNS1_11target_archE1200ELNS1_3gpuE4ELNS1_3repE0EEENS1_30default_config_static_selectorELNS0_4arch9wavefront6targetE1EEEvT1_.uses_flat_scratch, 0
	.set _ZN7rocprim17ROCPRIM_400000_NS6detail17trampoline_kernelINS0_14default_configENS1_20scan_config_selectorIdEEZZNS1_9scan_implILNS1_25lookback_scan_determinismE0ELb0ELb0ES3_PKdPddZZZN2at6native31launch_logcumsumexp_cuda_kernelERKNSB_10TensorBaseESF_lENKUlvE_clEvENKUlvE_clEvEUlddE_dEEDaPvRmT3_T4_T5_mT6_P12ihipStream_tbENKUlT_T0_E_clISt17integral_constantIbLb1EESW_EEDaSR_SS_EUlSR_E0_NS1_11comp_targetILNS1_3genE10ELNS1_11target_archE1200ELNS1_3gpuE4ELNS1_3repE0EEENS1_30default_config_static_selectorELNS0_4arch9wavefront6targetE1EEEvT1_.has_dyn_sized_stack, 0
	.set _ZN7rocprim17ROCPRIM_400000_NS6detail17trampoline_kernelINS0_14default_configENS1_20scan_config_selectorIdEEZZNS1_9scan_implILNS1_25lookback_scan_determinismE0ELb0ELb0ES3_PKdPddZZZN2at6native31launch_logcumsumexp_cuda_kernelERKNSB_10TensorBaseESF_lENKUlvE_clEvENKUlvE_clEvEUlddE_dEEDaPvRmT3_T4_T5_mT6_P12ihipStream_tbENKUlT_T0_E_clISt17integral_constantIbLb1EESW_EEDaSR_SS_EUlSR_E0_NS1_11comp_targetILNS1_3genE10ELNS1_11target_archE1200ELNS1_3gpuE4ELNS1_3repE0EEENS1_30default_config_static_selectorELNS0_4arch9wavefront6targetE1EEEvT1_.has_recursion, 0
	.set _ZN7rocprim17ROCPRIM_400000_NS6detail17trampoline_kernelINS0_14default_configENS1_20scan_config_selectorIdEEZZNS1_9scan_implILNS1_25lookback_scan_determinismE0ELb0ELb0ES3_PKdPddZZZN2at6native31launch_logcumsumexp_cuda_kernelERKNSB_10TensorBaseESF_lENKUlvE_clEvENKUlvE_clEvEUlddE_dEEDaPvRmT3_T4_T5_mT6_P12ihipStream_tbENKUlT_T0_E_clISt17integral_constantIbLb1EESW_EEDaSR_SS_EUlSR_E0_NS1_11comp_targetILNS1_3genE10ELNS1_11target_archE1200ELNS1_3gpuE4ELNS1_3repE0EEENS1_30default_config_static_selectorELNS0_4arch9wavefront6targetE1EEEvT1_.has_indirect_call, 0
	.section	.AMDGPU.csdata,"",@progbits
; Kernel info:
; codeLenInByte = 0
; TotalNumSgprs: 4
; NumVgprs: 0
; ScratchSize: 0
; MemoryBound: 0
; FloatMode: 240
; IeeeMode: 1
; LDSByteSize: 0 bytes/workgroup (compile time only)
; SGPRBlocks: 0
; VGPRBlocks: 0
; NumSGPRsForWavesPerEU: 4
; NumVGPRsForWavesPerEU: 1
; Occupancy: 10
; WaveLimiterHint : 0
; COMPUTE_PGM_RSRC2:SCRATCH_EN: 0
; COMPUTE_PGM_RSRC2:USER_SGPR: 6
; COMPUTE_PGM_RSRC2:TRAP_HANDLER: 0
; COMPUTE_PGM_RSRC2:TGID_X_EN: 1
; COMPUTE_PGM_RSRC2:TGID_Y_EN: 0
; COMPUTE_PGM_RSRC2:TGID_Z_EN: 0
; COMPUTE_PGM_RSRC2:TIDIG_COMP_CNT: 0
	.section	.text._ZN7rocprim17ROCPRIM_400000_NS6detail17trampoline_kernelINS0_14default_configENS1_20scan_config_selectorIdEEZZNS1_9scan_implILNS1_25lookback_scan_determinismE0ELb0ELb0ES3_PKdPddZZZN2at6native31launch_logcumsumexp_cuda_kernelERKNSB_10TensorBaseESF_lENKUlvE_clEvENKUlvE_clEvEUlddE_dEEDaPvRmT3_T4_T5_mT6_P12ihipStream_tbENKUlT_T0_E_clISt17integral_constantIbLb1EESW_EEDaSR_SS_EUlSR_E0_NS1_11comp_targetILNS1_3genE9ELNS1_11target_archE1100ELNS1_3gpuE3ELNS1_3repE0EEENS1_30default_config_static_selectorELNS0_4arch9wavefront6targetE1EEEvT1_,"axG",@progbits,_ZN7rocprim17ROCPRIM_400000_NS6detail17trampoline_kernelINS0_14default_configENS1_20scan_config_selectorIdEEZZNS1_9scan_implILNS1_25lookback_scan_determinismE0ELb0ELb0ES3_PKdPddZZZN2at6native31launch_logcumsumexp_cuda_kernelERKNSB_10TensorBaseESF_lENKUlvE_clEvENKUlvE_clEvEUlddE_dEEDaPvRmT3_T4_T5_mT6_P12ihipStream_tbENKUlT_T0_E_clISt17integral_constantIbLb1EESW_EEDaSR_SS_EUlSR_E0_NS1_11comp_targetILNS1_3genE9ELNS1_11target_archE1100ELNS1_3gpuE3ELNS1_3repE0EEENS1_30default_config_static_selectorELNS0_4arch9wavefront6targetE1EEEvT1_,comdat
	.globl	_ZN7rocprim17ROCPRIM_400000_NS6detail17trampoline_kernelINS0_14default_configENS1_20scan_config_selectorIdEEZZNS1_9scan_implILNS1_25lookback_scan_determinismE0ELb0ELb0ES3_PKdPddZZZN2at6native31launch_logcumsumexp_cuda_kernelERKNSB_10TensorBaseESF_lENKUlvE_clEvENKUlvE_clEvEUlddE_dEEDaPvRmT3_T4_T5_mT6_P12ihipStream_tbENKUlT_T0_E_clISt17integral_constantIbLb1EESW_EEDaSR_SS_EUlSR_E0_NS1_11comp_targetILNS1_3genE9ELNS1_11target_archE1100ELNS1_3gpuE3ELNS1_3repE0EEENS1_30default_config_static_selectorELNS0_4arch9wavefront6targetE1EEEvT1_ ; -- Begin function _ZN7rocprim17ROCPRIM_400000_NS6detail17trampoline_kernelINS0_14default_configENS1_20scan_config_selectorIdEEZZNS1_9scan_implILNS1_25lookback_scan_determinismE0ELb0ELb0ES3_PKdPddZZZN2at6native31launch_logcumsumexp_cuda_kernelERKNSB_10TensorBaseESF_lENKUlvE_clEvENKUlvE_clEvEUlddE_dEEDaPvRmT3_T4_T5_mT6_P12ihipStream_tbENKUlT_T0_E_clISt17integral_constantIbLb1EESW_EEDaSR_SS_EUlSR_E0_NS1_11comp_targetILNS1_3genE9ELNS1_11target_archE1100ELNS1_3gpuE3ELNS1_3repE0EEENS1_30default_config_static_selectorELNS0_4arch9wavefront6targetE1EEEvT1_
	.p2align	8
	.type	_ZN7rocprim17ROCPRIM_400000_NS6detail17trampoline_kernelINS0_14default_configENS1_20scan_config_selectorIdEEZZNS1_9scan_implILNS1_25lookback_scan_determinismE0ELb0ELb0ES3_PKdPddZZZN2at6native31launch_logcumsumexp_cuda_kernelERKNSB_10TensorBaseESF_lENKUlvE_clEvENKUlvE_clEvEUlddE_dEEDaPvRmT3_T4_T5_mT6_P12ihipStream_tbENKUlT_T0_E_clISt17integral_constantIbLb1EESW_EEDaSR_SS_EUlSR_E0_NS1_11comp_targetILNS1_3genE9ELNS1_11target_archE1100ELNS1_3gpuE3ELNS1_3repE0EEENS1_30default_config_static_selectorELNS0_4arch9wavefront6targetE1EEEvT1_,@function
_ZN7rocprim17ROCPRIM_400000_NS6detail17trampoline_kernelINS0_14default_configENS1_20scan_config_selectorIdEEZZNS1_9scan_implILNS1_25lookback_scan_determinismE0ELb0ELb0ES3_PKdPddZZZN2at6native31launch_logcumsumexp_cuda_kernelERKNSB_10TensorBaseESF_lENKUlvE_clEvENKUlvE_clEvEUlddE_dEEDaPvRmT3_T4_T5_mT6_P12ihipStream_tbENKUlT_T0_E_clISt17integral_constantIbLb1EESW_EEDaSR_SS_EUlSR_E0_NS1_11comp_targetILNS1_3genE9ELNS1_11target_archE1100ELNS1_3gpuE3ELNS1_3repE0EEENS1_30default_config_static_selectorELNS0_4arch9wavefront6targetE1EEEvT1_: ; @_ZN7rocprim17ROCPRIM_400000_NS6detail17trampoline_kernelINS0_14default_configENS1_20scan_config_selectorIdEEZZNS1_9scan_implILNS1_25lookback_scan_determinismE0ELb0ELb0ES3_PKdPddZZZN2at6native31launch_logcumsumexp_cuda_kernelERKNSB_10TensorBaseESF_lENKUlvE_clEvENKUlvE_clEvEUlddE_dEEDaPvRmT3_T4_T5_mT6_P12ihipStream_tbENKUlT_T0_E_clISt17integral_constantIbLb1EESW_EEDaSR_SS_EUlSR_E0_NS1_11comp_targetILNS1_3genE9ELNS1_11target_archE1100ELNS1_3gpuE3ELNS1_3repE0EEENS1_30default_config_static_selectorELNS0_4arch9wavefront6targetE1EEEvT1_
; %bb.0:
	.section	.rodata,"a",@progbits
	.p2align	6, 0x0
	.amdhsa_kernel _ZN7rocprim17ROCPRIM_400000_NS6detail17trampoline_kernelINS0_14default_configENS1_20scan_config_selectorIdEEZZNS1_9scan_implILNS1_25lookback_scan_determinismE0ELb0ELb0ES3_PKdPddZZZN2at6native31launch_logcumsumexp_cuda_kernelERKNSB_10TensorBaseESF_lENKUlvE_clEvENKUlvE_clEvEUlddE_dEEDaPvRmT3_T4_T5_mT6_P12ihipStream_tbENKUlT_T0_E_clISt17integral_constantIbLb1EESW_EEDaSR_SS_EUlSR_E0_NS1_11comp_targetILNS1_3genE9ELNS1_11target_archE1100ELNS1_3gpuE3ELNS1_3repE0EEENS1_30default_config_static_selectorELNS0_4arch9wavefront6targetE1EEEvT1_
		.amdhsa_group_segment_fixed_size 0
		.amdhsa_private_segment_fixed_size 0
		.amdhsa_kernarg_size 40
		.amdhsa_user_sgpr_count 6
		.amdhsa_user_sgpr_private_segment_buffer 1
		.amdhsa_user_sgpr_dispatch_ptr 0
		.amdhsa_user_sgpr_queue_ptr 0
		.amdhsa_user_sgpr_kernarg_segment_ptr 1
		.amdhsa_user_sgpr_dispatch_id 0
		.amdhsa_user_sgpr_flat_scratch_init 0
		.amdhsa_user_sgpr_private_segment_size 0
		.amdhsa_uses_dynamic_stack 0
		.amdhsa_system_sgpr_private_segment_wavefront_offset 0
		.amdhsa_system_sgpr_workgroup_id_x 1
		.amdhsa_system_sgpr_workgroup_id_y 0
		.amdhsa_system_sgpr_workgroup_id_z 0
		.amdhsa_system_sgpr_workgroup_info 0
		.amdhsa_system_vgpr_workitem_id 0
		.amdhsa_next_free_vgpr 1
		.amdhsa_next_free_sgpr 0
		.amdhsa_reserve_vcc 0
		.amdhsa_reserve_flat_scratch 0
		.amdhsa_float_round_mode_32 0
		.amdhsa_float_round_mode_16_64 0
		.amdhsa_float_denorm_mode_32 3
		.amdhsa_float_denorm_mode_16_64 3
		.amdhsa_dx10_clamp 1
		.amdhsa_ieee_mode 1
		.amdhsa_fp16_overflow 0
		.amdhsa_exception_fp_ieee_invalid_op 0
		.amdhsa_exception_fp_denorm_src 0
		.amdhsa_exception_fp_ieee_div_zero 0
		.amdhsa_exception_fp_ieee_overflow 0
		.amdhsa_exception_fp_ieee_underflow 0
		.amdhsa_exception_fp_ieee_inexact 0
		.amdhsa_exception_int_div_zero 0
	.end_amdhsa_kernel
	.section	.text._ZN7rocprim17ROCPRIM_400000_NS6detail17trampoline_kernelINS0_14default_configENS1_20scan_config_selectorIdEEZZNS1_9scan_implILNS1_25lookback_scan_determinismE0ELb0ELb0ES3_PKdPddZZZN2at6native31launch_logcumsumexp_cuda_kernelERKNSB_10TensorBaseESF_lENKUlvE_clEvENKUlvE_clEvEUlddE_dEEDaPvRmT3_T4_T5_mT6_P12ihipStream_tbENKUlT_T0_E_clISt17integral_constantIbLb1EESW_EEDaSR_SS_EUlSR_E0_NS1_11comp_targetILNS1_3genE9ELNS1_11target_archE1100ELNS1_3gpuE3ELNS1_3repE0EEENS1_30default_config_static_selectorELNS0_4arch9wavefront6targetE1EEEvT1_,"axG",@progbits,_ZN7rocprim17ROCPRIM_400000_NS6detail17trampoline_kernelINS0_14default_configENS1_20scan_config_selectorIdEEZZNS1_9scan_implILNS1_25lookback_scan_determinismE0ELb0ELb0ES3_PKdPddZZZN2at6native31launch_logcumsumexp_cuda_kernelERKNSB_10TensorBaseESF_lENKUlvE_clEvENKUlvE_clEvEUlddE_dEEDaPvRmT3_T4_T5_mT6_P12ihipStream_tbENKUlT_T0_E_clISt17integral_constantIbLb1EESW_EEDaSR_SS_EUlSR_E0_NS1_11comp_targetILNS1_3genE9ELNS1_11target_archE1100ELNS1_3gpuE3ELNS1_3repE0EEENS1_30default_config_static_selectorELNS0_4arch9wavefront6targetE1EEEvT1_,comdat
.Lfunc_end44:
	.size	_ZN7rocprim17ROCPRIM_400000_NS6detail17trampoline_kernelINS0_14default_configENS1_20scan_config_selectorIdEEZZNS1_9scan_implILNS1_25lookback_scan_determinismE0ELb0ELb0ES3_PKdPddZZZN2at6native31launch_logcumsumexp_cuda_kernelERKNSB_10TensorBaseESF_lENKUlvE_clEvENKUlvE_clEvEUlddE_dEEDaPvRmT3_T4_T5_mT6_P12ihipStream_tbENKUlT_T0_E_clISt17integral_constantIbLb1EESW_EEDaSR_SS_EUlSR_E0_NS1_11comp_targetILNS1_3genE9ELNS1_11target_archE1100ELNS1_3gpuE3ELNS1_3repE0EEENS1_30default_config_static_selectorELNS0_4arch9wavefront6targetE1EEEvT1_, .Lfunc_end44-_ZN7rocprim17ROCPRIM_400000_NS6detail17trampoline_kernelINS0_14default_configENS1_20scan_config_selectorIdEEZZNS1_9scan_implILNS1_25lookback_scan_determinismE0ELb0ELb0ES3_PKdPddZZZN2at6native31launch_logcumsumexp_cuda_kernelERKNSB_10TensorBaseESF_lENKUlvE_clEvENKUlvE_clEvEUlddE_dEEDaPvRmT3_T4_T5_mT6_P12ihipStream_tbENKUlT_T0_E_clISt17integral_constantIbLb1EESW_EEDaSR_SS_EUlSR_E0_NS1_11comp_targetILNS1_3genE9ELNS1_11target_archE1100ELNS1_3gpuE3ELNS1_3repE0EEENS1_30default_config_static_selectorELNS0_4arch9wavefront6targetE1EEEvT1_
                                        ; -- End function
	.set _ZN7rocprim17ROCPRIM_400000_NS6detail17trampoline_kernelINS0_14default_configENS1_20scan_config_selectorIdEEZZNS1_9scan_implILNS1_25lookback_scan_determinismE0ELb0ELb0ES3_PKdPddZZZN2at6native31launch_logcumsumexp_cuda_kernelERKNSB_10TensorBaseESF_lENKUlvE_clEvENKUlvE_clEvEUlddE_dEEDaPvRmT3_T4_T5_mT6_P12ihipStream_tbENKUlT_T0_E_clISt17integral_constantIbLb1EESW_EEDaSR_SS_EUlSR_E0_NS1_11comp_targetILNS1_3genE9ELNS1_11target_archE1100ELNS1_3gpuE3ELNS1_3repE0EEENS1_30default_config_static_selectorELNS0_4arch9wavefront6targetE1EEEvT1_.num_vgpr, 0
	.set _ZN7rocprim17ROCPRIM_400000_NS6detail17trampoline_kernelINS0_14default_configENS1_20scan_config_selectorIdEEZZNS1_9scan_implILNS1_25lookback_scan_determinismE0ELb0ELb0ES3_PKdPddZZZN2at6native31launch_logcumsumexp_cuda_kernelERKNSB_10TensorBaseESF_lENKUlvE_clEvENKUlvE_clEvEUlddE_dEEDaPvRmT3_T4_T5_mT6_P12ihipStream_tbENKUlT_T0_E_clISt17integral_constantIbLb1EESW_EEDaSR_SS_EUlSR_E0_NS1_11comp_targetILNS1_3genE9ELNS1_11target_archE1100ELNS1_3gpuE3ELNS1_3repE0EEENS1_30default_config_static_selectorELNS0_4arch9wavefront6targetE1EEEvT1_.num_agpr, 0
	.set _ZN7rocprim17ROCPRIM_400000_NS6detail17trampoline_kernelINS0_14default_configENS1_20scan_config_selectorIdEEZZNS1_9scan_implILNS1_25lookback_scan_determinismE0ELb0ELb0ES3_PKdPddZZZN2at6native31launch_logcumsumexp_cuda_kernelERKNSB_10TensorBaseESF_lENKUlvE_clEvENKUlvE_clEvEUlddE_dEEDaPvRmT3_T4_T5_mT6_P12ihipStream_tbENKUlT_T0_E_clISt17integral_constantIbLb1EESW_EEDaSR_SS_EUlSR_E0_NS1_11comp_targetILNS1_3genE9ELNS1_11target_archE1100ELNS1_3gpuE3ELNS1_3repE0EEENS1_30default_config_static_selectorELNS0_4arch9wavefront6targetE1EEEvT1_.numbered_sgpr, 0
	.set _ZN7rocprim17ROCPRIM_400000_NS6detail17trampoline_kernelINS0_14default_configENS1_20scan_config_selectorIdEEZZNS1_9scan_implILNS1_25lookback_scan_determinismE0ELb0ELb0ES3_PKdPddZZZN2at6native31launch_logcumsumexp_cuda_kernelERKNSB_10TensorBaseESF_lENKUlvE_clEvENKUlvE_clEvEUlddE_dEEDaPvRmT3_T4_T5_mT6_P12ihipStream_tbENKUlT_T0_E_clISt17integral_constantIbLb1EESW_EEDaSR_SS_EUlSR_E0_NS1_11comp_targetILNS1_3genE9ELNS1_11target_archE1100ELNS1_3gpuE3ELNS1_3repE0EEENS1_30default_config_static_selectorELNS0_4arch9wavefront6targetE1EEEvT1_.num_named_barrier, 0
	.set _ZN7rocprim17ROCPRIM_400000_NS6detail17trampoline_kernelINS0_14default_configENS1_20scan_config_selectorIdEEZZNS1_9scan_implILNS1_25lookback_scan_determinismE0ELb0ELb0ES3_PKdPddZZZN2at6native31launch_logcumsumexp_cuda_kernelERKNSB_10TensorBaseESF_lENKUlvE_clEvENKUlvE_clEvEUlddE_dEEDaPvRmT3_T4_T5_mT6_P12ihipStream_tbENKUlT_T0_E_clISt17integral_constantIbLb1EESW_EEDaSR_SS_EUlSR_E0_NS1_11comp_targetILNS1_3genE9ELNS1_11target_archE1100ELNS1_3gpuE3ELNS1_3repE0EEENS1_30default_config_static_selectorELNS0_4arch9wavefront6targetE1EEEvT1_.private_seg_size, 0
	.set _ZN7rocprim17ROCPRIM_400000_NS6detail17trampoline_kernelINS0_14default_configENS1_20scan_config_selectorIdEEZZNS1_9scan_implILNS1_25lookback_scan_determinismE0ELb0ELb0ES3_PKdPddZZZN2at6native31launch_logcumsumexp_cuda_kernelERKNSB_10TensorBaseESF_lENKUlvE_clEvENKUlvE_clEvEUlddE_dEEDaPvRmT3_T4_T5_mT6_P12ihipStream_tbENKUlT_T0_E_clISt17integral_constantIbLb1EESW_EEDaSR_SS_EUlSR_E0_NS1_11comp_targetILNS1_3genE9ELNS1_11target_archE1100ELNS1_3gpuE3ELNS1_3repE0EEENS1_30default_config_static_selectorELNS0_4arch9wavefront6targetE1EEEvT1_.uses_vcc, 0
	.set _ZN7rocprim17ROCPRIM_400000_NS6detail17trampoline_kernelINS0_14default_configENS1_20scan_config_selectorIdEEZZNS1_9scan_implILNS1_25lookback_scan_determinismE0ELb0ELb0ES3_PKdPddZZZN2at6native31launch_logcumsumexp_cuda_kernelERKNSB_10TensorBaseESF_lENKUlvE_clEvENKUlvE_clEvEUlddE_dEEDaPvRmT3_T4_T5_mT6_P12ihipStream_tbENKUlT_T0_E_clISt17integral_constantIbLb1EESW_EEDaSR_SS_EUlSR_E0_NS1_11comp_targetILNS1_3genE9ELNS1_11target_archE1100ELNS1_3gpuE3ELNS1_3repE0EEENS1_30default_config_static_selectorELNS0_4arch9wavefront6targetE1EEEvT1_.uses_flat_scratch, 0
	.set _ZN7rocprim17ROCPRIM_400000_NS6detail17trampoline_kernelINS0_14default_configENS1_20scan_config_selectorIdEEZZNS1_9scan_implILNS1_25lookback_scan_determinismE0ELb0ELb0ES3_PKdPddZZZN2at6native31launch_logcumsumexp_cuda_kernelERKNSB_10TensorBaseESF_lENKUlvE_clEvENKUlvE_clEvEUlddE_dEEDaPvRmT3_T4_T5_mT6_P12ihipStream_tbENKUlT_T0_E_clISt17integral_constantIbLb1EESW_EEDaSR_SS_EUlSR_E0_NS1_11comp_targetILNS1_3genE9ELNS1_11target_archE1100ELNS1_3gpuE3ELNS1_3repE0EEENS1_30default_config_static_selectorELNS0_4arch9wavefront6targetE1EEEvT1_.has_dyn_sized_stack, 0
	.set _ZN7rocprim17ROCPRIM_400000_NS6detail17trampoline_kernelINS0_14default_configENS1_20scan_config_selectorIdEEZZNS1_9scan_implILNS1_25lookback_scan_determinismE0ELb0ELb0ES3_PKdPddZZZN2at6native31launch_logcumsumexp_cuda_kernelERKNSB_10TensorBaseESF_lENKUlvE_clEvENKUlvE_clEvEUlddE_dEEDaPvRmT3_T4_T5_mT6_P12ihipStream_tbENKUlT_T0_E_clISt17integral_constantIbLb1EESW_EEDaSR_SS_EUlSR_E0_NS1_11comp_targetILNS1_3genE9ELNS1_11target_archE1100ELNS1_3gpuE3ELNS1_3repE0EEENS1_30default_config_static_selectorELNS0_4arch9wavefront6targetE1EEEvT1_.has_recursion, 0
	.set _ZN7rocprim17ROCPRIM_400000_NS6detail17trampoline_kernelINS0_14default_configENS1_20scan_config_selectorIdEEZZNS1_9scan_implILNS1_25lookback_scan_determinismE0ELb0ELb0ES3_PKdPddZZZN2at6native31launch_logcumsumexp_cuda_kernelERKNSB_10TensorBaseESF_lENKUlvE_clEvENKUlvE_clEvEUlddE_dEEDaPvRmT3_T4_T5_mT6_P12ihipStream_tbENKUlT_T0_E_clISt17integral_constantIbLb1EESW_EEDaSR_SS_EUlSR_E0_NS1_11comp_targetILNS1_3genE9ELNS1_11target_archE1100ELNS1_3gpuE3ELNS1_3repE0EEENS1_30default_config_static_selectorELNS0_4arch9wavefront6targetE1EEEvT1_.has_indirect_call, 0
	.section	.AMDGPU.csdata,"",@progbits
; Kernel info:
; codeLenInByte = 0
; TotalNumSgprs: 4
; NumVgprs: 0
; ScratchSize: 0
; MemoryBound: 0
; FloatMode: 240
; IeeeMode: 1
; LDSByteSize: 0 bytes/workgroup (compile time only)
; SGPRBlocks: 0
; VGPRBlocks: 0
; NumSGPRsForWavesPerEU: 4
; NumVGPRsForWavesPerEU: 1
; Occupancy: 10
; WaveLimiterHint : 0
; COMPUTE_PGM_RSRC2:SCRATCH_EN: 0
; COMPUTE_PGM_RSRC2:USER_SGPR: 6
; COMPUTE_PGM_RSRC2:TRAP_HANDLER: 0
; COMPUTE_PGM_RSRC2:TGID_X_EN: 1
; COMPUTE_PGM_RSRC2:TGID_Y_EN: 0
; COMPUTE_PGM_RSRC2:TGID_Z_EN: 0
; COMPUTE_PGM_RSRC2:TIDIG_COMP_CNT: 0
	.section	.text._ZN7rocprim17ROCPRIM_400000_NS6detail17trampoline_kernelINS0_14default_configENS1_20scan_config_selectorIdEEZZNS1_9scan_implILNS1_25lookback_scan_determinismE0ELb0ELb0ES3_PKdPddZZZN2at6native31launch_logcumsumexp_cuda_kernelERKNSB_10TensorBaseESF_lENKUlvE_clEvENKUlvE_clEvEUlddE_dEEDaPvRmT3_T4_T5_mT6_P12ihipStream_tbENKUlT_T0_E_clISt17integral_constantIbLb1EESW_EEDaSR_SS_EUlSR_E0_NS1_11comp_targetILNS1_3genE8ELNS1_11target_archE1030ELNS1_3gpuE2ELNS1_3repE0EEENS1_30default_config_static_selectorELNS0_4arch9wavefront6targetE1EEEvT1_,"axG",@progbits,_ZN7rocprim17ROCPRIM_400000_NS6detail17trampoline_kernelINS0_14default_configENS1_20scan_config_selectorIdEEZZNS1_9scan_implILNS1_25lookback_scan_determinismE0ELb0ELb0ES3_PKdPddZZZN2at6native31launch_logcumsumexp_cuda_kernelERKNSB_10TensorBaseESF_lENKUlvE_clEvENKUlvE_clEvEUlddE_dEEDaPvRmT3_T4_T5_mT6_P12ihipStream_tbENKUlT_T0_E_clISt17integral_constantIbLb1EESW_EEDaSR_SS_EUlSR_E0_NS1_11comp_targetILNS1_3genE8ELNS1_11target_archE1030ELNS1_3gpuE2ELNS1_3repE0EEENS1_30default_config_static_selectorELNS0_4arch9wavefront6targetE1EEEvT1_,comdat
	.globl	_ZN7rocprim17ROCPRIM_400000_NS6detail17trampoline_kernelINS0_14default_configENS1_20scan_config_selectorIdEEZZNS1_9scan_implILNS1_25lookback_scan_determinismE0ELb0ELb0ES3_PKdPddZZZN2at6native31launch_logcumsumexp_cuda_kernelERKNSB_10TensorBaseESF_lENKUlvE_clEvENKUlvE_clEvEUlddE_dEEDaPvRmT3_T4_T5_mT6_P12ihipStream_tbENKUlT_T0_E_clISt17integral_constantIbLb1EESW_EEDaSR_SS_EUlSR_E0_NS1_11comp_targetILNS1_3genE8ELNS1_11target_archE1030ELNS1_3gpuE2ELNS1_3repE0EEENS1_30default_config_static_selectorELNS0_4arch9wavefront6targetE1EEEvT1_ ; -- Begin function _ZN7rocprim17ROCPRIM_400000_NS6detail17trampoline_kernelINS0_14default_configENS1_20scan_config_selectorIdEEZZNS1_9scan_implILNS1_25lookback_scan_determinismE0ELb0ELb0ES3_PKdPddZZZN2at6native31launch_logcumsumexp_cuda_kernelERKNSB_10TensorBaseESF_lENKUlvE_clEvENKUlvE_clEvEUlddE_dEEDaPvRmT3_T4_T5_mT6_P12ihipStream_tbENKUlT_T0_E_clISt17integral_constantIbLb1EESW_EEDaSR_SS_EUlSR_E0_NS1_11comp_targetILNS1_3genE8ELNS1_11target_archE1030ELNS1_3gpuE2ELNS1_3repE0EEENS1_30default_config_static_selectorELNS0_4arch9wavefront6targetE1EEEvT1_
	.p2align	8
	.type	_ZN7rocprim17ROCPRIM_400000_NS6detail17trampoline_kernelINS0_14default_configENS1_20scan_config_selectorIdEEZZNS1_9scan_implILNS1_25lookback_scan_determinismE0ELb0ELb0ES3_PKdPddZZZN2at6native31launch_logcumsumexp_cuda_kernelERKNSB_10TensorBaseESF_lENKUlvE_clEvENKUlvE_clEvEUlddE_dEEDaPvRmT3_T4_T5_mT6_P12ihipStream_tbENKUlT_T0_E_clISt17integral_constantIbLb1EESW_EEDaSR_SS_EUlSR_E0_NS1_11comp_targetILNS1_3genE8ELNS1_11target_archE1030ELNS1_3gpuE2ELNS1_3repE0EEENS1_30default_config_static_selectorELNS0_4arch9wavefront6targetE1EEEvT1_,@function
_ZN7rocprim17ROCPRIM_400000_NS6detail17trampoline_kernelINS0_14default_configENS1_20scan_config_selectorIdEEZZNS1_9scan_implILNS1_25lookback_scan_determinismE0ELb0ELb0ES3_PKdPddZZZN2at6native31launch_logcumsumexp_cuda_kernelERKNSB_10TensorBaseESF_lENKUlvE_clEvENKUlvE_clEvEUlddE_dEEDaPvRmT3_T4_T5_mT6_P12ihipStream_tbENKUlT_T0_E_clISt17integral_constantIbLb1EESW_EEDaSR_SS_EUlSR_E0_NS1_11comp_targetILNS1_3genE8ELNS1_11target_archE1030ELNS1_3gpuE2ELNS1_3repE0EEENS1_30default_config_static_selectorELNS0_4arch9wavefront6targetE1EEEvT1_: ; @_ZN7rocprim17ROCPRIM_400000_NS6detail17trampoline_kernelINS0_14default_configENS1_20scan_config_selectorIdEEZZNS1_9scan_implILNS1_25lookback_scan_determinismE0ELb0ELb0ES3_PKdPddZZZN2at6native31launch_logcumsumexp_cuda_kernelERKNSB_10TensorBaseESF_lENKUlvE_clEvENKUlvE_clEvEUlddE_dEEDaPvRmT3_T4_T5_mT6_P12ihipStream_tbENKUlT_T0_E_clISt17integral_constantIbLb1EESW_EEDaSR_SS_EUlSR_E0_NS1_11comp_targetILNS1_3genE8ELNS1_11target_archE1030ELNS1_3gpuE2ELNS1_3repE0EEENS1_30default_config_static_selectorELNS0_4arch9wavefront6targetE1EEEvT1_
; %bb.0:
	.section	.rodata,"a",@progbits
	.p2align	6, 0x0
	.amdhsa_kernel _ZN7rocprim17ROCPRIM_400000_NS6detail17trampoline_kernelINS0_14default_configENS1_20scan_config_selectorIdEEZZNS1_9scan_implILNS1_25lookback_scan_determinismE0ELb0ELb0ES3_PKdPddZZZN2at6native31launch_logcumsumexp_cuda_kernelERKNSB_10TensorBaseESF_lENKUlvE_clEvENKUlvE_clEvEUlddE_dEEDaPvRmT3_T4_T5_mT6_P12ihipStream_tbENKUlT_T0_E_clISt17integral_constantIbLb1EESW_EEDaSR_SS_EUlSR_E0_NS1_11comp_targetILNS1_3genE8ELNS1_11target_archE1030ELNS1_3gpuE2ELNS1_3repE0EEENS1_30default_config_static_selectorELNS0_4arch9wavefront6targetE1EEEvT1_
		.amdhsa_group_segment_fixed_size 0
		.amdhsa_private_segment_fixed_size 0
		.amdhsa_kernarg_size 40
		.amdhsa_user_sgpr_count 6
		.amdhsa_user_sgpr_private_segment_buffer 1
		.amdhsa_user_sgpr_dispatch_ptr 0
		.amdhsa_user_sgpr_queue_ptr 0
		.amdhsa_user_sgpr_kernarg_segment_ptr 1
		.amdhsa_user_sgpr_dispatch_id 0
		.amdhsa_user_sgpr_flat_scratch_init 0
		.amdhsa_user_sgpr_private_segment_size 0
		.amdhsa_uses_dynamic_stack 0
		.amdhsa_system_sgpr_private_segment_wavefront_offset 0
		.amdhsa_system_sgpr_workgroup_id_x 1
		.amdhsa_system_sgpr_workgroup_id_y 0
		.amdhsa_system_sgpr_workgroup_id_z 0
		.amdhsa_system_sgpr_workgroup_info 0
		.amdhsa_system_vgpr_workitem_id 0
		.amdhsa_next_free_vgpr 1
		.amdhsa_next_free_sgpr 0
		.amdhsa_reserve_vcc 0
		.amdhsa_reserve_flat_scratch 0
		.amdhsa_float_round_mode_32 0
		.amdhsa_float_round_mode_16_64 0
		.amdhsa_float_denorm_mode_32 3
		.amdhsa_float_denorm_mode_16_64 3
		.amdhsa_dx10_clamp 1
		.amdhsa_ieee_mode 1
		.amdhsa_fp16_overflow 0
		.amdhsa_exception_fp_ieee_invalid_op 0
		.amdhsa_exception_fp_denorm_src 0
		.amdhsa_exception_fp_ieee_div_zero 0
		.amdhsa_exception_fp_ieee_overflow 0
		.amdhsa_exception_fp_ieee_underflow 0
		.amdhsa_exception_fp_ieee_inexact 0
		.amdhsa_exception_int_div_zero 0
	.end_amdhsa_kernel
	.section	.text._ZN7rocprim17ROCPRIM_400000_NS6detail17trampoline_kernelINS0_14default_configENS1_20scan_config_selectorIdEEZZNS1_9scan_implILNS1_25lookback_scan_determinismE0ELb0ELb0ES3_PKdPddZZZN2at6native31launch_logcumsumexp_cuda_kernelERKNSB_10TensorBaseESF_lENKUlvE_clEvENKUlvE_clEvEUlddE_dEEDaPvRmT3_T4_T5_mT6_P12ihipStream_tbENKUlT_T0_E_clISt17integral_constantIbLb1EESW_EEDaSR_SS_EUlSR_E0_NS1_11comp_targetILNS1_3genE8ELNS1_11target_archE1030ELNS1_3gpuE2ELNS1_3repE0EEENS1_30default_config_static_selectorELNS0_4arch9wavefront6targetE1EEEvT1_,"axG",@progbits,_ZN7rocprim17ROCPRIM_400000_NS6detail17trampoline_kernelINS0_14default_configENS1_20scan_config_selectorIdEEZZNS1_9scan_implILNS1_25lookback_scan_determinismE0ELb0ELb0ES3_PKdPddZZZN2at6native31launch_logcumsumexp_cuda_kernelERKNSB_10TensorBaseESF_lENKUlvE_clEvENKUlvE_clEvEUlddE_dEEDaPvRmT3_T4_T5_mT6_P12ihipStream_tbENKUlT_T0_E_clISt17integral_constantIbLb1EESW_EEDaSR_SS_EUlSR_E0_NS1_11comp_targetILNS1_3genE8ELNS1_11target_archE1030ELNS1_3gpuE2ELNS1_3repE0EEENS1_30default_config_static_selectorELNS0_4arch9wavefront6targetE1EEEvT1_,comdat
.Lfunc_end45:
	.size	_ZN7rocprim17ROCPRIM_400000_NS6detail17trampoline_kernelINS0_14default_configENS1_20scan_config_selectorIdEEZZNS1_9scan_implILNS1_25lookback_scan_determinismE0ELb0ELb0ES3_PKdPddZZZN2at6native31launch_logcumsumexp_cuda_kernelERKNSB_10TensorBaseESF_lENKUlvE_clEvENKUlvE_clEvEUlddE_dEEDaPvRmT3_T4_T5_mT6_P12ihipStream_tbENKUlT_T0_E_clISt17integral_constantIbLb1EESW_EEDaSR_SS_EUlSR_E0_NS1_11comp_targetILNS1_3genE8ELNS1_11target_archE1030ELNS1_3gpuE2ELNS1_3repE0EEENS1_30default_config_static_selectorELNS0_4arch9wavefront6targetE1EEEvT1_, .Lfunc_end45-_ZN7rocprim17ROCPRIM_400000_NS6detail17trampoline_kernelINS0_14default_configENS1_20scan_config_selectorIdEEZZNS1_9scan_implILNS1_25lookback_scan_determinismE0ELb0ELb0ES3_PKdPddZZZN2at6native31launch_logcumsumexp_cuda_kernelERKNSB_10TensorBaseESF_lENKUlvE_clEvENKUlvE_clEvEUlddE_dEEDaPvRmT3_T4_T5_mT6_P12ihipStream_tbENKUlT_T0_E_clISt17integral_constantIbLb1EESW_EEDaSR_SS_EUlSR_E0_NS1_11comp_targetILNS1_3genE8ELNS1_11target_archE1030ELNS1_3gpuE2ELNS1_3repE0EEENS1_30default_config_static_selectorELNS0_4arch9wavefront6targetE1EEEvT1_
                                        ; -- End function
	.set _ZN7rocprim17ROCPRIM_400000_NS6detail17trampoline_kernelINS0_14default_configENS1_20scan_config_selectorIdEEZZNS1_9scan_implILNS1_25lookback_scan_determinismE0ELb0ELb0ES3_PKdPddZZZN2at6native31launch_logcumsumexp_cuda_kernelERKNSB_10TensorBaseESF_lENKUlvE_clEvENKUlvE_clEvEUlddE_dEEDaPvRmT3_T4_T5_mT6_P12ihipStream_tbENKUlT_T0_E_clISt17integral_constantIbLb1EESW_EEDaSR_SS_EUlSR_E0_NS1_11comp_targetILNS1_3genE8ELNS1_11target_archE1030ELNS1_3gpuE2ELNS1_3repE0EEENS1_30default_config_static_selectorELNS0_4arch9wavefront6targetE1EEEvT1_.num_vgpr, 0
	.set _ZN7rocprim17ROCPRIM_400000_NS6detail17trampoline_kernelINS0_14default_configENS1_20scan_config_selectorIdEEZZNS1_9scan_implILNS1_25lookback_scan_determinismE0ELb0ELb0ES3_PKdPddZZZN2at6native31launch_logcumsumexp_cuda_kernelERKNSB_10TensorBaseESF_lENKUlvE_clEvENKUlvE_clEvEUlddE_dEEDaPvRmT3_T4_T5_mT6_P12ihipStream_tbENKUlT_T0_E_clISt17integral_constantIbLb1EESW_EEDaSR_SS_EUlSR_E0_NS1_11comp_targetILNS1_3genE8ELNS1_11target_archE1030ELNS1_3gpuE2ELNS1_3repE0EEENS1_30default_config_static_selectorELNS0_4arch9wavefront6targetE1EEEvT1_.num_agpr, 0
	.set _ZN7rocprim17ROCPRIM_400000_NS6detail17trampoline_kernelINS0_14default_configENS1_20scan_config_selectorIdEEZZNS1_9scan_implILNS1_25lookback_scan_determinismE0ELb0ELb0ES3_PKdPddZZZN2at6native31launch_logcumsumexp_cuda_kernelERKNSB_10TensorBaseESF_lENKUlvE_clEvENKUlvE_clEvEUlddE_dEEDaPvRmT3_T4_T5_mT6_P12ihipStream_tbENKUlT_T0_E_clISt17integral_constantIbLb1EESW_EEDaSR_SS_EUlSR_E0_NS1_11comp_targetILNS1_3genE8ELNS1_11target_archE1030ELNS1_3gpuE2ELNS1_3repE0EEENS1_30default_config_static_selectorELNS0_4arch9wavefront6targetE1EEEvT1_.numbered_sgpr, 0
	.set _ZN7rocprim17ROCPRIM_400000_NS6detail17trampoline_kernelINS0_14default_configENS1_20scan_config_selectorIdEEZZNS1_9scan_implILNS1_25lookback_scan_determinismE0ELb0ELb0ES3_PKdPddZZZN2at6native31launch_logcumsumexp_cuda_kernelERKNSB_10TensorBaseESF_lENKUlvE_clEvENKUlvE_clEvEUlddE_dEEDaPvRmT3_T4_T5_mT6_P12ihipStream_tbENKUlT_T0_E_clISt17integral_constantIbLb1EESW_EEDaSR_SS_EUlSR_E0_NS1_11comp_targetILNS1_3genE8ELNS1_11target_archE1030ELNS1_3gpuE2ELNS1_3repE0EEENS1_30default_config_static_selectorELNS0_4arch9wavefront6targetE1EEEvT1_.num_named_barrier, 0
	.set _ZN7rocprim17ROCPRIM_400000_NS6detail17trampoline_kernelINS0_14default_configENS1_20scan_config_selectorIdEEZZNS1_9scan_implILNS1_25lookback_scan_determinismE0ELb0ELb0ES3_PKdPddZZZN2at6native31launch_logcumsumexp_cuda_kernelERKNSB_10TensorBaseESF_lENKUlvE_clEvENKUlvE_clEvEUlddE_dEEDaPvRmT3_T4_T5_mT6_P12ihipStream_tbENKUlT_T0_E_clISt17integral_constantIbLb1EESW_EEDaSR_SS_EUlSR_E0_NS1_11comp_targetILNS1_3genE8ELNS1_11target_archE1030ELNS1_3gpuE2ELNS1_3repE0EEENS1_30default_config_static_selectorELNS0_4arch9wavefront6targetE1EEEvT1_.private_seg_size, 0
	.set _ZN7rocprim17ROCPRIM_400000_NS6detail17trampoline_kernelINS0_14default_configENS1_20scan_config_selectorIdEEZZNS1_9scan_implILNS1_25lookback_scan_determinismE0ELb0ELb0ES3_PKdPddZZZN2at6native31launch_logcumsumexp_cuda_kernelERKNSB_10TensorBaseESF_lENKUlvE_clEvENKUlvE_clEvEUlddE_dEEDaPvRmT3_T4_T5_mT6_P12ihipStream_tbENKUlT_T0_E_clISt17integral_constantIbLb1EESW_EEDaSR_SS_EUlSR_E0_NS1_11comp_targetILNS1_3genE8ELNS1_11target_archE1030ELNS1_3gpuE2ELNS1_3repE0EEENS1_30default_config_static_selectorELNS0_4arch9wavefront6targetE1EEEvT1_.uses_vcc, 0
	.set _ZN7rocprim17ROCPRIM_400000_NS6detail17trampoline_kernelINS0_14default_configENS1_20scan_config_selectorIdEEZZNS1_9scan_implILNS1_25lookback_scan_determinismE0ELb0ELb0ES3_PKdPddZZZN2at6native31launch_logcumsumexp_cuda_kernelERKNSB_10TensorBaseESF_lENKUlvE_clEvENKUlvE_clEvEUlddE_dEEDaPvRmT3_T4_T5_mT6_P12ihipStream_tbENKUlT_T0_E_clISt17integral_constantIbLb1EESW_EEDaSR_SS_EUlSR_E0_NS1_11comp_targetILNS1_3genE8ELNS1_11target_archE1030ELNS1_3gpuE2ELNS1_3repE0EEENS1_30default_config_static_selectorELNS0_4arch9wavefront6targetE1EEEvT1_.uses_flat_scratch, 0
	.set _ZN7rocprim17ROCPRIM_400000_NS6detail17trampoline_kernelINS0_14default_configENS1_20scan_config_selectorIdEEZZNS1_9scan_implILNS1_25lookback_scan_determinismE0ELb0ELb0ES3_PKdPddZZZN2at6native31launch_logcumsumexp_cuda_kernelERKNSB_10TensorBaseESF_lENKUlvE_clEvENKUlvE_clEvEUlddE_dEEDaPvRmT3_T4_T5_mT6_P12ihipStream_tbENKUlT_T0_E_clISt17integral_constantIbLb1EESW_EEDaSR_SS_EUlSR_E0_NS1_11comp_targetILNS1_3genE8ELNS1_11target_archE1030ELNS1_3gpuE2ELNS1_3repE0EEENS1_30default_config_static_selectorELNS0_4arch9wavefront6targetE1EEEvT1_.has_dyn_sized_stack, 0
	.set _ZN7rocprim17ROCPRIM_400000_NS6detail17trampoline_kernelINS0_14default_configENS1_20scan_config_selectorIdEEZZNS1_9scan_implILNS1_25lookback_scan_determinismE0ELb0ELb0ES3_PKdPddZZZN2at6native31launch_logcumsumexp_cuda_kernelERKNSB_10TensorBaseESF_lENKUlvE_clEvENKUlvE_clEvEUlddE_dEEDaPvRmT3_T4_T5_mT6_P12ihipStream_tbENKUlT_T0_E_clISt17integral_constantIbLb1EESW_EEDaSR_SS_EUlSR_E0_NS1_11comp_targetILNS1_3genE8ELNS1_11target_archE1030ELNS1_3gpuE2ELNS1_3repE0EEENS1_30default_config_static_selectorELNS0_4arch9wavefront6targetE1EEEvT1_.has_recursion, 0
	.set _ZN7rocprim17ROCPRIM_400000_NS6detail17trampoline_kernelINS0_14default_configENS1_20scan_config_selectorIdEEZZNS1_9scan_implILNS1_25lookback_scan_determinismE0ELb0ELb0ES3_PKdPddZZZN2at6native31launch_logcumsumexp_cuda_kernelERKNSB_10TensorBaseESF_lENKUlvE_clEvENKUlvE_clEvEUlddE_dEEDaPvRmT3_T4_T5_mT6_P12ihipStream_tbENKUlT_T0_E_clISt17integral_constantIbLb1EESW_EEDaSR_SS_EUlSR_E0_NS1_11comp_targetILNS1_3genE8ELNS1_11target_archE1030ELNS1_3gpuE2ELNS1_3repE0EEENS1_30default_config_static_selectorELNS0_4arch9wavefront6targetE1EEEvT1_.has_indirect_call, 0
	.section	.AMDGPU.csdata,"",@progbits
; Kernel info:
; codeLenInByte = 0
; TotalNumSgprs: 4
; NumVgprs: 0
; ScratchSize: 0
; MemoryBound: 0
; FloatMode: 240
; IeeeMode: 1
; LDSByteSize: 0 bytes/workgroup (compile time only)
; SGPRBlocks: 0
; VGPRBlocks: 0
; NumSGPRsForWavesPerEU: 4
; NumVGPRsForWavesPerEU: 1
; Occupancy: 10
; WaveLimiterHint : 0
; COMPUTE_PGM_RSRC2:SCRATCH_EN: 0
; COMPUTE_PGM_RSRC2:USER_SGPR: 6
; COMPUTE_PGM_RSRC2:TRAP_HANDLER: 0
; COMPUTE_PGM_RSRC2:TGID_X_EN: 1
; COMPUTE_PGM_RSRC2:TGID_Y_EN: 0
; COMPUTE_PGM_RSRC2:TGID_Z_EN: 0
; COMPUTE_PGM_RSRC2:TIDIG_COMP_CNT: 0
	.section	.text._ZN7rocprim17ROCPRIM_400000_NS6detail31init_lookback_scan_state_kernelINS1_19lookback_scan_stateIdLb1ELb1EEENS1_16block_id_wrapperIjLb0EEEEEvT_jT0_jPNS7_10value_typeE,"axG",@progbits,_ZN7rocprim17ROCPRIM_400000_NS6detail31init_lookback_scan_state_kernelINS1_19lookback_scan_stateIdLb1ELb1EEENS1_16block_id_wrapperIjLb0EEEEEvT_jT0_jPNS7_10value_typeE,comdat
	.protected	_ZN7rocprim17ROCPRIM_400000_NS6detail31init_lookback_scan_state_kernelINS1_19lookback_scan_stateIdLb1ELb1EEENS1_16block_id_wrapperIjLb0EEEEEvT_jT0_jPNS7_10value_typeE ; -- Begin function _ZN7rocprim17ROCPRIM_400000_NS6detail31init_lookback_scan_state_kernelINS1_19lookback_scan_stateIdLb1ELb1EEENS1_16block_id_wrapperIjLb0EEEEEvT_jT0_jPNS7_10value_typeE
	.globl	_ZN7rocprim17ROCPRIM_400000_NS6detail31init_lookback_scan_state_kernelINS1_19lookback_scan_stateIdLb1ELb1EEENS1_16block_id_wrapperIjLb0EEEEEvT_jT0_jPNS7_10value_typeE
	.p2align	8
	.type	_ZN7rocprim17ROCPRIM_400000_NS6detail31init_lookback_scan_state_kernelINS1_19lookback_scan_stateIdLb1ELb1EEENS1_16block_id_wrapperIjLb0EEEEEvT_jT0_jPNS7_10value_typeE,@function
_ZN7rocprim17ROCPRIM_400000_NS6detail31init_lookback_scan_state_kernelINS1_19lookback_scan_stateIdLb1ELb1EEENS1_16block_id_wrapperIjLb0EEEEEvT_jT0_jPNS7_10value_typeE: ; @_ZN7rocprim17ROCPRIM_400000_NS6detail31init_lookback_scan_state_kernelINS1_19lookback_scan_stateIdLb1ELb1EEENS1_16block_id_wrapperIjLb0EEEEEvT_jT0_jPNS7_10value_typeE
; %bb.0:
	s_load_dword s7, s[4:5], 0x2c
	s_load_dwordx2 s[2:3], s[4:5], 0x18
	s_load_dwordx2 s[0:1], s[4:5], 0x0
	s_load_dword s12, s[4:5], 0x8
	s_waitcnt lgkmcnt(0)
	s_and_b32 s7, s7, 0xffff
	s_mul_i32 s6, s6, s7
	s_cmp_eq_u64 s[2:3], 0
	v_add_u32_e32 v0, s6, v0
	s_cbranch_scc1 .LBB46_10
; %bb.1:
	s_load_dword s6, s[4:5], 0x10
	s_mov_b32 s7, 0
	s_waitcnt lgkmcnt(0)
	s_cmp_lt_u32 s6, s12
	s_cselect_b32 s4, s6, 0
	v_cmp_eq_u32_e32 vcc, s4, v0
	s_and_saveexec_b64 s[4:5], vcc
	s_cbranch_execz .LBB46_9
; %bb.2:
	s_add_i32 s6, s6, 64
	s_lshl_b64 s[6:7], s[6:7], 4
	s_add_u32 s10, s0, s6
	s_addc_u32 s11, s1, s7
	v_mov_b32_e32 v1, s10
	v_mov_b32_e32 v2, s11
	;;#ASMSTART
	global_load_dwordx4 v[1:4], v[1:2] off glc	
s_waitcnt vmcnt(0)
	;;#ASMEND
	v_and_b32_e32 v4, 0xff, v3
	v_mov_b32_e32 v5, 0
	v_cmp_eq_u64_e32 vcc, 0, v[4:5]
	s_mov_b64 s[8:9], 0
	s_and_saveexec_b64 s[6:7], vcc
	s_cbranch_execz .LBB46_8
; %bb.3:
	v_mov_b32_e32 v6, s10
	s_mov_b32 s13, 1
	v_mov_b32_e32 v7, s11
.LBB46_4:                               ; =>This Loop Header: Depth=1
                                        ;     Child Loop BB46_5 Depth 2
	s_mov_b32 s10, s13
.LBB46_5:                               ;   Parent Loop BB46_4 Depth=1
                                        ; =>  This Inner Loop Header: Depth=2
	s_add_i32 s10, s10, -1
	s_cmp_eq_u32 s10, 0
	s_sleep 1
	s_cbranch_scc0 .LBB46_5
; %bb.6:                                ;   in Loop: Header=BB46_4 Depth=1
	s_cmp_lt_u32 s13, 32
	;;#ASMSTART
	global_load_dwordx4 v[1:4], v[6:7] off glc	
s_waitcnt vmcnt(0)
	;;#ASMEND
	s_cselect_b64 s[10:11], -1, 0
	v_and_b32_e32 v4, 0xff, v3
	s_cmp_lg_u64 s[10:11], 0
	v_cmp_ne_u64_e32 vcc, 0, v[4:5]
	s_addc_u32 s13, s13, 0
	s_or_b64 s[8:9], vcc, s[8:9]
	s_andn2_b64 exec, exec, s[8:9]
	s_cbranch_execnz .LBB46_4
; %bb.7:
	s_or_b64 exec, exec, s[8:9]
.LBB46_8:
	s_or_b64 exec, exec, s[6:7]
	v_mov_b32_e32 v3, 0
	global_store_dwordx2 v3, v[1:2], s[2:3]
.LBB46_9:
	s_or_b64 exec, exec, s[4:5]
.LBB46_10:
	v_cmp_gt_u32_e32 vcc, s12, v0
	s_and_saveexec_b64 s[2:3], vcc
	s_cbranch_execnz .LBB46_13
; %bb.11:
	s_or_b64 exec, exec, s[2:3]
	v_cmp_gt_u32_e32 vcc, 64, v0
	s_and_saveexec_b64 s[2:3], vcc
	s_cbranch_execnz .LBB46_14
.LBB46_12:
	s_endpgm
.LBB46_13:
	v_add_u32_e32 v1, 64, v0
	v_mov_b32_e32 v2, 0
	v_lshlrev_b64 v[3:4], 4, v[1:2]
	v_mov_b32_e32 v1, s1
	v_add_co_u32_e32 v5, vcc, s0, v3
	v_addc_co_u32_e32 v6, vcc, v1, v4, vcc
	v_mov_b32_e32 v1, v2
	v_mov_b32_e32 v3, v2
	;; [unrolled: 1-line block ×3, first 2 shown]
	global_store_dwordx4 v[5:6], v[1:4], off
	s_or_b64 exec, exec, s[2:3]
	v_cmp_gt_u32_e32 vcc, 64, v0
	s_and_saveexec_b64 s[2:3], vcc
	s_cbranch_execz .LBB46_12
.LBB46_14:
	v_mov_b32_e32 v1, 0
	v_lshlrev_b64 v[2:3], 4, v[0:1]
	v_mov_b32_e32 v0, s1
	v_add_co_u32_e32 v4, vcc, s0, v2
	v_addc_co_u32_e32 v5, vcc, v0, v3, vcc
	v_mov_b32_e32 v2, 0xff
	v_mov_b32_e32 v0, v1
	v_mov_b32_e32 v3, v1
	global_store_dwordx4 v[4:5], v[0:3], off
	s_endpgm
	.section	.rodata,"a",@progbits
	.p2align	6, 0x0
	.amdhsa_kernel _ZN7rocprim17ROCPRIM_400000_NS6detail31init_lookback_scan_state_kernelINS1_19lookback_scan_stateIdLb1ELb1EEENS1_16block_id_wrapperIjLb0EEEEEvT_jT0_jPNS7_10value_typeE
		.amdhsa_group_segment_fixed_size 0
		.amdhsa_private_segment_fixed_size 0
		.amdhsa_kernarg_size 288
		.amdhsa_user_sgpr_count 6
		.amdhsa_user_sgpr_private_segment_buffer 1
		.amdhsa_user_sgpr_dispatch_ptr 0
		.amdhsa_user_sgpr_queue_ptr 0
		.amdhsa_user_sgpr_kernarg_segment_ptr 1
		.amdhsa_user_sgpr_dispatch_id 0
		.amdhsa_user_sgpr_flat_scratch_init 0
		.amdhsa_user_sgpr_private_segment_size 0
		.amdhsa_uses_dynamic_stack 0
		.amdhsa_system_sgpr_private_segment_wavefront_offset 0
		.amdhsa_system_sgpr_workgroup_id_x 1
		.amdhsa_system_sgpr_workgroup_id_y 0
		.amdhsa_system_sgpr_workgroup_id_z 0
		.amdhsa_system_sgpr_workgroup_info 0
		.amdhsa_system_vgpr_workitem_id 0
		.amdhsa_next_free_vgpr 8
		.amdhsa_next_free_sgpr 14
		.amdhsa_reserve_vcc 1
		.amdhsa_reserve_flat_scratch 0
		.amdhsa_float_round_mode_32 0
		.amdhsa_float_round_mode_16_64 0
		.amdhsa_float_denorm_mode_32 3
		.amdhsa_float_denorm_mode_16_64 3
		.amdhsa_dx10_clamp 1
		.amdhsa_ieee_mode 1
		.amdhsa_fp16_overflow 0
		.amdhsa_exception_fp_ieee_invalid_op 0
		.amdhsa_exception_fp_denorm_src 0
		.amdhsa_exception_fp_ieee_div_zero 0
		.amdhsa_exception_fp_ieee_overflow 0
		.amdhsa_exception_fp_ieee_underflow 0
		.amdhsa_exception_fp_ieee_inexact 0
		.amdhsa_exception_int_div_zero 0
	.end_amdhsa_kernel
	.section	.text._ZN7rocprim17ROCPRIM_400000_NS6detail31init_lookback_scan_state_kernelINS1_19lookback_scan_stateIdLb1ELb1EEENS1_16block_id_wrapperIjLb0EEEEEvT_jT0_jPNS7_10value_typeE,"axG",@progbits,_ZN7rocprim17ROCPRIM_400000_NS6detail31init_lookback_scan_state_kernelINS1_19lookback_scan_stateIdLb1ELb1EEENS1_16block_id_wrapperIjLb0EEEEEvT_jT0_jPNS7_10value_typeE,comdat
.Lfunc_end46:
	.size	_ZN7rocprim17ROCPRIM_400000_NS6detail31init_lookback_scan_state_kernelINS1_19lookback_scan_stateIdLb1ELb1EEENS1_16block_id_wrapperIjLb0EEEEEvT_jT0_jPNS7_10value_typeE, .Lfunc_end46-_ZN7rocprim17ROCPRIM_400000_NS6detail31init_lookback_scan_state_kernelINS1_19lookback_scan_stateIdLb1ELb1EEENS1_16block_id_wrapperIjLb0EEEEEvT_jT0_jPNS7_10value_typeE
                                        ; -- End function
	.set _ZN7rocprim17ROCPRIM_400000_NS6detail31init_lookback_scan_state_kernelINS1_19lookback_scan_stateIdLb1ELb1EEENS1_16block_id_wrapperIjLb0EEEEEvT_jT0_jPNS7_10value_typeE.num_vgpr, 8
	.set _ZN7rocprim17ROCPRIM_400000_NS6detail31init_lookback_scan_state_kernelINS1_19lookback_scan_stateIdLb1ELb1EEENS1_16block_id_wrapperIjLb0EEEEEvT_jT0_jPNS7_10value_typeE.num_agpr, 0
	.set _ZN7rocprim17ROCPRIM_400000_NS6detail31init_lookback_scan_state_kernelINS1_19lookback_scan_stateIdLb1ELb1EEENS1_16block_id_wrapperIjLb0EEEEEvT_jT0_jPNS7_10value_typeE.numbered_sgpr, 14
	.set _ZN7rocprim17ROCPRIM_400000_NS6detail31init_lookback_scan_state_kernelINS1_19lookback_scan_stateIdLb1ELb1EEENS1_16block_id_wrapperIjLb0EEEEEvT_jT0_jPNS7_10value_typeE.num_named_barrier, 0
	.set _ZN7rocprim17ROCPRIM_400000_NS6detail31init_lookback_scan_state_kernelINS1_19lookback_scan_stateIdLb1ELb1EEENS1_16block_id_wrapperIjLb0EEEEEvT_jT0_jPNS7_10value_typeE.private_seg_size, 0
	.set _ZN7rocprim17ROCPRIM_400000_NS6detail31init_lookback_scan_state_kernelINS1_19lookback_scan_stateIdLb1ELb1EEENS1_16block_id_wrapperIjLb0EEEEEvT_jT0_jPNS7_10value_typeE.uses_vcc, 1
	.set _ZN7rocprim17ROCPRIM_400000_NS6detail31init_lookback_scan_state_kernelINS1_19lookback_scan_stateIdLb1ELb1EEENS1_16block_id_wrapperIjLb0EEEEEvT_jT0_jPNS7_10value_typeE.uses_flat_scratch, 0
	.set _ZN7rocprim17ROCPRIM_400000_NS6detail31init_lookback_scan_state_kernelINS1_19lookback_scan_stateIdLb1ELb1EEENS1_16block_id_wrapperIjLb0EEEEEvT_jT0_jPNS7_10value_typeE.has_dyn_sized_stack, 0
	.set _ZN7rocprim17ROCPRIM_400000_NS6detail31init_lookback_scan_state_kernelINS1_19lookback_scan_stateIdLb1ELb1EEENS1_16block_id_wrapperIjLb0EEEEEvT_jT0_jPNS7_10value_typeE.has_recursion, 0
	.set _ZN7rocprim17ROCPRIM_400000_NS6detail31init_lookback_scan_state_kernelINS1_19lookback_scan_stateIdLb1ELb1EEENS1_16block_id_wrapperIjLb0EEEEEvT_jT0_jPNS7_10value_typeE.has_indirect_call, 0
	.section	.AMDGPU.csdata,"",@progbits
; Kernel info:
; codeLenInByte = 424
; TotalNumSgprs: 18
; NumVgprs: 8
; ScratchSize: 0
; MemoryBound: 0
; FloatMode: 240
; IeeeMode: 1
; LDSByteSize: 0 bytes/workgroup (compile time only)
; SGPRBlocks: 2
; VGPRBlocks: 1
; NumSGPRsForWavesPerEU: 18
; NumVGPRsForWavesPerEU: 8
; Occupancy: 10
; WaveLimiterHint : 0
; COMPUTE_PGM_RSRC2:SCRATCH_EN: 0
; COMPUTE_PGM_RSRC2:USER_SGPR: 6
; COMPUTE_PGM_RSRC2:TRAP_HANDLER: 0
; COMPUTE_PGM_RSRC2:TGID_X_EN: 1
; COMPUTE_PGM_RSRC2:TGID_Y_EN: 0
; COMPUTE_PGM_RSRC2:TGID_Z_EN: 0
; COMPUTE_PGM_RSRC2:TIDIG_COMP_CNT: 0
	.section	.text._ZN7rocprim17ROCPRIM_400000_NS6detail17trampoline_kernelINS0_14default_configENS1_20scan_config_selectorIdEEZZNS1_9scan_implILNS1_25lookback_scan_determinismE0ELb0ELb0ES3_PKdPddZZZN2at6native31launch_logcumsumexp_cuda_kernelERKNSB_10TensorBaseESF_lENKUlvE_clEvENKUlvE_clEvEUlddE_dEEDaPvRmT3_T4_T5_mT6_P12ihipStream_tbENKUlT_T0_E_clISt17integral_constantIbLb1EESV_IbLb0EEEEDaSR_SS_EUlSR_E_NS1_11comp_targetILNS1_3genE0ELNS1_11target_archE4294967295ELNS1_3gpuE0ELNS1_3repE0EEENS1_30default_config_static_selectorELNS0_4arch9wavefront6targetE1EEEvT1_,"axG",@progbits,_ZN7rocprim17ROCPRIM_400000_NS6detail17trampoline_kernelINS0_14default_configENS1_20scan_config_selectorIdEEZZNS1_9scan_implILNS1_25lookback_scan_determinismE0ELb0ELb0ES3_PKdPddZZZN2at6native31launch_logcumsumexp_cuda_kernelERKNSB_10TensorBaseESF_lENKUlvE_clEvENKUlvE_clEvEUlddE_dEEDaPvRmT3_T4_T5_mT6_P12ihipStream_tbENKUlT_T0_E_clISt17integral_constantIbLb1EESV_IbLb0EEEEDaSR_SS_EUlSR_E_NS1_11comp_targetILNS1_3genE0ELNS1_11target_archE4294967295ELNS1_3gpuE0ELNS1_3repE0EEENS1_30default_config_static_selectorELNS0_4arch9wavefront6targetE1EEEvT1_,comdat
	.globl	_ZN7rocprim17ROCPRIM_400000_NS6detail17trampoline_kernelINS0_14default_configENS1_20scan_config_selectorIdEEZZNS1_9scan_implILNS1_25lookback_scan_determinismE0ELb0ELb0ES3_PKdPddZZZN2at6native31launch_logcumsumexp_cuda_kernelERKNSB_10TensorBaseESF_lENKUlvE_clEvENKUlvE_clEvEUlddE_dEEDaPvRmT3_T4_T5_mT6_P12ihipStream_tbENKUlT_T0_E_clISt17integral_constantIbLb1EESV_IbLb0EEEEDaSR_SS_EUlSR_E_NS1_11comp_targetILNS1_3genE0ELNS1_11target_archE4294967295ELNS1_3gpuE0ELNS1_3repE0EEENS1_30default_config_static_selectorELNS0_4arch9wavefront6targetE1EEEvT1_ ; -- Begin function _ZN7rocprim17ROCPRIM_400000_NS6detail17trampoline_kernelINS0_14default_configENS1_20scan_config_selectorIdEEZZNS1_9scan_implILNS1_25lookback_scan_determinismE0ELb0ELb0ES3_PKdPddZZZN2at6native31launch_logcumsumexp_cuda_kernelERKNSB_10TensorBaseESF_lENKUlvE_clEvENKUlvE_clEvEUlddE_dEEDaPvRmT3_T4_T5_mT6_P12ihipStream_tbENKUlT_T0_E_clISt17integral_constantIbLb1EESV_IbLb0EEEEDaSR_SS_EUlSR_E_NS1_11comp_targetILNS1_3genE0ELNS1_11target_archE4294967295ELNS1_3gpuE0ELNS1_3repE0EEENS1_30default_config_static_selectorELNS0_4arch9wavefront6targetE1EEEvT1_
	.p2align	8
	.type	_ZN7rocprim17ROCPRIM_400000_NS6detail17trampoline_kernelINS0_14default_configENS1_20scan_config_selectorIdEEZZNS1_9scan_implILNS1_25lookback_scan_determinismE0ELb0ELb0ES3_PKdPddZZZN2at6native31launch_logcumsumexp_cuda_kernelERKNSB_10TensorBaseESF_lENKUlvE_clEvENKUlvE_clEvEUlddE_dEEDaPvRmT3_T4_T5_mT6_P12ihipStream_tbENKUlT_T0_E_clISt17integral_constantIbLb1EESV_IbLb0EEEEDaSR_SS_EUlSR_E_NS1_11comp_targetILNS1_3genE0ELNS1_11target_archE4294967295ELNS1_3gpuE0ELNS1_3repE0EEENS1_30default_config_static_selectorELNS0_4arch9wavefront6targetE1EEEvT1_,@function
_ZN7rocprim17ROCPRIM_400000_NS6detail17trampoline_kernelINS0_14default_configENS1_20scan_config_selectorIdEEZZNS1_9scan_implILNS1_25lookback_scan_determinismE0ELb0ELb0ES3_PKdPddZZZN2at6native31launch_logcumsumexp_cuda_kernelERKNSB_10TensorBaseESF_lENKUlvE_clEvENKUlvE_clEvEUlddE_dEEDaPvRmT3_T4_T5_mT6_P12ihipStream_tbENKUlT_T0_E_clISt17integral_constantIbLb1EESV_IbLb0EEEEDaSR_SS_EUlSR_E_NS1_11comp_targetILNS1_3genE0ELNS1_11target_archE4294967295ELNS1_3gpuE0ELNS1_3repE0EEENS1_30default_config_static_selectorELNS0_4arch9wavefront6targetE1EEEvT1_: ; @_ZN7rocprim17ROCPRIM_400000_NS6detail17trampoline_kernelINS0_14default_configENS1_20scan_config_selectorIdEEZZNS1_9scan_implILNS1_25lookback_scan_determinismE0ELb0ELb0ES3_PKdPddZZZN2at6native31launch_logcumsumexp_cuda_kernelERKNSB_10TensorBaseESF_lENKUlvE_clEvENKUlvE_clEvEUlddE_dEEDaPvRmT3_T4_T5_mT6_P12ihipStream_tbENKUlT_T0_E_clISt17integral_constantIbLb1EESV_IbLb0EEEEDaSR_SS_EUlSR_E_NS1_11comp_targetILNS1_3genE0ELNS1_11target_archE4294967295ELNS1_3gpuE0ELNS1_3repE0EEENS1_30default_config_static_selectorELNS0_4arch9wavefront6targetE1EEEvT1_
; %bb.0:
	.section	.rodata,"a",@progbits
	.p2align	6, 0x0
	.amdhsa_kernel _ZN7rocprim17ROCPRIM_400000_NS6detail17trampoline_kernelINS0_14default_configENS1_20scan_config_selectorIdEEZZNS1_9scan_implILNS1_25lookback_scan_determinismE0ELb0ELb0ES3_PKdPddZZZN2at6native31launch_logcumsumexp_cuda_kernelERKNSB_10TensorBaseESF_lENKUlvE_clEvENKUlvE_clEvEUlddE_dEEDaPvRmT3_T4_T5_mT6_P12ihipStream_tbENKUlT_T0_E_clISt17integral_constantIbLb1EESV_IbLb0EEEEDaSR_SS_EUlSR_E_NS1_11comp_targetILNS1_3genE0ELNS1_11target_archE4294967295ELNS1_3gpuE0ELNS1_3repE0EEENS1_30default_config_static_selectorELNS0_4arch9wavefront6targetE1EEEvT1_
		.amdhsa_group_segment_fixed_size 0
		.amdhsa_private_segment_fixed_size 0
		.amdhsa_kernarg_size 104
		.amdhsa_user_sgpr_count 6
		.amdhsa_user_sgpr_private_segment_buffer 1
		.amdhsa_user_sgpr_dispatch_ptr 0
		.amdhsa_user_sgpr_queue_ptr 0
		.amdhsa_user_sgpr_kernarg_segment_ptr 1
		.amdhsa_user_sgpr_dispatch_id 0
		.amdhsa_user_sgpr_flat_scratch_init 0
		.amdhsa_user_sgpr_private_segment_size 0
		.amdhsa_uses_dynamic_stack 0
		.amdhsa_system_sgpr_private_segment_wavefront_offset 0
		.amdhsa_system_sgpr_workgroup_id_x 1
		.amdhsa_system_sgpr_workgroup_id_y 0
		.amdhsa_system_sgpr_workgroup_id_z 0
		.amdhsa_system_sgpr_workgroup_info 0
		.amdhsa_system_vgpr_workitem_id 0
		.amdhsa_next_free_vgpr 1
		.amdhsa_next_free_sgpr 0
		.amdhsa_reserve_vcc 0
		.amdhsa_reserve_flat_scratch 0
		.amdhsa_float_round_mode_32 0
		.amdhsa_float_round_mode_16_64 0
		.amdhsa_float_denorm_mode_32 3
		.amdhsa_float_denorm_mode_16_64 3
		.amdhsa_dx10_clamp 1
		.amdhsa_ieee_mode 1
		.amdhsa_fp16_overflow 0
		.amdhsa_exception_fp_ieee_invalid_op 0
		.amdhsa_exception_fp_denorm_src 0
		.amdhsa_exception_fp_ieee_div_zero 0
		.amdhsa_exception_fp_ieee_overflow 0
		.amdhsa_exception_fp_ieee_underflow 0
		.amdhsa_exception_fp_ieee_inexact 0
		.amdhsa_exception_int_div_zero 0
	.end_amdhsa_kernel
	.section	.text._ZN7rocprim17ROCPRIM_400000_NS6detail17trampoline_kernelINS0_14default_configENS1_20scan_config_selectorIdEEZZNS1_9scan_implILNS1_25lookback_scan_determinismE0ELb0ELb0ES3_PKdPddZZZN2at6native31launch_logcumsumexp_cuda_kernelERKNSB_10TensorBaseESF_lENKUlvE_clEvENKUlvE_clEvEUlddE_dEEDaPvRmT3_T4_T5_mT6_P12ihipStream_tbENKUlT_T0_E_clISt17integral_constantIbLb1EESV_IbLb0EEEEDaSR_SS_EUlSR_E_NS1_11comp_targetILNS1_3genE0ELNS1_11target_archE4294967295ELNS1_3gpuE0ELNS1_3repE0EEENS1_30default_config_static_selectorELNS0_4arch9wavefront6targetE1EEEvT1_,"axG",@progbits,_ZN7rocprim17ROCPRIM_400000_NS6detail17trampoline_kernelINS0_14default_configENS1_20scan_config_selectorIdEEZZNS1_9scan_implILNS1_25lookback_scan_determinismE0ELb0ELb0ES3_PKdPddZZZN2at6native31launch_logcumsumexp_cuda_kernelERKNSB_10TensorBaseESF_lENKUlvE_clEvENKUlvE_clEvEUlddE_dEEDaPvRmT3_T4_T5_mT6_P12ihipStream_tbENKUlT_T0_E_clISt17integral_constantIbLb1EESV_IbLb0EEEEDaSR_SS_EUlSR_E_NS1_11comp_targetILNS1_3genE0ELNS1_11target_archE4294967295ELNS1_3gpuE0ELNS1_3repE0EEENS1_30default_config_static_selectorELNS0_4arch9wavefront6targetE1EEEvT1_,comdat
.Lfunc_end47:
	.size	_ZN7rocprim17ROCPRIM_400000_NS6detail17trampoline_kernelINS0_14default_configENS1_20scan_config_selectorIdEEZZNS1_9scan_implILNS1_25lookback_scan_determinismE0ELb0ELb0ES3_PKdPddZZZN2at6native31launch_logcumsumexp_cuda_kernelERKNSB_10TensorBaseESF_lENKUlvE_clEvENKUlvE_clEvEUlddE_dEEDaPvRmT3_T4_T5_mT6_P12ihipStream_tbENKUlT_T0_E_clISt17integral_constantIbLb1EESV_IbLb0EEEEDaSR_SS_EUlSR_E_NS1_11comp_targetILNS1_3genE0ELNS1_11target_archE4294967295ELNS1_3gpuE0ELNS1_3repE0EEENS1_30default_config_static_selectorELNS0_4arch9wavefront6targetE1EEEvT1_, .Lfunc_end47-_ZN7rocprim17ROCPRIM_400000_NS6detail17trampoline_kernelINS0_14default_configENS1_20scan_config_selectorIdEEZZNS1_9scan_implILNS1_25lookback_scan_determinismE0ELb0ELb0ES3_PKdPddZZZN2at6native31launch_logcumsumexp_cuda_kernelERKNSB_10TensorBaseESF_lENKUlvE_clEvENKUlvE_clEvEUlddE_dEEDaPvRmT3_T4_T5_mT6_P12ihipStream_tbENKUlT_T0_E_clISt17integral_constantIbLb1EESV_IbLb0EEEEDaSR_SS_EUlSR_E_NS1_11comp_targetILNS1_3genE0ELNS1_11target_archE4294967295ELNS1_3gpuE0ELNS1_3repE0EEENS1_30default_config_static_selectorELNS0_4arch9wavefront6targetE1EEEvT1_
                                        ; -- End function
	.set _ZN7rocprim17ROCPRIM_400000_NS6detail17trampoline_kernelINS0_14default_configENS1_20scan_config_selectorIdEEZZNS1_9scan_implILNS1_25lookback_scan_determinismE0ELb0ELb0ES3_PKdPddZZZN2at6native31launch_logcumsumexp_cuda_kernelERKNSB_10TensorBaseESF_lENKUlvE_clEvENKUlvE_clEvEUlddE_dEEDaPvRmT3_T4_T5_mT6_P12ihipStream_tbENKUlT_T0_E_clISt17integral_constantIbLb1EESV_IbLb0EEEEDaSR_SS_EUlSR_E_NS1_11comp_targetILNS1_3genE0ELNS1_11target_archE4294967295ELNS1_3gpuE0ELNS1_3repE0EEENS1_30default_config_static_selectorELNS0_4arch9wavefront6targetE1EEEvT1_.num_vgpr, 0
	.set _ZN7rocprim17ROCPRIM_400000_NS6detail17trampoline_kernelINS0_14default_configENS1_20scan_config_selectorIdEEZZNS1_9scan_implILNS1_25lookback_scan_determinismE0ELb0ELb0ES3_PKdPddZZZN2at6native31launch_logcumsumexp_cuda_kernelERKNSB_10TensorBaseESF_lENKUlvE_clEvENKUlvE_clEvEUlddE_dEEDaPvRmT3_T4_T5_mT6_P12ihipStream_tbENKUlT_T0_E_clISt17integral_constantIbLb1EESV_IbLb0EEEEDaSR_SS_EUlSR_E_NS1_11comp_targetILNS1_3genE0ELNS1_11target_archE4294967295ELNS1_3gpuE0ELNS1_3repE0EEENS1_30default_config_static_selectorELNS0_4arch9wavefront6targetE1EEEvT1_.num_agpr, 0
	.set _ZN7rocprim17ROCPRIM_400000_NS6detail17trampoline_kernelINS0_14default_configENS1_20scan_config_selectorIdEEZZNS1_9scan_implILNS1_25lookback_scan_determinismE0ELb0ELb0ES3_PKdPddZZZN2at6native31launch_logcumsumexp_cuda_kernelERKNSB_10TensorBaseESF_lENKUlvE_clEvENKUlvE_clEvEUlddE_dEEDaPvRmT3_T4_T5_mT6_P12ihipStream_tbENKUlT_T0_E_clISt17integral_constantIbLb1EESV_IbLb0EEEEDaSR_SS_EUlSR_E_NS1_11comp_targetILNS1_3genE0ELNS1_11target_archE4294967295ELNS1_3gpuE0ELNS1_3repE0EEENS1_30default_config_static_selectorELNS0_4arch9wavefront6targetE1EEEvT1_.numbered_sgpr, 0
	.set _ZN7rocprim17ROCPRIM_400000_NS6detail17trampoline_kernelINS0_14default_configENS1_20scan_config_selectorIdEEZZNS1_9scan_implILNS1_25lookback_scan_determinismE0ELb0ELb0ES3_PKdPddZZZN2at6native31launch_logcumsumexp_cuda_kernelERKNSB_10TensorBaseESF_lENKUlvE_clEvENKUlvE_clEvEUlddE_dEEDaPvRmT3_T4_T5_mT6_P12ihipStream_tbENKUlT_T0_E_clISt17integral_constantIbLb1EESV_IbLb0EEEEDaSR_SS_EUlSR_E_NS1_11comp_targetILNS1_3genE0ELNS1_11target_archE4294967295ELNS1_3gpuE0ELNS1_3repE0EEENS1_30default_config_static_selectorELNS0_4arch9wavefront6targetE1EEEvT1_.num_named_barrier, 0
	.set _ZN7rocprim17ROCPRIM_400000_NS6detail17trampoline_kernelINS0_14default_configENS1_20scan_config_selectorIdEEZZNS1_9scan_implILNS1_25lookback_scan_determinismE0ELb0ELb0ES3_PKdPddZZZN2at6native31launch_logcumsumexp_cuda_kernelERKNSB_10TensorBaseESF_lENKUlvE_clEvENKUlvE_clEvEUlddE_dEEDaPvRmT3_T4_T5_mT6_P12ihipStream_tbENKUlT_T0_E_clISt17integral_constantIbLb1EESV_IbLb0EEEEDaSR_SS_EUlSR_E_NS1_11comp_targetILNS1_3genE0ELNS1_11target_archE4294967295ELNS1_3gpuE0ELNS1_3repE0EEENS1_30default_config_static_selectorELNS0_4arch9wavefront6targetE1EEEvT1_.private_seg_size, 0
	.set _ZN7rocprim17ROCPRIM_400000_NS6detail17trampoline_kernelINS0_14default_configENS1_20scan_config_selectorIdEEZZNS1_9scan_implILNS1_25lookback_scan_determinismE0ELb0ELb0ES3_PKdPddZZZN2at6native31launch_logcumsumexp_cuda_kernelERKNSB_10TensorBaseESF_lENKUlvE_clEvENKUlvE_clEvEUlddE_dEEDaPvRmT3_T4_T5_mT6_P12ihipStream_tbENKUlT_T0_E_clISt17integral_constantIbLb1EESV_IbLb0EEEEDaSR_SS_EUlSR_E_NS1_11comp_targetILNS1_3genE0ELNS1_11target_archE4294967295ELNS1_3gpuE0ELNS1_3repE0EEENS1_30default_config_static_selectorELNS0_4arch9wavefront6targetE1EEEvT1_.uses_vcc, 0
	.set _ZN7rocprim17ROCPRIM_400000_NS6detail17trampoline_kernelINS0_14default_configENS1_20scan_config_selectorIdEEZZNS1_9scan_implILNS1_25lookback_scan_determinismE0ELb0ELb0ES3_PKdPddZZZN2at6native31launch_logcumsumexp_cuda_kernelERKNSB_10TensorBaseESF_lENKUlvE_clEvENKUlvE_clEvEUlddE_dEEDaPvRmT3_T4_T5_mT6_P12ihipStream_tbENKUlT_T0_E_clISt17integral_constantIbLb1EESV_IbLb0EEEEDaSR_SS_EUlSR_E_NS1_11comp_targetILNS1_3genE0ELNS1_11target_archE4294967295ELNS1_3gpuE0ELNS1_3repE0EEENS1_30default_config_static_selectorELNS0_4arch9wavefront6targetE1EEEvT1_.uses_flat_scratch, 0
	.set _ZN7rocprim17ROCPRIM_400000_NS6detail17trampoline_kernelINS0_14default_configENS1_20scan_config_selectorIdEEZZNS1_9scan_implILNS1_25lookback_scan_determinismE0ELb0ELb0ES3_PKdPddZZZN2at6native31launch_logcumsumexp_cuda_kernelERKNSB_10TensorBaseESF_lENKUlvE_clEvENKUlvE_clEvEUlddE_dEEDaPvRmT3_T4_T5_mT6_P12ihipStream_tbENKUlT_T0_E_clISt17integral_constantIbLb1EESV_IbLb0EEEEDaSR_SS_EUlSR_E_NS1_11comp_targetILNS1_3genE0ELNS1_11target_archE4294967295ELNS1_3gpuE0ELNS1_3repE0EEENS1_30default_config_static_selectorELNS0_4arch9wavefront6targetE1EEEvT1_.has_dyn_sized_stack, 0
	.set _ZN7rocprim17ROCPRIM_400000_NS6detail17trampoline_kernelINS0_14default_configENS1_20scan_config_selectorIdEEZZNS1_9scan_implILNS1_25lookback_scan_determinismE0ELb0ELb0ES3_PKdPddZZZN2at6native31launch_logcumsumexp_cuda_kernelERKNSB_10TensorBaseESF_lENKUlvE_clEvENKUlvE_clEvEUlddE_dEEDaPvRmT3_T4_T5_mT6_P12ihipStream_tbENKUlT_T0_E_clISt17integral_constantIbLb1EESV_IbLb0EEEEDaSR_SS_EUlSR_E_NS1_11comp_targetILNS1_3genE0ELNS1_11target_archE4294967295ELNS1_3gpuE0ELNS1_3repE0EEENS1_30default_config_static_selectorELNS0_4arch9wavefront6targetE1EEEvT1_.has_recursion, 0
	.set _ZN7rocprim17ROCPRIM_400000_NS6detail17trampoline_kernelINS0_14default_configENS1_20scan_config_selectorIdEEZZNS1_9scan_implILNS1_25lookback_scan_determinismE0ELb0ELb0ES3_PKdPddZZZN2at6native31launch_logcumsumexp_cuda_kernelERKNSB_10TensorBaseESF_lENKUlvE_clEvENKUlvE_clEvEUlddE_dEEDaPvRmT3_T4_T5_mT6_P12ihipStream_tbENKUlT_T0_E_clISt17integral_constantIbLb1EESV_IbLb0EEEEDaSR_SS_EUlSR_E_NS1_11comp_targetILNS1_3genE0ELNS1_11target_archE4294967295ELNS1_3gpuE0ELNS1_3repE0EEENS1_30default_config_static_selectorELNS0_4arch9wavefront6targetE1EEEvT1_.has_indirect_call, 0
	.section	.AMDGPU.csdata,"",@progbits
; Kernel info:
; codeLenInByte = 0
; TotalNumSgprs: 4
; NumVgprs: 0
; ScratchSize: 0
; MemoryBound: 0
; FloatMode: 240
; IeeeMode: 1
; LDSByteSize: 0 bytes/workgroup (compile time only)
; SGPRBlocks: 0
; VGPRBlocks: 0
; NumSGPRsForWavesPerEU: 4
; NumVGPRsForWavesPerEU: 1
; Occupancy: 10
; WaveLimiterHint : 0
; COMPUTE_PGM_RSRC2:SCRATCH_EN: 0
; COMPUTE_PGM_RSRC2:USER_SGPR: 6
; COMPUTE_PGM_RSRC2:TRAP_HANDLER: 0
; COMPUTE_PGM_RSRC2:TGID_X_EN: 1
; COMPUTE_PGM_RSRC2:TGID_Y_EN: 0
; COMPUTE_PGM_RSRC2:TGID_Z_EN: 0
; COMPUTE_PGM_RSRC2:TIDIG_COMP_CNT: 0
	.section	.text._ZN7rocprim17ROCPRIM_400000_NS6detail17trampoline_kernelINS0_14default_configENS1_20scan_config_selectorIdEEZZNS1_9scan_implILNS1_25lookback_scan_determinismE0ELb0ELb0ES3_PKdPddZZZN2at6native31launch_logcumsumexp_cuda_kernelERKNSB_10TensorBaseESF_lENKUlvE_clEvENKUlvE_clEvEUlddE_dEEDaPvRmT3_T4_T5_mT6_P12ihipStream_tbENKUlT_T0_E_clISt17integral_constantIbLb1EESV_IbLb0EEEEDaSR_SS_EUlSR_E_NS1_11comp_targetILNS1_3genE5ELNS1_11target_archE942ELNS1_3gpuE9ELNS1_3repE0EEENS1_30default_config_static_selectorELNS0_4arch9wavefront6targetE1EEEvT1_,"axG",@progbits,_ZN7rocprim17ROCPRIM_400000_NS6detail17trampoline_kernelINS0_14default_configENS1_20scan_config_selectorIdEEZZNS1_9scan_implILNS1_25lookback_scan_determinismE0ELb0ELb0ES3_PKdPddZZZN2at6native31launch_logcumsumexp_cuda_kernelERKNSB_10TensorBaseESF_lENKUlvE_clEvENKUlvE_clEvEUlddE_dEEDaPvRmT3_T4_T5_mT6_P12ihipStream_tbENKUlT_T0_E_clISt17integral_constantIbLb1EESV_IbLb0EEEEDaSR_SS_EUlSR_E_NS1_11comp_targetILNS1_3genE5ELNS1_11target_archE942ELNS1_3gpuE9ELNS1_3repE0EEENS1_30default_config_static_selectorELNS0_4arch9wavefront6targetE1EEEvT1_,comdat
	.globl	_ZN7rocprim17ROCPRIM_400000_NS6detail17trampoline_kernelINS0_14default_configENS1_20scan_config_selectorIdEEZZNS1_9scan_implILNS1_25lookback_scan_determinismE0ELb0ELb0ES3_PKdPddZZZN2at6native31launch_logcumsumexp_cuda_kernelERKNSB_10TensorBaseESF_lENKUlvE_clEvENKUlvE_clEvEUlddE_dEEDaPvRmT3_T4_T5_mT6_P12ihipStream_tbENKUlT_T0_E_clISt17integral_constantIbLb1EESV_IbLb0EEEEDaSR_SS_EUlSR_E_NS1_11comp_targetILNS1_3genE5ELNS1_11target_archE942ELNS1_3gpuE9ELNS1_3repE0EEENS1_30default_config_static_selectorELNS0_4arch9wavefront6targetE1EEEvT1_ ; -- Begin function _ZN7rocprim17ROCPRIM_400000_NS6detail17trampoline_kernelINS0_14default_configENS1_20scan_config_selectorIdEEZZNS1_9scan_implILNS1_25lookback_scan_determinismE0ELb0ELb0ES3_PKdPddZZZN2at6native31launch_logcumsumexp_cuda_kernelERKNSB_10TensorBaseESF_lENKUlvE_clEvENKUlvE_clEvEUlddE_dEEDaPvRmT3_T4_T5_mT6_P12ihipStream_tbENKUlT_T0_E_clISt17integral_constantIbLb1EESV_IbLb0EEEEDaSR_SS_EUlSR_E_NS1_11comp_targetILNS1_3genE5ELNS1_11target_archE942ELNS1_3gpuE9ELNS1_3repE0EEENS1_30default_config_static_selectorELNS0_4arch9wavefront6targetE1EEEvT1_
	.p2align	8
	.type	_ZN7rocprim17ROCPRIM_400000_NS6detail17trampoline_kernelINS0_14default_configENS1_20scan_config_selectorIdEEZZNS1_9scan_implILNS1_25lookback_scan_determinismE0ELb0ELb0ES3_PKdPddZZZN2at6native31launch_logcumsumexp_cuda_kernelERKNSB_10TensorBaseESF_lENKUlvE_clEvENKUlvE_clEvEUlddE_dEEDaPvRmT3_T4_T5_mT6_P12ihipStream_tbENKUlT_T0_E_clISt17integral_constantIbLb1EESV_IbLb0EEEEDaSR_SS_EUlSR_E_NS1_11comp_targetILNS1_3genE5ELNS1_11target_archE942ELNS1_3gpuE9ELNS1_3repE0EEENS1_30default_config_static_selectorELNS0_4arch9wavefront6targetE1EEEvT1_,@function
_ZN7rocprim17ROCPRIM_400000_NS6detail17trampoline_kernelINS0_14default_configENS1_20scan_config_selectorIdEEZZNS1_9scan_implILNS1_25lookback_scan_determinismE0ELb0ELb0ES3_PKdPddZZZN2at6native31launch_logcumsumexp_cuda_kernelERKNSB_10TensorBaseESF_lENKUlvE_clEvENKUlvE_clEvEUlddE_dEEDaPvRmT3_T4_T5_mT6_P12ihipStream_tbENKUlT_T0_E_clISt17integral_constantIbLb1EESV_IbLb0EEEEDaSR_SS_EUlSR_E_NS1_11comp_targetILNS1_3genE5ELNS1_11target_archE942ELNS1_3gpuE9ELNS1_3repE0EEENS1_30default_config_static_selectorELNS0_4arch9wavefront6targetE1EEEvT1_: ; @_ZN7rocprim17ROCPRIM_400000_NS6detail17trampoline_kernelINS0_14default_configENS1_20scan_config_selectorIdEEZZNS1_9scan_implILNS1_25lookback_scan_determinismE0ELb0ELb0ES3_PKdPddZZZN2at6native31launch_logcumsumexp_cuda_kernelERKNSB_10TensorBaseESF_lENKUlvE_clEvENKUlvE_clEvEUlddE_dEEDaPvRmT3_T4_T5_mT6_P12ihipStream_tbENKUlT_T0_E_clISt17integral_constantIbLb1EESV_IbLb0EEEEDaSR_SS_EUlSR_E_NS1_11comp_targetILNS1_3genE5ELNS1_11target_archE942ELNS1_3gpuE9ELNS1_3repE0EEENS1_30default_config_static_selectorELNS0_4arch9wavefront6targetE1EEEvT1_
; %bb.0:
	.section	.rodata,"a",@progbits
	.p2align	6, 0x0
	.amdhsa_kernel _ZN7rocprim17ROCPRIM_400000_NS6detail17trampoline_kernelINS0_14default_configENS1_20scan_config_selectorIdEEZZNS1_9scan_implILNS1_25lookback_scan_determinismE0ELb0ELb0ES3_PKdPddZZZN2at6native31launch_logcumsumexp_cuda_kernelERKNSB_10TensorBaseESF_lENKUlvE_clEvENKUlvE_clEvEUlddE_dEEDaPvRmT3_T4_T5_mT6_P12ihipStream_tbENKUlT_T0_E_clISt17integral_constantIbLb1EESV_IbLb0EEEEDaSR_SS_EUlSR_E_NS1_11comp_targetILNS1_3genE5ELNS1_11target_archE942ELNS1_3gpuE9ELNS1_3repE0EEENS1_30default_config_static_selectorELNS0_4arch9wavefront6targetE1EEEvT1_
		.amdhsa_group_segment_fixed_size 0
		.amdhsa_private_segment_fixed_size 0
		.amdhsa_kernarg_size 104
		.amdhsa_user_sgpr_count 6
		.amdhsa_user_sgpr_private_segment_buffer 1
		.amdhsa_user_sgpr_dispatch_ptr 0
		.amdhsa_user_sgpr_queue_ptr 0
		.amdhsa_user_sgpr_kernarg_segment_ptr 1
		.amdhsa_user_sgpr_dispatch_id 0
		.amdhsa_user_sgpr_flat_scratch_init 0
		.amdhsa_user_sgpr_private_segment_size 0
		.amdhsa_uses_dynamic_stack 0
		.amdhsa_system_sgpr_private_segment_wavefront_offset 0
		.amdhsa_system_sgpr_workgroup_id_x 1
		.amdhsa_system_sgpr_workgroup_id_y 0
		.amdhsa_system_sgpr_workgroup_id_z 0
		.amdhsa_system_sgpr_workgroup_info 0
		.amdhsa_system_vgpr_workitem_id 0
		.amdhsa_next_free_vgpr 1
		.amdhsa_next_free_sgpr 0
		.amdhsa_reserve_vcc 0
		.amdhsa_reserve_flat_scratch 0
		.amdhsa_float_round_mode_32 0
		.amdhsa_float_round_mode_16_64 0
		.amdhsa_float_denorm_mode_32 3
		.amdhsa_float_denorm_mode_16_64 3
		.amdhsa_dx10_clamp 1
		.amdhsa_ieee_mode 1
		.amdhsa_fp16_overflow 0
		.amdhsa_exception_fp_ieee_invalid_op 0
		.amdhsa_exception_fp_denorm_src 0
		.amdhsa_exception_fp_ieee_div_zero 0
		.amdhsa_exception_fp_ieee_overflow 0
		.amdhsa_exception_fp_ieee_underflow 0
		.amdhsa_exception_fp_ieee_inexact 0
		.amdhsa_exception_int_div_zero 0
	.end_amdhsa_kernel
	.section	.text._ZN7rocprim17ROCPRIM_400000_NS6detail17trampoline_kernelINS0_14default_configENS1_20scan_config_selectorIdEEZZNS1_9scan_implILNS1_25lookback_scan_determinismE0ELb0ELb0ES3_PKdPddZZZN2at6native31launch_logcumsumexp_cuda_kernelERKNSB_10TensorBaseESF_lENKUlvE_clEvENKUlvE_clEvEUlddE_dEEDaPvRmT3_T4_T5_mT6_P12ihipStream_tbENKUlT_T0_E_clISt17integral_constantIbLb1EESV_IbLb0EEEEDaSR_SS_EUlSR_E_NS1_11comp_targetILNS1_3genE5ELNS1_11target_archE942ELNS1_3gpuE9ELNS1_3repE0EEENS1_30default_config_static_selectorELNS0_4arch9wavefront6targetE1EEEvT1_,"axG",@progbits,_ZN7rocprim17ROCPRIM_400000_NS6detail17trampoline_kernelINS0_14default_configENS1_20scan_config_selectorIdEEZZNS1_9scan_implILNS1_25lookback_scan_determinismE0ELb0ELb0ES3_PKdPddZZZN2at6native31launch_logcumsumexp_cuda_kernelERKNSB_10TensorBaseESF_lENKUlvE_clEvENKUlvE_clEvEUlddE_dEEDaPvRmT3_T4_T5_mT6_P12ihipStream_tbENKUlT_T0_E_clISt17integral_constantIbLb1EESV_IbLb0EEEEDaSR_SS_EUlSR_E_NS1_11comp_targetILNS1_3genE5ELNS1_11target_archE942ELNS1_3gpuE9ELNS1_3repE0EEENS1_30default_config_static_selectorELNS0_4arch9wavefront6targetE1EEEvT1_,comdat
.Lfunc_end48:
	.size	_ZN7rocprim17ROCPRIM_400000_NS6detail17trampoline_kernelINS0_14default_configENS1_20scan_config_selectorIdEEZZNS1_9scan_implILNS1_25lookback_scan_determinismE0ELb0ELb0ES3_PKdPddZZZN2at6native31launch_logcumsumexp_cuda_kernelERKNSB_10TensorBaseESF_lENKUlvE_clEvENKUlvE_clEvEUlddE_dEEDaPvRmT3_T4_T5_mT6_P12ihipStream_tbENKUlT_T0_E_clISt17integral_constantIbLb1EESV_IbLb0EEEEDaSR_SS_EUlSR_E_NS1_11comp_targetILNS1_3genE5ELNS1_11target_archE942ELNS1_3gpuE9ELNS1_3repE0EEENS1_30default_config_static_selectorELNS0_4arch9wavefront6targetE1EEEvT1_, .Lfunc_end48-_ZN7rocprim17ROCPRIM_400000_NS6detail17trampoline_kernelINS0_14default_configENS1_20scan_config_selectorIdEEZZNS1_9scan_implILNS1_25lookback_scan_determinismE0ELb0ELb0ES3_PKdPddZZZN2at6native31launch_logcumsumexp_cuda_kernelERKNSB_10TensorBaseESF_lENKUlvE_clEvENKUlvE_clEvEUlddE_dEEDaPvRmT3_T4_T5_mT6_P12ihipStream_tbENKUlT_T0_E_clISt17integral_constantIbLb1EESV_IbLb0EEEEDaSR_SS_EUlSR_E_NS1_11comp_targetILNS1_3genE5ELNS1_11target_archE942ELNS1_3gpuE9ELNS1_3repE0EEENS1_30default_config_static_selectorELNS0_4arch9wavefront6targetE1EEEvT1_
                                        ; -- End function
	.set _ZN7rocprim17ROCPRIM_400000_NS6detail17trampoline_kernelINS0_14default_configENS1_20scan_config_selectorIdEEZZNS1_9scan_implILNS1_25lookback_scan_determinismE0ELb0ELb0ES3_PKdPddZZZN2at6native31launch_logcumsumexp_cuda_kernelERKNSB_10TensorBaseESF_lENKUlvE_clEvENKUlvE_clEvEUlddE_dEEDaPvRmT3_T4_T5_mT6_P12ihipStream_tbENKUlT_T0_E_clISt17integral_constantIbLb1EESV_IbLb0EEEEDaSR_SS_EUlSR_E_NS1_11comp_targetILNS1_3genE5ELNS1_11target_archE942ELNS1_3gpuE9ELNS1_3repE0EEENS1_30default_config_static_selectorELNS0_4arch9wavefront6targetE1EEEvT1_.num_vgpr, 0
	.set _ZN7rocprim17ROCPRIM_400000_NS6detail17trampoline_kernelINS0_14default_configENS1_20scan_config_selectorIdEEZZNS1_9scan_implILNS1_25lookback_scan_determinismE0ELb0ELb0ES3_PKdPddZZZN2at6native31launch_logcumsumexp_cuda_kernelERKNSB_10TensorBaseESF_lENKUlvE_clEvENKUlvE_clEvEUlddE_dEEDaPvRmT3_T4_T5_mT6_P12ihipStream_tbENKUlT_T0_E_clISt17integral_constantIbLb1EESV_IbLb0EEEEDaSR_SS_EUlSR_E_NS1_11comp_targetILNS1_3genE5ELNS1_11target_archE942ELNS1_3gpuE9ELNS1_3repE0EEENS1_30default_config_static_selectorELNS0_4arch9wavefront6targetE1EEEvT1_.num_agpr, 0
	.set _ZN7rocprim17ROCPRIM_400000_NS6detail17trampoline_kernelINS0_14default_configENS1_20scan_config_selectorIdEEZZNS1_9scan_implILNS1_25lookback_scan_determinismE0ELb0ELb0ES3_PKdPddZZZN2at6native31launch_logcumsumexp_cuda_kernelERKNSB_10TensorBaseESF_lENKUlvE_clEvENKUlvE_clEvEUlddE_dEEDaPvRmT3_T4_T5_mT6_P12ihipStream_tbENKUlT_T0_E_clISt17integral_constantIbLb1EESV_IbLb0EEEEDaSR_SS_EUlSR_E_NS1_11comp_targetILNS1_3genE5ELNS1_11target_archE942ELNS1_3gpuE9ELNS1_3repE0EEENS1_30default_config_static_selectorELNS0_4arch9wavefront6targetE1EEEvT1_.numbered_sgpr, 0
	.set _ZN7rocprim17ROCPRIM_400000_NS6detail17trampoline_kernelINS0_14default_configENS1_20scan_config_selectorIdEEZZNS1_9scan_implILNS1_25lookback_scan_determinismE0ELb0ELb0ES3_PKdPddZZZN2at6native31launch_logcumsumexp_cuda_kernelERKNSB_10TensorBaseESF_lENKUlvE_clEvENKUlvE_clEvEUlddE_dEEDaPvRmT3_T4_T5_mT6_P12ihipStream_tbENKUlT_T0_E_clISt17integral_constantIbLb1EESV_IbLb0EEEEDaSR_SS_EUlSR_E_NS1_11comp_targetILNS1_3genE5ELNS1_11target_archE942ELNS1_3gpuE9ELNS1_3repE0EEENS1_30default_config_static_selectorELNS0_4arch9wavefront6targetE1EEEvT1_.num_named_barrier, 0
	.set _ZN7rocprim17ROCPRIM_400000_NS6detail17trampoline_kernelINS0_14default_configENS1_20scan_config_selectorIdEEZZNS1_9scan_implILNS1_25lookback_scan_determinismE0ELb0ELb0ES3_PKdPddZZZN2at6native31launch_logcumsumexp_cuda_kernelERKNSB_10TensorBaseESF_lENKUlvE_clEvENKUlvE_clEvEUlddE_dEEDaPvRmT3_T4_T5_mT6_P12ihipStream_tbENKUlT_T0_E_clISt17integral_constantIbLb1EESV_IbLb0EEEEDaSR_SS_EUlSR_E_NS1_11comp_targetILNS1_3genE5ELNS1_11target_archE942ELNS1_3gpuE9ELNS1_3repE0EEENS1_30default_config_static_selectorELNS0_4arch9wavefront6targetE1EEEvT1_.private_seg_size, 0
	.set _ZN7rocprim17ROCPRIM_400000_NS6detail17trampoline_kernelINS0_14default_configENS1_20scan_config_selectorIdEEZZNS1_9scan_implILNS1_25lookback_scan_determinismE0ELb0ELb0ES3_PKdPddZZZN2at6native31launch_logcumsumexp_cuda_kernelERKNSB_10TensorBaseESF_lENKUlvE_clEvENKUlvE_clEvEUlddE_dEEDaPvRmT3_T4_T5_mT6_P12ihipStream_tbENKUlT_T0_E_clISt17integral_constantIbLb1EESV_IbLb0EEEEDaSR_SS_EUlSR_E_NS1_11comp_targetILNS1_3genE5ELNS1_11target_archE942ELNS1_3gpuE9ELNS1_3repE0EEENS1_30default_config_static_selectorELNS0_4arch9wavefront6targetE1EEEvT1_.uses_vcc, 0
	.set _ZN7rocprim17ROCPRIM_400000_NS6detail17trampoline_kernelINS0_14default_configENS1_20scan_config_selectorIdEEZZNS1_9scan_implILNS1_25lookback_scan_determinismE0ELb0ELb0ES3_PKdPddZZZN2at6native31launch_logcumsumexp_cuda_kernelERKNSB_10TensorBaseESF_lENKUlvE_clEvENKUlvE_clEvEUlddE_dEEDaPvRmT3_T4_T5_mT6_P12ihipStream_tbENKUlT_T0_E_clISt17integral_constantIbLb1EESV_IbLb0EEEEDaSR_SS_EUlSR_E_NS1_11comp_targetILNS1_3genE5ELNS1_11target_archE942ELNS1_3gpuE9ELNS1_3repE0EEENS1_30default_config_static_selectorELNS0_4arch9wavefront6targetE1EEEvT1_.uses_flat_scratch, 0
	.set _ZN7rocprim17ROCPRIM_400000_NS6detail17trampoline_kernelINS0_14default_configENS1_20scan_config_selectorIdEEZZNS1_9scan_implILNS1_25lookback_scan_determinismE0ELb0ELb0ES3_PKdPddZZZN2at6native31launch_logcumsumexp_cuda_kernelERKNSB_10TensorBaseESF_lENKUlvE_clEvENKUlvE_clEvEUlddE_dEEDaPvRmT3_T4_T5_mT6_P12ihipStream_tbENKUlT_T0_E_clISt17integral_constantIbLb1EESV_IbLb0EEEEDaSR_SS_EUlSR_E_NS1_11comp_targetILNS1_3genE5ELNS1_11target_archE942ELNS1_3gpuE9ELNS1_3repE0EEENS1_30default_config_static_selectorELNS0_4arch9wavefront6targetE1EEEvT1_.has_dyn_sized_stack, 0
	.set _ZN7rocprim17ROCPRIM_400000_NS6detail17trampoline_kernelINS0_14default_configENS1_20scan_config_selectorIdEEZZNS1_9scan_implILNS1_25lookback_scan_determinismE0ELb0ELb0ES3_PKdPddZZZN2at6native31launch_logcumsumexp_cuda_kernelERKNSB_10TensorBaseESF_lENKUlvE_clEvENKUlvE_clEvEUlddE_dEEDaPvRmT3_T4_T5_mT6_P12ihipStream_tbENKUlT_T0_E_clISt17integral_constantIbLb1EESV_IbLb0EEEEDaSR_SS_EUlSR_E_NS1_11comp_targetILNS1_3genE5ELNS1_11target_archE942ELNS1_3gpuE9ELNS1_3repE0EEENS1_30default_config_static_selectorELNS0_4arch9wavefront6targetE1EEEvT1_.has_recursion, 0
	.set _ZN7rocprim17ROCPRIM_400000_NS6detail17trampoline_kernelINS0_14default_configENS1_20scan_config_selectorIdEEZZNS1_9scan_implILNS1_25lookback_scan_determinismE0ELb0ELb0ES3_PKdPddZZZN2at6native31launch_logcumsumexp_cuda_kernelERKNSB_10TensorBaseESF_lENKUlvE_clEvENKUlvE_clEvEUlddE_dEEDaPvRmT3_T4_T5_mT6_P12ihipStream_tbENKUlT_T0_E_clISt17integral_constantIbLb1EESV_IbLb0EEEEDaSR_SS_EUlSR_E_NS1_11comp_targetILNS1_3genE5ELNS1_11target_archE942ELNS1_3gpuE9ELNS1_3repE0EEENS1_30default_config_static_selectorELNS0_4arch9wavefront6targetE1EEEvT1_.has_indirect_call, 0
	.section	.AMDGPU.csdata,"",@progbits
; Kernel info:
; codeLenInByte = 0
; TotalNumSgprs: 4
; NumVgprs: 0
; ScratchSize: 0
; MemoryBound: 0
; FloatMode: 240
; IeeeMode: 1
; LDSByteSize: 0 bytes/workgroup (compile time only)
; SGPRBlocks: 0
; VGPRBlocks: 0
; NumSGPRsForWavesPerEU: 4
; NumVGPRsForWavesPerEU: 1
; Occupancy: 10
; WaveLimiterHint : 0
; COMPUTE_PGM_RSRC2:SCRATCH_EN: 0
; COMPUTE_PGM_RSRC2:USER_SGPR: 6
; COMPUTE_PGM_RSRC2:TRAP_HANDLER: 0
; COMPUTE_PGM_RSRC2:TGID_X_EN: 1
; COMPUTE_PGM_RSRC2:TGID_Y_EN: 0
; COMPUTE_PGM_RSRC2:TGID_Z_EN: 0
; COMPUTE_PGM_RSRC2:TIDIG_COMP_CNT: 0
	.section	.text._ZN7rocprim17ROCPRIM_400000_NS6detail17trampoline_kernelINS0_14default_configENS1_20scan_config_selectorIdEEZZNS1_9scan_implILNS1_25lookback_scan_determinismE0ELb0ELb0ES3_PKdPddZZZN2at6native31launch_logcumsumexp_cuda_kernelERKNSB_10TensorBaseESF_lENKUlvE_clEvENKUlvE_clEvEUlddE_dEEDaPvRmT3_T4_T5_mT6_P12ihipStream_tbENKUlT_T0_E_clISt17integral_constantIbLb1EESV_IbLb0EEEEDaSR_SS_EUlSR_E_NS1_11comp_targetILNS1_3genE4ELNS1_11target_archE910ELNS1_3gpuE8ELNS1_3repE0EEENS1_30default_config_static_selectorELNS0_4arch9wavefront6targetE1EEEvT1_,"axG",@progbits,_ZN7rocprim17ROCPRIM_400000_NS6detail17trampoline_kernelINS0_14default_configENS1_20scan_config_selectorIdEEZZNS1_9scan_implILNS1_25lookback_scan_determinismE0ELb0ELb0ES3_PKdPddZZZN2at6native31launch_logcumsumexp_cuda_kernelERKNSB_10TensorBaseESF_lENKUlvE_clEvENKUlvE_clEvEUlddE_dEEDaPvRmT3_T4_T5_mT6_P12ihipStream_tbENKUlT_T0_E_clISt17integral_constantIbLb1EESV_IbLb0EEEEDaSR_SS_EUlSR_E_NS1_11comp_targetILNS1_3genE4ELNS1_11target_archE910ELNS1_3gpuE8ELNS1_3repE0EEENS1_30default_config_static_selectorELNS0_4arch9wavefront6targetE1EEEvT1_,comdat
	.globl	_ZN7rocprim17ROCPRIM_400000_NS6detail17trampoline_kernelINS0_14default_configENS1_20scan_config_selectorIdEEZZNS1_9scan_implILNS1_25lookback_scan_determinismE0ELb0ELb0ES3_PKdPddZZZN2at6native31launch_logcumsumexp_cuda_kernelERKNSB_10TensorBaseESF_lENKUlvE_clEvENKUlvE_clEvEUlddE_dEEDaPvRmT3_T4_T5_mT6_P12ihipStream_tbENKUlT_T0_E_clISt17integral_constantIbLb1EESV_IbLb0EEEEDaSR_SS_EUlSR_E_NS1_11comp_targetILNS1_3genE4ELNS1_11target_archE910ELNS1_3gpuE8ELNS1_3repE0EEENS1_30default_config_static_selectorELNS0_4arch9wavefront6targetE1EEEvT1_ ; -- Begin function _ZN7rocprim17ROCPRIM_400000_NS6detail17trampoline_kernelINS0_14default_configENS1_20scan_config_selectorIdEEZZNS1_9scan_implILNS1_25lookback_scan_determinismE0ELb0ELb0ES3_PKdPddZZZN2at6native31launch_logcumsumexp_cuda_kernelERKNSB_10TensorBaseESF_lENKUlvE_clEvENKUlvE_clEvEUlddE_dEEDaPvRmT3_T4_T5_mT6_P12ihipStream_tbENKUlT_T0_E_clISt17integral_constantIbLb1EESV_IbLb0EEEEDaSR_SS_EUlSR_E_NS1_11comp_targetILNS1_3genE4ELNS1_11target_archE910ELNS1_3gpuE8ELNS1_3repE0EEENS1_30default_config_static_selectorELNS0_4arch9wavefront6targetE1EEEvT1_
	.p2align	8
	.type	_ZN7rocprim17ROCPRIM_400000_NS6detail17trampoline_kernelINS0_14default_configENS1_20scan_config_selectorIdEEZZNS1_9scan_implILNS1_25lookback_scan_determinismE0ELb0ELb0ES3_PKdPddZZZN2at6native31launch_logcumsumexp_cuda_kernelERKNSB_10TensorBaseESF_lENKUlvE_clEvENKUlvE_clEvEUlddE_dEEDaPvRmT3_T4_T5_mT6_P12ihipStream_tbENKUlT_T0_E_clISt17integral_constantIbLb1EESV_IbLb0EEEEDaSR_SS_EUlSR_E_NS1_11comp_targetILNS1_3genE4ELNS1_11target_archE910ELNS1_3gpuE8ELNS1_3repE0EEENS1_30default_config_static_selectorELNS0_4arch9wavefront6targetE1EEEvT1_,@function
_ZN7rocprim17ROCPRIM_400000_NS6detail17trampoline_kernelINS0_14default_configENS1_20scan_config_selectorIdEEZZNS1_9scan_implILNS1_25lookback_scan_determinismE0ELb0ELb0ES3_PKdPddZZZN2at6native31launch_logcumsumexp_cuda_kernelERKNSB_10TensorBaseESF_lENKUlvE_clEvENKUlvE_clEvEUlddE_dEEDaPvRmT3_T4_T5_mT6_P12ihipStream_tbENKUlT_T0_E_clISt17integral_constantIbLb1EESV_IbLb0EEEEDaSR_SS_EUlSR_E_NS1_11comp_targetILNS1_3genE4ELNS1_11target_archE910ELNS1_3gpuE8ELNS1_3repE0EEENS1_30default_config_static_selectorELNS0_4arch9wavefront6targetE1EEEvT1_: ; @_ZN7rocprim17ROCPRIM_400000_NS6detail17trampoline_kernelINS0_14default_configENS1_20scan_config_selectorIdEEZZNS1_9scan_implILNS1_25lookback_scan_determinismE0ELb0ELb0ES3_PKdPddZZZN2at6native31launch_logcumsumexp_cuda_kernelERKNSB_10TensorBaseESF_lENKUlvE_clEvENKUlvE_clEvEUlddE_dEEDaPvRmT3_T4_T5_mT6_P12ihipStream_tbENKUlT_T0_E_clISt17integral_constantIbLb1EESV_IbLb0EEEEDaSR_SS_EUlSR_E_NS1_11comp_targetILNS1_3genE4ELNS1_11target_archE910ELNS1_3gpuE8ELNS1_3repE0EEENS1_30default_config_static_selectorELNS0_4arch9wavefront6targetE1EEEvT1_
; %bb.0:
	.section	.rodata,"a",@progbits
	.p2align	6, 0x0
	.amdhsa_kernel _ZN7rocprim17ROCPRIM_400000_NS6detail17trampoline_kernelINS0_14default_configENS1_20scan_config_selectorIdEEZZNS1_9scan_implILNS1_25lookback_scan_determinismE0ELb0ELb0ES3_PKdPddZZZN2at6native31launch_logcumsumexp_cuda_kernelERKNSB_10TensorBaseESF_lENKUlvE_clEvENKUlvE_clEvEUlddE_dEEDaPvRmT3_T4_T5_mT6_P12ihipStream_tbENKUlT_T0_E_clISt17integral_constantIbLb1EESV_IbLb0EEEEDaSR_SS_EUlSR_E_NS1_11comp_targetILNS1_3genE4ELNS1_11target_archE910ELNS1_3gpuE8ELNS1_3repE0EEENS1_30default_config_static_selectorELNS0_4arch9wavefront6targetE1EEEvT1_
		.amdhsa_group_segment_fixed_size 0
		.amdhsa_private_segment_fixed_size 0
		.amdhsa_kernarg_size 104
		.amdhsa_user_sgpr_count 6
		.amdhsa_user_sgpr_private_segment_buffer 1
		.amdhsa_user_sgpr_dispatch_ptr 0
		.amdhsa_user_sgpr_queue_ptr 0
		.amdhsa_user_sgpr_kernarg_segment_ptr 1
		.amdhsa_user_sgpr_dispatch_id 0
		.amdhsa_user_sgpr_flat_scratch_init 0
		.amdhsa_user_sgpr_private_segment_size 0
		.amdhsa_uses_dynamic_stack 0
		.amdhsa_system_sgpr_private_segment_wavefront_offset 0
		.amdhsa_system_sgpr_workgroup_id_x 1
		.amdhsa_system_sgpr_workgroup_id_y 0
		.amdhsa_system_sgpr_workgroup_id_z 0
		.amdhsa_system_sgpr_workgroup_info 0
		.amdhsa_system_vgpr_workitem_id 0
		.amdhsa_next_free_vgpr 1
		.amdhsa_next_free_sgpr 0
		.amdhsa_reserve_vcc 0
		.amdhsa_reserve_flat_scratch 0
		.amdhsa_float_round_mode_32 0
		.amdhsa_float_round_mode_16_64 0
		.amdhsa_float_denorm_mode_32 3
		.amdhsa_float_denorm_mode_16_64 3
		.amdhsa_dx10_clamp 1
		.amdhsa_ieee_mode 1
		.amdhsa_fp16_overflow 0
		.amdhsa_exception_fp_ieee_invalid_op 0
		.amdhsa_exception_fp_denorm_src 0
		.amdhsa_exception_fp_ieee_div_zero 0
		.amdhsa_exception_fp_ieee_overflow 0
		.amdhsa_exception_fp_ieee_underflow 0
		.amdhsa_exception_fp_ieee_inexact 0
		.amdhsa_exception_int_div_zero 0
	.end_amdhsa_kernel
	.section	.text._ZN7rocprim17ROCPRIM_400000_NS6detail17trampoline_kernelINS0_14default_configENS1_20scan_config_selectorIdEEZZNS1_9scan_implILNS1_25lookback_scan_determinismE0ELb0ELb0ES3_PKdPddZZZN2at6native31launch_logcumsumexp_cuda_kernelERKNSB_10TensorBaseESF_lENKUlvE_clEvENKUlvE_clEvEUlddE_dEEDaPvRmT3_T4_T5_mT6_P12ihipStream_tbENKUlT_T0_E_clISt17integral_constantIbLb1EESV_IbLb0EEEEDaSR_SS_EUlSR_E_NS1_11comp_targetILNS1_3genE4ELNS1_11target_archE910ELNS1_3gpuE8ELNS1_3repE0EEENS1_30default_config_static_selectorELNS0_4arch9wavefront6targetE1EEEvT1_,"axG",@progbits,_ZN7rocprim17ROCPRIM_400000_NS6detail17trampoline_kernelINS0_14default_configENS1_20scan_config_selectorIdEEZZNS1_9scan_implILNS1_25lookback_scan_determinismE0ELb0ELb0ES3_PKdPddZZZN2at6native31launch_logcumsumexp_cuda_kernelERKNSB_10TensorBaseESF_lENKUlvE_clEvENKUlvE_clEvEUlddE_dEEDaPvRmT3_T4_T5_mT6_P12ihipStream_tbENKUlT_T0_E_clISt17integral_constantIbLb1EESV_IbLb0EEEEDaSR_SS_EUlSR_E_NS1_11comp_targetILNS1_3genE4ELNS1_11target_archE910ELNS1_3gpuE8ELNS1_3repE0EEENS1_30default_config_static_selectorELNS0_4arch9wavefront6targetE1EEEvT1_,comdat
.Lfunc_end49:
	.size	_ZN7rocprim17ROCPRIM_400000_NS6detail17trampoline_kernelINS0_14default_configENS1_20scan_config_selectorIdEEZZNS1_9scan_implILNS1_25lookback_scan_determinismE0ELb0ELb0ES3_PKdPddZZZN2at6native31launch_logcumsumexp_cuda_kernelERKNSB_10TensorBaseESF_lENKUlvE_clEvENKUlvE_clEvEUlddE_dEEDaPvRmT3_T4_T5_mT6_P12ihipStream_tbENKUlT_T0_E_clISt17integral_constantIbLb1EESV_IbLb0EEEEDaSR_SS_EUlSR_E_NS1_11comp_targetILNS1_3genE4ELNS1_11target_archE910ELNS1_3gpuE8ELNS1_3repE0EEENS1_30default_config_static_selectorELNS0_4arch9wavefront6targetE1EEEvT1_, .Lfunc_end49-_ZN7rocprim17ROCPRIM_400000_NS6detail17trampoline_kernelINS0_14default_configENS1_20scan_config_selectorIdEEZZNS1_9scan_implILNS1_25lookback_scan_determinismE0ELb0ELb0ES3_PKdPddZZZN2at6native31launch_logcumsumexp_cuda_kernelERKNSB_10TensorBaseESF_lENKUlvE_clEvENKUlvE_clEvEUlddE_dEEDaPvRmT3_T4_T5_mT6_P12ihipStream_tbENKUlT_T0_E_clISt17integral_constantIbLb1EESV_IbLb0EEEEDaSR_SS_EUlSR_E_NS1_11comp_targetILNS1_3genE4ELNS1_11target_archE910ELNS1_3gpuE8ELNS1_3repE0EEENS1_30default_config_static_selectorELNS0_4arch9wavefront6targetE1EEEvT1_
                                        ; -- End function
	.set _ZN7rocprim17ROCPRIM_400000_NS6detail17trampoline_kernelINS0_14default_configENS1_20scan_config_selectorIdEEZZNS1_9scan_implILNS1_25lookback_scan_determinismE0ELb0ELb0ES3_PKdPddZZZN2at6native31launch_logcumsumexp_cuda_kernelERKNSB_10TensorBaseESF_lENKUlvE_clEvENKUlvE_clEvEUlddE_dEEDaPvRmT3_T4_T5_mT6_P12ihipStream_tbENKUlT_T0_E_clISt17integral_constantIbLb1EESV_IbLb0EEEEDaSR_SS_EUlSR_E_NS1_11comp_targetILNS1_3genE4ELNS1_11target_archE910ELNS1_3gpuE8ELNS1_3repE0EEENS1_30default_config_static_selectorELNS0_4arch9wavefront6targetE1EEEvT1_.num_vgpr, 0
	.set _ZN7rocprim17ROCPRIM_400000_NS6detail17trampoline_kernelINS0_14default_configENS1_20scan_config_selectorIdEEZZNS1_9scan_implILNS1_25lookback_scan_determinismE0ELb0ELb0ES3_PKdPddZZZN2at6native31launch_logcumsumexp_cuda_kernelERKNSB_10TensorBaseESF_lENKUlvE_clEvENKUlvE_clEvEUlddE_dEEDaPvRmT3_T4_T5_mT6_P12ihipStream_tbENKUlT_T0_E_clISt17integral_constantIbLb1EESV_IbLb0EEEEDaSR_SS_EUlSR_E_NS1_11comp_targetILNS1_3genE4ELNS1_11target_archE910ELNS1_3gpuE8ELNS1_3repE0EEENS1_30default_config_static_selectorELNS0_4arch9wavefront6targetE1EEEvT1_.num_agpr, 0
	.set _ZN7rocprim17ROCPRIM_400000_NS6detail17trampoline_kernelINS0_14default_configENS1_20scan_config_selectorIdEEZZNS1_9scan_implILNS1_25lookback_scan_determinismE0ELb0ELb0ES3_PKdPddZZZN2at6native31launch_logcumsumexp_cuda_kernelERKNSB_10TensorBaseESF_lENKUlvE_clEvENKUlvE_clEvEUlddE_dEEDaPvRmT3_T4_T5_mT6_P12ihipStream_tbENKUlT_T0_E_clISt17integral_constantIbLb1EESV_IbLb0EEEEDaSR_SS_EUlSR_E_NS1_11comp_targetILNS1_3genE4ELNS1_11target_archE910ELNS1_3gpuE8ELNS1_3repE0EEENS1_30default_config_static_selectorELNS0_4arch9wavefront6targetE1EEEvT1_.numbered_sgpr, 0
	.set _ZN7rocprim17ROCPRIM_400000_NS6detail17trampoline_kernelINS0_14default_configENS1_20scan_config_selectorIdEEZZNS1_9scan_implILNS1_25lookback_scan_determinismE0ELb0ELb0ES3_PKdPddZZZN2at6native31launch_logcumsumexp_cuda_kernelERKNSB_10TensorBaseESF_lENKUlvE_clEvENKUlvE_clEvEUlddE_dEEDaPvRmT3_T4_T5_mT6_P12ihipStream_tbENKUlT_T0_E_clISt17integral_constantIbLb1EESV_IbLb0EEEEDaSR_SS_EUlSR_E_NS1_11comp_targetILNS1_3genE4ELNS1_11target_archE910ELNS1_3gpuE8ELNS1_3repE0EEENS1_30default_config_static_selectorELNS0_4arch9wavefront6targetE1EEEvT1_.num_named_barrier, 0
	.set _ZN7rocprim17ROCPRIM_400000_NS6detail17trampoline_kernelINS0_14default_configENS1_20scan_config_selectorIdEEZZNS1_9scan_implILNS1_25lookback_scan_determinismE0ELb0ELb0ES3_PKdPddZZZN2at6native31launch_logcumsumexp_cuda_kernelERKNSB_10TensorBaseESF_lENKUlvE_clEvENKUlvE_clEvEUlddE_dEEDaPvRmT3_T4_T5_mT6_P12ihipStream_tbENKUlT_T0_E_clISt17integral_constantIbLb1EESV_IbLb0EEEEDaSR_SS_EUlSR_E_NS1_11comp_targetILNS1_3genE4ELNS1_11target_archE910ELNS1_3gpuE8ELNS1_3repE0EEENS1_30default_config_static_selectorELNS0_4arch9wavefront6targetE1EEEvT1_.private_seg_size, 0
	.set _ZN7rocprim17ROCPRIM_400000_NS6detail17trampoline_kernelINS0_14default_configENS1_20scan_config_selectorIdEEZZNS1_9scan_implILNS1_25lookback_scan_determinismE0ELb0ELb0ES3_PKdPddZZZN2at6native31launch_logcumsumexp_cuda_kernelERKNSB_10TensorBaseESF_lENKUlvE_clEvENKUlvE_clEvEUlddE_dEEDaPvRmT3_T4_T5_mT6_P12ihipStream_tbENKUlT_T0_E_clISt17integral_constantIbLb1EESV_IbLb0EEEEDaSR_SS_EUlSR_E_NS1_11comp_targetILNS1_3genE4ELNS1_11target_archE910ELNS1_3gpuE8ELNS1_3repE0EEENS1_30default_config_static_selectorELNS0_4arch9wavefront6targetE1EEEvT1_.uses_vcc, 0
	.set _ZN7rocprim17ROCPRIM_400000_NS6detail17trampoline_kernelINS0_14default_configENS1_20scan_config_selectorIdEEZZNS1_9scan_implILNS1_25lookback_scan_determinismE0ELb0ELb0ES3_PKdPddZZZN2at6native31launch_logcumsumexp_cuda_kernelERKNSB_10TensorBaseESF_lENKUlvE_clEvENKUlvE_clEvEUlddE_dEEDaPvRmT3_T4_T5_mT6_P12ihipStream_tbENKUlT_T0_E_clISt17integral_constantIbLb1EESV_IbLb0EEEEDaSR_SS_EUlSR_E_NS1_11comp_targetILNS1_3genE4ELNS1_11target_archE910ELNS1_3gpuE8ELNS1_3repE0EEENS1_30default_config_static_selectorELNS0_4arch9wavefront6targetE1EEEvT1_.uses_flat_scratch, 0
	.set _ZN7rocprim17ROCPRIM_400000_NS6detail17trampoline_kernelINS0_14default_configENS1_20scan_config_selectorIdEEZZNS1_9scan_implILNS1_25lookback_scan_determinismE0ELb0ELb0ES3_PKdPddZZZN2at6native31launch_logcumsumexp_cuda_kernelERKNSB_10TensorBaseESF_lENKUlvE_clEvENKUlvE_clEvEUlddE_dEEDaPvRmT3_T4_T5_mT6_P12ihipStream_tbENKUlT_T0_E_clISt17integral_constantIbLb1EESV_IbLb0EEEEDaSR_SS_EUlSR_E_NS1_11comp_targetILNS1_3genE4ELNS1_11target_archE910ELNS1_3gpuE8ELNS1_3repE0EEENS1_30default_config_static_selectorELNS0_4arch9wavefront6targetE1EEEvT1_.has_dyn_sized_stack, 0
	.set _ZN7rocprim17ROCPRIM_400000_NS6detail17trampoline_kernelINS0_14default_configENS1_20scan_config_selectorIdEEZZNS1_9scan_implILNS1_25lookback_scan_determinismE0ELb0ELb0ES3_PKdPddZZZN2at6native31launch_logcumsumexp_cuda_kernelERKNSB_10TensorBaseESF_lENKUlvE_clEvENKUlvE_clEvEUlddE_dEEDaPvRmT3_T4_T5_mT6_P12ihipStream_tbENKUlT_T0_E_clISt17integral_constantIbLb1EESV_IbLb0EEEEDaSR_SS_EUlSR_E_NS1_11comp_targetILNS1_3genE4ELNS1_11target_archE910ELNS1_3gpuE8ELNS1_3repE0EEENS1_30default_config_static_selectorELNS0_4arch9wavefront6targetE1EEEvT1_.has_recursion, 0
	.set _ZN7rocprim17ROCPRIM_400000_NS6detail17trampoline_kernelINS0_14default_configENS1_20scan_config_selectorIdEEZZNS1_9scan_implILNS1_25lookback_scan_determinismE0ELb0ELb0ES3_PKdPddZZZN2at6native31launch_logcumsumexp_cuda_kernelERKNSB_10TensorBaseESF_lENKUlvE_clEvENKUlvE_clEvEUlddE_dEEDaPvRmT3_T4_T5_mT6_P12ihipStream_tbENKUlT_T0_E_clISt17integral_constantIbLb1EESV_IbLb0EEEEDaSR_SS_EUlSR_E_NS1_11comp_targetILNS1_3genE4ELNS1_11target_archE910ELNS1_3gpuE8ELNS1_3repE0EEENS1_30default_config_static_selectorELNS0_4arch9wavefront6targetE1EEEvT1_.has_indirect_call, 0
	.section	.AMDGPU.csdata,"",@progbits
; Kernel info:
; codeLenInByte = 0
; TotalNumSgprs: 4
; NumVgprs: 0
; ScratchSize: 0
; MemoryBound: 0
; FloatMode: 240
; IeeeMode: 1
; LDSByteSize: 0 bytes/workgroup (compile time only)
; SGPRBlocks: 0
; VGPRBlocks: 0
; NumSGPRsForWavesPerEU: 4
; NumVGPRsForWavesPerEU: 1
; Occupancy: 10
; WaveLimiterHint : 0
; COMPUTE_PGM_RSRC2:SCRATCH_EN: 0
; COMPUTE_PGM_RSRC2:USER_SGPR: 6
; COMPUTE_PGM_RSRC2:TRAP_HANDLER: 0
; COMPUTE_PGM_RSRC2:TGID_X_EN: 1
; COMPUTE_PGM_RSRC2:TGID_Y_EN: 0
; COMPUTE_PGM_RSRC2:TGID_Z_EN: 0
; COMPUTE_PGM_RSRC2:TIDIG_COMP_CNT: 0
	.section	.text._ZN7rocprim17ROCPRIM_400000_NS6detail17trampoline_kernelINS0_14default_configENS1_20scan_config_selectorIdEEZZNS1_9scan_implILNS1_25lookback_scan_determinismE0ELb0ELb0ES3_PKdPddZZZN2at6native31launch_logcumsumexp_cuda_kernelERKNSB_10TensorBaseESF_lENKUlvE_clEvENKUlvE_clEvEUlddE_dEEDaPvRmT3_T4_T5_mT6_P12ihipStream_tbENKUlT_T0_E_clISt17integral_constantIbLb1EESV_IbLb0EEEEDaSR_SS_EUlSR_E_NS1_11comp_targetILNS1_3genE3ELNS1_11target_archE908ELNS1_3gpuE7ELNS1_3repE0EEENS1_30default_config_static_selectorELNS0_4arch9wavefront6targetE1EEEvT1_,"axG",@progbits,_ZN7rocprim17ROCPRIM_400000_NS6detail17trampoline_kernelINS0_14default_configENS1_20scan_config_selectorIdEEZZNS1_9scan_implILNS1_25lookback_scan_determinismE0ELb0ELb0ES3_PKdPddZZZN2at6native31launch_logcumsumexp_cuda_kernelERKNSB_10TensorBaseESF_lENKUlvE_clEvENKUlvE_clEvEUlddE_dEEDaPvRmT3_T4_T5_mT6_P12ihipStream_tbENKUlT_T0_E_clISt17integral_constantIbLb1EESV_IbLb0EEEEDaSR_SS_EUlSR_E_NS1_11comp_targetILNS1_3genE3ELNS1_11target_archE908ELNS1_3gpuE7ELNS1_3repE0EEENS1_30default_config_static_selectorELNS0_4arch9wavefront6targetE1EEEvT1_,comdat
	.globl	_ZN7rocprim17ROCPRIM_400000_NS6detail17trampoline_kernelINS0_14default_configENS1_20scan_config_selectorIdEEZZNS1_9scan_implILNS1_25lookback_scan_determinismE0ELb0ELb0ES3_PKdPddZZZN2at6native31launch_logcumsumexp_cuda_kernelERKNSB_10TensorBaseESF_lENKUlvE_clEvENKUlvE_clEvEUlddE_dEEDaPvRmT3_T4_T5_mT6_P12ihipStream_tbENKUlT_T0_E_clISt17integral_constantIbLb1EESV_IbLb0EEEEDaSR_SS_EUlSR_E_NS1_11comp_targetILNS1_3genE3ELNS1_11target_archE908ELNS1_3gpuE7ELNS1_3repE0EEENS1_30default_config_static_selectorELNS0_4arch9wavefront6targetE1EEEvT1_ ; -- Begin function _ZN7rocprim17ROCPRIM_400000_NS6detail17trampoline_kernelINS0_14default_configENS1_20scan_config_selectorIdEEZZNS1_9scan_implILNS1_25lookback_scan_determinismE0ELb0ELb0ES3_PKdPddZZZN2at6native31launch_logcumsumexp_cuda_kernelERKNSB_10TensorBaseESF_lENKUlvE_clEvENKUlvE_clEvEUlddE_dEEDaPvRmT3_T4_T5_mT6_P12ihipStream_tbENKUlT_T0_E_clISt17integral_constantIbLb1EESV_IbLb0EEEEDaSR_SS_EUlSR_E_NS1_11comp_targetILNS1_3genE3ELNS1_11target_archE908ELNS1_3gpuE7ELNS1_3repE0EEENS1_30default_config_static_selectorELNS0_4arch9wavefront6targetE1EEEvT1_
	.p2align	8
	.type	_ZN7rocprim17ROCPRIM_400000_NS6detail17trampoline_kernelINS0_14default_configENS1_20scan_config_selectorIdEEZZNS1_9scan_implILNS1_25lookback_scan_determinismE0ELb0ELb0ES3_PKdPddZZZN2at6native31launch_logcumsumexp_cuda_kernelERKNSB_10TensorBaseESF_lENKUlvE_clEvENKUlvE_clEvEUlddE_dEEDaPvRmT3_T4_T5_mT6_P12ihipStream_tbENKUlT_T0_E_clISt17integral_constantIbLb1EESV_IbLb0EEEEDaSR_SS_EUlSR_E_NS1_11comp_targetILNS1_3genE3ELNS1_11target_archE908ELNS1_3gpuE7ELNS1_3repE0EEENS1_30default_config_static_selectorELNS0_4arch9wavefront6targetE1EEEvT1_,@function
_ZN7rocprim17ROCPRIM_400000_NS6detail17trampoline_kernelINS0_14default_configENS1_20scan_config_selectorIdEEZZNS1_9scan_implILNS1_25lookback_scan_determinismE0ELb0ELb0ES3_PKdPddZZZN2at6native31launch_logcumsumexp_cuda_kernelERKNSB_10TensorBaseESF_lENKUlvE_clEvENKUlvE_clEvEUlddE_dEEDaPvRmT3_T4_T5_mT6_P12ihipStream_tbENKUlT_T0_E_clISt17integral_constantIbLb1EESV_IbLb0EEEEDaSR_SS_EUlSR_E_NS1_11comp_targetILNS1_3genE3ELNS1_11target_archE908ELNS1_3gpuE7ELNS1_3repE0EEENS1_30default_config_static_selectorELNS0_4arch9wavefront6targetE1EEEvT1_: ; @_ZN7rocprim17ROCPRIM_400000_NS6detail17trampoline_kernelINS0_14default_configENS1_20scan_config_selectorIdEEZZNS1_9scan_implILNS1_25lookback_scan_determinismE0ELb0ELb0ES3_PKdPddZZZN2at6native31launch_logcumsumexp_cuda_kernelERKNSB_10TensorBaseESF_lENKUlvE_clEvENKUlvE_clEvEUlddE_dEEDaPvRmT3_T4_T5_mT6_P12ihipStream_tbENKUlT_T0_E_clISt17integral_constantIbLb1EESV_IbLb0EEEEDaSR_SS_EUlSR_E_NS1_11comp_targetILNS1_3genE3ELNS1_11target_archE908ELNS1_3gpuE7ELNS1_3repE0EEENS1_30default_config_static_selectorELNS0_4arch9wavefront6targetE1EEEvT1_
; %bb.0:
	.section	.rodata,"a",@progbits
	.p2align	6, 0x0
	.amdhsa_kernel _ZN7rocprim17ROCPRIM_400000_NS6detail17trampoline_kernelINS0_14default_configENS1_20scan_config_selectorIdEEZZNS1_9scan_implILNS1_25lookback_scan_determinismE0ELb0ELb0ES3_PKdPddZZZN2at6native31launch_logcumsumexp_cuda_kernelERKNSB_10TensorBaseESF_lENKUlvE_clEvENKUlvE_clEvEUlddE_dEEDaPvRmT3_T4_T5_mT6_P12ihipStream_tbENKUlT_T0_E_clISt17integral_constantIbLb1EESV_IbLb0EEEEDaSR_SS_EUlSR_E_NS1_11comp_targetILNS1_3genE3ELNS1_11target_archE908ELNS1_3gpuE7ELNS1_3repE0EEENS1_30default_config_static_selectorELNS0_4arch9wavefront6targetE1EEEvT1_
		.amdhsa_group_segment_fixed_size 0
		.amdhsa_private_segment_fixed_size 0
		.amdhsa_kernarg_size 104
		.amdhsa_user_sgpr_count 6
		.amdhsa_user_sgpr_private_segment_buffer 1
		.amdhsa_user_sgpr_dispatch_ptr 0
		.amdhsa_user_sgpr_queue_ptr 0
		.amdhsa_user_sgpr_kernarg_segment_ptr 1
		.amdhsa_user_sgpr_dispatch_id 0
		.amdhsa_user_sgpr_flat_scratch_init 0
		.amdhsa_user_sgpr_private_segment_size 0
		.amdhsa_uses_dynamic_stack 0
		.amdhsa_system_sgpr_private_segment_wavefront_offset 0
		.amdhsa_system_sgpr_workgroup_id_x 1
		.amdhsa_system_sgpr_workgroup_id_y 0
		.amdhsa_system_sgpr_workgroup_id_z 0
		.amdhsa_system_sgpr_workgroup_info 0
		.amdhsa_system_vgpr_workitem_id 0
		.amdhsa_next_free_vgpr 1
		.amdhsa_next_free_sgpr 0
		.amdhsa_reserve_vcc 0
		.amdhsa_reserve_flat_scratch 0
		.amdhsa_float_round_mode_32 0
		.amdhsa_float_round_mode_16_64 0
		.amdhsa_float_denorm_mode_32 3
		.amdhsa_float_denorm_mode_16_64 3
		.amdhsa_dx10_clamp 1
		.amdhsa_ieee_mode 1
		.amdhsa_fp16_overflow 0
		.amdhsa_exception_fp_ieee_invalid_op 0
		.amdhsa_exception_fp_denorm_src 0
		.amdhsa_exception_fp_ieee_div_zero 0
		.amdhsa_exception_fp_ieee_overflow 0
		.amdhsa_exception_fp_ieee_underflow 0
		.amdhsa_exception_fp_ieee_inexact 0
		.amdhsa_exception_int_div_zero 0
	.end_amdhsa_kernel
	.section	.text._ZN7rocprim17ROCPRIM_400000_NS6detail17trampoline_kernelINS0_14default_configENS1_20scan_config_selectorIdEEZZNS1_9scan_implILNS1_25lookback_scan_determinismE0ELb0ELb0ES3_PKdPddZZZN2at6native31launch_logcumsumexp_cuda_kernelERKNSB_10TensorBaseESF_lENKUlvE_clEvENKUlvE_clEvEUlddE_dEEDaPvRmT3_T4_T5_mT6_P12ihipStream_tbENKUlT_T0_E_clISt17integral_constantIbLb1EESV_IbLb0EEEEDaSR_SS_EUlSR_E_NS1_11comp_targetILNS1_3genE3ELNS1_11target_archE908ELNS1_3gpuE7ELNS1_3repE0EEENS1_30default_config_static_selectorELNS0_4arch9wavefront6targetE1EEEvT1_,"axG",@progbits,_ZN7rocprim17ROCPRIM_400000_NS6detail17trampoline_kernelINS0_14default_configENS1_20scan_config_selectorIdEEZZNS1_9scan_implILNS1_25lookback_scan_determinismE0ELb0ELb0ES3_PKdPddZZZN2at6native31launch_logcumsumexp_cuda_kernelERKNSB_10TensorBaseESF_lENKUlvE_clEvENKUlvE_clEvEUlddE_dEEDaPvRmT3_T4_T5_mT6_P12ihipStream_tbENKUlT_T0_E_clISt17integral_constantIbLb1EESV_IbLb0EEEEDaSR_SS_EUlSR_E_NS1_11comp_targetILNS1_3genE3ELNS1_11target_archE908ELNS1_3gpuE7ELNS1_3repE0EEENS1_30default_config_static_selectorELNS0_4arch9wavefront6targetE1EEEvT1_,comdat
.Lfunc_end50:
	.size	_ZN7rocprim17ROCPRIM_400000_NS6detail17trampoline_kernelINS0_14default_configENS1_20scan_config_selectorIdEEZZNS1_9scan_implILNS1_25lookback_scan_determinismE0ELb0ELb0ES3_PKdPddZZZN2at6native31launch_logcumsumexp_cuda_kernelERKNSB_10TensorBaseESF_lENKUlvE_clEvENKUlvE_clEvEUlddE_dEEDaPvRmT3_T4_T5_mT6_P12ihipStream_tbENKUlT_T0_E_clISt17integral_constantIbLb1EESV_IbLb0EEEEDaSR_SS_EUlSR_E_NS1_11comp_targetILNS1_3genE3ELNS1_11target_archE908ELNS1_3gpuE7ELNS1_3repE0EEENS1_30default_config_static_selectorELNS0_4arch9wavefront6targetE1EEEvT1_, .Lfunc_end50-_ZN7rocprim17ROCPRIM_400000_NS6detail17trampoline_kernelINS0_14default_configENS1_20scan_config_selectorIdEEZZNS1_9scan_implILNS1_25lookback_scan_determinismE0ELb0ELb0ES3_PKdPddZZZN2at6native31launch_logcumsumexp_cuda_kernelERKNSB_10TensorBaseESF_lENKUlvE_clEvENKUlvE_clEvEUlddE_dEEDaPvRmT3_T4_T5_mT6_P12ihipStream_tbENKUlT_T0_E_clISt17integral_constantIbLb1EESV_IbLb0EEEEDaSR_SS_EUlSR_E_NS1_11comp_targetILNS1_3genE3ELNS1_11target_archE908ELNS1_3gpuE7ELNS1_3repE0EEENS1_30default_config_static_selectorELNS0_4arch9wavefront6targetE1EEEvT1_
                                        ; -- End function
	.set _ZN7rocprim17ROCPRIM_400000_NS6detail17trampoline_kernelINS0_14default_configENS1_20scan_config_selectorIdEEZZNS1_9scan_implILNS1_25lookback_scan_determinismE0ELb0ELb0ES3_PKdPddZZZN2at6native31launch_logcumsumexp_cuda_kernelERKNSB_10TensorBaseESF_lENKUlvE_clEvENKUlvE_clEvEUlddE_dEEDaPvRmT3_T4_T5_mT6_P12ihipStream_tbENKUlT_T0_E_clISt17integral_constantIbLb1EESV_IbLb0EEEEDaSR_SS_EUlSR_E_NS1_11comp_targetILNS1_3genE3ELNS1_11target_archE908ELNS1_3gpuE7ELNS1_3repE0EEENS1_30default_config_static_selectorELNS0_4arch9wavefront6targetE1EEEvT1_.num_vgpr, 0
	.set _ZN7rocprim17ROCPRIM_400000_NS6detail17trampoline_kernelINS0_14default_configENS1_20scan_config_selectorIdEEZZNS1_9scan_implILNS1_25lookback_scan_determinismE0ELb0ELb0ES3_PKdPddZZZN2at6native31launch_logcumsumexp_cuda_kernelERKNSB_10TensorBaseESF_lENKUlvE_clEvENKUlvE_clEvEUlddE_dEEDaPvRmT3_T4_T5_mT6_P12ihipStream_tbENKUlT_T0_E_clISt17integral_constantIbLb1EESV_IbLb0EEEEDaSR_SS_EUlSR_E_NS1_11comp_targetILNS1_3genE3ELNS1_11target_archE908ELNS1_3gpuE7ELNS1_3repE0EEENS1_30default_config_static_selectorELNS0_4arch9wavefront6targetE1EEEvT1_.num_agpr, 0
	.set _ZN7rocprim17ROCPRIM_400000_NS6detail17trampoline_kernelINS0_14default_configENS1_20scan_config_selectorIdEEZZNS1_9scan_implILNS1_25lookback_scan_determinismE0ELb0ELb0ES3_PKdPddZZZN2at6native31launch_logcumsumexp_cuda_kernelERKNSB_10TensorBaseESF_lENKUlvE_clEvENKUlvE_clEvEUlddE_dEEDaPvRmT3_T4_T5_mT6_P12ihipStream_tbENKUlT_T0_E_clISt17integral_constantIbLb1EESV_IbLb0EEEEDaSR_SS_EUlSR_E_NS1_11comp_targetILNS1_3genE3ELNS1_11target_archE908ELNS1_3gpuE7ELNS1_3repE0EEENS1_30default_config_static_selectorELNS0_4arch9wavefront6targetE1EEEvT1_.numbered_sgpr, 0
	.set _ZN7rocprim17ROCPRIM_400000_NS6detail17trampoline_kernelINS0_14default_configENS1_20scan_config_selectorIdEEZZNS1_9scan_implILNS1_25lookback_scan_determinismE0ELb0ELb0ES3_PKdPddZZZN2at6native31launch_logcumsumexp_cuda_kernelERKNSB_10TensorBaseESF_lENKUlvE_clEvENKUlvE_clEvEUlddE_dEEDaPvRmT3_T4_T5_mT6_P12ihipStream_tbENKUlT_T0_E_clISt17integral_constantIbLb1EESV_IbLb0EEEEDaSR_SS_EUlSR_E_NS1_11comp_targetILNS1_3genE3ELNS1_11target_archE908ELNS1_3gpuE7ELNS1_3repE0EEENS1_30default_config_static_selectorELNS0_4arch9wavefront6targetE1EEEvT1_.num_named_barrier, 0
	.set _ZN7rocprim17ROCPRIM_400000_NS6detail17trampoline_kernelINS0_14default_configENS1_20scan_config_selectorIdEEZZNS1_9scan_implILNS1_25lookback_scan_determinismE0ELb0ELb0ES3_PKdPddZZZN2at6native31launch_logcumsumexp_cuda_kernelERKNSB_10TensorBaseESF_lENKUlvE_clEvENKUlvE_clEvEUlddE_dEEDaPvRmT3_T4_T5_mT6_P12ihipStream_tbENKUlT_T0_E_clISt17integral_constantIbLb1EESV_IbLb0EEEEDaSR_SS_EUlSR_E_NS1_11comp_targetILNS1_3genE3ELNS1_11target_archE908ELNS1_3gpuE7ELNS1_3repE0EEENS1_30default_config_static_selectorELNS0_4arch9wavefront6targetE1EEEvT1_.private_seg_size, 0
	.set _ZN7rocprim17ROCPRIM_400000_NS6detail17trampoline_kernelINS0_14default_configENS1_20scan_config_selectorIdEEZZNS1_9scan_implILNS1_25lookback_scan_determinismE0ELb0ELb0ES3_PKdPddZZZN2at6native31launch_logcumsumexp_cuda_kernelERKNSB_10TensorBaseESF_lENKUlvE_clEvENKUlvE_clEvEUlddE_dEEDaPvRmT3_T4_T5_mT6_P12ihipStream_tbENKUlT_T0_E_clISt17integral_constantIbLb1EESV_IbLb0EEEEDaSR_SS_EUlSR_E_NS1_11comp_targetILNS1_3genE3ELNS1_11target_archE908ELNS1_3gpuE7ELNS1_3repE0EEENS1_30default_config_static_selectorELNS0_4arch9wavefront6targetE1EEEvT1_.uses_vcc, 0
	.set _ZN7rocprim17ROCPRIM_400000_NS6detail17trampoline_kernelINS0_14default_configENS1_20scan_config_selectorIdEEZZNS1_9scan_implILNS1_25lookback_scan_determinismE0ELb0ELb0ES3_PKdPddZZZN2at6native31launch_logcumsumexp_cuda_kernelERKNSB_10TensorBaseESF_lENKUlvE_clEvENKUlvE_clEvEUlddE_dEEDaPvRmT3_T4_T5_mT6_P12ihipStream_tbENKUlT_T0_E_clISt17integral_constantIbLb1EESV_IbLb0EEEEDaSR_SS_EUlSR_E_NS1_11comp_targetILNS1_3genE3ELNS1_11target_archE908ELNS1_3gpuE7ELNS1_3repE0EEENS1_30default_config_static_selectorELNS0_4arch9wavefront6targetE1EEEvT1_.uses_flat_scratch, 0
	.set _ZN7rocprim17ROCPRIM_400000_NS6detail17trampoline_kernelINS0_14default_configENS1_20scan_config_selectorIdEEZZNS1_9scan_implILNS1_25lookback_scan_determinismE0ELb0ELb0ES3_PKdPddZZZN2at6native31launch_logcumsumexp_cuda_kernelERKNSB_10TensorBaseESF_lENKUlvE_clEvENKUlvE_clEvEUlddE_dEEDaPvRmT3_T4_T5_mT6_P12ihipStream_tbENKUlT_T0_E_clISt17integral_constantIbLb1EESV_IbLb0EEEEDaSR_SS_EUlSR_E_NS1_11comp_targetILNS1_3genE3ELNS1_11target_archE908ELNS1_3gpuE7ELNS1_3repE0EEENS1_30default_config_static_selectorELNS0_4arch9wavefront6targetE1EEEvT1_.has_dyn_sized_stack, 0
	.set _ZN7rocprim17ROCPRIM_400000_NS6detail17trampoline_kernelINS0_14default_configENS1_20scan_config_selectorIdEEZZNS1_9scan_implILNS1_25lookback_scan_determinismE0ELb0ELb0ES3_PKdPddZZZN2at6native31launch_logcumsumexp_cuda_kernelERKNSB_10TensorBaseESF_lENKUlvE_clEvENKUlvE_clEvEUlddE_dEEDaPvRmT3_T4_T5_mT6_P12ihipStream_tbENKUlT_T0_E_clISt17integral_constantIbLb1EESV_IbLb0EEEEDaSR_SS_EUlSR_E_NS1_11comp_targetILNS1_3genE3ELNS1_11target_archE908ELNS1_3gpuE7ELNS1_3repE0EEENS1_30default_config_static_selectorELNS0_4arch9wavefront6targetE1EEEvT1_.has_recursion, 0
	.set _ZN7rocprim17ROCPRIM_400000_NS6detail17trampoline_kernelINS0_14default_configENS1_20scan_config_selectorIdEEZZNS1_9scan_implILNS1_25lookback_scan_determinismE0ELb0ELb0ES3_PKdPddZZZN2at6native31launch_logcumsumexp_cuda_kernelERKNSB_10TensorBaseESF_lENKUlvE_clEvENKUlvE_clEvEUlddE_dEEDaPvRmT3_T4_T5_mT6_P12ihipStream_tbENKUlT_T0_E_clISt17integral_constantIbLb1EESV_IbLb0EEEEDaSR_SS_EUlSR_E_NS1_11comp_targetILNS1_3genE3ELNS1_11target_archE908ELNS1_3gpuE7ELNS1_3repE0EEENS1_30default_config_static_selectorELNS0_4arch9wavefront6targetE1EEEvT1_.has_indirect_call, 0
	.section	.AMDGPU.csdata,"",@progbits
; Kernel info:
; codeLenInByte = 0
; TotalNumSgprs: 4
; NumVgprs: 0
; ScratchSize: 0
; MemoryBound: 0
; FloatMode: 240
; IeeeMode: 1
; LDSByteSize: 0 bytes/workgroup (compile time only)
; SGPRBlocks: 0
; VGPRBlocks: 0
; NumSGPRsForWavesPerEU: 4
; NumVGPRsForWavesPerEU: 1
; Occupancy: 10
; WaveLimiterHint : 0
; COMPUTE_PGM_RSRC2:SCRATCH_EN: 0
; COMPUTE_PGM_RSRC2:USER_SGPR: 6
; COMPUTE_PGM_RSRC2:TRAP_HANDLER: 0
; COMPUTE_PGM_RSRC2:TGID_X_EN: 1
; COMPUTE_PGM_RSRC2:TGID_Y_EN: 0
; COMPUTE_PGM_RSRC2:TGID_Z_EN: 0
; COMPUTE_PGM_RSRC2:TIDIG_COMP_CNT: 0
	.section	.text._ZN7rocprim17ROCPRIM_400000_NS6detail17trampoline_kernelINS0_14default_configENS1_20scan_config_selectorIdEEZZNS1_9scan_implILNS1_25lookback_scan_determinismE0ELb0ELb0ES3_PKdPddZZZN2at6native31launch_logcumsumexp_cuda_kernelERKNSB_10TensorBaseESF_lENKUlvE_clEvENKUlvE_clEvEUlddE_dEEDaPvRmT3_T4_T5_mT6_P12ihipStream_tbENKUlT_T0_E_clISt17integral_constantIbLb1EESV_IbLb0EEEEDaSR_SS_EUlSR_E_NS1_11comp_targetILNS1_3genE2ELNS1_11target_archE906ELNS1_3gpuE6ELNS1_3repE0EEENS1_30default_config_static_selectorELNS0_4arch9wavefront6targetE1EEEvT1_,"axG",@progbits,_ZN7rocprim17ROCPRIM_400000_NS6detail17trampoline_kernelINS0_14default_configENS1_20scan_config_selectorIdEEZZNS1_9scan_implILNS1_25lookback_scan_determinismE0ELb0ELb0ES3_PKdPddZZZN2at6native31launch_logcumsumexp_cuda_kernelERKNSB_10TensorBaseESF_lENKUlvE_clEvENKUlvE_clEvEUlddE_dEEDaPvRmT3_T4_T5_mT6_P12ihipStream_tbENKUlT_T0_E_clISt17integral_constantIbLb1EESV_IbLb0EEEEDaSR_SS_EUlSR_E_NS1_11comp_targetILNS1_3genE2ELNS1_11target_archE906ELNS1_3gpuE6ELNS1_3repE0EEENS1_30default_config_static_selectorELNS0_4arch9wavefront6targetE1EEEvT1_,comdat
	.globl	_ZN7rocprim17ROCPRIM_400000_NS6detail17trampoline_kernelINS0_14default_configENS1_20scan_config_selectorIdEEZZNS1_9scan_implILNS1_25lookback_scan_determinismE0ELb0ELb0ES3_PKdPddZZZN2at6native31launch_logcumsumexp_cuda_kernelERKNSB_10TensorBaseESF_lENKUlvE_clEvENKUlvE_clEvEUlddE_dEEDaPvRmT3_T4_T5_mT6_P12ihipStream_tbENKUlT_T0_E_clISt17integral_constantIbLb1EESV_IbLb0EEEEDaSR_SS_EUlSR_E_NS1_11comp_targetILNS1_3genE2ELNS1_11target_archE906ELNS1_3gpuE6ELNS1_3repE0EEENS1_30default_config_static_selectorELNS0_4arch9wavefront6targetE1EEEvT1_ ; -- Begin function _ZN7rocprim17ROCPRIM_400000_NS6detail17trampoline_kernelINS0_14default_configENS1_20scan_config_selectorIdEEZZNS1_9scan_implILNS1_25lookback_scan_determinismE0ELb0ELb0ES3_PKdPddZZZN2at6native31launch_logcumsumexp_cuda_kernelERKNSB_10TensorBaseESF_lENKUlvE_clEvENKUlvE_clEvEUlddE_dEEDaPvRmT3_T4_T5_mT6_P12ihipStream_tbENKUlT_T0_E_clISt17integral_constantIbLb1EESV_IbLb0EEEEDaSR_SS_EUlSR_E_NS1_11comp_targetILNS1_3genE2ELNS1_11target_archE906ELNS1_3gpuE6ELNS1_3repE0EEENS1_30default_config_static_selectorELNS0_4arch9wavefront6targetE1EEEvT1_
	.p2align	8
	.type	_ZN7rocprim17ROCPRIM_400000_NS6detail17trampoline_kernelINS0_14default_configENS1_20scan_config_selectorIdEEZZNS1_9scan_implILNS1_25lookback_scan_determinismE0ELb0ELb0ES3_PKdPddZZZN2at6native31launch_logcumsumexp_cuda_kernelERKNSB_10TensorBaseESF_lENKUlvE_clEvENKUlvE_clEvEUlddE_dEEDaPvRmT3_T4_T5_mT6_P12ihipStream_tbENKUlT_T0_E_clISt17integral_constantIbLb1EESV_IbLb0EEEEDaSR_SS_EUlSR_E_NS1_11comp_targetILNS1_3genE2ELNS1_11target_archE906ELNS1_3gpuE6ELNS1_3repE0EEENS1_30default_config_static_selectorELNS0_4arch9wavefront6targetE1EEEvT1_,@function
_ZN7rocprim17ROCPRIM_400000_NS6detail17trampoline_kernelINS0_14default_configENS1_20scan_config_selectorIdEEZZNS1_9scan_implILNS1_25lookback_scan_determinismE0ELb0ELb0ES3_PKdPddZZZN2at6native31launch_logcumsumexp_cuda_kernelERKNSB_10TensorBaseESF_lENKUlvE_clEvENKUlvE_clEvEUlddE_dEEDaPvRmT3_T4_T5_mT6_P12ihipStream_tbENKUlT_T0_E_clISt17integral_constantIbLb1EESV_IbLb0EEEEDaSR_SS_EUlSR_E_NS1_11comp_targetILNS1_3genE2ELNS1_11target_archE906ELNS1_3gpuE6ELNS1_3repE0EEENS1_30default_config_static_selectorELNS0_4arch9wavefront6targetE1EEEvT1_: ; @_ZN7rocprim17ROCPRIM_400000_NS6detail17trampoline_kernelINS0_14default_configENS1_20scan_config_selectorIdEEZZNS1_9scan_implILNS1_25lookback_scan_determinismE0ELb0ELb0ES3_PKdPddZZZN2at6native31launch_logcumsumexp_cuda_kernelERKNSB_10TensorBaseESF_lENKUlvE_clEvENKUlvE_clEvEUlddE_dEEDaPvRmT3_T4_T5_mT6_P12ihipStream_tbENKUlT_T0_E_clISt17integral_constantIbLb1EESV_IbLb0EEEEDaSR_SS_EUlSR_E_NS1_11comp_targetILNS1_3genE2ELNS1_11target_archE906ELNS1_3gpuE6ELNS1_3repE0EEENS1_30default_config_static_selectorELNS0_4arch9wavefront6targetE1EEEvT1_
; %bb.0:
	s_endpgm
	.section	.rodata,"a",@progbits
	.p2align	6, 0x0
	.amdhsa_kernel _ZN7rocprim17ROCPRIM_400000_NS6detail17trampoline_kernelINS0_14default_configENS1_20scan_config_selectorIdEEZZNS1_9scan_implILNS1_25lookback_scan_determinismE0ELb0ELb0ES3_PKdPddZZZN2at6native31launch_logcumsumexp_cuda_kernelERKNSB_10TensorBaseESF_lENKUlvE_clEvENKUlvE_clEvEUlddE_dEEDaPvRmT3_T4_T5_mT6_P12ihipStream_tbENKUlT_T0_E_clISt17integral_constantIbLb1EESV_IbLb0EEEEDaSR_SS_EUlSR_E_NS1_11comp_targetILNS1_3genE2ELNS1_11target_archE906ELNS1_3gpuE6ELNS1_3repE0EEENS1_30default_config_static_selectorELNS0_4arch9wavefront6targetE1EEEvT1_
		.amdhsa_group_segment_fixed_size 0
		.amdhsa_private_segment_fixed_size 0
		.amdhsa_kernarg_size 104
		.amdhsa_user_sgpr_count 6
		.amdhsa_user_sgpr_private_segment_buffer 1
		.amdhsa_user_sgpr_dispatch_ptr 0
		.amdhsa_user_sgpr_queue_ptr 0
		.amdhsa_user_sgpr_kernarg_segment_ptr 1
		.amdhsa_user_sgpr_dispatch_id 0
		.amdhsa_user_sgpr_flat_scratch_init 0
		.amdhsa_user_sgpr_private_segment_size 0
		.amdhsa_uses_dynamic_stack 0
		.amdhsa_system_sgpr_private_segment_wavefront_offset 0
		.amdhsa_system_sgpr_workgroup_id_x 1
		.amdhsa_system_sgpr_workgroup_id_y 0
		.amdhsa_system_sgpr_workgroup_id_z 0
		.amdhsa_system_sgpr_workgroup_info 0
		.amdhsa_system_vgpr_workitem_id 0
		.amdhsa_next_free_vgpr 1
		.amdhsa_next_free_sgpr 0
		.amdhsa_reserve_vcc 0
		.amdhsa_reserve_flat_scratch 0
		.amdhsa_float_round_mode_32 0
		.amdhsa_float_round_mode_16_64 0
		.amdhsa_float_denorm_mode_32 3
		.amdhsa_float_denorm_mode_16_64 3
		.amdhsa_dx10_clamp 1
		.amdhsa_ieee_mode 1
		.amdhsa_fp16_overflow 0
		.amdhsa_exception_fp_ieee_invalid_op 0
		.amdhsa_exception_fp_denorm_src 0
		.amdhsa_exception_fp_ieee_div_zero 0
		.amdhsa_exception_fp_ieee_overflow 0
		.amdhsa_exception_fp_ieee_underflow 0
		.amdhsa_exception_fp_ieee_inexact 0
		.amdhsa_exception_int_div_zero 0
	.end_amdhsa_kernel
	.section	.text._ZN7rocprim17ROCPRIM_400000_NS6detail17trampoline_kernelINS0_14default_configENS1_20scan_config_selectorIdEEZZNS1_9scan_implILNS1_25lookback_scan_determinismE0ELb0ELb0ES3_PKdPddZZZN2at6native31launch_logcumsumexp_cuda_kernelERKNSB_10TensorBaseESF_lENKUlvE_clEvENKUlvE_clEvEUlddE_dEEDaPvRmT3_T4_T5_mT6_P12ihipStream_tbENKUlT_T0_E_clISt17integral_constantIbLb1EESV_IbLb0EEEEDaSR_SS_EUlSR_E_NS1_11comp_targetILNS1_3genE2ELNS1_11target_archE906ELNS1_3gpuE6ELNS1_3repE0EEENS1_30default_config_static_selectorELNS0_4arch9wavefront6targetE1EEEvT1_,"axG",@progbits,_ZN7rocprim17ROCPRIM_400000_NS6detail17trampoline_kernelINS0_14default_configENS1_20scan_config_selectorIdEEZZNS1_9scan_implILNS1_25lookback_scan_determinismE0ELb0ELb0ES3_PKdPddZZZN2at6native31launch_logcumsumexp_cuda_kernelERKNSB_10TensorBaseESF_lENKUlvE_clEvENKUlvE_clEvEUlddE_dEEDaPvRmT3_T4_T5_mT6_P12ihipStream_tbENKUlT_T0_E_clISt17integral_constantIbLb1EESV_IbLb0EEEEDaSR_SS_EUlSR_E_NS1_11comp_targetILNS1_3genE2ELNS1_11target_archE906ELNS1_3gpuE6ELNS1_3repE0EEENS1_30default_config_static_selectorELNS0_4arch9wavefront6targetE1EEEvT1_,comdat
.Lfunc_end51:
	.size	_ZN7rocprim17ROCPRIM_400000_NS6detail17trampoline_kernelINS0_14default_configENS1_20scan_config_selectorIdEEZZNS1_9scan_implILNS1_25lookback_scan_determinismE0ELb0ELb0ES3_PKdPddZZZN2at6native31launch_logcumsumexp_cuda_kernelERKNSB_10TensorBaseESF_lENKUlvE_clEvENKUlvE_clEvEUlddE_dEEDaPvRmT3_T4_T5_mT6_P12ihipStream_tbENKUlT_T0_E_clISt17integral_constantIbLb1EESV_IbLb0EEEEDaSR_SS_EUlSR_E_NS1_11comp_targetILNS1_3genE2ELNS1_11target_archE906ELNS1_3gpuE6ELNS1_3repE0EEENS1_30default_config_static_selectorELNS0_4arch9wavefront6targetE1EEEvT1_, .Lfunc_end51-_ZN7rocprim17ROCPRIM_400000_NS6detail17trampoline_kernelINS0_14default_configENS1_20scan_config_selectorIdEEZZNS1_9scan_implILNS1_25lookback_scan_determinismE0ELb0ELb0ES3_PKdPddZZZN2at6native31launch_logcumsumexp_cuda_kernelERKNSB_10TensorBaseESF_lENKUlvE_clEvENKUlvE_clEvEUlddE_dEEDaPvRmT3_T4_T5_mT6_P12ihipStream_tbENKUlT_T0_E_clISt17integral_constantIbLb1EESV_IbLb0EEEEDaSR_SS_EUlSR_E_NS1_11comp_targetILNS1_3genE2ELNS1_11target_archE906ELNS1_3gpuE6ELNS1_3repE0EEENS1_30default_config_static_selectorELNS0_4arch9wavefront6targetE1EEEvT1_
                                        ; -- End function
	.set _ZN7rocprim17ROCPRIM_400000_NS6detail17trampoline_kernelINS0_14default_configENS1_20scan_config_selectorIdEEZZNS1_9scan_implILNS1_25lookback_scan_determinismE0ELb0ELb0ES3_PKdPddZZZN2at6native31launch_logcumsumexp_cuda_kernelERKNSB_10TensorBaseESF_lENKUlvE_clEvENKUlvE_clEvEUlddE_dEEDaPvRmT3_T4_T5_mT6_P12ihipStream_tbENKUlT_T0_E_clISt17integral_constantIbLb1EESV_IbLb0EEEEDaSR_SS_EUlSR_E_NS1_11comp_targetILNS1_3genE2ELNS1_11target_archE906ELNS1_3gpuE6ELNS1_3repE0EEENS1_30default_config_static_selectorELNS0_4arch9wavefront6targetE1EEEvT1_.num_vgpr, 0
	.set _ZN7rocprim17ROCPRIM_400000_NS6detail17trampoline_kernelINS0_14default_configENS1_20scan_config_selectorIdEEZZNS1_9scan_implILNS1_25lookback_scan_determinismE0ELb0ELb0ES3_PKdPddZZZN2at6native31launch_logcumsumexp_cuda_kernelERKNSB_10TensorBaseESF_lENKUlvE_clEvENKUlvE_clEvEUlddE_dEEDaPvRmT3_T4_T5_mT6_P12ihipStream_tbENKUlT_T0_E_clISt17integral_constantIbLb1EESV_IbLb0EEEEDaSR_SS_EUlSR_E_NS1_11comp_targetILNS1_3genE2ELNS1_11target_archE906ELNS1_3gpuE6ELNS1_3repE0EEENS1_30default_config_static_selectorELNS0_4arch9wavefront6targetE1EEEvT1_.num_agpr, 0
	.set _ZN7rocprim17ROCPRIM_400000_NS6detail17trampoline_kernelINS0_14default_configENS1_20scan_config_selectorIdEEZZNS1_9scan_implILNS1_25lookback_scan_determinismE0ELb0ELb0ES3_PKdPddZZZN2at6native31launch_logcumsumexp_cuda_kernelERKNSB_10TensorBaseESF_lENKUlvE_clEvENKUlvE_clEvEUlddE_dEEDaPvRmT3_T4_T5_mT6_P12ihipStream_tbENKUlT_T0_E_clISt17integral_constantIbLb1EESV_IbLb0EEEEDaSR_SS_EUlSR_E_NS1_11comp_targetILNS1_3genE2ELNS1_11target_archE906ELNS1_3gpuE6ELNS1_3repE0EEENS1_30default_config_static_selectorELNS0_4arch9wavefront6targetE1EEEvT1_.numbered_sgpr, 0
	.set _ZN7rocprim17ROCPRIM_400000_NS6detail17trampoline_kernelINS0_14default_configENS1_20scan_config_selectorIdEEZZNS1_9scan_implILNS1_25lookback_scan_determinismE0ELb0ELb0ES3_PKdPddZZZN2at6native31launch_logcumsumexp_cuda_kernelERKNSB_10TensorBaseESF_lENKUlvE_clEvENKUlvE_clEvEUlddE_dEEDaPvRmT3_T4_T5_mT6_P12ihipStream_tbENKUlT_T0_E_clISt17integral_constantIbLb1EESV_IbLb0EEEEDaSR_SS_EUlSR_E_NS1_11comp_targetILNS1_3genE2ELNS1_11target_archE906ELNS1_3gpuE6ELNS1_3repE0EEENS1_30default_config_static_selectorELNS0_4arch9wavefront6targetE1EEEvT1_.num_named_barrier, 0
	.set _ZN7rocprim17ROCPRIM_400000_NS6detail17trampoline_kernelINS0_14default_configENS1_20scan_config_selectorIdEEZZNS1_9scan_implILNS1_25lookback_scan_determinismE0ELb0ELb0ES3_PKdPddZZZN2at6native31launch_logcumsumexp_cuda_kernelERKNSB_10TensorBaseESF_lENKUlvE_clEvENKUlvE_clEvEUlddE_dEEDaPvRmT3_T4_T5_mT6_P12ihipStream_tbENKUlT_T0_E_clISt17integral_constantIbLb1EESV_IbLb0EEEEDaSR_SS_EUlSR_E_NS1_11comp_targetILNS1_3genE2ELNS1_11target_archE906ELNS1_3gpuE6ELNS1_3repE0EEENS1_30default_config_static_selectorELNS0_4arch9wavefront6targetE1EEEvT1_.private_seg_size, 0
	.set _ZN7rocprim17ROCPRIM_400000_NS6detail17trampoline_kernelINS0_14default_configENS1_20scan_config_selectorIdEEZZNS1_9scan_implILNS1_25lookback_scan_determinismE0ELb0ELb0ES3_PKdPddZZZN2at6native31launch_logcumsumexp_cuda_kernelERKNSB_10TensorBaseESF_lENKUlvE_clEvENKUlvE_clEvEUlddE_dEEDaPvRmT3_T4_T5_mT6_P12ihipStream_tbENKUlT_T0_E_clISt17integral_constantIbLb1EESV_IbLb0EEEEDaSR_SS_EUlSR_E_NS1_11comp_targetILNS1_3genE2ELNS1_11target_archE906ELNS1_3gpuE6ELNS1_3repE0EEENS1_30default_config_static_selectorELNS0_4arch9wavefront6targetE1EEEvT1_.uses_vcc, 0
	.set _ZN7rocprim17ROCPRIM_400000_NS6detail17trampoline_kernelINS0_14default_configENS1_20scan_config_selectorIdEEZZNS1_9scan_implILNS1_25lookback_scan_determinismE0ELb0ELb0ES3_PKdPddZZZN2at6native31launch_logcumsumexp_cuda_kernelERKNSB_10TensorBaseESF_lENKUlvE_clEvENKUlvE_clEvEUlddE_dEEDaPvRmT3_T4_T5_mT6_P12ihipStream_tbENKUlT_T0_E_clISt17integral_constantIbLb1EESV_IbLb0EEEEDaSR_SS_EUlSR_E_NS1_11comp_targetILNS1_3genE2ELNS1_11target_archE906ELNS1_3gpuE6ELNS1_3repE0EEENS1_30default_config_static_selectorELNS0_4arch9wavefront6targetE1EEEvT1_.uses_flat_scratch, 0
	.set _ZN7rocprim17ROCPRIM_400000_NS6detail17trampoline_kernelINS0_14default_configENS1_20scan_config_selectorIdEEZZNS1_9scan_implILNS1_25lookback_scan_determinismE0ELb0ELb0ES3_PKdPddZZZN2at6native31launch_logcumsumexp_cuda_kernelERKNSB_10TensorBaseESF_lENKUlvE_clEvENKUlvE_clEvEUlddE_dEEDaPvRmT3_T4_T5_mT6_P12ihipStream_tbENKUlT_T0_E_clISt17integral_constantIbLb1EESV_IbLb0EEEEDaSR_SS_EUlSR_E_NS1_11comp_targetILNS1_3genE2ELNS1_11target_archE906ELNS1_3gpuE6ELNS1_3repE0EEENS1_30default_config_static_selectorELNS0_4arch9wavefront6targetE1EEEvT1_.has_dyn_sized_stack, 0
	.set _ZN7rocprim17ROCPRIM_400000_NS6detail17trampoline_kernelINS0_14default_configENS1_20scan_config_selectorIdEEZZNS1_9scan_implILNS1_25lookback_scan_determinismE0ELb0ELb0ES3_PKdPddZZZN2at6native31launch_logcumsumexp_cuda_kernelERKNSB_10TensorBaseESF_lENKUlvE_clEvENKUlvE_clEvEUlddE_dEEDaPvRmT3_T4_T5_mT6_P12ihipStream_tbENKUlT_T0_E_clISt17integral_constantIbLb1EESV_IbLb0EEEEDaSR_SS_EUlSR_E_NS1_11comp_targetILNS1_3genE2ELNS1_11target_archE906ELNS1_3gpuE6ELNS1_3repE0EEENS1_30default_config_static_selectorELNS0_4arch9wavefront6targetE1EEEvT1_.has_recursion, 0
	.set _ZN7rocprim17ROCPRIM_400000_NS6detail17trampoline_kernelINS0_14default_configENS1_20scan_config_selectorIdEEZZNS1_9scan_implILNS1_25lookback_scan_determinismE0ELb0ELb0ES3_PKdPddZZZN2at6native31launch_logcumsumexp_cuda_kernelERKNSB_10TensorBaseESF_lENKUlvE_clEvENKUlvE_clEvEUlddE_dEEDaPvRmT3_T4_T5_mT6_P12ihipStream_tbENKUlT_T0_E_clISt17integral_constantIbLb1EESV_IbLb0EEEEDaSR_SS_EUlSR_E_NS1_11comp_targetILNS1_3genE2ELNS1_11target_archE906ELNS1_3gpuE6ELNS1_3repE0EEENS1_30default_config_static_selectorELNS0_4arch9wavefront6targetE1EEEvT1_.has_indirect_call, 0
	.section	.AMDGPU.csdata,"",@progbits
; Kernel info:
; codeLenInByte = 4
; TotalNumSgprs: 4
; NumVgprs: 0
; ScratchSize: 0
; MemoryBound: 0
; FloatMode: 240
; IeeeMode: 1
; LDSByteSize: 0 bytes/workgroup (compile time only)
; SGPRBlocks: 0
; VGPRBlocks: 0
; NumSGPRsForWavesPerEU: 4
; NumVGPRsForWavesPerEU: 1
; Occupancy: 10
; WaveLimiterHint : 0
; COMPUTE_PGM_RSRC2:SCRATCH_EN: 0
; COMPUTE_PGM_RSRC2:USER_SGPR: 6
; COMPUTE_PGM_RSRC2:TRAP_HANDLER: 0
; COMPUTE_PGM_RSRC2:TGID_X_EN: 1
; COMPUTE_PGM_RSRC2:TGID_Y_EN: 0
; COMPUTE_PGM_RSRC2:TGID_Z_EN: 0
; COMPUTE_PGM_RSRC2:TIDIG_COMP_CNT: 0
	.section	.text._ZN7rocprim17ROCPRIM_400000_NS6detail17trampoline_kernelINS0_14default_configENS1_20scan_config_selectorIdEEZZNS1_9scan_implILNS1_25lookback_scan_determinismE0ELb0ELb0ES3_PKdPddZZZN2at6native31launch_logcumsumexp_cuda_kernelERKNSB_10TensorBaseESF_lENKUlvE_clEvENKUlvE_clEvEUlddE_dEEDaPvRmT3_T4_T5_mT6_P12ihipStream_tbENKUlT_T0_E_clISt17integral_constantIbLb1EESV_IbLb0EEEEDaSR_SS_EUlSR_E_NS1_11comp_targetILNS1_3genE10ELNS1_11target_archE1201ELNS1_3gpuE5ELNS1_3repE0EEENS1_30default_config_static_selectorELNS0_4arch9wavefront6targetE1EEEvT1_,"axG",@progbits,_ZN7rocprim17ROCPRIM_400000_NS6detail17trampoline_kernelINS0_14default_configENS1_20scan_config_selectorIdEEZZNS1_9scan_implILNS1_25lookback_scan_determinismE0ELb0ELb0ES3_PKdPddZZZN2at6native31launch_logcumsumexp_cuda_kernelERKNSB_10TensorBaseESF_lENKUlvE_clEvENKUlvE_clEvEUlddE_dEEDaPvRmT3_T4_T5_mT6_P12ihipStream_tbENKUlT_T0_E_clISt17integral_constantIbLb1EESV_IbLb0EEEEDaSR_SS_EUlSR_E_NS1_11comp_targetILNS1_3genE10ELNS1_11target_archE1201ELNS1_3gpuE5ELNS1_3repE0EEENS1_30default_config_static_selectorELNS0_4arch9wavefront6targetE1EEEvT1_,comdat
	.globl	_ZN7rocprim17ROCPRIM_400000_NS6detail17trampoline_kernelINS0_14default_configENS1_20scan_config_selectorIdEEZZNS1_9scan_implILNS1_25lookback_scan_determinismE0ELb0ELb0ES3_PKdPddZZZN2at6native31launch_logcumsumexp_cuda_kernelERKNSB_10TensorBaseESF_lENKUlvE_clEvENKUlvE_clEvEUlddE_dEEDaPvRmT3_T4_T5_mT6_P12ihipStream_tbENKUlT_T0_E_clISt17integral_constantIbLb1EESV_IbLb0EEEEDaSR_SS_EUlSR_E_NS1_11comp_targetILNS1_3genE10ELNS1_11target_archE1201ELNS1_3gpuE5ELNS1_3repE0EEENS1_30default_config_static_selectorELNS0_4arch9wavefront6targetE1EEEvT1_ ; -- Begin function _ZN7rocprim17ROCPRIM_400000_NS6detail17trampoline_kernelINS0_14default_configENS1_20scan_config_selectorIdEEZZNS1_9scan_implILNS1_25lookback_scan_determinismE0ELb0ELb0ES3_PKdPddZZZN2at6native31launch_logcumsumexp_cuda_kernelERKNSB_10TensorBaseESF_lENKUlvE_clEvENKUlvE_clEvEUlddE_dEEDaPvRmT3_T4_T5_mT6_P12ihipStream_tbENKUlT_T0_E_clISt17integral_constantIbLb1EESV_IbLb0EEEEDaSR_SS_EUlSR_E_NS1_11comp_targetILNS1_3genE10ELNS1_11target_archE1201ELNS1_3gpuE5ELNS1_3repE0EEENS1_30default_config_static_selectorELNS0_4arch9wavefront6targetE1EEEvT1_
	.p2align	8
	.type	_ZN7rocprim17ROCPRIM_400000_NS6detail17trampoline_kernelINS0_14default_configENS1_20scan_config_selectorIdEEZZNS1_9scan_implILNS1_25lookback_scan_determinismE0ELb0ELb0ES3_PKdPddZZZN2at6native31launch_logcumsumexp_cuda_kernelERKNSB_10TensorBaseESF_lENKUlvE_clEvENKUlvE_clEvEUlddE_dEEDaPvRmT3_T4_T5_mT6_P12ihipStream_tbENKUlT_T0_E_clISt17integral_constantIbLb1EESV_IbLb0EEEEDaSR_SS_EUlSR_E_NS1_11comp_targetILNS1_3genE10ELNS1_11target_archE1201ELNS1_3gpuE5ELNS1_3repE0EEENS1_30default_config_static_selectorELNS0_4arch9wavefront6targetE1EEEvT1_,@function
_ZN7rocprim17ROCPRIM_400000_NS6detail17trampoline_kernelINS0_14default_configENS1_20scan_config_selectorIdEEZZNS1_9scan_implILNS1_25lookback_scan_determinismE0ELb0ELb0ES3_PKdPddZZZN2at6native31launch_logcumsumexp_cuda_kernelERKNSB_10TensorBaseESF_lENKUlvE_clEvENKUlvE_clEvEUlddE_dEEDaPvRmT3_T4_T5_mT6_P12ihipStream_tbENKUlT_T0_E_clISt17integral_constantIbLb1EESV_IbLb0EEEEDaSR_SS_EUlSR_E_NS1_11comp_targetILNS1_3genE10ELNS1_11target_archE1201ELNS1_3gpuE5ELNS1_3repE0EEENS1_30default_config_static_selectorELNS0_4arch9wavefront6targetE1EEEvT1_: ; @_ZN7rocprim17ROCPRIM_400000_NS6detail17trampoline_kernelINS0_14default_configENS1_20scan_config_selectorIdEEZZNS1_9scan_implILNS1_25lookback_scan_determinismE0ELb0ELb0ES3_PKdPddZZZN2at6native31launch_logcumsumexp_cuda_kernelERKNSB_10TensorBaseESF_lENKUlvE_clEvENKUlvE_clEvEUlddE_dEEDaPvRmT3_T4_T5_mT6_P12ihipStream_tbENKUlT_T0_E_clISt17integral_constantIbLb1EESV_IbLb0EEEEDaSR_SS_EUlSR_E_NS1_11comp_targetILNS1_3genE10ELNS1_11target_archE1201ELNS1_3gpuE5ELNS1_3repE0EEENS1_30default_config_static_selectorELNS0_4arch9wavefront6targetE1EEEvT1_
; %bb.0:
	.section	.rodata,"a",@progbits
	.p2align	6, 0x0
	.amdhsa_kernel _ZN7rocprim17ROCPRIM_400000_NS6detail17trampoline_kernelINS0_14default_configENS1_20scan_config_selectorIdEEZZNS1_9scan_implILNS1_25lookback_scan_determinismE0ELb0ELb0ES3_PKdPddZZZN2at6native31launch_logcumsumexp_cuda_kernelERKNSB_10TensorBaseESF_lENKUlvE_clEvENKUlvE_clEvEUlddE_dEEDaPvRmT3_T4_T5_mT6_P12ihipStream_tbENKUlT_T0_E_clISt17integral_constantIbLb1EESV_IbLb0EEEEDaSR_SS_EUlSR_E_NS1_11comp_targetILNS1_3genE10ELNS1_11target_archE1201ELNS1_3gpuE5ELNS1_3repE0EEENS1_30default_config_static_selectorELNS0_4arch9wavefront6targetE1EEEvT1_
		.amdhsa_group_segment_fixed_size 0
		.amdhsa_private_segment_fixed_size 0
		.amdhsa_kernarg_size 104
		.amdhsa_user_sgpr_count 6
		.amdhsa_user_sgpr_private_segment_buffer 1
		.amdhsa_user_sgpr_dispatch_ptr 0
		.amdhsa_user_sgpr_queue_ptr 0
		.amdhsa_user_sgpr_kernarg_segment_ptr 1
		.amdhsa_user_sgpr_dispatch_id 0
		.amdhsa_user_sgpr_flat_scratch_init 0
		.amdhsa_user_sgpr_private_segment_size 0
		.amdhsa_uses_dynamic_stack 0
		.amdhsa_system_sgpr_private_segment_wavefront_offset 0
		.amdhsa_system_sgpr_workgroup_id_x 1
		.amdhsa_system_sgpr_workgroup_id_y 0
		.amdhsa_system_sgpr_workgroup_id_z 0
		.amdhsa_system_sgpr_workgroup_info 0
		.amdhsa_system_vgpr_workitem_id 0
		.amdhsa_next_free_vgpr 1
		.amdhsa_next_free_sgpr 0
		.amdhsa_reserve_vcc 0
		.amdhsa_reserve_flat_scratch 0
		.amdhsa_float_round_mode_32 0
		.amdhsa_float_round_mode_16_64 0
		.amdhsa_float_denorm_mode_32 3
		.amdhsa_float_denorm_mode_16_64 3
		.amdhsa_dx10_clamp 1
		.amdhsa_ieee_mode 1
		.amdhsa_fp16_overflow 0
		.amdhsa_exception_fp_ieee_invalid_op 0
		.amdhsa_exception_fp_denorm_src 0
		.amdhsa_exception_fp_ieee_div_zero 0
		.amdhsa_exception_fp_ieee_overflow 0
		.amdhsa_exception_fp_ieee_underflow 0
		.amdhsa_exception_fp_ieee_inexact 0
		.amdhsa_exception_int_div_zero 0
	.end_amdhsa_kernel
	.section	.text._ZN7rocprim17ROCPRIM_400000_NS6detail17trampoline_kernelINS0_14default_configENS1_20scan_config_selectorIdEEZZNS1_9scan_implILNS1_25lookback_scan_determinismE0ELb0ELb0ES3_PKdPddZZZN2at6native31launch_logcumsumexp_cuda_kernelERKNSB_10TensorBaseESF_lENKUlvE_clEvENKUlvE_clEvEUlddE_dEEDaPvRmT3_T4_T5_mT6_P12ihipStream_tbENKUlT_T0_E_clISt17integral_constantIbLb1EESV_IbLb0EEEEDaSR_SS_EUlSR_E_NS1_11comp_targetILNS1_3genE10ELNS1_11target_archE1201ELNS1_3gpuE5ELNS1_3repE0EEENS1_30default_config_static_selectorELNS0_4arch9wavefront6targetE1EEEvT1_,"axG",@progbits,_ZN7rocprim17ROCPRIM_400000_NS6detail17trampoline_kernelINS0_14default_configENS1_20scan_config_selectorIdEEZZNS1_9scan_implILNS1_25lookback_scan_determinismE0ELb0ELb0ES3_PKdPddZZZN2at6native31launch_logcumsumexp_cuda_kernelERKNSB_10TensorBaseESF_lENKUlvE_clEvENKUlvE_clEvEUlddE_dEEDaPvRmT3_T4_T5_mT6_P12ihipStream_tbENKUlT_T0_E_clISt17integral_constantIbLb1EESV_IbLb0EEEEDaSR_SS_EUlSR_E_NS1_11comp_targetILNS1_3genE10ELNS1_11target_archE1201ELNS1_3gpuE5ELNS1_3repE0EEENS1_30default_config_static_selectorELNS0_4arch9wavefront6targetE1EEEvT1_,comdat
.Lfunc_end52:
	.size	_ZN7rocprim17ROCPRIM_400000_NS6detail17trampoline_kernelINS0_14default_configENS1_20scan_config_selectorIdEEZZNS1_9scan_implILNS1_25lookback_scan_determinismE0ELb0ELb0ES3_PKdPddZZZN2at6native31launch_logcumsumexp_cuda_kernelERKNSB_10TensorBaseESF_lENKUlvE_clEvENKUlvE_clEvEUlddE_dEEDaPvRmT3_T4_T5_mT6_P12ihipStream_tbENKUlT_T0_E_clISt17integral_constantIbLb1EESV_IbLb0EEEEDaSR_SS_EUlSR_E_NS1_11comp_targetILNS1_3genE10ELNS1_11target_archE1201ELNS1_3gpuE5ELNS1_3repE0EEENS1_30default_config_static_selectorELNS0_4arch9wavefront6targetE1EEEvT1_, .Lfunc_end52-_ZN7rocprim17ROCPRIM_400000_NS6detail17trampoline_kernelINS0_14default_configENS1_20scan_config_selectorIdEEZZNS1_9scan_implILNS1_25lookback_scan_determinismE0ELb0ELb0ES3_PKdPddZZZN2at6native31launch_logcumsumexp_cuda_kernelERKNSB_10TensorBaseESF_lENKUlvE_clEvENKUlvE_clEvEUlddE_dEEDaPvRmT3_T4_T5_mT6_P12ihipStream_tbENKUlT_T0_E_clISt17integral_constantIbLb1EESV_IbLb0EEEEDaSR_SS_EUlSR_E_NS1_11comp_targetILNS1_3genE10ELNS1_11target_archE1201ELNS1_3gpuE5ELNS1_3repE0EEENS1_30default_config_static_selectorELNS0_4arch9wavefront6targetE1EEEvT1_
                                        ; -- End function
	.set _ZN7rocprim17ROCPRIM_400000_NS6detail17trampoline_kernelINS0_14default_configENS1_20scan_config_selectorIdEEZZNS1_9scan_implILNS1_25lookback_scan_determinismE0ELb0ELb0ES3_PKdPddZZZN2at6native31launch_logcumsumexp_cuda_kernelERKNSB_10TensorBaseESF_lENKUlvE_clEvENKUlvE_clEvEUlddE_dEEDaPvRmT3_T4_T5_mT6_P12ihipStream_tbENKUlT_T0_E_clISt17integral_constantIbLb1EESV_IbLb0EEEEDaSR_SS_EUlSR_E_NS1_11comp_targetILNS1_3genE10ELNS1_11target_archE1201ELNS1_3gpuE5ELNS1_3repE0EEENS1_30default_config_static_selectorELNS0_4arch9wavefront6targetE1EEEvT1_.num_vgpr, 0
	.set _ZN7rocprim17ROCPRIM_400000_NS6detail17trampoline_kernelINS0_14default_configENS1_20scan_config_selectorIdEEZZNS1_9scan_implILNS1_25lookback_scan_determinismE0ELb0ELb0ES3_PKdPddZZZN2at6native31launch_logcumsumexp_cuda_kernelERKNSB_10TensorBaseESF_lENKUlvE_clEvENKUlvE_clEvEUlddE_dEEDaPvRmT3_T4_T5_mT6_P12ihipStream_tbENKUlT_T0_E_clISt17integral_constantIbLb1EESV_IbLb0EEEEDaSR_SS_EUlSR_E_NS1_11comp_targetILNS1_3genE10ELNS1_11target_archE1201ELNS1_3gpuE5ELNS1_3repE0EEENS1_30default_config_static_selectorELNS0_4arch9wavefront6targetE1EEEvT1_.num_agpr, 0
	.set _ZN7rocprim17ROCPRIM_400000_NS6detail17trampoline_kernelINS0_14default_configENS1_20scan_config_selectorIdEEZZNS1_9scan_implILNS1_25lookback_scan_determinismE0ELb0ELb0ES3_PKdPddZZZN2at6native31launch_logcumsumexp_cuda_kernelERKNSB_10TensorBaseESF_lENKUlvE_clEvENKUlvE_clEvEUlddE_dEEDaPvRmT3_T4_T5_mT6_P12ihipStream_tbENKUlT_T0_E_clISt17integral_constantIbLb1EESV_IbLb0EEEEDaSR_SS_EUlSR_E_NS1_11comp_targetILNS1_3genE10ELNS1_11target_archE1201ELNS1_3gpuE5ELNS1_3repE0EEENS1_30default_config_static_selectorELNS0_4arch9wavefront6targetE1EEEvT1_.numbered_sgpr, 0
	.set _ZN7rocprim17ROCPRIM_400000_NS6detail17trampoline_kernelINS0_14default_configENS1_20scan_config_selectorIdEEZZNS1_9scan_implILNS1_25lookback_scan_determinismE0ELb0ELb0ES3_PKdPddZZZN2at6native31launch_logcumsumexp_cuda_kernelERKNSB_10TensorBaseESF_lENKUlvE_clEvENKUlvE_clEvEUlddE_dEEDaPvRmT3_T4_T5_mT6_P12ihipStream_tbENKUlT_T0_E_clISt17integral_constantIbLb1EESV_IbLb0EEEEDaSR_SS_EUlSR_E_NS1_11comp_targetILNS1_3genE10ELNS1_11target_archE1201ELNS1_3gpuE5ELNS1_3repE0EEENS1_30default_config_static_selectorELNS0_4arch9wavefront6targetE1EEEvT1_.num_named_barrier, 0
	.set _ZN7rocprim17ROCPRIM_400000_NS6detail17trampoline_kernelINS0_14default_configENS1_20scan_config_selectorIdEEZZNS1_9scan_implILNS1_25lookback_scan_determinismE0ELb0ELb0ES3_PKdPddZZZN2at6native31launch_logcumsumexp_cuda_kernelERKNSB_10TensorBaseESF_lENKUlvE_clEvENKUlvE_clEvEUlddE_dEEDaPvRmT3_T4_T5_mT6_P12ihipStream_tbENKUlT_T0_E_clISt17integral_constantIbLb1EESV_IbLb0EEEEDaSR_SS_EUlSR_E_NS1_11comp_targetILNS1_3genE10ELNS1_11target_archE1201ELNS1_3gpuE5ELNS1_3repE0EEENS1_30default_config_static_selectorELNS0_4arch9wavefront6targetE1EEEvT1_.private_seg_size, 0
	.set _ZN7rocprim17ROCPRIM_400000_NS6detail17trampoline_kernelINS0_14default_configENS1_20scan_config_selectorIdEEZZNS1_9scan_implILNS1_25lookback_scan_determinismE0ELb0ELb0ES3_PKdPddZZZN2at6native31launch_logcumsumexp_cuda_kernelERKNSB_10TensorBaseESF_lENKUlvE_clEvENKUlvE_clEvEUlddE_dEEDaPvRmT3_T4_T5_mT6_P12ihipStream_tbENKUlT_T0_E_clISt17integral_constantIbLb1EESV_IbLb0EEEEDaSR_SS_EUlSR_E_NS1_11comp_targetILNS1_3genE10ELNS1_11target_archE1201ELNS1_3gpuE5ELNS1_3repE0EEENS1_30default_config_static_selectorELNS0_4arch9wavefront6targetE1EEEvT1_.uses_vcc, 0
	.set _ZN7rocprim17ROCPRIM_400000_NS6detail17trampoline_kernelINS0_14default_configENS1_20scan_config_selectorIdEEZZNS1_9scan_implILNS1_25lookback_scan_determinismE0ELb0ELb0ES3_PKdPddZZZN2at6native31launch_logcumsumexp_cuda_kernelERKNSB_10TensorBaseESF_lENKUlvE_clEvENKUlvE_clEvEUlddE_dEEDaPvRmT3_T4_T5_mT6_P12ihipStream_tbENKUlT_T0_E_clISt17integral_constantIbLb1EESV_IbLb0EEEEDaSR_SS_EUlSR_E_NS1_11comp_targetILNS1_3genE10ELNS1_11target_archE1201ELNS1_3gpuE5ELNS1_3repE0EEENS1_30default_config_static_selectorELNS0_4arch9wavefront6targetE1EEEvT1_.uses_flat_scratch, 0
	.set _ZN7rocprim17ROCPRIM_400000_NS6detail17trampoline_kernelINS0_14default_configENS1_20scan_config_selectorIdEEZZNS1_9scan_implILNS1_25lookback_scan_determinismE0ELb0ELb0ES3_PKdPddZZZN2at6native31launch_logcumsumexp_cuda_kernelERKNSB_10TensorBaseESF_lENKUlvE_clEvENKUlvE_clEvEUlddE_dEEDaPvRmT3_T4_T5_mT6_P12ihipStream_tbENKUlT_T0_E_clISt17integral_constantIbLb1EESV_IbLb0EEEEDaSR_SS_EUlSR_E_NS1_11comp_targetILNS1_3genE10ELNS1_11target_archE1201ELNS1_3gpuE5ELNS1_3repE0EEENS1_30default_config_static_selectorELNS0_4arch9wavefront6targetE1EEEvT1_.has_dyn_sized_stack, 0
	.set _ZN7rocprim17ROCPRIM_400000_NS6detail17trampoline_kernelINS0_14default_configENS1_20scan_config_selectorIdEEZZNS1_9scan_implILNS1_25lookback_scan_determinismE0ELb0ELb0ES3_PKdPddZZZN2at6native31launch_logcumsumexp_cuda_kernelERKNSB_10TensorBaseESF_lENKUlvE_clEvENKUlvE_clEvEUlddE_dEEDaPvRmT3_T4_T5_mT6_P12ihipStream_tbENKUlT_T0_E_clISt17integral_constantIbLb1EESV_IbLb0EEEEDaSR_SS_EUlSR_E_NS1_11comp_targetILNS1_3genE10ELNS1_11target_archE1201ELNS1_3gpuE5ELNS1_3repE0EEENS1_30default_config_static_selectorELNS0_4arch9wavefront6targetE1EEEvT1_.has_recursion, 0
	.set _ZN7rocprim17ROCPRIM_400000_NS6detail17trampoline_kernelINS0_14default_configENS1_20scan_config_selectorIdEEZZNS1_9scan_implILNS1_25lookback_scan_determinismE0ELb0ELb0ES3_PKdPddZZZN2at6native31launch_logcumsumexp_cuda_kernelERKNSB_10TensorBaseESF_lENKUlvE_clEvENKUlvE_clEvEUlddE_dEEDaPvRmT3_T4_T5_mT6_P12ihipStream_tbENKUlT_T0_E_clISt17integral_constantIbLb1EESV_IbLb0EEEEDaSR_SS_EUlSR_E_NS1_11comp_targetILNS1_3genE10ELNS1_11target_archE1201ELNS1_3gpuE5ELNS1_3repE0EEENS1_30default_config_static_selectorELNS0_4arch9wavefront6targetE1EEEvT1_.has_indirect_call, 0
	.section	.AMDGPU.csdata,"",@progbits
; Kernel info:
; codeLenInByte = 0
; TotalNumSgprs: 4
; NumVgprs: 0
; ScratchSize: 0
; MemoryBound: 0
; FloatMode: 240
; IeeeMode: 1
; LDSByteSize: 0 bytes/workgroup (compile time only)
; SGPRBlocks: 0
; VGPRBlocks: 0
; NumSGPRsForWavesPerEU: 4
; NumVGPRsForWavesPerEU: 1
; Occupancy: 10
; WaveLimiterHint : 0
; COMPUTE_PGM_RSRC2:SCRATCH_EN: 0
; COMPUTE_PGM_RSRC2:USER_SGPR: 6
; COMPUTE_PGM_RSRC2:TRAP_HANDLER: 0
; COMPUTE_PGM_RSRC2:TGID_X_EN: 1
; COMPUTE_PGM_RSRC2:TGID_Y_EN: 0
; COMPUTE_PGM_RSRC2:TGID_Z_EN: 0
; COMPUTE_PGM_RSRC2:TIDIG_COMP_CNT: 0
	.section	.text._ZN7rocprim17ROCPRIM_400000_NS6detail17trampoline_kernelINS0_14default_configENS1_20scan_config_selectorIdEEZZNS1_9scan_implILNS1_25lookback_scan_determinismE0ELb0ELb0ES3_PKdPddZZZN2at6native31launch_logcumsumexp_cuda_kernelERKNSB_10TensorBaseESF_lENKUlvE_clEvENKUlvE_clEvEUlddE_dEEDaPvRmT3_T4_T5_mT6_P12ihipStream_tbENKUlT_T0_E_clISt17integral_constantIbLb1EESV_IbLb0EEEEDaSR_SS_EUlSR_E_NS1_11comp_targetILNS1_3genE10ELNS1_11target_archE1200ELNS1_3gpuE4ELNS1_3repE0EEENS1_30default_config_static_selectorELNS0_4arch9wavefront6targetE1EEEvT1_,"axG",@progbits,_ZN7rocprim17ROCPRIM_400000_NS6detail17trampoline_kernelINS0_14default_configENS1_20scan_config_selectorIdEEZZNS1_9scan_implILNS1_25lookback_scan_determinismE0ELb0ELb0ES3_PKdPddZZZN2at6native31launch_logcumsumexp_cuda_kernelERKNSB_10TensorBaseESF_lENKUlvE_clEvENKUlvE_clEvEUlddE_dEEDaPvRmT3_T4_T5_mT6_P12ihipStream_tbENKUlT_T0_E_clISt17integral_constantIbLb1EESV_IbLb0EEEEDaSR_SS_EUlSR_E_NS1_11comp_targetILNS1_3genE10ELNS1_11target_archE1200ELNS1_3gpuE4ELNS1_3repE0EEENS1_30default_config_static_selectorELNS0_4arch9wavefront6targetE1EEEvT1_,comdat
	.globl	_ZN7rocprim17ROCPRIM_400000_NS6detail17trampoline_kernelINS0_14default_configENS1_20scan_config_selectorIdEEZZNS1_9scan_implILNS1_25lookback_scan_determinismE0ELb0ELb0ES3_PKdPddZZZN2at6native31launch_logcumsumexp_cuda_kernelERKNSB_10TensorBaseESF_lENKUlvE_clEvENKUlvE_clEvEUlddE_dEEDaPvRmT3_T4_T5_mT6_P12ihipStream_tbENKUlT_T0_E_clISt17integral_constantIbLb1EESV_IbLb0EEEEDaSR_SS_EUlSR_E_NS1_11comp_targetILNS1_3genE10ELNS1_11target_archE1200ELNS1_3gpuE4ELNS1_3repE0EEENS1_30default_config_static_selectorELNS0_4arch9wavefront6targetE1EEEvT1_ ; -- Begin function _ZN7rocprim17ROCPRIM_400000_NS6detail17trampoline_kernelINS0_14default_configENS1_20scan_config_selectorIdEEZZNS1_9scan_implILNS1_25lookback_scan_determinismE0ELb0ELb0ES3_PKdPddZZZN2at6native31launch_logcumsumexp_cuda_kernelERKNSB_10TensorBaseESF_lENKUlvE_clEvENKUlvE_clEvEUlddE_dEEDaPvRmT3_T4_T5_mT6_P12ihipStream_tbENKUlT_T0_E_clISt17integral_constantIbLb1EESV_IbLb0EEEEDaSR_SS_EUlSR_E_NS1_11comp_targetILNS1_3genE10ELNS1_11target_archE1200ELNS1_3gpuE4ELNS1_3repE0EEENS1_30default_config_static_selectorELNS0_4arch9wavefront6targetE1EEEvT1_
	.p2align	8
	.type	_ZN7rocprim17ROCPRIM_400000_NS6detail17trampoline_kernelINS0_14default_configENS1_20scan_config_selectorIdEEZZNS1_9scan_implILNS1_25lookback_scan_determinismE0ELb0ELb0ES3_PKdPddZZZN2at6native31launch_logcumsumexp_cuda_kernelERKNSB_10TensorBaseESF_lENKUlvE_clEvENKUlvE_clEvEUlddE_dEEDaPvRmT3_T4_T5_mT6_P12ihipStream_tbENKUlT_T0_E_clISt17integral_constantIbLb1EESV_IbLb0EEEEDaSR_SS_EUlSR_E_NS1_11comp_targetILNS1_3genE10ELNS1_11target_archE1200ELNS1_3gpuE4ELNS1_3repE0EEENS1_30default_config_static_selectorELNS0_4arch9wavefront6targetE1EEEvT1_,@function
_ZN7rocprim17ROCPRIM_400000_NS6detail17trampoline_kernelINS0_14default_configENS1_20scan_config_selectorIdEEZZNS1_9scan_implILNS1_25lookback_scan_determinismE0ELb0ELb0ES3_PKdPddZZZN2at6native31launch_logcumsumexp_cuda_kernelERKNSB_10TensorBaseESF_lENKUlvE_clEvENKUlvE_clEvEUlddE_dEEDaPvRmT3_T4_T5_mT6_P12ihipStream_tbENKUlT_T0_E_clISt17integral_constantIbLb1EESV_IbLb0EEEEDaSR_SS_EUlSR_E_NS1_11comp_targetILNS1_3genE10ELNS1_11target_archE1200ELNS1_3gpuE4ELNS1_3repE0EEENS1_30default_config_static_selectorELNS0_4arch9wavefront6targetE1EEEvT1_: ; @_ZN7rocprim17ROCPRIM_400000_NS6detail17trampoline_kernelINS0_14default_configENS1_20scan_config_selectorIdEEZZNS1_9scan_implILNS1_25lookback_scan_determinismE0ELb0ELb0ES3_PKdPddZZZN2at6native31launch_logcumsumexp_cuda_kernelERKNSB_10TensorBaseESF_lENKUlvE_clEvENKUlvE_clEvEUlddE_dEEDaPvRmT3_T4_T5_mT6_P12ihipStream_tbENKUlT_T0_E_clISt17integral_constantIbLb1EESV_IbLb0EEEEDaSR_SS_EUlSR_E_NS1_11comp_targetILNS1_3genE10ELNS1_11target_archE1200ELNS1_3gpuE4ELNS1_3repE0EEENS1_30default_config_static_selectorELNS0_4arch9wavefront6targetE1EEEvT1_
; %bb.0:
	.section	.rodata,"a",@progbits
	.p2align	6, 0x0
	.amdhsa_kernel _ZN7rocprim17ROCPRIM_400000_NS6detail17trampoline_kernelINS0_14default_configENS1_20scan_config_selectorIdEEZZNS1_9scan_implILNS1_25lookback_scan_determinismE0ELb0ELb0ES3_PKdPddZZZN2at6native31launch_logcumsumexp_cuda_kernelERKNSB_10TensorBaseESF_lENKUlvE_clEvENKUlvE_clEvEUlddE_dEEDaPvRmT3_T4_T5_mT6_P12ihipStream_tbENKUlT_T0_E_clISt17integral_constantIbLb1EESV_IbLb0EEEEDaSR_SS_EUlSR_E_NS1_11comp_targetILNS1_3genE10ELNS1_11target_archE1200ELNS1_3gpuE4ELNS1_3repE0EEENS1_30default_config_static_selectorELNS0_4arch9wavefront6targetE1EEEvT1_
		.amdhsa_group_segment_fixed_size 0
		.amdhsa_private_segment_fixed_size 0
		.amdhsa_kernarg_size 104
		.amdhsa_user_sgpr_count 6
		.amdhsa_user_sgpr_private_segment_buffer 1
		.amdhsa_user_sgpr_dispatch_ptr 0
		.amdhsa_user_sgpr_queue_ptr 0
		.amdhsa_user_sgpr_kernarg_segment_ptr 1
		.amdhsa_user_sgpr_dispatch_id 0
		.amdhsa_user_sgpr_flat_scratch_init 0
		.amdhsa_user_sgpr_private_segment_size 0
		.amdhsa_uses_dynamic_stack 0
		.amdhsa_system_sgpr_private_segment_wavefront_offset 0
		.amdhsa_system_sgpr_workgroup_id_x 1
		.amdhsa_system_sgpr_workgroup_id_y 0
		.amdhsa_system_sgpr_workgroup_id_z 0
		.amdhsa_system_sgpr_workgroup_info 0
		.amdhsa_system_vgpr_workitem_id 0
		.amdhsa_next_free_vgpr 1
		.amdhsa_next_free_sgpr 0
		.amdhsa_reserve_vcc 0
		.amdhsa_reserve_flat_scratch 0
		.amdhsa_float_round_mode_32 0
		.amdhsa_float_round_mode_16_64 0
		.amdhsa_float_denorm_mode_32 3
		.amdhsa_float_denorm_mode_16_64 3
		.amdhsa_dx10_clamp 1
		.amdhsa_ieee_mode 1
		.amdhsa_fp16_overflow 0
		.amdhsa_exception_fp_ieee_invalid_op 0
		.amdhsa_exception_fp_denorm_src 0
		.amdhsa_exception_fp_ieee_div_zero 0
		.amdhsa_exception_fp_ieee_overflow 0
		.amdhsa_exception_fp_ieee_underflow 0
		.amdhsa_exception_fp_ieee_inexact 0
		.amdhsa_exception_int_div_zero 0
	.end_amdhsa_kernel
	.section	.text._ZN7rocprim17ROCPRIM_400000_NS6detail17trampoline_kernelINS0_14default_configENS1_20scan_config_selectorIdEEZZNS1_9scan_implILNS1_25lookback_scan_determinismE0ELb0ELb0ES3_PKdPddZZZN2at6native31launch_logcumsumexp_cuda_kernelERKNSB_10TensorBaseESF_lENKUlvE_clEvENKUlvE_clEvEUlddE_dEEDaPvRmT3_T4_T5_mT6_P12ihipStream_tbENKUlT_T0_E_clISt17integral_constantIbLb1EESV_IbLb0EEEEDaSR_SS_EUlSR_E_NS1_11comp_targetILNS1_3genE10ELNS1_11target_archE1200ELNS1_3gpuE4ELNS1_3repE0EEENS1_30default_config_static_selectorELNS0_4arch9wavefront6targetE1EEEvT1_,"axG",@progbits,_ZN7rocprim17ROCPRIM_400000_NS6detail17trampoline_kernelINS0_14default_configENS1_20scan_config_selectorIdEEZZNS1_9scan_implILNS1_25lookback_scan_determinismE0ELb0ELb0ES3_PKdPddZZZN2at6native31launch_logcumsumexp_cuda_kernelERKNSB_10TensorBaseESF_lENKUlvE_clEvENKUlvE_clEvEUlddE_dEEDaPvRmT3_T4_T5_mT6_P12ihipStream_tbENKUlT_T0_E_clISt17integral_constantIbLb1EESV_IbLb0EEEEDaSR_SS_EUlSR_E_NS1_11comp_targetILNS1_3genE10ELNS1_11target_archE1200ELNS1_3gpuE4ELNS1_3repE0EEENS1_30default_config_static_selectorELNS0_4arch9wavefront6targetE1EEEvT1_,comdat
.Lfunc_end53:
	.size	_ZN7rocprim17ROCPRIM_400000_NS6detail17trampoline_kernelINS0_14default_configENS1_20scan_config_selectorIdEEZZNS1_9scan_implILNS1_25lookback_scan_determinismE0ELb0ELb0ES3_PKdPddZZZN2at6native31launch_logcumsumexp_cuda_kernelERKNSB_10TensorBaseESF_lENKUlvE_clEvENKUlvE_clEvEUlddE_dEEDaPvRmT3_T4_T5_mT6_P12ihipStream_tbENKUlT_T0_E_clISt17integral_constantIbLb1EESV_IbLb0EEEEDaSR_SS_EUlSR_E_NS1_11comp_targetILNS1_3genE10ELNS1_11target_archE1200ELNS1_3gpuE4ELNS1_3repE0EEENS1_30default_config_static_selectorELNS0_4arch9wavefront6targetE1EEEvT1_, .Lfunc_end53-_ZN7rocprim17ROCPRIM_400000_NS6detail17trampoline_kernelINS0_14default_configENS1_20scan_config_selectorIdEEZZNS1_9scan_implILNS1_25lookback_scan_determinismE0ELb0ELb0ES3_PKdPddZZZN2at6native31launch_logcumsumexp_cuda_kernelERKNSB_10TensorBaseESF_lENKUlvE_clEvENKUlvE_clEvEUlddE_dEEDaPvRmT3_T4_T5_mT6_P12ihipStream_tbENKUlT_T0_E_clISt17integral_constantIbLb1EESV_IbLb0EEEEDaSR_SS_EUlSR_E_NS1_11comp_targetILNS1_3genE10ELNS1_11target_archE1200ELNS1_3gpuE4ELNS1_3repE0EEENS1_30default_config_static_selectorELNS0_4arch9wavefront6targetE1EEEvT1_
                                        ; -- End function
	.set _ZN7rocprim17ROCPRIM_400000_NS6detail17trampoline_kernelINS0_14default_configENS1_20scan_config_selectorIdEEZZNS1_9scan_implILNS1_25lookback_scan_determinismE0ELb0ELb0ES3_PKdPddZZZN2at6native31launch_logcumsumexp_cuda_kernelERKNSB_10TensorBaseESF_lENKUlvE_clEvENKUlvE_clEvEUlddE_dEEDaPvRmT3_T4_T5_mT6_P12ihipStream_tbENKUlT_T0_E_clISt17integral_constantIbLb1EESV_IbLb0EEEEDaSR_SS_EUlSR_E_NS1_11comp_targetILNS1_3genE10ELNS1_11target_archE1200ELNS1_3gpuE4ELNS1_3repE0EEENS1_30default_config_static_selectorELNS0_4arch9wavefront6targetE1EEEvT1_.num_vgpr, 0
	.set _ZN7rocprim17ROCPRIM_400000_NS6detail17trampoline_kernelINS0_14default_configENS1_20scan_config_selectorIdEEZZNS1_9scan_implILNS1_25lookback_scan_determinismE0ELb0ELb0ES3_PKdPddZZZN2at6native31launch_logcumsumexp_cuda_kernelERKNSB_10TensorBaseESF_lENKUlvE_clEvENKUlvE_clEvEUlddE_dEEDaPvRmT3_T4_T5_mT6_P12ihipStream_tbENKUlT_T0_E_clISt17integral_constantIbLb1EESV_IbLb0EEEEDaSR_SS_EUlSR_E_NS1_11comp_targetILNS1_3genE10ELNS1_11target_archE1200ELNS1_3gpuE4ELNS1_3repE0EEENS1_30default_config_static_selectorELNS0_4arch9wavefront6targetE1EEEvT1_.num_agpr, 0
	.set _ZN7rocprim17ROCPRIM_400000_NS6detail17trampoline_kernelINS0_14default_configENS1_20scan_config_selectorIdEEZZNS1_9scan_implILNS1_25lookback_scan_determinismE0ELb0ELb0ES3_PKdPddZZZN2at6native31launch_logcumsumexp_cuda_kernelERKNSB_10TensorBaseESF_lENKUlvE_clEvENKUlvE_clEvEUlddE_dEEDaPvRmT3_T4_T5_mT6_P12ihipStream_tbENKUlT_T0_E_clISt17integral_constantIbLb1EESV_IbLb0EEEEDaSR_SS_EUlSR_E_NS1_11comp_targetILNS1_3genE10ELNS1_11target_archE1200ELNS1_3gpuE4ELNS1_3repE0EEENS1_30default_config_static_selectorELNS0_4arch9wavefront6targetE1EEEvT1_.numbered_sgpr, 0
	.set _ZN7rocprim17ROCPRIM_400000_NS6detail17trampoline_kernelINS0_14default_configENS1_20scan_config_selectorIdEEZZNS1_9scan_implILNS1_25lookback_scan_determinismE0ELb0ELb0ES3_PKdPddZZZN2at6native31launch_logcumsumexp_cuda_kernelERKNSB_10TensorBaseESF_lENKUlvE_clEvENKUlvE_clEvEUlddE_dEEDaPvRmT3_T4_T5_mT6_P12ihipStream_tbENKUlT_T0_E_clISt17integral_constantIbLb1EESV_IbLb0EEEEDaSR_SS_EUlSR_E_NS1_11comp_targetILNS1_3genE10ELNS1_11target_archE1200ELNS1_3gpuE4ELNS1_3repE0EEENS1_30default_config_static_selectorELNS0_4arch9wavefront6targetE1EEEvT1_.num_named_barrier, 0
	.set _ZN7rocprim17ROCPRIM_400000_NS6detail17trampoline_kernelINS0_14default_configENS1_20scan_config_selectorIdEEZZNS1_9scan_implILNS1_25lookback_scan_determinismE0ELb0ELb0ES3_PKdPddZZZN2at6native31launch_logcumsumexp_cuda_kernelERKNSB_10TensorBaseESF_lENKUlvE_clEvENKUlvE_clEvEUlddE_dEEDaPvRmT3_T4_T5_mT6_P12ihipStream_tbENKUlT_T0_E_clISt17integral_constantIbLb1EESV_IbLb0EEEEDaSR_SS_EUlSR_E_NS1_11comp_targetILNS1_3genE10ELNS1_11target_archE1200ELNS1_3gpuE4ELNS1_3repE0EEENS1_30default_config_static_selectorELNS0_4arch9wavefront6targetE1EEEvT1_.private_seg_size, 0
	.set _ZN7rocprim17ROCPRIM_400000_NS6detail17trampoline_kernelINS0_14default_configENS1_20scan_config_selectorIdEEZZNS1_9scan_implILNS1_25lookback_scan_determinismE0ELb0ELb0ES3_PKdPddZZZN2at6native31launch_logcumsumexp_cuda_kernelERKNSB_10TensorBaseESF_lENKUlvE_clEvENKUlvE_clEvEUlddE_dEEDaPvRmT3_T4_T5_mT6_P12ihipStream_tbENKUlT_T0_E_clISt17integral_constantIbLb1EESV_IbLb0EEEEDaSR_SS_EUlSR_E_NS1_11comp_targetILNS1_3genE10ELNS1_11target_archE1200ELNS1_3gpuE4ELNS1_3repE0EEENS1_30default_config_static_selectorELNS0_4arch9wavefront6targetE1EEEvT1_.uses_vcc, 0
	.set _ZN7rocprim17ROCPRIM_400000_NS6detail17trampoline_kernelINS0_14default_configENS1_20scan_config_selectorIdEEZZNS1_9scan_implILNS1_25lookback_scan_determinismE0ELb0ELb0ES3_PKdPddZZZN2at6native31launch_logcumsumexp_cuda_kernelERKNSB_10TensorBaseESF_lENKUlvE_clEvENKUlvE_clEvEUlddE_dEEDaPvRmT3_T4_T5_mT6_P12ihipStream_tbENKUlT_T0_E_clISt17integral_constantIbLb1EESV_IbLb0EEEEDaSR_SS_EUlSR_E_NS1_11comp_targetILNS1_3genE10ELNS1_11target_archE1200ELNS1_3gpuE4ELNS1_3repE0EEENS1_30default_config_static_selectorELNS0_4arch9wavefront6targetE1EEEvT1_.uses_flat_scratch, 0
	.set _ZN7rocprim17ROCPRIM_400000_NS6detail17trampoline_kernelINS0_14default_configENS1_20scan_config_selectorIdEEZZNS1_9scan_implILNS1_25lookback_scan_determinismE0ELb0ELb0ES3_PKdPddZZZN2at6native31launch_logcumsumexp_cuda_kernelERKNSB_10TensorBaseESF_lENKUlvE_clEvENKUlvE_clEvEUlddE_dEEDaPvRmT3_T4_T5_mT6_P12ihipStream_tbENKUlT_T0_E_clISt17integral_constantIbLb1EESV_IbLb0EEEEDaSR_SS_EUlSR_E_NS1_11comp_targetILNS1_3genE10ELNS1_11target_archE1200ELNS1_3gpuE4ELNS1_3repE0EEENS1_30default_config_static_selectorELNS0_4arch9wavefront6targetE1EEEvT1_.has_dyn_sized_stack, 0
	.set _ZN7rocprim17ROCPRIM_400000_NS6detail17trampoline_kernelINS0_14default_configENS1_20scan_config_selectorIdEEZZNS1_9scan_implILNS1_25lookback_scan_determinismE0ELb0ELb0ES3_PKdPddZZZN2at6native31launch_logcumsumexp_cuda_kernelERKNSB_10TensorBaseESF_lENKUlvE_clEvENKUlvE_clEvEUlddE_dEEDaPvRmT3_T4_T5_mT6_P12ihipStream_tbENKUlT_T0_E_clISt17integral_constantIbLb1EESV_IbLb0EEEEDaSR_SS_EUlSR_E_NS1_11comp_targetILNS1_3genE10ELNS1_11target_archE1200ELNS1_3gpuE4ELNS1_3repE0EEENS1_30default_config_static_selectorELNS0_4arch9wavefront6targetE1EEEvT1_.has_recursion, 0
	.set _ZN7rocprim17ROCPRIM_400000_NS6detail17trampoline_kernelINS0_14default_configENS1_20scan_config_selectorIdEEZZNS1_9scan_implILNS1_25lookback_scan_determinismE0ELb0ELb0ES3_PKdPddZZZN2at6native31launch_logcumsumexp_cuda_kernelERKNSB_10TensorBaseESF_lENKUlvE_clEvENKUlvE_clEvEUlddE_dEEDaPvRmT3_T4_T5_mT6_P12ihipStream_tbENKUlT_T0_E_clISt17integral_constantIbLb1EESV_IbLb0EEEEDaSR_SS_EUlSR_E_NS1_11comp_targetILNS1_3genE10ELNS1_11target_archE1200ELNS1_3gpuE4ELNS1_3repE0EEENS1_30default_config_static_selectorELNS0_4arch9wavefront6targetE1EEEvT1_.has_indirect_call, 0
	.section	.AMDGPU.csdata,"",@progbits
; Kernel info:
; codeLenInByte = 0
; TotalNumSgprs: 4
; NumVgprs: 0
; ScratchSize: 0
; MemoryBound: 0
; FloatMode: 240
; IeeeMode: 1
; LDSByteSize: 0 bytes/workgroup (compile time only)
; SGPRBlocks: 0
; VGPRBlocks: 0
; NumSGPRsForWavesPerEU: 4
; NumVGPRsForWavesPerEU: 1
; Occupancy: 10
; WaveLimiterHint : 0
; COMPUTE_PGM_RSRC2:SCRATCH_EN: 0
; COMPUTE_PGM_RSRC2:USER_SGPR: 6
; COMPUTE_PGM_RSRC2:TRAP_HANDLER: 0
; COMPUTE_PGM_RSRC2:TGID_X_EN: 1
; COMPUTE_PGM_RSRC2:TGID_Y_EN: 0
; COMPUTE_PGM_RSRC2:TGID_Z_EN: 0
; COMPUTE_PGM_RSRC2:TIDIG_COMP_CNT: 0
	.section	.text._ZN7rocprim17ROCPRIM_400000_NS6detail17trampoline_kernelINS0_14default_configENS1_20scan_config_selectorIdEEZZNS1_9scan_implILNS1_25lookback_scan_determinismE0ELb0ELb0ES3_PKdPddZZZN2at6native31launch_logcumsumexp_cuda_kernelERKNSB_10TensorBaseESF_lENKUlvE_clEvENKUlvE_clEvEUlddE_dEEDaPvRmT3_T4_T5_mT6_P12ihipStream_tbENKUlT_T0_E_clISt17integral_constantIbLb1EESV_IbLb0EEEEDaSR_SS_EUlSR_E_NS1_11comp_targetILNS1_3genE9ELNS1_11target_archE1100ELNS1_3gpuE3ELNS1_3repE0EEENS1_30default_config_static_selectorELNS0_4arch9wavefront6targetE1EEEvT1_,"axG",@progbits,_ZN7rocprim17ROCPRIM_400000_NS6detail17trampoline_kernelINS0_14default_configENS1_20scan_config_selectorIdEEZZNS1_9scan_implILNS1_25lookback_scan_determinismE0ELb0ELb0ES3_PKdPddZZZN2at6native31launch_logcumsumexp_cuda_kernelERKNSB_10TensorBaseESF_lENKUlvE_clEvENKUlvE_clEvEUlddE_dEEDaPvRmT3_T4_T5_mT6_P12ihipStream_tbENKUlT_T0_E_clISt17integral_constantIbLb1EESV_IbLb0EEEEDaSR_SS_EUlSR_E_NS1_11comp_targetILNS1_3genE9ELNS1_11target_archE1100ELNS1_3gpuE3ELNS1_3repE0EEENS1_30default_config_static_selectorELNS0_4arch9wavefront6targetE1EEEvT1_,comdat
	.globl	_ZN7rocprim17ROCPRIM_400000_NS6detail17trampoline_kernelINS0_14default_configENS1_20scan_config_selectorIdEEZZNS1_9scan_implILNS1_25lookback_scan_determinismE0ELb0ELb0ES3_PKdPddZZZN2at6native31launch_logcumsumexp_cuda_kernelERKNSB_10TensorBaseESF_lENKUlvE_clEvENKUlvE_clEvEUlddE_dEEDaPvRmT3_T4_T5_mT6_P12ihipStream_tbENKUlT_T0_E_clISt17integral_constantIbLb1EESV_IbLb0EEEEDaSR_SS_EUlSR_E_NS1_11comp_targetILNS1_3genE9ELNS1_11target_archE1100ELNS1_3gpuE3ELNS1_3repE0EEENS1_30default_config_static_selectorELNS0_4arch9wavefront6targetE1EEEvT1_ ; -- Begin function _ZN7rocprim17ROCPRIM_400000_NS6detail17trampoline_kernelINS0_14default_configENS1_20scan_config_selectorIdEEZZNS1_9scan_implILNS1_25lookback_scan_determinismE0ELb0ELb0ES3_PKdPddZZZN2at6native31launch_logcumsumexp_cuda_kernelERKNSB_10TensorBaseESF_lENKUlvE_clEvENKUlvE_clEvEUlddE_dEEDaPvRmT3_T4_T5_mT6_P12ihipStream_tbENKUlT_T0_E_clISt17integral_constantIbLb1EESV_IbLb0EEEEDaSR_SS_EUlSR_E_NS1_11comp_targetILNS1_3genE9ELNS1_11target_archE1100ELNS1_3gpuE3ELNS1_3repE0EEENS1_30default_config_static_selectorELNS0_4arch9wavefront6targetE1EEEvT1_
	.p2align	8
	.type	_ZN7rocprim17ROCPRIM_400000_NS6detail17trampoline_kernelINS0_14default_configENS1_20scan_config_selectorIdEEZZNS1_9scan_implILNS1_25lookback_scan_determinismE0ELb0ELb0ES3_PKdPddZZZN2at6native31launch_logcumsumexp_cuda_kernelERKNSB_10TensorBaseESF_lENKUlvE_clEvENKUlvE_clEvEUlddE_dEEDaPvRmT3_T4_T5_mT6_P12ihipStream_tbENKUlT_T0_E_clISt17integral_constantIbLb1EESV_IbLb0EEEEDaSR_SS_EUlSR_E_NS1_11comp_targetILNS1_3genE9ELNS1_11target_archE1100ELNS1_3gpuE3ELNS1_3repE0EEENS1_30default_config_static_selectorELNS0_4arch9wavefront6targetE1EEEvT1_,@function
_ZN7rocprim17ROCPRIM_400000_NS6detail17trampoline_kernelINS0_14default_configENS1_20scan_config_selectorIdEEZZNS1_9scan_implILNS1_25lookback_scan_determinismE0ELb0ELb0ES3_PKdPddZZZN2at6native31launch_logcumsumexp_cuda_kernelERKNSB_10TensorBaseESF_lENKUlvE_clEvENKUlvE_clEvEUlddE_dEEDaPvRmT3_T4_T5_mT6_P12ihipStream_tbENKUlT_T0_E_clISt17integral_constantIbLb1EESV_IbLb0EEEEDaSR_SS_EUlSR_E_NS1_11comp_targetILNS1_3genE9ELNS1_11target_archE1100ELNS1_3gpuE3ELNS1_3repE0EEENS1_30default_config_static_selectorELNS0_4arch9wavefront6targetE1EEEvT1_: ; @_ZN7rocprim17ROCPRIM_400000_NS6detail17trampoline_kernelINS0_14default_configENS1_20scan_config_selectorIdEEZZNS1_9scan_implILNS1_25lookback_scan_determinismE0ELb0ELb0ES3_PKdPddZZZN2at6native31launch_logcumsumexp_cuda_kernelERKNSB_10TensorBaseESF_lENKUlvE_clEvENKUlvE_clEvEUlddE_dEEDaPvRmT3_T4_T5_mT6_P12ihipStream_tbENKUlT_T0_E_clISt17integral_constantIbLb1EESV_IbLb0EEEEDaSR_SS_EUlSR_E_NS1_11comp_targetILNS1_3genE9ELNS1_11target_archE1100ELNS1_3gpuE3ELNS1_3repE0EEENS1_30default_config_static_selectorELNS0_4arch9wavefront6targetE1EEEvT1_
; %bb.0:
	.section	.rodata,"a",@progbits
	.p2align	6, 0x0
	.amdhsa_kernel _ZN7rocprim17ROCPRIM_400000_NS6detail17trampoline_kernelINS0_14default_configENS1_20scan_config_selectorIdEEZZNS1_9scan_implILNS1_25lookback_scan_determinismE0ELb0ELb0ES3_PKdPddZZZN2at6native31launch_logcumsumexp_cuda_kernelERKNSB_10TensorBaseESF_lENKUlvE_clEvENKUlvE_clEvEUlddE_dEEDaPvRmT3_T4_T5_mT6_P12ihipStream_tbENKUlT_T0_E_clISt17integral_constantIbLb1EESV_IbLb0EEEEDaSR_SS_EUlSR_E_NS1_11comp_targetILNS1_3genE9ELNS1_11target_archE1100ELNS1_3gpuE3ELNS1_3repE0EEENS1_30default_config_static_selectorELNS0_4arch9wavefront6targetE1EEEvT1_
		.amdhsa_group_segment_fixed_size 0
		.amdhsa_private_segment_fixed_size 0
		.amdhsa_kernarg_size 104
		.amdhsa_user_sgpr_count 6
		.amdhsa_user_sgpr_private_segment_buffer 1
		.amdhsa_user_sgpr_dispatch_ptr 0
		.amdhsa_user_sgpr_queue_ptr 0
		.amdhsa_user_sgpr_kernarg_segment_ptr 1
		.amdhsa_user_sgpr_dispatch_id 0
		.amdhsa_user_sgpr_flat_scratch_init 0
		.amdhsa_user_sgpr_private_segment_size 0
		.amdhsa_uses_dynamic_stack 0
		.amdhsa_system_sgpr_private_segment_wavefront_offset 0
		.amdhsa_system_sgpr_workgroup_id_x 1
		.amdhsa_system_sgpr_workgroup_id_y 0
		.amdhsa_system_sgpr_workgroup_id_z 0
		.amdhsa_system_sgpr_workgroup_info 0
		.amdhsa_system_vgpr_workitem_id 0
		.amdhsa_next_free_vgpr 1
		.amdhsa_next_free_sgpr 0
		.amdhsa_reserve_vcc 0
		.amdhsa_reserve_flat_scratch 0
		.amdhsa_float_round_mode_32 0
		.amdhsa_float_round_mode_16_64 0
		.amdhsa_float_denorm_mode_32 3
		.amdhsa_float_denorm_mode_16_64 3
		.amdhsa_dx10_clamp 1
		.amdhsa_ieee_mode 1
		.amdhsa_fp16_overflow 0
		.amdhsa_exception_fp_ieee_invalid_op 0
		.amdhsa_exception_fp_denorm_src 0
		.amdhsa_exception_fp_ieee_div_zero 0
		.amdhsa_exception_fp_ieee_overflow 0
		.amdhsa_exception_fp_ieee_underflow 0
		.amdhsa_exception_fp_ieee_inexact 0
		.amdhsa_exception_int_div_zero 0
	.end_amdhsa_kernel
	.section	.text._ZN7rocprim17ROCPRIM_400000_NS6detail17trampoline_kernelINS0_14default_configENS1_20scan_config_selectorIdEEZZNS1_9scan_implILNS1_25lookback_scan_determinismE0ELb0ELb0ES3_PKdPddZZZN2at6native31launch_logcumsumexp_cuda_kernelERKNSB_10TensorBaseESF_lENKUlvE_clEvENKUlvE_clEvEUlddE_dEEDaPvRmT3_T4_T5_mT6_P12ihipStream_tbENKUlT_T0_E_clISt17integral_constantIbLb1EESV_IbLb0EEEEDaSR_SS_EUlSR_E_NS1_11comp_targetILNS1_3genE9ELNS1_11target_archE1100ELNS1_3gpuE3ELNS1_3repE0EEENS1_30default_config_static_selectorELNS0_4arch9wavefront6targetE1EEEvT1_,"axG",@progbits,_ZN7rocprim17ROCPRIM_400000_NS6detail17trampoline_kernelINS0_14default_configENS1_20scan_config_selectorIdEEZZNS1_9scan_implILNS1_25lookback_scan_determinismE0ELb0ELb0ES3_PKdPddZZZN2at6native31launch_logcumsumexp_cuda_kernelERKNSB_10TensorBaseESF_lENKUlvE_clEvENKUlvE_clEvEUlddE_dEEDaPvRmT3_T4_T5_mT6_P12ihipStream_tbENKUlT_T0_E_clISt17integral_constantIbLb1EESV_IbLb0EEEEDaSR_SS_EUlSR_E_NS1_11comp_targetILNS1_3genE9ELNS1_11target_archE1100ELNS1_3gpuE3ELNS1_3repE0EEENS1_30default_config_static_selectorELNS0_4arch9wavefront6targetE1EEEvT1_,comdat
.Lfunc_end54:
	.size	_ZN7rocprim17ROCPRIM_400000_NS6detail17trampoline_kernelINS0_14default_configENS1_20scan_config_selectorIdEEZZNS1_9scan_implILNS1_25lookback_scan_determinismE0ELb0ELb0ES3_PKdPddZZZN2at6native31launch_logcumsumexp_cuda_kernelERKNSB_10TensorBaseESF_lENKUlvE_clEvENKUlvE_clEvEUlddE_dEEDaPvRmT3_T4_T5_mT6_P12ihipStream_tbENKUlT_T0_E_clISt17integral_constantIbLb1EESV_IbLb0EEEEDaSR_SS_EUlSR_E_NS1_11comp_targetILNS1_3genE9ELNS1_11target_archE1100ELNS1_3gpuE3ELNS1_3repE0EEENS1_30default_config_static_selectorELNS0_4arch9wavefront6targetE1EEEvT1_, .Lfunc_end54-_ZN7rocprim17ROCPRIM_400000_NS6detail17trampoline_kernelINS0_14default_configENS1_20scan_config_selectorIdEEZZNS1_9scan_implILNS1_25lookback_scan_determinismE0ELb0ELb0ES3_PKdPddZZZN2at6native31launch_logcumsumexp_cuda_kernelERKNSB_10TensorBaseESF_lENKUlvE_clEvENKUlvE_clEvEUlddE_dEEDaPvRmT3_T4_T5_mT6_P12ihipStream_tbENKUlT_T0_E_clISt17integral_constantIbLb1EESV_IbLb0EEEEDaSR_SS_EUlSR_E_NS1_11comp_targetILNS1_3genE9ELNS1_11target_archE1100ELNS1_3gpuE3ELNS1_3repE0EEENS1_30default_config_static_selectorELNS0_4arch9wavefront6targetE1EEEvT1_
                                        ; -- End function
	.set _ZN7rocprim17ROCPRIM_400000_NS6detail17trampoline_kernelINS0_14default_configENS1_20scan_config_selectorIdEEZZNS1_9scan_implILNS1_25lookback_scan_determinismE0ELb0ELb0ES3_PKdPddZZZN2at6native31launch_logcumsumexp_cuda_kernelERKNSB_10TensorBaseESF_lENKUlvE_clEvENKUlvE_clEvEUlddE_dEEDaPvRmT3_T4_T5_mT6_P12ihipStream_tbENKUlT_T0_E_clISt17integral_constantIbLb1EESV_IbLb0EEEEDaSR_SS_EUlSR_E_NS1_11comp_targetILNS1_3genE9ELNS1_11target_archE1100ELNS1_3gpuE3ELNS1_3repE0EEENS1_30default_config_static_selectorELNS0_4arch9wavefront6targetE1EEEvT1_.num_vgpr, 0
	.set _ZN7rocprim17ROCPRIM_400000_NS6detail17trampoline_kernelINS0_14default_configENS1_20scan_config_selectorIdEEZZNS1_9scan_implILNS1_25lookback_scan_determinismE0ELb0ELb0ES3_PKdPddZZZN2at6native31launch_logcumsumexp_cuda_kernelERKNSB_10TensorBaseESF_lENKUlvE_clEvENKUlvE_clEvEUlddE_dEEDaPvRmT3_T4_T5_mT6_P12ihipStream_tbENKUlT_T0_E_clISt17integral_constantIbLb1EESV_IbLb0EEEEDaSR_SS_EUlSR_E_NS1_11comp_targetILNS1_3genE9ELNS1_11target_archE1100ELNS1_3gpuE3ELNS1_3repE0EEENS1_30default_config_static_selectorELNS0_4arch9wavefront6targetE1EEEvT1_.num_agpr, 0
	.set _ZN7rocprim17ROCPRIM_400000_NS6detail17trampoline_kernelINS0_14default_configENS1_20scan_config_selectorIdEEZZNS1_9scan_implILNS1_25lookback_scan_determinismE0ELb0ELb0ES3_PKdPddZZZN2at6native31launch_logcumsumexp_cuda_kernelERKNSB_10TensorBaseESF_lENKUlvE_clEvENKUlvE_clEvEUlddE_dEEDaPvRmT3_T4_T5_mT6_P12ihipStream_tbENKUlT_T0_E_clISt17integral_constantIbLb1EESV_IbLb0EEEEDaSR_SS_EUlSR_E_NS1_11comp_targetILNS1_3genE9ELNS1_11target_archE1100ELNS1_3gpuE3ELNS1_3repE0EEENS1_30default_config_static_selectorELNS0_4arch9wavefront6targetE1EEEvT1_.numbered_sgpr, 0
	.set _ZN7rocprim17ROCPRIM_400000_NS6detail17trampoline_kernelINS0_14default_configENS1_20scan_config_selectorIdEEZZNS1_9scan_implILNS1_25lookback_scan_determinismE0ELb0ELb0ES3_PKdPddZZZN2at6native31launch_logcumsumexp_cuda_kernelERKNSB_10TensorBaseESF_lENKUlvE_clEvENKUlvE_clEvEUlddE_dEEDaPvRmT3_T4_T5_mT6_P12ihipStream_tbENKUlT_T0_E_clISt17integral_constantIbLb1EESV_IbLb0EEEEDaSR_SS_EUlSR_E_NS1_11comp_targetILNS1_3genE9ELNS1_11target_archE1100ELNS1_3gpuE3ELNS1_3repE0EEENS1_30default_config_static_selectorELNS0_4arch9wavefront6targetE1EEEvT1_.num_named_barrier, 0
	.set _ZN7rocprim17ROCPRIM_400000_NS6detail17trampoline_kernelINS0_14default_configENS1_20scan_config_selectorIdEEZZNS1_9scan_implILNS1_25lookback_scan_determinismE0ELb0ELb0ES3_PKdPddZZZN2at6native31launch_logcumsumexp_cuda_kernelERKNSB_10TensorBaseESF_lENKUlvE_clEvENKUlvE_clEvEUlddE_dEEDaPvRmT3_T4_T5_mT6_P12ihipStream_tbENKUlT_T0_E_clISt17integral_constantIbLb1EESV_IbLb0EEEEDaSR_SS_EUlSR_E_NS1_11comp_targetILNS1_3genE9ELNS1_11target_archE1100ELNS1_3gpuE3ELNS1_3repE0EEENS1_30default_config_static_selectorELNS0_4arch9wavefront6targetE1EEEvT1_.private_seg_size, 0
	.set _ZN7rocprim17ROCPRIM_400000_NS6detail17trampoline_kernelINS0_14default_configENS1_20scan_config_selectorIdEEZZNS1_9scan_implILNS1_25lookback_scan_determinismE0ELb0ELb0ES3_PKdPddZZZN2at6native31launch_logcumsumexp_cuda_kernelERKNSB_10TensorBaseESF_lENKUlvE_clEvENKUlvE_clEvEUlddE_dEEDaPvRmT3_T4_T5_mT6_P12ihipStream_tbENKUlT_T0_E_clISt17integral_constantIbLb1EESV_IbLb0EEEEDaSR_SS_EUlSR_E_NS1_11comp_targetILNS1_3genE9ELNS1_11target_archE1100ELNS1_3gpuE3ELNS1_3repE0EEENS1_30default_config_static_selectorELNS0_4arch9wavefront6targetE1EEEvT1_.uses_vcc, 0
	.set _ZN7rocprim17ROCPRIM_400000_NS6detail17trampoline_kernelINS0_14default_configENS1_20scan_config_selectorIdEEZZNS1_9scan_implILNS1_25lookback_scan_determinismE0ELb0ELb0ES3_PKdPddZZZN2at6native31launch_logcumsumexp_cuda_kernelERKNSB_10TensorBaseESF_lENKUlvE_clEvENKUlvE_clEvEUlddE_dEEDaPvRmT3_T4_T5_mT6_P12ihipStream_tbENKUlT_T0_E_clISt17integral_constantIbLb1EESV_IbLb0EEEEDaSR_SS_EUlSR_E_NS1_11comp_targetILNS1_3genE9ELNS1_11target_archE1100ELNS1_3gpuE3ELNS1_3repE0EEENS1_30default_config_static_selectorELNS0_4arch9wavefront6targetE1EEEvT1_.uses_flat_scratch, 0
	.set _ZN7rocprim17ROCPRIM_400000_NS6detail17trampoline_kernelINS0_14default_configENS1_20scan_config_selectorIdEEZZNS1_9scan_implILNS1_25lookback_scan_determinismE0ELb0ELb0ES3_PKdPddZZZN2at6native31launch_logcumsumexp_cuda_kernelERKNSB_10TensorBaseESF_lENKUlvE_clEvENKUlvE_clEvEUlddE_dEEDaPvRmT3_T4_T5_mT6_P12ihipStream_tbENKUlT_T0_E_clISt17integral_constantIbLb1EESV_IbLb0EEEEDaSR_SS_EUlSR_E_NS1_11comp_targetILNS1_3genE9ELNS1_11target_archE1100ELNS1_3gpuE3ELNS1_3repE0EEENS1_30default_config_static_selectorELNS0_4arch9wavefront6targetE1EEEvT1_.has_dyn_sized_stack, 0
	.set _ZN7rocprim17ROCPRIM_400000_NS6detail17trampoline_kernelINS0_14default_configENS1_20scan_config_selectorIdEEZZNS1_9scan_implILNS1_25lookback_scan_determinismE0ELb0ELb0ES3_PKdPddZZZN2at6native31launch_logcumsumexp_cuda_kernelERKNSB_10TensorBaseESF_lENKUlvE_clEvENKUlvE_clEvEUlddE_dEEDaPvRmT3_T4_T5_mT6_P12ihipStream_tbENKUlT_T0_E_clISt17integral_constantIbLb1EESV_IbLb0EEEEDaSR_SS_EUlSR_E_NS1_11comp_targetILNS1_3genE9ELNS1_11target_archE1100ELNS1_3gpuE3ELNS1_3repE0EEENS1_30default_config_static_selectorELNS0_4arch9wavefront6targetE1EEEvT1_.has_recursion, 0
	.set _ZN7rocprim17ROCPRIM_400000_NS6detail17trampoline_kernelINS0_14default_configENS1_20scan_config_selectorIdEEZZNS1_9scan_implILNS1_25lookback_scan_determinismE0ELb0ELb0ES3_PKdPddZZZN2at6native31launch_logcumsumexp_cuda_kernelERKNSB_10TensorBaseESF_lENKUlvE_clEvENKUlvE_clEvEUlddE_dEEDaPvRmT3_T4_T5_mT6_P12ihipStream_tbENKUlT_T0_E_clISt17integral_constantIbLb1EESV_IbLb0EEEEDaSR_SS_EUlSR_E_NS1_11comp_targetILNS1_3genE9ELNS1_11target_archE1100ELNS1_3gpuE3ELNS1_3repE0EEENS1_30default_config_static_selectorELNS0_4arch9wavefront6targetE1EEEvT1_.has_indirect_call, 0
	.section	.AMDGPU.csdata,"",@progbits
; Kernel info:
; codeLenInByte = 0
; TotalNumSgprs: 4
; NumVgprs: 0
; ScratchSize: 0
; MemoryBound: 0
; FloatMode: 240
; IeeeMode: 1
; LDSByteSize: 0 bytes/workgroup (compile time only)
; SGPRBlocks: 0
; VGPRBlocks: 0
; NumSGPRsForWavesPerEU: 4
; NumVGPRsForWavesPerEU: 1
; Occupancy: 10
; WaveLimiterHint : 0
; COMPUTE_PGM_RSRC2:SCRATCH_EN: 0
; COMPUTE_PGM_RSRC2:USER_SGPR: 6
; COMPUTE_PGM_RSRC2:TRAP_HANDLER: 0
; COMPUTE_PGM_RSRC2:TGID_X_EN: 1
; COMPUTE_PGM_RSRC2:TGID_Y_EN: 0
; COMPUTE_PGM_RSRC2:TGID_Z_EN: 0
; COMPUTE_PGM_RSRC2:TIDIG_COMP_CNT: 0
	.section	.text._ZN7rocprim17ROCPRIM_400000_NS6detail17trampoline_kernelINS0_14default_configENS1_20scan_config_selectorIdEEZZNS1_9scan_implILNS1_25lookback_scan_determinismE0ELb0ELb0ES3_PKdPddZZZN2at6native31launch_logcumsumexp_cuda_kernelERKNSB_10TensorBaseESF_lENKUlvE_clEvENKUlvE_clEvEUlddE_dEEDaPvRmT3_T4_T5_mT6_P12ihipStream_tbENKUlT_T0_E_clISt17integral_constantIbLb1EESV_IbLb0EEEEDaSR_SS_EUlSR_E_NS1_11comp_targetILNS1_3genE8ELNS1_11target_archE1030ELNS1_3gpuE2ELNS1_3repE0EEENS1_30default_config_static_selectorELNS0_4arch9wavefront6targetE1EEEvT1_,"axG",@progbits,_ZN7rocprim17ROCPRIM_400000_NS6detail17trampoline_kernelINS0_14default_configENS1_20scan_config_selectorIdEEZZNS1_9scan_implILNS1_25lookback_scan_determinismE0ELb0ELb0ES3_PKdPddZZZN2at6native31launch_logcumsumexp_cuda_kernelERKNSB_10TensorBaseESF_lENKUlvE_clEvENKUlvE_clEvEUlddE_dEEDaPvRmT3_T4_T5_mT6_P12ihipStream_tbENKUlT_T0_E_clISt17integral_constantIbLb1EESV_IbLb0EEEEDaSR_SS_EUlSR_E_NS1_11comp_targetILNS1_3genE8ELNS1_11target_archE1030ELNS1_3gpuE2ELNS1_3repE0EEENS1_30default_config_static_selectorELNS0_4arch9wavefront6targetE1EEEvT1_,comdat
	.globl	_ZN7rocprim17ROCPRIM_400000_NS6detail17trampoline_kernelINS0_14default_configENS1_20scan_config_selectorIdEEZZNS1_9scan_implILNS1_25lookback_scan_determinismE0ELb0ELb0ES3_PKdPddZZZN2at6native31launch_logcumsumexp_cuda_kernelERKNSB_10TensorBaseESF_lENKUlvE_clEvENKUlvE_clEvEUlddE_dEEDaPvRmT3_T4_T5_mT6_P12ihipStream_tbENKUlT_T0_E_clISt17integral_constantIbLb1EESV_IbLb0EEEEDaSR_SS_EUlSR_E_NS1_11comp_targetILNS1_3genE8ELNS1_11target_archE1030ELNS1_3gpuE2ELNS1_3repE0EEENS1_30default_config_static_selectorELNS0_4arch9wavefront6targetE1EEEvT1_ ; -- Begin function _ZN7rocprim17ROCPRIM_400000_NS6detail17trampoline_kernelINS0_14default_configENS1_20scan_config_selectorIdEEZZNS1_9scan_implILNS1_25lookback_scan_determinismE0ELb0ELb0ES3_PKdPddZZZN2at6native31launch_logcumsumexp_cuda_kernelERKNSB_10TensorBaseESF_lENKUlvE_clEvENKUlvE_clEvEUlddE_dEEDaPvRmT3_T4_T5_mT6_P12ihipStream_tbENKUlT_T0_E_clISt17integral_constantIbLb1EESV_IbLb0EEEEDaSR_SS_EUlSR_E_NS1_11comp_targetILNS1_3genE8ELNS1_11target_archE1030ELNS1_3gpuE2ELNS1_3repE0EEENS1_30default_config_static_selectorELNS0_4arch9wavefront6targetE1EEEvT1_
	.p2align	8
	.type	_ZN7rocprim17ROCPRIM_400000_NS6detail17trampoline_kernelINS0_14default_configENS1_20scan_config_selectorIdEEZZNS1_9scan_implILNS1_25lookback_scan_determinismE0ELb0ELb0ES3_PKdPddZZZN2at6native31launch_logcumsumexp_cuda_kernelERKNSB_10TensorBaseESF_lENKUlvE_clEvENKUlvE_clEvEUlddE_dEEDaPvRmT3_T4_T5_mT6_P12ihipStream_tbENKUlT_T0_E_clISt17integral_constantIbLb1EESV_IbLb0EEEEDaSR_SS_EUlSR_E_NS1_11comp_targetILNS1_3genE8ELNS1_11target_archE1030ELNS1_3gpuE2ELNS1_3repE0EEENS1_30default_config_static_selectorELNS0_4arch9wavefront6targetE1EEEvT1_,@function
_ZN7rocprim17ROCPRIM_400000_NS6detail17trampoline_kernelINS0_14default_configENS1_20scan_config_selectorIdEEZZNS1_9scan_implILNS1_25lookback_scan_determinismE0ELb0ELb0ES3_PKdPddZZZN2at6native31launch_logcumsumexp_cuda_kernelERKNSB_10TensorBaseESF_lENKUlvE_clEvENKUlvE_clEvEUlddE_dEEDaPvRmT3_T4_T5_mT6_P12ihipStream_tbENKUlT_T0_E_clISt17integral_constantIbLb1EESV_IbLb0EEEEDaSR_SS_EUlSR_E_NS1_11comp_targetILNS1_3genE8ELNS1_11target_archE1030ELNS1_3gpuE2ELNS1_3repE0EEENS1_30default_config_static_selectorELNS0_4arch9wavefront6targetE1EEEvT1_: ; @_ZN7rocprim17ROCPRIM_400000_NS6detail17trampoline_kernelINS0_14default_configENS1_20scan_config_selectorIdEEZZNS1_9scan_implILNS1_25lookback_scan_determinismE0ELb0ELb0ES3_PKdPddZZZN2at6native31launch_logcumsumexp_cuda_kernelERKNSB_10TensorBaseESF_lENKUlvE_clEvENKUlvE_clEvEUlddE_dEEDaPvRmT3_T4_T5_mT6_P12ihipStream_tbENKUlT_T0_E_clISt17integral_constantIbLb1EESV_IbLb0EEEEDaSR_SS_EUlSR_E_NS1_11comp_targetILNS1_3genE8ELNS1_11target_archE1030ELNS1_3gpuE2ELNS1_3repE0EEENS1_30default_config_static_selectorELNS0_4arch9wavefront6targetE1EEEvT1_
; %bb.0:
	.section	.rodata,"a",@progbits
	.p2align	6, 0x0
	.amdhsa_kernel _ZN7rocprim17ROCPRIM_400000_NS6detail17trampoline_kernelINS0_14default_configENS1_20scan_config_selectorIdEEZZNS1_9scan_implILNS1_25lookback_scan_determinismE0ELb0ELb0ES3_PKdPddZZZN2at6native31launch_logcumsumexp_cuda_kernelERKNSB_10TensorBaseESF_lENKUlvE_clEvENKUlvE_clEvEUlddE_dEEDaPvRmT3_T4_T5_mT6_P12ihipStream_tbENKUlT_T0_E_clISt17integral_constantIbLb1EESV_IbLb0EEEEDaSR_SS_EUlSR_E_NS1_11comp_targetILNS1_3genE8ELNS1_11target_archE1030ELNS1_3gpuE2ELNS1_3repE0EEENS1_30default_config_static_selectorELNS0_4arch9wavefront6targetE1EEEvT1_
		.amdhsa_group_segment_fixed_size 0
		.amdhsa_private_segment_fixed_size 0
		.amdhsa_kernarg_size 104
		.amdhsa_user_sgpr_count 6
		.amdhsa_user_sgpr_private_segment_buffer 1
		.amdhsa_user_sgpr_dispatch_ptr 0
		.amdhsa_user_sgpr_queue_ptr 0
		.amdhsa_user_sgpr_kernarg_segment_ptr 1
		.amdhsa_user_sgpr_dispatch_id 0
		.amdhsa_user_sgpr_flat_scratch_init 0
		.amdhsa_user_sgpr_private_segment_size 0
		.amdhsa_uses_dynamic_stack 0
		.amdhsa_system_sgpr_private_segment_wavefront_offset 0
		.amdhsa_system_sgpr_workgroup_id_x 1
		.amdhsa_system_sgpr_workgroup_id_y 0
		.amdhsa_system_sgpr_workgroup_id_z 0
		.amdhsa_system_sgpr_workgroup_info 0
		.amdhsa_system_vgpr_workitem_id 0
		.amdhsa_next_free_vgpr 1
		.amdhsa_next_free_sgpr 0
		.amdhsa_reserve_vcc 0
		.amdhsa_reserve_flat_scratch 0
		.amdhsa_float_round_mode_32 0
		.amdhsa_float_round_mode_16_64 0
		.amdhsa_float_denorm_mode_32 3
		.amdhsa_float_denorm_mode_16_64 3
		.amdhsa_dx10_clamp 1
		.amdhsa_ieee_mode 1
		.amdhsa_fp16_overflow 0
		.amdhsa_exception_fp_ieee_invalid_op 0
		.amdhsa_exception_fp_denorm_src 0
		.amdhsa_exception_fp_ieee_div_zero 0
		.amdhsa_exception_fp_ieee_overflow 0
		.amdhsa_exception_fp_ieee_underflow 0
		.amdhsa_exception_fp_ieee_inexact 0
		.amdhsa_exception_int_div_zero 0
	.end_amdhsa_kernel
	.section	.text._ZN7rocprim17ROCPRIM_400000_NS6detail17trampoline_kernelINS0_14default_configENS1_20scan_config_selectorIdEEZZNS1_9scan_implILNS1_25lookback_scan_determinismE0ELb0ELb0ES3_PKdPddZZZN2at6native31launch_logcumsumexp_cuda_kernelERKNSB_10TensorBaseESF_lENKUlvE_clEvENKUlvE_clEvEUlddE_dEEDaPvRmT3_T4_T5_mT6_P12ihipStream_tbENKUlT_T0_E_clISt17integral_constantIbLb1EESV_IbLb0EEEEDaSR_SS_EUlSR_E_NS1_11comp_targetILNS1_3genE8ELNS1_11target_archE1030ELNS1_3gpuE2ELNS1_3repE0EEENS1_30default_config_static_selectorELNS0_4arch9wavefront6targetE1EEEvT1_,"axG",@progbits,_ZN7rocprim17ROCPRIM_400000_NS6detail17trampoline_kernelINS0_14default_configENS1_20scan_config_selectorIdEEZZNS1_9scan_implILNS1_25lookback_scan_determinismE0ELb0ELb0ES3_PKdPddZZZN2at6native31launch_logcumsumexp_cuda_kernelERKNSB_10TensorBaseESF_lENKUlvE_clEvENKUlvE_clEvEUlddE_dEEDaPvRmT3_T4_T5_mT6_P12ihipStream_tbENKUlT_T0_E_clISt17integral_constantIbLb1EESV_IbLb0EEEEDaSR_SS_EUlSR_E_NS1_11comp_targetILNS1_3genE8ELNS1_11target_archE1030ELNS1_3gpuE2ELNS1_3repE0EEENS1_30default_config_static_selectorELNS0_4arch9wavefront6targetE1EEEvT1_,comdat
.Lfunc_end55:
	.size	_ZN7rocprim17ROCPRIM_400000_NS6detail17trampoline_kernelINS0_14default_configENS1_20scan_config_selectorIdEEZZNS1_9scan_implILNS1_25lookback_scan_determinismE0ELb0ELb0ES3_PKdPddZZZN2at6native31launch_logcumsumexp_cuda_kernelERKNSB_10TensorBaseESF_lENKUlvE_clEvENKUlvE_clEvEUlddE_dEEDaPvRmT3_T4_T5_mT6_P12ihipStream_tbENKUlT_T0_E_clISt17integral_constantIbLb1EESV_IbLb0EEEEDaSR_SS_EUlSR_E_NS1_11comp_targetILNS1_3genE8ELNS1_11target_archE1030ELNS1_3gpuE2ELNS1_3repE0EEENS1_30default_config_static_selectorELNS0_4arch9wavefront6targetE1EEEvT1_, .Lfunc_end55-_ZN7rocprim17ROCPRIM_400000_NS6detail17trampoline_kernelINS0_14default_configENS1_20scan_config_selectorIdEEZZNS1_9scan_implILNS1_25lookback_scan_determinismE0ELb0ELb0ES3_PKdPddZZZN2at6native31launch_logcumsumexp_cuda_kernelERKNSB_10TensorBaseESF_lENKUlvE_clEvENKUlvE_clEvEUlddE_dEEDaPvRmT3_T4_T5_mT6_P12ihipStream_tbENKUlT_T0_E_clISt17integral_constantIbLb1EESV_IbLb0EEEEDaSR_SS_EUlSR_E_NS1_11comp_targetILNS1_3genE8ELNS1_11target_archE1030ELNS1_3gpuE2ELNS1_3repE0EEENS1_30default_config_static_selectorELNS0_4arch9wavefront6targetE1EEEvT1_
                                        ; -- End function
	.set _ZN7rocprim17ROCPRIM_400000_NS6detail17trampoline_kernelINS0_14default_configENS1_20scan_config_selectorIdEEZZNS1_9scan_implILNS1_25lookback_scan_determinismE0ELb0ELb0ES3_PKdPddZZZN2at6native31launch_logcumsumexp_cuda_kernelERKNSB_10TensorBaseESF_lENKUlvE_clEvENKUlvE_clEvEUlddE_dEEDaPvRmT3_T4_T5_mT6_P12ihipStream_tbENKUlT_T0_E_clISt17integral_constantIbLb1EESV_IbLb0EEEEDaSR_SS_EUlSR_E_NS1_11comp_targetILNS1_3genE8ELNS1_11target_archE1030ELNS1_3gpuE2ELNS1_3repE0EEENS1_30default_config_static_selectorELNS0_4arch9wavefront6targetE1EEEvT1_.num_vgpr, 0
	.set _ZN7rocprim17ROCPRIM_400000_NS6detail17trampoline_kernelINS0_14default_configENS1_20scan_config_selectorIdEEZZNS1_9scan_implILNS1_25lookback_scan_determinismE0ELb0ELb0ES3_PKdPddZZZN2at6native31launch_logcumsumexp_cuda_kernelERKNSB_10TensorBaseESF_lENKUlvE_clEvENKUlvE_clEvEUlddE_dEEDaPvRmT3_T4_T5_mT6_P12ihipStream_tbENKUlT_T0_E_clISt17integral_constantIbLb1EESV_IbLb0EEEEDaSR_SS_EUlSR_E_NS1_11comp_targetILNS1_3genE8ELNS1_11target_archE1030ELNS1_3gpuE2ELNS1_3repE0EEENS1_30default_config_static_selectorELNS0_4arch9wavefront6targetE1EEEvT1_.num_agpr, 0
	.set _ZN7rocprim17ROCPRIM_400000_NS6detail17trampoline_kernelINS0_14default_configENS1_20scan_config_selectorIdEEZZNS1_9scan_implILNS1_25lookback_scan_determinismE0ELb0ELb0ES3_PKdPddZZZN2at6native31launch_logcumsumexp_cuda_kernelERKNSB_10TensorBaseESF_lENKUlvE_clEvENKUlvE_clEvEUlddE_dEEDaPvRmT3_T4_T5_mT6_P12ihipStream_tbENKUlT_T0_E_clISt17integral_constantIbLb1EESV_IbLb0EEEEDaSR_SS_EUlSR_E_NS1_11comp_targetILNS1_3genE8ELNS1_11target_archE1030ELNS1_3gpuE2ELNS1_3repE0EEENS1_30default_config_static_selectorELNS0_4arch9wavefront6targetE1EEEvT1_.numbered_sgpr, 0
	.set _ZN7rocprim17ROCPRIM_400000_NS6detail17trampoline_kernelINS0_14default_configENS1_20scan_config_selectorIdEEZZNS1_9scan_implILNS1_25lookback_scan_determinismE0ELb0ELb0ES3_PKdPddZZZN2at6native31launch_logcumsumexp_cuda_kernelERKNSB_10TensorBaseESF_lENKUlvE_clEvENKUlvE_clEvEUlddE_dEEDaPvRmT3_T4_T5_mT6_P12ihipStream_tbENKUlT_T0_E_clISt17integral_constantIbLb1EESV_IbLb0EEEEDaSR_SS_EUlSR_E_NS1_11comp_targetILNS1_3genE8ELNS1_11target_archE1030ELNS1_3gpuE2ELNS1_3repE0EEENS1_30default_config_static_selectorELNS0_4arch9wavefront6targetE1EEEvT1_.num_named_barrier, 0
	.set _ZN7rocprim17ROCPRIM_400000_NS6detail17trampoline_kernelINS0_14default_configENS1_20scan_config_selectorIdEEZZNS1_9scan_implILNS1_25lookback_scan_determinismE0ELb0ELb0ES3_PKdPddZZZN2at6native31launch_logcumsumexp_cuda_kernelERKNSB_10TensorBaseESF_lENKUlvE_clEvENKUlvE_clEvEUlddE_dEEDaPvRmT3_T4_T5_mT6_P12ihipStream_tbENKUlT_T0_E_clISt17integral_constantIbLb1EESV_IbLb0EEEEDaSR_SS_EUlSR_E_NS1_11comp_targetILNS1_3genE8ELNS1_11target_archE1030ELNS1_3gpuE2ELNS1_3repE0EEENS1_30default_config_static_selectorELNS0_4arch9wavefront6targetE1EEEvT1_.private_seg_size, 0
	.set _ZN7rocprim17ROCPRIM_400000_NS6detail17trampoline_kernelINS0_14default_configENS1_20scan_config_selectorIdEEZZNS1_9scan_implILNS1_25lookback_scan_determinismE0ELb0ELb0ES3_PKdPddZZZN2at6native31launch_logcumsumexp_cuda_kernelERKNSB_10TensorBaseESF_lENKUlvE_clEvENKUlvE_clEvEUlddE_dEEDaPvRmT3_T4_T5_mT6_P12ihipStream_tbENKUlT_T0_E_clISt17integral_constantIbLb1EESV_IbLb0EEEEDaSR_SS_EUlSR_E_NS1_11comp_targetILNS1_3genE8ELNS1_11target_archE1030ELNS1_3gpuE2ELNS1_3repE0EEENS1_30default_config_static_selectorELNS0_4arch9wavefront6targetE1EEEvT1_.uses_vcc, 0
	.set _ZN7rocprim17ROCPRIM_400000_NS6detail17trampoline_kernelINS0_14default_configENS1_20scan_config_selectorIdEEZZNS1_9scan_implILNS1_25lookback_scan_determinismE0ELb0ELb0ES3_PKdPddZZZN2at6native31launch_logcumsumexp_cuda_kernelERKNSB_10TensorBaseESF_lENKUlvE_clEvENKUlvE_clEvEUlddE_dEEDaPvRmT3_T4_T5_mT6_P12ihipStream_tbENKUlT_T0_E_clISt17integral_constantIbLb1EESV_IbLb0EEEEDaSR_SS_EUlSR_E_NS1_11comp_targetILNS1_3genE8ELNS1_11target_archE1030ELNS1_3gpuE2ELNS1_3repE0EEENS1_30default_config_static_selectorELNS0_4arch9wavefront6targetE1EEEvT1_.uses_flat_scratch, 0
	.set _ZN7rocprim17ROCPRIM_400000_NS6detail17trampoline_kernelINS0_14default_configENS1_20scan_config_selectorIdEEZZNS1_9scan_implILNS1_25lookback_scan_determinismE0ELb0ELb0ES3_PKdPddZZZN2at6native31launch_logcumsumexp_cuda_kernelERKNSB_10TensorBaseESF_lENKUlvE_clEvENKUlvE_clEvEUlddE_dEEDaPvRmT3_T4_T5_mT6_P12ihipStream_tbENKUlT_T0_E_clISt17integral_constantIbLb1EESV_IbLb0EEEEDaSR_SS_EUlSR_E_NS1_11comp_targetILNS1_3genE8ELNS1_11target_archE1030ELNS1_3gpuE2ELNS1_3repE0EEENS1_30default_config_static_selectorELNS0_4arch9wavefront6targetE1EEEvT1_.has_dyn_sized_stack, 0
	.set _ZN7rocprim17ROCPRIM_400000_NS6detail17trampoline_kernelINS0_14default_configENS1_20scan_config_selectorIdEEZZNS1_9scan_implILNS1_25lookback_scan_determinismE0ELb0ELb0ES3_PKdPddZZZN2at6native31launch_logcumsumexp_cuda_kernelERKNSB_10TensorBaseESF_lENKUlvE_clEvENKUlvE_clEvEUlddE_dEEDaPvRmT3_T4_T5_mT6_P12ihipStream_tbENKUlT_T0_E_clISt17integral_constantIbLb1EESV_IbLb0EEEEDaSR_SS_EUlSR_E_NS1_11comp_targetILNS1_3genE8ELNS1_11target_archE1030ELNS1_3gpuE2ELNS1_3repE0EEENS1_30default_config_static_selectorELNS0_4arch9wavefront6targetE1EEEvT1_.has_recursion, 0
	.set _ZN7rocprim17ROCPRIM_400000_NS6detail17trampoline_kernelINS0_14default_configENS1_20scan_config_selectorIdEEZZNS1_9scan_implILNS1_25lookback_scan_determinismE0ELb0ELb0ES3_PKdPddZZZN2at6native31launch_logcumsumexp_cuda_kernelERKNSB_10TensorBaseESF_lENKUlvE_clEvENKUlvE_clEvEUlddE_dEEDaPvRmT3_T4_T5_mT6_P12ihipStream_tbENKUlT_T0_E_clISt17integral_constantIbLb1EESV_IbLb0EEEEDaSR_SS_EUlSR_E_NS1_11comp_targetILNS1_3genE8ELNS1_11target_archE1030ELNS1_3gpuE2ELNS1_3repE0EEENS1_30default_config_static_selectorELNS0_4arch9wavefront6targetE1EEEvT1_.has_indirect_call, 0
	.section	.AMDGPU.csdata,"",@progbits
; Kernel info:
; codeLenInByte = 0
; TotalNumSgprs: 4
; NumVgprs: 0
; ScratchSize: 0
; MemoryBound: 0
; FloatMode: 240
; IeeeMode: 1
; LDSByteSize: 0 bytes/workgroup (compile time only)
; SGPRBlocks: 0
; VGPRBlocks: 0
; NumSGPRsForWavesPerEU: 4
; NumVGPRsForWavesPerEU: 1
; Occupancy: 10
; WaveLimiterHint : 0
; COMPUTE_PGM_RSRC2:SCRATCH_EN: 0
; COMPUTE_PGM_RSRC2:USER_SGPR: 6
; COMPUTE_PGM_RSRC2:TRAP_HANDLER: 0
; COMPUTE_PGM_RSRC2:TGID_X_EN: 1
; COMPUTE_PGM_RSRC2:TGID_Y_EN: 0
; COMPUTE_PGM_RSRC2:TGID_Z_EN: 0
; COMPUTE_PGM_RSRC2:TIDIG_COMP_CNT: 0
	.section	.text._ZN7rocprim17ROCPRIM_400000_NS6detail17trampoline_kernelINS0_14default_configENS1_20scan_config_selectorIdEEZZNS1_9scan_implILNS1_25lookback_scan_determinismE0ELb0ELb0ES3_PKdPddZZZN2at6native31launch_logcumsumexp_cuda_kernelERKNSB_10TensorBaseESF_lENKUlvE_clEvENKUlvE_clEvEUlddE_dEEDaPvRmT3_T4_T5_mT6_P12ihipStream_tbENKUlT_T0_E_clISt17integral_constantIbLb1EESV_IbLb0EEEEDaSR_SS_EUlSR_E0_NS1_11comp_targetILNS1_3genE0ELNS1_11target_archE4294967295ELNS1_3gpuE0ELNS1_3repE0EEENS1_30default_config_static_selectorELNS0_4arch9wavefront6targetE1EEEvT1_,"axG",@progbits,_ZN7rocprim17ROCPRIM_400000_NS6detail17trampoline_kernelINS0_14default_configENS1_20scan_config_selectorIdEEZZNS1_9scan_implILNS1_25lookback_scan_determinismE0ELb0ELb0ES3_PKdPddZZZN2at6native31launch_logcumsumexp_cuda_kernelERKNSB_10TensorBaseESF_lENKUlvE_clEvENKUlvE_clEvEUlddE_dEEDaPvRmT3_T4_T5_mT6_P12ihipStream_tbENKUlT_T0_E_clISt17integral_constantIbLb1EESV_IbLb0EEEEDaSR_SS_EUlSR_E0_NS1_11comp_targetILNS1_3genE0ELNS1_11target_archE4294967295ELNS1_3gpuE0ELNS1_3repE0EEENS1_30default_config_static_selectorELNS0_4arch9wavefront6targetE1EEEvT1_,comdat
	.globl	_ZN7rocprim17ROCPRIM_400000_NS6detail17trampoline_kernelINS0_14default_configENS1_20scan_config_selectorIdEEZZNS1_9scan_implILNS1_25lookback_scan_determinismE0ELb0ELb0ES3_PKdPddZZZN2at6native31launch_logcumsumexp_cuda_kernelERKNSB_10TensorBaseESF_lENKUlvE_clEvENKUlvE_clEvEUlddE_dEEDaPvRmT3_T4_T5_mT6_P12ihipStream_tbENKUlT_T0_E_clISt17integral_constantIbLb1EESV_IbLb0EEEEDaSR_SS_EUlSR_E0_NS1_11comp_targetILNS1_3genE0ELNS1_11target_archE4294967295ELNS1_3gpuE0ELNS1_3repE0EEENS1_30default_config_static_selectorELNS0_4arch9wavefront6targetE1EEEvT1_ ; -- Begin function _ZN7rocprim17ROCPRIM_400000_NS6detail17trampoline_kernelINS0_14default_configENS1_20scan_config_selectorIdEEZZNS1_9scan_implILNS1_25lookback_scan_determinismE0ELb0ELb0ES3_PKdPddZZZN2at6native31launch_logcumsumexp_cuda_kernelERKNSB_10TensorBaseESF_lENKUlvE_clEvENKUlvE_clEvEUlddE_dEEDaPvRmT3_T4_T5_mT6_P12ihipStream_tbENKUlT_T0_E_clISt17integral_constantIbLb1EESV_IbLb0EEEEDaSR_SS_EUlSR_E0_NS1_11comp_targetILNS1_3genE0ELNS1_11target_archE4294967295ELNS1_3gpuE0ELNS1_3repE0EEENS1_30default_config_static_selectorELNS0_4arch9wavefront6targetE1EEEvT1_
	.p2align	8
	.type	_ZN7rocprim17ROCPRIM_400000_NS6detail17trampoline_kernelINS0_14default_configENS1_20scan_config_selectorIdEEZZNS1_9scan_implILNS1_25lookback_scan_determinismE0ELb0ELb0ES3_PKdPddZZZN2at6native31launch_logcumsumexp_cuda_kernelERKNSB_10TensorBaseESF_lENKUlvE_clEvENKUlvE_clEvEUlddE_dEEDaPvRmT3_T4_T5_mT6_P12ihipStream_tbENKUlT_T0_E_clISt17integral_constantIbLb1EESV_IbLb0EEEEDaSR_SS_EUlSR_E0_NS1_11comp_targetILNS1_3genE0ELNS1_11target_archE4294967295ELNS1_3gpuE0ELNS1_3repE0EEENS1_30default_config_static_selectorELNS0_4arch9wavefront6targetE1EEEvT1_,@function
_ZN7rocprim17ROCPRIM_400000_NS6detail17trampoline_kernelINS0_14default_configENS1_20scan_config_selectorIdEEZZNS1_9scan_implILNS1_25lookback_scan_determinismE0ELb0ELb0ES3_PKdPddZZZN2at6native31launch_logcumsumexp_cuda_kernelERKNSB_10TensorBaseESF_lENKUlvE_clEvENKUlvE_clEvEUlddE_dEEDaPvRmT3_T4_T5_mT6_P12ihipStream_tbENKUlT_T0_E_clISt17integral_constantIbLb1EESV_IbLb0EEEEDaSR_SS_EUlSR_E0_NS1_11comp_targetILNS1_3genE0ELNS1_11target_archE4294967295ELNS1_3gpuE0ELNS1_3repE0EEENS1_30default_config_static_selectorELNS0_4arch9wavefront6targetE1EEEvT1_: ; @_ZN7rocprim17ROCPRIM_400000_NS6detail17trampoline_kernelINS0_14default_configENS1_20scan_config_selectorIdEEZZNS1_9scan_implILNS1_25lookback_scan_determinismE0ELb0ELb0ES3_PKdPddZZZN2at6native31launch_logcumsumexp_cuda_kernelERKNSB_10TensorBaseESF_lENKUlvE_clEvENKUlvE_clEvEUlddE_dEEDaPvRmT3_T4_T5_mT6_P12ihipStream_tbENKUlT_T0_E_clISt17integral_constantIbLb1EESV_IbLb0EEEEDaSR_SS_EUlSR_E0_NS1_11comp_targetILNS1_3genE0ELNS1_11target_archE4294967295ELNS1_3gpuE0ELNS1_3repE0EEENS1_30default_config_static_selectorELNS0_4arch9wavefront6targetE1EEEvT1_
; %bb.0:
	.section	.rodata,"a",@progbits
	.p2align	6, 0x0
	.amdhsa_kernel _ZN7rocprim17ROCPRIM_400000_NS6detail17trampoline_kernelINS0_14default_configENS1_20scan_config_selectorIdEEZZNS1_9scan_implILNS1_25lookback_scan_determinismE0ELb0ELb0ES3_PKdPddZZZN2at6native31launch_logcumsumexp_cuda_kernelERKNSB_10TensorBaseESF_lENKUlvE_clEvENKUlvE_clEvEUlddE_dEEDaPvRmT3_T4_T5_mT6_P12ihipStream_tbENKUlT_T0_E_clISt17integral_constantIbLb1EESV_IbLb0EEEEDaSR_SS_EUlSR_E0_NS1_11comp_targetILNS1_3genE0ELNS1_11target_archE4294967295ELNS1_3gpuE0ELNS1_3repE0EEENS1_30default_config_static_selectorELNS0_4arch9wavefront6targetE1EEEvT1_
		.amdhsa_group_segment_fixed_size 0
		.amdhsa_private_segment_fixed_size 0
		.amdhsa_kernarg_size 40
		.amdhsa_user_sgpr_count 6
		.amdhsa_user_sgpr_private_segment_buffer 1
		.amdhsa_user_sgpr_dispatch_ptr 0
		.amdhsa_user_sgpr_queue_ptr 0
		.amdhsa_user_sgpr_kernarg_segment_ptr 1
		.amdhsa_user_sgpr_dispatch_id 0
		.amdhsa_user_sgpr_flat_scratch_init 0
		.amdhsa_user_sgpr_private_segment_size 0
		.amdhsa_uses_dynamic_stack 0
		.amdhsa_system_sgpr_private_segment_wavefront_offset 0
		.amdhsa_system_sgpr_workgroup_id_x 1
		.amdhsa_system_sgpr_workgroup_id_y 0
		.amdhsa_system_sgpr_workgroup_id_z 0
		.amdhsa_system_sgpr_workgroup_info 0
		.amdhsa_system_vgpr_workitem_id 0
		.amdhsa_next_free_vgpr 1
		.amdhsa_next_free_sgpr 0
		.amdhsa_reserve_vcc 0
		.amdhsa_reserve_flat_scratch 0
		.amdhsa_float_round_mode_32 0
		.amdhsa_float_round_mode_16_64 0
		.amdhsa_float_denorm_mode_32 3
		.amdhsa_float_denorm_mode_16_64 3
		.amdhsa_dx10_clamp 1
		.amdhsa_ieee_mode 1
		.amdhsa_fp16_overflow 0
		.amdhsa_exception_fp_ieee_invalid_op 0
		.amdhsa_exception_fp_denorm_src 0
		.amdhsa_exception_fp_ieee_div_zero 0
		.amdhsa_exception_fp_ieee_overflow 0
		.amdhsa_exception_fp_ieee_underflow 0
		.amdhsa_exception_fp_ieee_inexact 0
		.amdhsa_exception_int_div_zero 0
	.end_amdhsa_kernel
	.section	.text._ZN7rocprim17ROCPRIM_400000_NS6detail17trampoline_kernelINS0_14default_configENS1_20scan_config_selectorIdEEZZNS1_9scan_implILNS1_25lookback_scan_determinismE0ELb0ELb0ES3_PKdPddZZZN2at6native31launch_logcumsumexp_cuda_kernelERKNSB_10TensorBaseESF_lENKUlvE_clEvENKUlvE_clEvEUlddE_dEEDaPvRmT3_T4_T5_mT6_P12ihipStream_tbENKUlT_T0_E_clISt17integral_constantIbLb1EESV_IbLb0EEEEDaSR_SS_EUlSR_E0_NS1_11comp_targetILNS1_3genE0ELNS1_11target_archE4294967295ELNS1_3gpuE0ELNS1_3repE0EEENS1_30default_config_static_selectorELNS0_4arch9wavefront6targetE1EEEvT1_,"axG",@progbits,_ZN7rocprim17ROCPRIM_400000_NS6detail17trampoline_kernelINS0_14default_configENS1_20scan_config_selectorIdEEZZNS1_9scan_implILNS1_25lookback_scan_determinismE0ELb0ELb0ES3_PKdPddZZZN2at6native31launch_logcumsumexp_cuda_kernelERKNSB_10TensorBaseESF_lENKUlvE_clEvENKUlvE_clEvEUlddE_dEEDaPvRmT3_T4_T5_mT6_P12ihipStream_tbENKUlT_T0_E_clISt17integral_constantIbLb1EESV_IbLb0EEEEDaSR_SS_EUlSR_E0_NS1_11comp_targetILNS1_3genE0ELNS1_11target_archE4294967295ELNS1_3gpuE0ELNS1_3repE0EEENS1_30default_config_static_selectorELNS0_4arch9wavefront6targetE1EEEvT1_,comdat
.Lfunc_end56:
	.size	_ZN7rocprim17ROCPRIM_400000_NS6detail17trampoline_kernelINS0_14default_configENS1_20scan_config_selectorIdEEZZNS1_9scan_implILNS1_25lookback_scan_determinismE0ELb0ELb0ES3_PKdPddZZZN2at6native31launch_logcumsumexp_cuda_kernelERKNSB_10TensorBaseESF_lENKUlvE_clEvENKUlvE_clEvEUlddE_dEEDaPvRmT3_T4_T5_mT6_P12ihipStream_tbENKUlT_T0_E_clISt17integral_constantIbLb1EESV_IbLb0EEEEDaSR_SS_EUlSR_E0_NS1_11comp_targetILNS1_3genE0ELNS1_11target_archE4294967295ELNS1_3gpuE0ELNS1_3repE0EEENS1_30default_config_static_selectorELNS0_4arch9wavefront6targetE1EEEvT1_, .Lfunc_end56-_ZN7rocprim17ROCPRIM_400000_NS6detail17trampoline_kernelINS0_14default_configENS1_20scan_config_selectorIdEEZZNS1_9scan_implILNS1_25lookback_scan_determinismE0ELb0ELb0ES3_PKdPddZZZN2at6native31launch_logcumsumexp_cuda_kernelERKNSB_10TensorBaseESF_lENKUlvE_clEvENKUlvE_clEvEUlddE_dEEDaPvRmT3_T4_T5_mT6_P12ihipStream_tbENKUlT_T0_E_clISt17integral_constantIbLb1EESV_IbLb0EEEEDaSR_SS_EUlSR_E0_NS1_11comp_targetILNS1_3genE0ELNS1_11target_archE4294967295ELNS1_3gpuE0ELNS1_3repE0EEENS1_30default_config_static_selectorELNS0_4arch9wavefront6targetE1EEEvT1_
                                        ; -- End function
	.set _ZN7rocprim17ROCPRIM_400000_NS6detail17trampoline_kernelINS0_14default_configENS1_20scan_config_selectorIdEEZZNS1_9scan_implILNS1_25lookback_scan_determinismE0ELb0ELb0ES3_PKdPddZZZN2at6native31launch_logcumsumexp_cuda_kernelERKNSB_10TensorBaseESF_lENKUlvE_clEvENKUlvE_clEvEUlddE_dEEDaPvRmT3_T4_T5_mT6_P12ihipStream_tbENKUlT_T0_E_clISt17integral_constantIbLb1EESV_IbLb0EEEEDaSR_SS_EUlSR_E0_NS1_11comp_targetILNS1_3genE0ELNS1_11target_archE4294967295ELNS1_3gpuE0ELNS1_3repE0EEENS1_30default_config_static_selectorELNS0_4arch9wavefront6targetE1EEEvT1_.num_vgpr, 0
	.set _ZN7rocprim17ROCPRIM_400000_NS6detail17trampoline_kernelINS0_14default_configENS1_20scan_config_selectorIdEEZZNS1_9scan_implILNS1_25lookback_scan_determinismE0ELb0ELb0ES3_PKdPddZZZN2at6native31launch_logcumsumexp_cuda_kernelERKNSB_10TensorBaseESF_lENKUlvE_clEvENKUlvE_clEvEUlddE_dEEDaPvRmT3_T4_T5_mT6_P12ihipStream_tbENKUlT_T0_E_clISt17integral_constantIbLb1EESV_IbLb0EEEEDaSR_SS_EUlSR_E0_NS1_11comp_targetILNS1_3genE0ELNS1_11target_archE4294967295ELNS1_3gpuE0ELNS1_3repE0EEENS1_30default_config_static_selectorELNS0_4arch9wavefront6targetE1EEEvT1_.num_agpr, 0
	.set _ZN7rocprim17ROCPRIM_400000_NS6detail17trampoline_kernelINS0_14default_configENS1_20scan_config_selectorIdEEZZNS1_9scan_implILNS1_25lookback_scan_determinismE0ELb0ELb0ES3_PKdPddZZZN2at6native31launch_logcumsumexp_cuda_kernelERKNSB_10TensorBaseESF_lENKUlvE_clEvENKUlvE_clEvEUlddE_dEEDaPvRmT3_T4_T5_mT6_P12ihipStream_tbENKUlT_T0_E_clISt17integral_constantIbLb1EESV_IbLb0EEEEDaSR_SS_EUlSR_E0_NS1_11comp_targetILNS1_3genE0ELNS1_11target_archE4294967295ELNS1_3gpuE0ELNS1_3repE0EEENS1_30default_config_static_selectorELNS0_4arch9wavefront6targetE1EEEvT1_.numbered_sgpr, 0
	.set _ZN7rocprim17ROCPRIM_400000_NS6detail17trampoline_kernelINS0_14default_configENS1_20scan_config_selectorIdEEZZNS1_9scan_implILNS1_25lookback_scan_determinismE0ELb0ELb0ES3_PKdPddZZZN2at6native31launch_logcumsumexp_cuda_kernelERKNSB_10TensorBaseESF_lENKUlvE_clEvENKUlvE_clEvEUlddE_dEEDaPvRmT3_T4_T5_mT6_P12ihipStream_tbENKUlT_T0_E_clISt17integral_constantIbLb1EESV_IbLb0EEEEDaSR_SS_EUlSR_E0_NS1_11comp_targetILNS1_3genE0ELNS1_11target_archE4294967295ELNS1_3gpuE0ELNS1_3repE0EEENS1_30default_config_static_selectorELNS0_4arch9wavefront6targetE1EEEvT1_.num_named_barrier, 0
	.set _ZN7rocprim17ROCPRIM_400000_NS6detail17trampoline_kernelINS0_14default_configENS1_20scan_config_selectorIdEEZZNS1_9scan_implILNS1_25lookback_scan_determinismE0ELb0ELb0ES3_PKdPddZZZN2at6native31launch_logcumsumexp_cuda_kernelERKNSB_10TensorBaseESF_lENKUlvE_clEvENKUlvE_clEvEUlddE_dEEDaPvRmT3_T4_T5_mT6_P12ihipStream_tbENKUlT_T0_E_clISt17integral_constantIbLb1EESV_IbLb0EEEEDaSR_SS_EUlSR_E0_NS1_11comp_targetILNS1_3genE0ELNS1_11target_archE4294967295ELNS1_3gpuE0ELNS1_3repE0EEENS1_30default_config_static_selectorELNS0_4arch9wavefront6targetE1EEEvT1_.private_seg_size, 0
	.set _ZN7rocprim17ROCPRIM_400000_NS6detail17trampoline_kernelINS0_14default_configENS1_20scan_config_selectorIdEEZZNS1_9scan_implILNS1_25lookback_scan_determinismE0ELb0ELb0ES3_PKdPddZZZN2at6native31launch_logcumsumexp_cuda_kernelERKNSB_10TensorBaseESF_lENKUlvE_clEvENKUlvE_clEvEUlddE_dEEDaPvRmT3_T4_T5_mT6_P12ihipStream_tbENKUlT_T0_E_clISt17integral_constantIbLb1EESV_IbLb0EEEEDaSR_SS_EUlSR_E0_NS1_11comp_targetILNS1_3genE0ELNS1_11target_archE4294967295ELNS1_3gpuE0ELNS1_3repE0EEENS1_30default_config_static_selectorELNS0_4arch9wavefront6targetE1EEEvT1_.uses_vcc, 0
	.set _ZN7rocprim17ROCPRIM_400000_NS6detail17trampoline_kernelINS0_14default_configENS1_20scan_config_selectorIdEEZZNS1_9scan_implILNS1_25lookback_scan_determinismE0ELb0ELb0ES3_PKdPddZZZN2at6native31launch_logcumsumexp_cuda_kernelERKNSB_10TensorBaseESF_lENKUlvE_clEvENKUlvE_clEvEUlddE_dEEDaPvRmT3_T4_T5_mT6_P12ihipStream_tbENKUlT_T0_E_clISt17integral_constantIbLb1EESV_IbLb0EEEEDaSR_SS_EUlSR_E0_NS1_11comp_targetILNS1_3genE0ELNS1_11target_archE4294967295ELNS1_3gpuE0ELNS1_3repE0EEENS1_30default_config_static_selectorELNS0_4arch9wavefront6targetE1EEEvT1_.uses_flat_scratch, 0
	.set _ZN7rocprim17ROCPRIM_400000_NS6detail17trampoline_kernelINS0_14default_configENS1_20scan_config_selectorIdEEZZNS1_9scan_implILNS1_25lookback_scan_determinismE0ELb0ELb0ES3_PKdPddZZZN2at6native31launch_logcumsumexp_cuda_kernelERKNSB_10TensorBaseESF_lENKUlvE_clEvENKUlvE_clEvEUlddE_dEEDaPvRmT3_T4_T5_mT6_P12ihipStream_tbENKUlT_T0_E_clISt17integral_constantIbLb1EESV_IbLb0EEEEDaSR_SS_EUlSR_E0_NS1_11comp_targetILNS1_3genE0ELNS1_11target_archE4294967295ELNS1_3gpuE0ELNS1_3repE0EEENS1_30default_config_static_selectorELNS0_4arch9wavefront6targetE1EEEvT1_.has_dyn_sized_stack, 0
	.set _ZN7rocprim17ROCPRIM_400000_NS6detail17trampoline_kernelINS0_14default_configENS1_20scan_config_selectorIdEEZZNS1_9scan_implILNS1_25lookback_scan_determinismE0ELb0ELb0ES3_PKdPddZZZN2at6native31launch_logcumsumexp_cuda_kernelERKNSB_10TensorBaseESF_lENKUlvE_clEvENKUlvE_clEvEUlddE_dEEDaPvRmT3_T4_T5_mT6_P12ihipStream_tbENKUlT_T0_E_clISt17integral_constantIbLb1EESV_IbLb0EEEEDaSR_SS_EUlSR_E0_NS1_11comp_targetILNS1_3genE0ELNS1_11target_archE4294967295ELNS1_3gpuE0ELNS1_3repE0EEENS1_30default_config_static_selectorELNS0_4arch9wavefront6targetE1EEEvT1_.has_recursion, 0
	.set _ZN7rocprim17ROCPRIM_400000_NS6detail17trampoline_kernelINS0_14default_configENS1_20scan_config_selectorIdEEZZNS1_9scan_implILNS1_25lookback_scan_determinismE0ELb0ELb0ES3_PKdPddZZZN2at6native31launch_logcumsumexp_cuda_kernelERKNSB_10TensorBaseESF_lENKUlvE_clEvENKUlvE_clEvEUlddE_dEEDaPvRmT3_T4_T5_mT6_P12ihipStream_tbENKUlT_T0_E_clISt17integral_constantIbLb1EESV_IbLb0EEEEDaSR_SS_EUlSR_E0_NS1_11comp_targetILNS1_3genE0ELNS1_11target_archE4294967295ELNS1_3gpuE0ELNS1_3repE0EEENS1_30default_config_static_selectorELNS0_4arch9wavefront6targetE1EEEvT1_.has_indirect_call, 0
	.section	.AMDGPU.csdata,"",@progbits
; Kernel info:
; codeLenInByte = 0
; TotalNumSgprs: 4
; NumVgprs: 0
; ScratchSize: 0
; MemoryBound: 0
; FloatMode: 240
; IeeeMode: 1
; LDSByteSize: 0 bytes/workgroup (compile time only)
; SGPRBlocks: 0
; VGPRBlocks: 0
; NumSGPRsForWavesPerEU: 4
; NumVGPRsForWavesPerEU: 1
; Occupancy: 10
; WaveLimiterHint : 0
; COMPUTE_PGM_RSRC2:SCRATCH_EN: 0
; COMPUTE_PGM_RSRC2:USER_SGPR: 6
; COMPUTE_PGM_RSRC2:TRAP_HANDLER: 0
; COMPUTE_PGM_RSRC2:TGID_X_EN: 1
; COMPUTE_PGM_RSRC2:TGID_Y_EN: 0
; COMPUTE_PGM_RSRC2:TGID_Z_EN: 0
; COMPUTE_PGM_RSRC2:TIDIG_COMP_CNT: 0
	.section	.text._ZN7rocprim17ROCPRIM_400000_NS6detail17trampoline_kernelINS0_14default_configENS1_20scan_config_selectorIdEEZZNS1_9scan_implILNS1_25lookback_scan_determinismE0ELb0ELb0ES3_PKdPddZZZN2at6native31launch_logcumsumexp_cuda_kernelERKNSB_10TensorBaseESF_lENKUlvE_clEvENKUlvE_clEvEUlddE_dEEDaPvRmT3_T4_T5_mT6_P12ihipStream_tbENKUlT_T0_E_clISt17integral_constantIbLb1EESV_IbLb0EEEEDaSR_SS_EUlSR_E0_NS1_11comp_targetILNS1_3genE5ELNS1_11target_archE942ELNS1_3gpuE9ELNS1_3repE0EEENS1_30default_config_static_selectorELNS0_4arch9wavefront6targetE1EEEvT1_,"axG",@progbits,_ZN7rocprim17ROCPRIM_400000_NS6detail17trampoline_kernelINS0_14default_configENS1_20scan_config_selectorIdEEZZNS1_9scan_implILNS1_25lookback_scan_determinismE0ELb0ELb0ES3_PKdPddZZZN2at6native31launch_logcumsumexp_cuda_kernelERKNSB_10TensorBaseESF_lENKUlvE_clEvENKUlvE_clEvEUlddE_dEEDaPvRmT3_T4_T5_mT6_P12ihipStream_tbENKUlT_T0_E_clISt17integral_constantIbLb1EESV_IbLb0EEEEDaSR_SS_EUlSR_E0_NS1_11comp_targetILNS1_3genE5ELNS1_11target_archE942ELNS1_3gpuE9ELNS1_3repE0EEENS1_30default_config_static_selectorELNS0_4arch9wavefront6targetE1EEEvT1_,comdat
	.globl	_ZN7rocprim17ROCPRIM_400000_NS6detail17trampoline_kernelINS0_14default_configENS1_20scan_config_selectorIdEEZZNS1_9scan_implILNS1_25lookback_scan_determinismE0ELb0ELb0ES3_PKdPddZZZN2at6native31launch_logcumsumexp_cuda_kernelERKNSB_10TensorBaseESF_lENKUlvE_clEvENKUlvE_clEvEUlddE_dEEDaPvRmT3_T4_T5_mT6_P12ihipStream_tbENKUlT_T0_E_clISt17integral_constantIbLb1EESV_IbLb0EEEEDaSR_SS_EUlSR_E0_NS1_11comp_targetILNS1_3genE5ELNS1_11target_archE942ELNS1_3gpuE9ELNS1_3repE0EEENS1_30default_config_static_selectorELNS0_4arch9wavefront6targetE1EEEvT1_ ; -- Begin function _ZN7rocprim17ROCPRIM_400000_NS6detail17trampoline_kernelINS0_14default_configENS1_20scan_config_selectorIdEEZZNS1_9scan_implILNS1_25lookback_scan_determinismE0ELb0ELb0ES3_PKdPddZZZN2at6native31launch_logcumsumexp_cuda_kernelERKNSB_10TensorBaseESF_lENKUlvE_clEvENKUlvE_clEvEUlddE_dEEDaPvRmT3_T4_T5_mT6_P12ihipStream_tbENKUlT_T0_E_clISt17integral_constantIbLb1EESV_IbLb0EEEEDaSR_SS_EUlSR_E0_NS1_11comp_targetILNS1_3genE5ELNS1_11target_archE942ELNS1_3gpuE9ELNS1_3repE0EEENS1_30default_config_static_selectorELNS0_4arch9wavefront6targetE1EEEvT1_
	.p2align	8
	.type	_ZN7rocprim17ROCPRIM_400000_NS6detail17trampoline_kernelINS0_14default_configENS1_20scan_config_selectorIdEEZZNS1_9scan_implILNS1_25lookback_scan_determinismE0ELb0ELb0ES3_PKdPddZZZN2at6native31launch_logcumsumexp_cuda_kernelERKNSB_10TensorBaseESF_lENKUlvE_clEvENKUlvE_clEvEUlddE_dEEDaPvRmT3_T4_T5_mT6_P12ihipStream_tbENKUlT_T0_E_clISt17integral_constantIbLb1EESV_IbLb0EEEEDaSR_SS_EUlSR_E0_NS1_11comp_targetILNS1_3genE5ELNS1_11target_archE942ELNS1_3gpuE9ELNS1_3repE0EEENS1_30default_config_static_selectorELNS0_4arch9wavefront6targetE1EEEvT1_,@function
_ZN7rocprim17ROCPRIM_400000_NS6detail17trampoline_kernelINS0_14default_configENS1_20scan_config_selectorIdEEZZNS1_9scan_implILNS1_25lookback_scan_determinismE0ELb0ELb0ES3_PKdPddZZZN2at6native31launch_logcumsumexp_cuda_kernelERKNSB_10TensorBaseESF_lENKUlvE_clEvENKUlvE_clEvEUlddE_dEEDaPvRmT3_T4_T5_mT6_P12ihipStream_tbENKUlT_T0_E_clISt17integral_constantIbLb1EESV_IbLb0EEEEDaSR_SS_EUlSR_E0_NS1_11comp_targetILNS1_3genE5ELNS1_11target_archE942ELNS1_3gpuE9ELNS1_3repE0EEENS1_30default_config_static_selectorELNS0_4arch9wavefront6targetE1EEEvT1_: ; @_ZN7rocprim17ROCPRIM_400000_NS6detail17trampoline_kernelINS0_14default_configENS1_20scan_config_selectorIdEEZZNS1_9scan_implILNS1_25lookback_scan_determinismE0ELb0ELb0ES3_PKdPddZZZN2at6native31launch_logcumsumexp_cuda_kernelERKNSB_10TensorBaseESF_lENKUlvE_clEvENKUlvE_clEvEUlddE_dEEDaPvRmT3_T4_T5_mT6_P12ihipStream_tbENKUlT_T0_E_clISt17integral_constantIbLb1EESV_IbLb0EEEEDaSR_SS_EUlSR_E0_NS1_11comp_targetILNS1_3genE5ELNS1_11target_archE942ELNS1_3gpuE9ELNS1_3repE0EEENS1_30default_config_static_selectorELNS0_4arch9wavefront6targetE1EEEvT1_
; %bb.0:
	.section	.rodata,"a",@progbits
	.p2align	6, 0x0
	.amdhsa_kernel _ZN7rocprim17ROCPRIM_400000_NS6detail17trampoline_kernelINS0_14default_configENS1_20scan_config_selectorIdEEZZNS1_9scan_implILNS1_25lookback_scan_determinismE0ELb0ELb0ES3_PKdPddZZZN2at6native31launch_logcumsumexp_cuda_kernelERKNSB_10TensorBaseESF_lENKUlvE_clEvENKUlvE_clEvEUlddE_dEEDaPvRmT3_T4_T5_mT6_P12ihipStream_tbENKUlT_T0_E_clISt17integral_constantIbLb1EESV_IbLb0EEEEDaSR_SS_EUlSR_E0_NS1_11comp_targetILNS1_3genE5ELNS1_11target_archE942ELNS1_3gpuE9ELNS1_3repE0EEENS1_30default_config_static_selectorELNS0_4arch9wavefront6targetE1EEEvT1_
		.amdhsa_group_segment_fixed_size 0
		.amdhsa_private_segment_fixed_size 0
		.amdhsa_kernarg_size 40
		.amdhsa_user_sgpr_count 6
		.amdhsa_user_sgpr_private_segment_buffer 1
		.amdhsa_user_sgpr_dispatch_ptr 0
		.amdhsa_user_sgpr_queue_ptr 0
		.amdhsa_user_sgpr_kernarg_segment_ptr 1
		.amdhsa_user_sgpr_dispatch_id 0
		.amdhsa_user_sgpr_flat_scratch_init 0
		.amdhsa_user_sgpr_private_segment_size 0
		.amdhsa_uses_dynamic_stack 0
		.amdhsa_system_sgpr_private_segment_wavefront_offset 0
		.amdhsa_system_sgpr_workgroup_id_x 1
		.amdhsa_system_sgpr_workgroup_id_y 0
		.amdhsa_system_sgpr_workgroup_id_z 0
		.amdhsa_system_sgpr_workgroup_info 0
		.amdhsa_system_vgpr_workitem_id 0
		.amdhsa_next_free_vgpr 1
		.amdhsa_next_free_sgpr 0
		.amdhsa_reserve_vcc 0
		.amdhsa_reserve_flat_scratch 0
		.amdhsa_float_round_mode_32 0
		.amdhsa_float_round_mode_16_64 0
		.amdhsa_float_denorm_mode_32 3
		.amdhsa_float_denorm_mode_16_64 3
		.amdhsa_dx10_clamp 1
		.amdhsa_ieee_mode 1
		.amdhsa_fp16_overflow 0
		.amdhsa_exception_fp_ieee_invalid_op 0
		.amdhsa_exception_fp_denorm_src 0
		.amdhsa_exception_fp_ieee_div_zero 0
		.amdhsa_exception_fp_ieee_overflow 0
		.amdhsa_exception_fp_ieee_underflow 0
		.amdhsa_exception_fp_ieee_inexact 0
		.amdhsa_exception_int_div_zero 0
	.end_amdhsa_kernel
	.section	.text._ZN7rocprim17ROCPRIM_400000_NS6detail17trampoline_kernelINS0_14default_configENS1_20scan_config_selectorIdEEZZNS1_9scan_implILNS1_25lookback_scan_determinismE0ELb0ELb0ES3_PKdPddZZZN2at6native31launch_logcumsumexp_cuda_kernelERKNSB_10TensorBaseESF_lENKUlvE_clEvENKUlvE_clEvEUlddE_dEEDaPvRmT3_T4_T5_mT6_P12ihipStream_tbENKUlT_T0_E_clISt17integral_constantIbLb1EESV_IbLb0EEEEDaSR_SS_EUlSR_E0_NS1_11comp_targetILNS1_3genE5ELNS1_11target_archE942ELNS1_3gpuE9ELNS1_3repE0EEENS1_30default_config_static_selectorELNS0_4arch9wavefront6targetE1EEEvT1_,"axG",@progbits,_ZN7rocprim17ROCPRIM_400000_NS6detail17trampoline_kernelINS0_14default_configENS1_20scan_config_selectorIdEEZZNS1_9scan_implILNS1_25lookback_scan_determinismE0ELb0ELb0ES3_PKdPddZZZN2at6native31launch_logcumsumexp_cuda_kernelERKNSB_10TensorBaseESF_lENKUlvE_clEvENKUlvE_clEvEUlddE_dEEDaPvRmT3_T4_T5_mT6_P12ihipStream_tbENKUlT_T0_E_clISt17integral_constantIbLb1EESV_IbLb0EEEEDaSR_SS_EUlSR_E0_NS1_11comp_targetILNS1_3genE5ELNS1_11target_archE942ELNS1_3gpuE9ELNS1_3repE0EEENS1_30default_config_static_selectorELNS0_4arch9wavefront6targetE1EEEvT1_,comdat
.Lfunc_end57:
	.size	_ZN7rocprim17ROCPRIM_400000_NS6detail17trampoline_kernelINS0_14default_configENS1_20scan_config_selectorIdEEZZNS1_9scan_implILNS1_25lookback_scan_determinismE0ELb0ELb0ES3_PKdPddZZZN2at6native31launch_logcumsumexp_cuda_kernelERKNSB_10TensorBaseESF_lENKUlvE_clEvENKUlvE_clEvEUlddE_dEEDaPvRmT3_T4_T5_mT6_P12ihipStream_tbENKUlT_T0_E_clISt17integral_constantIbLb1EESV_IbLb0EEEEDaSR_SS_EUlSR_E0_NS1_11comp_targetILNS1_3genE5ELNS1_11target_archE942ELNS1_3gpuE9ELNS1_3repE0EEENS1_30default_config_static_selectorELNS0_4arch9wavefront6targetE1EEEvT1_, .Lfunc_end57-_ZN7rocprim17ROCPRIM_400000_NS6detail17trampoline_kernelINS0_14default_configENS1_20scan_config_selectorIdEEZZNS1_9scan_implILNS1_25lookback_scan_determinismE0ELb0ELb0ES3_PKdPddZZZN2at6native31launch_logcumsumexp_cuda_kernelERKNSB_10TensorBaseESF_lENKUlvE_clEvENKUlvE_clEvEUlddE_dEEDaPvRmT3_T4_T5_mT6_P12ihipStream_tbENKUlT_T0_E_clISt17integral_constantIbLb1EESV_IbLb0EEEEDaSR_SS_EUlSR_E0_NS1_11comp_targetILNS1_3genE5ELNS1_11target_archE942ELNS1_3gpuE9ELNS1_3repE0EEENS1_30default_config_static_selectorELNS0_4arch9wavefront6targetE1EEEvT1_
                                        ; -- End function
	.set _ZN7rocprim17ROCPRIM_400000_NS6detail17trampoline_kernelINS0_14default_configENS1_20scan_config_selectorIdEEZZNS1_9scan_implILNS1_25lookback_scan_determinismE0ELb0ELb0ES3_PKdPddZZZN2at6native31launch_logcumsumexp_cuda_kernelERKNSB_10TensorBaseESF_lENKUlvE_clEvENKUlvE_clEvEUlddE_dEEDaPvRmT3_T4_T5_mT6_P12ihipStream_tbENKUlT_T0_E_clISt17integral_constantIbLb1EESV_IbLb0EEEEDaSR_SS_EUlSR_E0_NS1_11comp_targetILNS1_3genE5ELNS1_11target_archE942ELNS1_3gpuE9ELNS1_3repE0EEENS1_30default_config_static_selectorELNS0_4arch9wavefront6targetE1EEEvT1_.num_vgpr, 0
	.set _ZN7rocprim17ROCPRIM_400000_NS6detail17trampoline_kernelINS0_14default_configENS1_20scan_config_selectorIdEEZZNS1_9scan_implILNS1_25lookback_scan_determinismE0ELb0ELb0ES3_PKdPddZZZN2at6native31launch_logcumsumexp_cuda_kernelERKNSB_10TensorBaseESF_lENKUlvE_clEvENKUlvE_clEvEUlddE_dEEDaPvRmT3_T4_T5_mT6_P12ihipStream_tbENKUlT_T0_E_clISt17integral_constantIbLb1EESV_IbLb0EEEEDaSR_SS_EUlSR_E0_NS1_11comp_targetILNS1_3genE5ELNS1_11target_archE942ELNS1_3gpuE9ELNS1_3repE0EEENS1_30default_config_static_selectorELNS0_4arch9wavefront6targetE1EEEvT1_.num_agpr, 0
	.set _ZN7rocprim17ROCPRIM_400000_NS6detail17trampoline_kernelINS0_14default_configENS1_20scan_config_selectorIdEEZZNS1_9scan_implILNS1_25lookback_scan_determinismE0ELb0ELb0ES3_PKdPddZZZN2at6native31launch_logcumsumexp_cuda_kernelERKNSB_10TensorBaseESF_lENKUlvE_clEvENKUlvE_clEvEUlddE_dEEDaPvRmT3_T4_T5_mT6_P12ihipStream_tbENKUlT_T0_E_clISt17integral_constantIbLb1EESV_IbLb0EEEEDaSR_SS_EUlSR_E0_NS1_11comp_targetILNS1_3genE5ELNS1_11target_archE942ELNS1_3gpuE9ELNS1_3repE0EEENS1_30default_config_static_selectorELNS0_4arch9wavefront6targetE1EEEvT1_.numbered_sgpr, 0
	.set _ZN7rocprim17ROCPRIM_400000_NS6detail17trampoline_kernelINS0_14default_configENS1_20scan_config_selectorIdEEZZNS1_9scan_implILNS1_25lookback_scan_determinismE0ELb0ELb0ES3_PKdPddZZZN2at6native31launch_logcumsumexp_cuda_kernelERKNSB_10TensorBaseESF_lENKUlvE_clEvENKUlvE_clEvEUlddE_dEEDaPvRmT3_T4_T5_mT6_P12ihipStream_tbENKUlT_T0_E_clISt17integral_constantIbLb1EESV_IbLb0EEEEDaSR_SS_EUlSR_E0_NS1_11comp_targetILNS1_3genE5ELNS1_11target_archE942ELNS1_3gpuE9ELNS1_3repE0EEENS1_30default_config_static_selectorELNS0_4arch9wavefront6targetE1EEEvT1_.num_named_barrier, 0
	.set _ZN7rocprim17ROCPRIM_400000_NS6detail17trampoline_kernelINS0_14default_configENS1_20scan_config_selectorIdEEZZNS1_9scan_implILNS1_25lookback_scan_determinismE0ELb0ELb0ES3_PKdPddZZZN2at6native31launch_logcumsumexp_cuda_kernelERKNSB_10TensorBaseESF_lENKUlvE_clEvENKUlvE_clEvEUlddE_dEEDaPvRmT3_T4_T5_mT6_P12ihipStream_tbENKUlT_T0_E_clISt17integral_constantIbLb1EESV_IbLb0EEEEDaSR_SS_EUlSR_E0_NS1_11comp_targetILNS1_3genE5ELNS1_11target_archE942ELNS1_3gpuE9ELNS1_3repE0EEENS1_30default_config_static_selectorELNS0_4arch9wavefront6targetE1EEEvT1_.private_seg_size, 0
	.set _ZN7rocprim17ROCPRIM_400000_NS6detail17trampoline_kernelINS0_14default_configENS1_20scan_config_selectorIdEEZZNS1_9scan_implILNS1_25lookback_scan_determinismE0ELb0ELb0ES3_PKdPddZZZN2at6native31launch_logcumsumexp_cuda_kernelERKNSB_10TensorBaseESF_lENKUlvE_clEvENKUlvE_clEvEUlddE_dEEDaPvRmT3_T4_T5_mT6_P12ihipStream_tbENKUlT_T0_E_clISt17integral_constantIbLb1EESV_IbLb0EEEEDaSR_SS_EUlSR_E0_NS1_11comp_targetILNS1_3genE5ELNS1_11target_archE942ELNS1_3gpuE9ELNS1_3repE0EEENS1_30default_config_static_selectorELNS0_4arch9wavefront6targetE1EEEvT1_.uses_vcc, 0
	.set _ZN7rocprim17ROCPRIM_400000_NS6detail17trampoline_kernelINS0_14default_configENS1_20scan_config_selectorIdEEZZNS1_9scan_implILNS1_25lookback_scan_determinismE0ELb0ELb0ES3_PKdPddZZZN2at6native31launch_logcumsumexp_cuda_kernelERKNSB_10TensorBaseESF_lENKUlvE_clEvENKUlvE_clEvEUlddE_dEEDaPvRmT3_T4_T5_mT6_P12ihipStream_tbENKUlT_T0_E_clISt17integral_constantIbLb1EESV_IbLb0EEEEDaSR_SS_EUlSR_E0_NS1_11comp_targetILNS1_3genE5ELNS1_11target_archE942ELNS1_3gpuE9ELNS1_3repE0EEENS1_30default_config_static_selectorELNS0_4arch9wavefront6targetE1EEEvT1_.uses_flat_scratch, 0
	.set _ZN7rocprim17ROCPRIM_400000_NS6detail17trampoline_kernelINS0_14default_configENS1_20scan_config_selectorIdEEZZNS1_9scan_implILNS1_25lookback_scan_determinismE0ELb0ELb0ES3_PKdPddZZZN2at6native31launch_logcumsumexp_cuda_kernelERKNSB_10TensorBaseESF_lENKUlvE_clEvENKUlvE_clEvEUlddE_dEEDaPvRmT3_T4_T5_mT6_P12ihipStream_tbENKUlT_T0_E_clISt17integral_constantIbLb1EESV_IbLb0EEEEDaSR_SS_EUlSR_E0_NS1_11comp_targetILNS1_3genE5ELNS1_11target_archE942ELNS1_3gpuE9ELNS1_3repE0EEENS1_30default_config_static_selectorELNS0_4arch9wavefront6targetE1EEEvT1_.has_dyn_sized_stack, 0
	.set _ZN7rocprim17ROCPRIM_400000_NS6detail17trampoline_kernelINS0_14default_configENS1_20scan_config_selectorIdEEZZNS1_9scan_implILNS1_25lookback_scan_determinismE0ELb0ELb0ES3_PKdPddZZZN2at6native31launch_logcumsumexp_cuda_kernelERKNSB_10TensorBaseESF_lENKUlvE_clEvENKUlvE_clEvEUlddE_dEEDaPvRmT3_T4_T5_mT6_P12ihipStream_tbENKUlT_T0_E_clISt17integral_constantIbLb1EESV_IbLb0EEEEDaSR_SS_EUlSR_E0_NS1_11comp_targetILNS1_3genE5ELNS1_11target_archE942ELNS1_3gpuE9ELNS1_3repE0EEENS1_30default_config_static_selectorELNS0_4arch9wavefront6targetE1EEEvT1_.has_recursion, 0
	.set _ZN7rocprim17ROCPRIM_400000_NS6detail17trampoline_kernelINS0_14default_configENS1_20scan_config_selectorIdEEZZNS1_9scan_implILNS1_25lookback_scan_determinismE0ELb0ELb0ES3_PKdPddZZZN2at6native31launch_logcumsumexp_cuda_kernelERKNSB_10TensorBaseESF_lENKUlvE_clEvENKUlvE_clEvEUlddE_dEEDaPvRmT3_T4_T5_mT6_P12ihipStream_tbENKUlT_T0_E_clISt17integral_constantIbLb1EESV_IbLb0EEEEDaSR_SS_EUlSR_E0_NS1_11comp_targetILNS1_3genE5ELNS1_11target_archE942ELNS1_3gpuE9ELNS1_3repE0EEENS1_30default_config_static_selectorELNS0_4arch9wavefront6targetE1EEEvT1_.has_indirect_call, 0
	.section	.AMDGPU.csdata,"",@progbits
; Kernel info:
; codeLenInByte = 0
; TotalNumSgprs: 4
; NumVgprs: 0
; ScratchSize: 0
; MemoryBound: 0
; FloatMode: 240
; IeeeMode: 1
; LDSByteSize: 0 bytes/workgroup (compile time only)
; SGPRBlocks: 0
; VGPRBlocks: 0
; NumSGPRsForWavesPerEU: 4
; NumVGPRsForWavesPerEU: 1
; Occupancy: 10
; WaveLimiterHint : 0
; COMPUTE_PGM_RSRC2:SCRATCH_EN: 0
; COMPUTE_PGM_RSRC2:USER_SGPR: 6
; COMPUTE_PGM_RSRC2:TRAP_HANDLER: 0
; COMPUTE_PGM_RSRC2:TGID_X_EN: 1
; COMPUTE_PGM_RSRC2:TGID_Y_EN: 0
; COMPUTE_PGM_RSRC2:TGID_Z_EN: 0
; COMPUTE_PGM_RSRC2:TIDIG_COMP_CNT: 0
	.section	.text._ZN7rocprim17ROCPRIM_400000_NS6detail17trampoline_kernelINS0_14default_configENS1_20scan_config_selectorIdEEZZNS1_9scan_implILNS1_25lookback_scan_determinismE0ELb0ELb0ES3_PKdPddZZZN2at6native31launch_logcumsumexp_cuda_kernelERKNSB_10TensorBaseESF_lENKUlvE_clEvENKUlvE_clEvEUlddE_dEEDaPvRmT3_T4_T5_mT6_P12ihipStream_tbENKUlT_T0_E_clISt17integral_constantIbLb1EESV_IbLb0EEEEDaSR_SS_EUlSR_E0_NS1_11comp_targetILNS1_3genE4ELNS1_11target_archE910ELNS1_3gpuE8ELNS1_3repE0EEENS1_30default_config_static_selectorELNS0_4arch9wavefront6targetE1EEEvT1_,"axG",@progbits,_ZN7rocprim17ROCPRIM_400000_NS6detail17trampoline_kernelINS0_14default_configENS1_20scan_config_selectorIdEEZZNS1_9scan_implILNS1_25lookback_scan_determinismE0ELb0ELb0ES3_PKdPddZZZN2at6native31launch_logcumsumexp_cuda_kernelERKNSB_10TensorBaseESF_lENKUlvE_clEvENKUlvE_clEvEUlddE_dEEDaPvRmT3_T4_T5_mT6_P12ihipStream_tbENKUlT_T0_E_clISt17integral_constantIbLb1EESV_IbLb0EEEEDaSR_SS_EUlSR_E0_NS1_11comp_targetILNS1_3genE4ELNS1_11target_archE910ELNS1_3gpuE8ELNS1_3repE0EEENS1_30default_config_static_selectorELNS0_4arch9wavefront6targetE1EEEvT1_,comdat
	.globl	_ZN7rocprim17ROCPRIM_400000_NS6detail17trampoline_kernelINS0_14default_configENS1_20scan_config_selectorIdEEZZNS1_9scan_implILNS1_25lookback_scan_determinismE0ELb0ELb0ES3_PKdPddZZZN2at6native31launch_logcumsumexp_cuda_kernelERKNSB_10TensorBaseESF_lENKUlvE_clEvENKUlvE_clEvEUlddE_dEEDaPvRmT3_T4_T5_mT6_P12ihipStream_tbENKUlT_T0_E_clISt17integral_constantIbLb1EESV_IbLb0EEEEDaSR_SS_EUlSR_E0_NS1_11comp_targetILNS1_3genE4ELNS1_11target_archE910ELNS1_3gpuE8ELNS1_3repE0EEENS1_30default_config_static_selectorELNS0_4arch9wavefront6targetE1EEEvT1_ ; -- Begin function _ZN7rocprim17ROCPRIM_400000_NS6detail17trampoline_kernelINS0_14default_configENS1_20scan_config_selectorIdEEZZNS1_9scan_implILNS1_25lookback_scan_determinismE0ELb0ELb0ES3_PKdPddZZZN2at6native31launch_logcumsumexp_cuda_kernelERKNSB_10TensorBaseESF_lENKUlvE_clEvENKUlvE_clEvEUlddE_dEEDaPvRmT3_T4_T5_mT6_P12ihipStream_tbENKUlT_T0_E_clISt17integral_constantIbLb1EESV_IbLb0EEEEDaSR_SS_EUlSR_E0_NS1_11comp_targetILNS1_3genE4ELNS1_11target_archE910ELNS1_3gpuE8ELNS1_3repE0EEENS1_30default_config_static_selectorELNS0_4arch9wavefront6targetE1EEEvT1_
	.p2align	8
	.type	_ZN7rocprim17ROCPRIM_400000_NS6detail17trampoline_kernelINS0_14default_configENS1_20scan_config_selectorIdEEZZNS1_9scan_implILNS1_25lookback_scan_determinismE0ELb0ELb0ES3_PKdPddZZZN2at6native31launch_logcumsumexp_cuda_kernelERKNSB_10TensorBaseESF_lENKUlvE_clEvENKUlvE_clEvEUlddE_dEEDaPvRmT3_T4_T5_mT6_P12ihipStream_tbENKUlT_T0_E_clISt17integral_constantIbLb1EESV_IbLb0EEEEDaSR_SS_EUlSR_E0_NS1_11comp_targetILNS1_3genE4ELNS1_11target_archE910ELNS1_3gpuE8ELNS1_3repE0EEENS1_30default_config_static_selectorELNS0_4arch9wavefront6targetE1EEEvT1_,@function
_ZN7rocprim17ROCPRIM_400000_NS6detail17trampoline_kernelINS0_14default_configENS1_20scan_config_selectorIdEEZZNS1_9scan_implILNS1_25lookback_scan_determinismE0ELb0ELb0ES3_PKdPddZZZN2at6native31launch_logcumsumexp_cuda_kernelERKNSB_10TensorBaseESF_lENKUlvE_clEvENKUlvE_clEvEUlddE_dEEDaPvRmT3_T4_T5_mT6_P12ihipStream_tbENKUlT_T0_E_clISt17integral_constantIbLb1EESV_IbLb0EEEEDaSR_SS_EUlSR_E0_NS1_11comp_targetILNS1_3genE4ELNS1_11target_archE910ELNS1_3gpuE8ELNS1_3repE0EEENS1_30default_config_static_selectorELNS0_4arch9wavefront6targetE1EEEvT1_: ; @_ZN7rocprim17ROCPRIM_400000_NS6detail17trampoline_kernelINS0_14default_configENS1_20scan_config_selectorIdEEZZNS1_9scan_implILNS1_25lookback_scan_determinismE0ELb0ELb0ES3_PKdPddZZZN2at6native31launch_logcumsumexp_cuda_kernelERKNSB_10TensorBaseESF_lENKUlvE_clEvENKUlvE_clEvEUlddE_dEEDaPvRmT3_T4_T5_mT6_P12ihipStream_tbENKUlT_T0_E_clISt17integral_constantIbLb1EESV_IbLb0EEEEDaSR_SS_EUlSR_E0_NS1_11comp_targetILNS1_3genE4ELNS1_11target_archE910ELNS1_3gpuE8ELNS1_3repE0EEENS1_30default_config_static_selectorELNS0_4arch9wavefront6targetE1EEEvT1_
; %bb.0:
	.section	.rodata,"a",@progbits
	.p2align	6, 0x0
	.amdhsa_kernel _ZN7rocprim17ROCPRIM_400000_NS6detail17trampoline_kernelINS0_14default_configENS1_20scan_config_selectorIdEEZZNS1_9scan_implILNS1_25lookback_scan_determinismE0ELb0ELb0ES3_PKdPddZZZN2at6native31launch_logcumsumexp_cuda_kernelERKNSB_10TensorBaseESF_lENKUlvE_clEvENKUlvE_clEvEUlddE_dEEDaPvRmT3_T4_T5_mT6_P12ihipStream_tbENKUlT_T0_E_clISt17integral_constantIbLb1EESV_IbLb0EEEEDaSR_SS_EUlSR_E0_NS1_11comp_targetILNS1_3genE4ELNS1_11target_archE910ELNS1_3gpuE8ELNS1_3repE0EEENS1_30default_config_static_selectorELNS0_4arch9wavefront6targetE1EEEvT1_
		.amdhsa_group_segment_fixed_size 0
		.amdhsa_private_segment_fixed_size 0
		.amdhsa_kernarg_size 40
		.amdhsa_user_sgpr_count 6
		.amdhsa_user_sgpr_private_segment_buffer 1
		.amdhsa_user_sgpr_dispatch_ptr 0
		.amdhsa_user_sgpr_queue_ptr 0
		.amdhsa_user_sgpr_kernarg_segment_ptr 1
		.amdhsa_user_sgpr_dispatch_id 0
		.amdhsa_user_sgpr_flat_scratch_init 0
		.amdhsa_user_sgpr_private_segment_size 0
		.amdhsa_uses_dynamic_stack 0
		.amdhsa_system_sgpr_private_segment_wavefront_offset 0
		.amdhsa_system_sgpr_workgroup_id_x 1
		.amdhsa_system_sgpr_workgroup_id_y 0
		.amdhsa_system_sgpr_workgroup_id_z 0
		.amdhsa_system_sgpr_workgroup_info 0
		.amdhsa_system_vgpr_workitem_id 0
		.amdhsa_next_free_vgpr 1
		.amdhsa_next_free_sgpr 0
		.amdhsa_reserve_vcc 0
		.amdhsa_reserve_flat_scratch 0
		.amdhsa_float_round_mode_32 0
		.amdhsa_float_round_mode_16_64 0
		.amdhsa_float_denorm_mode_32 3
		.amdhsa_float_denorm_mode_16_64 3
		.amdhsa_dx10_clamp 1
		.amdhsa_ieee_mode 1
		.amdhsa_fp16_overflow 0
		.amdhsa_exception_fp_ieee_invalid_op 0
		.amdhsa_exception_fp_denorm_src 0
		.amdhsa_exception_fp_ieee_div_zero 0
		.amdhsa_exception_fp_ieee_overflow 0
		.amdhsa_exception_fp_ieee_underflow 0
		.amdhsa_exception_fp_ieee_inexact 0
		.amdhsa_exception_int_div_zero 0
	.end_amdhsa_kernel
	.section	.text._ZN7rocprim17ROCPRIM_400000_NS6detail17trampoline_kernelINS0_14default_configENS1_20scan_config_selectorIdEEZZNS1_9scan_implILNS1_25lookback_scan_determinismE0ELb0ELb0ES3_PKdPddZZZN2at6native31launch_logcumsumexp_cuda_kernelERKNSB_10TensorBaseESF_lENKUlvE_clEvENKUlvE_clEvEUlddE_dEEDaPvRmT3_T4_T5_mT6_P12ihipStream_tbENKUlT_T0_E_clISt17integral_constantIbLb1EESV_IbLb0EEEEDaSR_SS_EUlSR_E0_NS1_11comp_targetILNS1_3genE4ELNS1_11target_archE910ELNS1_3gpuE8ELNS1_3repE0EEENS1_30default_config_static_selectorELNS0_4arch9wavefront6targetE1EEEvT1_,"axG",@progbits,_ZN7rocprim17ROCPRIM_400000_NS6detail17trampoline_kernelINS0_14default_configENS1_20scan_config_selectorIdEEZZNS1_9scan_implILNS1_25lookback_scan_determinismE0ELb0ELb0ES3_PKdPddZZZN2at6native31launch_logcumsumexp_cuda_kernelERKNSB_10TensorBaseESF_lENKUlvE_clEvENKUlvE_clEvEUlddE_dEEDaPvRmT3_T4_T5_mT6_P12ihipStream_tbENKUlT_T0_E_clISt17integral_constantIbLb1EESV_IbLb0EEEEDaSR_SS_EUlSR_E0_NS1_11comp_targetILNS1_3genE4ELNS1_11target_archE910ELNS1_3gpuE8ELNS1_3repE0EEENS1_30default_config_static_selectorELNS0_4arch9wavefront6targetE1EEEvT1_,comdat
.Lfunc_end58:
	.size	_ZN7rocprim17ROCPRIM_400000_NS6detail17trampoline_kernelINS0_14default_configENS1_20scan_config_selectorIdEEZZNS1_9scan_implILNS1_25lookback_scan_determinismE0ELb0ELb0ES3_PKdPddZZZN2at6native31launch_logcumsumexp_cuda_kernelERKNSB_10TensorBaseESF_lENKUlvE_clEvENKUlvE_clEvEUlddE_dEEDaPvRmT3_T4_T5_mT6_P12ihipStream_tbENKUlT_T0_E_clISt17integral_constantIbLb1EESV_IbLb0EEEEDaSR_SS_EUlSR_E0_NS1_11comp_targetILNS1_3genE4ELNS1_11target_archE910ELNS1_3gpuE8ELNS1_3repE0EEENS1_30default_config_static_selectorELNS0_4arch9wavefront6targetE1EEEvT1_, .Lfunc_end58-_ZN7rocprim17ROCPRIM_400000_NS6detail17trampoline_kernelINS0_14default_configENS1_20scan_config_selectorIdEEZZNS1_9scan_implILNS1_25lookback_scan_determinismE0ELb0ELb0ES3_PKdPddZZZN2at6native31launch_logcumsumexp_cuda_kernelERKNSB_10TensorBaseESF_lENKUlvE_clEvENKUlvE_clEvEUlddE_dEEDaPvRmT3_T4_T5_mT6_P12ihipStream_tbENKUlT_T0_E_clISt17integral_constantIbLb1EESV_IbLb0EEEEDaSR_SS_EUlSR_E0_NS1_11comp_targetILNS1_3genE4ELNS1_11target_archE910ELNS1_3gpuE8ELNS1_3repE0EEENS1_30default_config_static_selectorELNS0_4arch9wavefront6targetE1EEEvT1_
                                        ; -- End function
	.set _ZN7rocprim17ROCPRIM_400000_NS6detail17trampoline_kernelINS0_14default_configENS1_20scan_config_selectorIdEEZZNS1_9scan_implILNS1_25lookback_scan_determinismE0ELb0ELb0ES3_PKdPddZZZN2at6native31launch_logcumsumexp_cuda_kernelERKNSB_10TensorBaseESF_lENKUlvE_clEvENKUlvE_clEvEUlddE_dEEDaPvRmT3_T4_T5_mT6_P12ihipStream_tbENKUlT_T0_E_clISt17integral_constantIbLb1EESV_IbLb0EEEEDaSR_SS_EUlSR_E0_NS1_11comp_targetILNS1_3genE4ELNS1_11target_archE910ELNS1_3gpuE8ELNS1_3repE0EEENS1_30default_config_static_selectorELNS0_4arch9wavefront6targetE1EEEvT1_.num_vgpr, 0
	.set _ZN7rocprim17ROCPRIM_400000_NS6detail17trampoline_kernelINS0_14default_configENS1_20scan_config_selectorIdEEZZNS1_9scan_implILNS1_25lookback_scan_determinismE0ELb0ELb0ES3_PKdPddZZZN2at6native31launch_logcumsumexp_cuda_kernelERKNSB_10TensorBaseESF_lENKUlvE_clEvENKUlvE_clEvEUlddE_dEEDaPvRmT3_T4_T5_mT6_P12ihipStream_tbENKUlT_T0_E_clISt17integral_constantIbLb1EESV_IbLb0EEEEDaSR_SS_EUlSR_E0_NS1_11comp_targetILNS1_3genE4ELNS1_11target_archE910ELNS1_3gpuE8ELNS1_3repE0EEENS1_30default_config_static_selectorELNS0_4arch9wavefront6targetE1EEEvT1_.num_agpr, 0
	.set _ZN7rocprim17ROCPRIM_400000_NS6detail17trampoline_kernelINS0_14default_configENS1_20scan_config_selectorIdEEZZNS1_9scan_implILNS1_25lookback_scan_determinismE0ELb0ELb0ES3_PKdPddZZZN2at6native31launch_logcumsumexp_cuda_kernelERKNSB_10TensorBaseESF_lENKUlvE_clEvENKUlvE_clEvEUlddE_dEEDaPvRmT3_T4_T5_mT6_P12ihipStream_tbENKUlT_T0_E_clISt17integral_constantIbLb1EESV_IbLb0EEEEDaSR_SS_EUlSR_E0_NS1_11comp_targetILNS1_3genE4ELNS1_11target_archE910ELNS1_3gpuE8ELNS1_3repE0EEENS1_30default_config_static_selectorELNS0_4arch9wavefront6targetE1EEEvT1_.numbered_sgpr, 0
	.set _ZN7rocprim17ROCPRIM_400000_NS6detail17trampoline_kernelINS0_14default_configENS1_20scan_config_selectorIdEEZZNS1_9scan_implILNS1_25lookback_scan_determinismE0ELb0ELb0ES3_PKdPddZZZN2at6native31launch_logcumsumexp_cuda_kernelERKNSB_10TensorBaseESF_lENKUlvE_clEvENKUlvE_clEvEUlddE_dEEDaPvRmT3_T4_T5_mT6_P12ihipStream_tbENKUlT_T0_E_clISt17integral_constantIbLb1EESV_IbLb0EEEEDaSR_SS_EUlSR_E0_NS1_11comp_targetILNS1_3genE4ELNS1_11target_archE910ELNS1_3gpuE8ELNS1_3repE0EEENS1_30default_config_static_selectorELNS0_4arch9wavefront6targetE1EEEvT1_.num_named_barrier, 0
	.set _ZN7rocprim17ROCPRIM_400000_NS6detail17trampoline_kernelINS0_14default_configENS1_20scan_config_selectorIdEEZZNS1_9scan_implILNS1_25lookback_scan_determinismE0ELb0ELb0ES3_PKdPddZZZN2at6native31launch_logcumsumexp_cuda_kernelERKNSB_10TensorBaseESF_lENKUlvE_clEvENKUlvE_clEvEUlddE_dEEDaPvRmT3_T4_T5_mT6_P12ihipStream_tbENKUlT_T0_E_clISt17integral_constantIbLb1EESV_IbLb0EEEEDaSR_SS_EUlSR_E0_NS1_11comp_targetILNS1_3genE4ELNS1_11target_archE910ELNS1_3gpuE8ELNS1_3repE0EEENS1_30default_config_static_selectorELNS0_4arch9wavefront6targetE1EEEvT1_.private_seg_size, 0
	.set _ZN7rocprim17ROCPRIM_400000_NS6detail17trampoline_kernelINS0_14default_configENS1_20scan_config_selectorIdEEZZNS1_9scan_implILNS1_25lookback_scan_determinismE0ELb0ELb0ES3_PKdPddZZZN2at6native31launch_logcumsumexp_cuda_kernelERKNSB_10TensorBaseESF_lENKUlvE_clEvENKUlvE_clEvEUlddE_dEEDaPvRmT3_T4_T5_mT6_P12ihipStream_tbENKUlT_T0_E_clISt17integral_constantIbLb1EESV_IbLb0EEEEDaSR_SS_EUlSR_E0_NS1_11comp_targetILNS1_3genE4ELNS1_11target_archE910ELNS1_3gpuE8ELNS1_3repE0EEENS1_30default_config_static_selectorELNS0_4arch9wavefront6targetE1EEEvT1_.uses_vcc, 0
	.set _ZN7rocprim17ROCPRIM_400000_NS6detail17trampoline_kernelINS0_14default_configENS1_20scan_config_selectorIdEEZZNS1_9scan_implILNS1_25lookback_scan_determinismE0ELb0ELb0ES3_PKdPddZZZN2at6native31launch_logcumsumexp_cuda_kernelERKNSB_10TensorBaseESF_lENKUlvE_clEvENKUlvE_clEvEUlddE_dEEDaPvRmT3_T4_T5_mT6_P12ihipStream_tbENKUlT_T0_E_clISt17integral_constantIbLb1EESV_IbLb0EEEEDaSR_SS_EUlSR_E0_NS1_11comp_targetILNS1_3genE4ELNS1_11target_archE910ELNS1_3gpuE8ELNS1_3repE0EEENS1_30default_config_static_selectorELNS0_4arch9wavefront6targetE1EEEvT1_.uses_flat_scratch, 0
	.set _ZN7rocprim17ROCPRIM_400000_NS6detail17trampoline_kernelINS0_14default_configENS1_20scan_config_selectorIdEEZZNS1_9scan_implILNS1_25lookback_scan_determinismE0ELb0ELb0ES3_PKdPddZZZN2at6native31launch_logcumsumexp_cuda_kernelERKNSB_10TensorBaseESF_lENKUlvE_clEvENKUlvE_clEvEUlddE_dEEDaPvRmT3_T4_T5_mT6_P12ihipStream_tbENKUlT_T0_E_clISt17integral_constantIbLb1EESV_IbLb0EEEEDaSR_SS_EUlSR_E0_NS1_11comp_targetILNS1_3genE4ELNS1_11target_archE910ELNS1_3gpuE8ELNS1_3repE0EEENS1_30default_config_static_selectorELNS0_4arch9wavefront6targetE1EEEvT1_.has_dyn_sized_stack, 0
	.set _ZN7rocprim17ROCPRIM_400000_NS6detail17trampoline_kernelINS0_14default_configENS1_20scan_config_selectorIdEEZZNS1_9scan_implILNS1_25lookback_scan_determinismE0ELb0ELb0ES3_PKdPddZZZN2at6native31launch_logcumsumexp_cuda_kernelERKNSB_10TensorBaseESF_lENKUlvE_clEvENKUlvE_clEvEUlddE_dEEDaPvRmT3_T4_T5_mT6_P12ihipStream_tbENKUlT_T0_E_clISt17integral_constantIbLb1EESV_IbLb0EEEEDaSR_SS_EUlSR_E0_NS1_11comp_targetILNS1_3genE4ELNS1_11target_archE910ELNS1_3gpuE8ELNS1_3repE0EEENS1_30default_config_static_selectorELNS0_4arch9wavefront6targetE1EEEvT1_.has_recursion, 0
	.set _ZN7rocprim17ROCPRIM_400000_NS6detail17trampoline_kernelINS0_14default_configENS1_20scan_config_selectorIdEEZZNS1_9scan_implILNS1_25lookback_scan_determinismE0ELb0ELb0ES3_PKdPddZZZN2at6native31launch_logcumsumexp_cuda_kernelERKNSB_10TensorBaseESF_lENKUlvE_clEvENKUlvE_clEvEUlddE_dEEDaPvRmT3_T4_T5_mT6_P12ihipStream_tbENKUlT_T0_E_clISt17integral_constantIbLb1EESV_IbLb0EEEEDaSR_SS_EUlSR_E0_NS1_11comp_targetILNS1_3genE4ELNS1_11target_archE910ELNS1_3gpuE8ELNS1_3repE0EEENS1_30default_config_static_selectorELNS0_4arch9wavefront6targetE1EEEvT1_.has_indirect_call, 0
	.section	.AMDGPU.csdata,"",@progbits
; Kernel info:
; codeLenInByte = 0
; TotalNumSgprs: 4
; NumVgprs: 0
; ScratchSize: 0
; MemoryBound: 0
; FloatMode: 240
; IeeeMode: 1
; LDSByteSize: 0 bytes/workgroup (compile time only)
; SGPRBlocks: 0
; VGPRBlocks: 0
; NumSGPRsForWavesPerEU: 4
; NumVGPRsForWavesPerEU: 1
; Occupancy: 10
; WaveLimiterHint : 0
; COMPUTE_PGM_RSRC2:SCRATCH_EN: 0
; COMPUTE_PGM_RSRC2:USER_SGPR: 6
; COMPUTE_PGM_RSRC2:TRAP_HANDLER: 0
; COMPUTE_PGM_RSRC2:TGID_X_EN: 1
; COMPUTE_PGM_RSRC2:TGID_Y_EN: 0
; COMPUTE_PGM_RSRC2:TGID_Z_EN: 0
; COMPUTE_PGM_RSRC2:TIDIG_COMP_CNT: 0
	.section	.text._ZN7rocprim17ROCPRIM_400000_NS6detail17trampoline_kernelINS0_14default_configENS1_20scan_config_selectorIdEEZZNS1_9scan_implILNS1_25lookback_scan_determinismE0ELb0ELb0ES3_PKdPddZZZN2at6native31launch_logcumsumexp_cuda_kernelERKNSB_10TensorBaseESF_lENKUlvE_clEvENKUlvE_clEvEUlddE_dEEDaPvRmT3_T4_T5_mT6_P12ihipStream_tbENKUlT_T0_E_clISt17integral_constantIbLb1EESV_IbLb0EEEEDaSR_SS_EUlSR_E0_NS1_11comp_targetILNS1_3genE3ELNS1_11target_archE908ELNS1_3gpuE7ELNS1_3repE0EEENS1_30default_config_static_selectorELNS0_4arch9wavefront6targetE1EEEvT1_,"axG",@progbits,_ZN7rocprim17ROCPRIM_400000_NS6detail17trampoline_kernelINS0_14default_configENS1_20scan_config_selectorIdEEZZNS1_9scan_implILNS1_25lookback_scan_determinismE0ELb0ELb0ES3_PKdPddZZZN2at6native31launch_logcumsumexp_cuda_kernelERKNSB_10TensorBaseESF_lENKUlvE_clEvENKUlvE_clEvEUlddE_dEEDaPvRmT3_T4_T5_mT6_P12ihipStream_tbENKUlT_T0_E_clISt17integral_constantIbLb1EESV_IbLb0EEEEDaSR_SS_EUlSR_E0_NS1_11comp_targetILNS1_3genE3ELNS1_11target_archE908ELNS1_3gpuE7ELNS1_3repE0EEENS1_30default_config_static_selectorELNS0_4arch9wavefront6targetE1EEEvT1_,comdat
	.globl	_ZN7rocprim17ROCPRIM_400000_NS6detail17trampoline_kernelINS0_14default_configENS1_20scan_config_selectorIdEEZZNS1_9scan_implILNS1_25lookback_scan_determinismE0ELb0ELb0ES3_PKdPddZZZN2at6native31launch_logcumsumexp_cuda_kernelERKNSB_10TensorBaseESF_lENKUlvE_clEvENKUlvE_clEvEUlddE_dEEDaPvRmT3_T4_T5_mT6_P12ihipStream_tbENKUlT_T0_E_clISt17integral_constantIbLb1EESV_IbLb0EEEEDaSR_SS_EUlSR_E0_NS1_11comp_targetILNS1_3genE3ELNS1_11target_archE908ELNS1_3gpuE7ELNS1_3repE0EEENS1_30default_config_static_selectorELNS0_4arch9wavefront6targetE1EEEvT1_ ; -- Begin function _ZN7rocprim17ROCPRIM_400000_NS6detail17trampoline_kernelINS0_14default_configENS1_20scan_config_selectorIdEEZZNS1_9scan_implILNS1_25lookback_scan_determinismE0ELb0ELb0ES3_PKdPddZZZN2at6native31launch_logcumsumexp_cuda_kernelERKNSB_10TensorBaseESF_lENKUlvE_clEvENKUlvE_clEvEUlddE_dEEDaPvRmT3_T4_T5_mT6_P12ihipStream_tbENKUlT_T0_E_clISt17integral_constantIbLb1EESV_IbLb0EEEEDaSR_SS_EUlSR_E0_NS1_11comp_targetILNS1_3genE3ELNS1_11target_archE908ELNS1_3gpuE7ELNS1_3repE0EEENS1_30default_config_static_selectorELNS0_4arch9wavefront6targetE1EEEvT1_
	.p2align	8
	.type	_ZN7rocprim17ROCPRIM_400000_NS6detail17trampoline_kernelINS0_14default_configENS1_20scan_config_selectorIdEEZZNS1_9scan_implILNS1_25lookback_scan_determinismE0ELb0ELb0ES3_PKdPddZZZN2at6native31launch_logcumsumexp_cuda_kernelERKNSB_10TensorBaseESF_lENKUlvE_clEvENKUlvE_clEvEUlddE_dEEDaPvRmT3_T4_T5_mT6_P12ihipStream_tbENKUlT_T0_E_clISt17integral_constantIbLb1EESV_IbLb0EEEEDaSR_SS_EUlSR_E0_NS1_11comp_targetILNS1_3genE3ELNS1_11target_archE908ELNS1_3gpuE7ELNS1_3repE0EEENS1_30default_config_static_selectorELNS0_4arch9wavefront6targetE1EEEvT1_,@function
_ZN7rocprim17ROCPRIM_400000_NS6detail17trampoline_kernelINS0_14default_configENS1_20scan_config_selectorIdEEZZNS1_9scan_implILNS1_25lookback_scan_determinismE0ELb0ELb0ES3_PKdPddZZZN2at6native31launch_logcumsumexp_cuda_kernelERKNSB_10TensorBaseESF_lENKUlvE_clEvENKUlvE_clEvEUlddE_dEEDaPvRmT3_T4_T5_mT6_P12ihipStream_tbENKUlT_T0_E_clISt17integral_constantIbLb1EESV_IbLb0EEEEDaSR_SS_EUlSR_E0_NS1_11comp_targetILNS1_3genE3ELNS1_11target_archE908ELNS1_3gpuE7ELNS1_3repE0EEENS1_30default_config_static_selectorELNS0_4arch9wavefront6targetE1EEEvT1_: ; @_ZN7rocprim17ROCPRIM_400000_NS6detail17trampoline_kernelINS0_14default_configENS1_20scan_config_selectorIdEEZZNS1_9scan_implILNS1_25lookback_scan_determinismE0ELb0ELb0ES3_PKdPddZZZN2at6native31launch_logcumsumexp_cuda_kernelERKNSB_10TensorBaseESF_lENKUlvE_clEvENKUlvE_clEvEUlddE_dEEDaPvRmT3_T4_T5_mT6_P12ihipStream_tbENKUlT_T0_E_clISt17integral_constantIbLb1EESV_IbLb0EEEEDaSR_SS_EUlSR_E0_NS1_11comp_targetILNS1_3genE3ELNS1_11target_archE908ELNS1_3gpuE7ELNS1_3repE0EEENS1_30default_config_static_selectorELNS0_4arch9wavefront6targetE1EEEvT1_
; %bb.0:
	.section	.rodata,"a",@progbits
	.p2align	6, 0x0
	.amdhsa_kernel _ZN7rocprim17ROCPRIM_400000_NS6detail17trampoline_kernelINS0_14default_configENS1_20scan_config_selectorIdEEZZNS1_9scan_implILNS1_25lookback_scan_determinismE0ELb0ELb0ES3_PKdPddZZZN2at6native31launch_logcumsumexp_cuda_kernelERKNSB_10TensorBaseESF_lENKUlvE_clEvENKUlvE_clEvEUlddE_dEEDaPvRmT3_T4_T5_mT6_P12ihipStream_tbENKUlT_T0_E_clISt17integral_constantIbLb1EESV_IbLb0EEEEDaSR_SS_EUlSR_E0_NS1_11comp_targetILNS1_3genE3ELNS1_11target_archE908ELNS1_3gpuE7ELNS1_3repE0EEENS1_30default_config_static_selectorELNS0_4arch9wavefront6targetE1EEEvT1_
		.amdhsa_group_segment_fixed_size 0
		.amdhsa_private_segment_fixed_size 0
		.amdhsa_kernarg_size 40
		.amdhsa_user_sgpr_count 6
		.amdhsa_user_sgpr_private_segment_buffer 1
		.amdhsa_user_sgpr_dispatch_ptr 0
		.amdhsa_user_sgpr_queue_ptr 0
		.amdhsa_user_sgpr_kernarg_segment_ptr 1
		.amdhsa_user_sgpr_dispatch_id 0
		.amdhsa_user_sgpr_flat_scratch_init 0
		.amdhsa_user_sgpr_private_segment_size 0
		.amdhsa_uses_dynamic_stack 0
		.amdhsa_system_sgpr_private_segment_wavefront_offset 0
		.amdhsa_system_sgpr_workgroup_id_x 1
		.amdhsa_system_sgpr_workgroup_id_y 0
		.amdhsa_system_sgpr_workgroup_id_z 0
		.amdhsa_system_sgpr_workgroup_info 0
		.amdhsa_system_vgpr_workitem_id 0
		.amdhsa_next_free_vgpr 1
		.amdhsa_next_free_sgpr 0
		.amdhsa_reserve_vcc 0
		.amdhsa_reserve_flat_scratch 0
		.amdhsa_float_round_mode_32 0
		.amdhsa_float_round_mode_16_64 0
		.amdhsa_float_denorm_mode_32 3
		.amdhsa_float_denorm_mode_16_64 3
		.amdhsa_dx10_clamp 1
		.amdhsa_ieee_mode 1
		.amdhsa_fp16_overflow 0
		.amdhsa_exception_fp_ieee_invalid_op 0
		.amdhsa_exception_fp_denorm_src 0
		.amdhsa_exception_fp_ieee_div_zero 0
		.amdhsa_exception_fp_ieee_overflow 0
		.amdhsa_exception_fp_ieee_underflow 0
		.amdhsa_exception_fp_ieee_inexact 0
		.amdhsa_exception_int_div_zero 0
	.end_amdhsa_kernel
	.section	.text._ZN7rocprim17ROCPRIM_400000_NS6detail17trampoline_kernelINS0_14default_configENS1_20scan_config_selectorIdEEZZNS1_9scan_implILNS1_25lookback_scan_determinismE0ELb0ELb0ES3_PKdPddZZZN2at6native31launch_logcumsumexp_cuda_kernelERKNSB_10TensorBaseESF_lENKUlvE_clEvENKUlvE_clEvEUlddE_dEEDaPvRmT3_T4_T5_mT6_P12ihipStream_tbENKUlT_T0_E_clISt17integral_constantIbLb1EESV_IbLb0EEEEDaSR_SS_EUlSR_E0_NS1_11comp_targetILNS1_3genE3ELNS1_11target_archE908ELNS1_3gpuE7ELNS1_3repE0EEENS1_30default_config_static_selectorELNS0_4arch9wavefront6targetE1EEEvT1_,"axG",@progbits,_ZN7rocprim17ROCPRIM_400000_NS6detail17trampoline_kernelINS0_14default_configENS1_20scan_config_selectorIdEEZZNS1_9scan_implILNS1_25lookback_scan_determinismE0ELb0ELb0ES3_PKdPddZZZN2at6native31launch_logcumsumexp_cuda_kernelERKNSB_10TensorBaseESF_lENKUlvE_clEvENKUlvE_clEvEUlddE_dEEDaPvRmT3_T4_T5_mT6_P12ihipStream_tbENKUlT_T0_E_clISt17integral_constantIbLb1EESV_IbLb0EEEEDaSR_SS_EUlSR_E0_NS1_11comp_targetILNS1_3genE3ELNS1_11target_archE908ELNS1_3gpuE7ELNS1_3repE0EEENS1_30default_config_static_selectorELNS0_4arch9wavefront6targetE1EEEvT1_,comdat
.Lfunc_end59:
	.size	_ZN7rocprim17ROCPRIM_400000_NS6detail17trampoline_kernelINS0_14default_configENS1_20scan_config_selectorIdEEZZNS1_9scan_implILNS1_25lookback_scan_determinismE0ELb0ELb0ES3_PKdPddZZZN2at6native31launch_logcumsumexp_cuda_kernelERKNSB_10TensorBaseESF_lENKUlvE_clEvENKUlvE_clEvEUlddE_dEEDaPvRmT3_T4_T5_mT6_P12ihipStream_tbENKUlT_T0_E_clISt17integral_constantIbLb1EESV_IbLb0EEEEDaSR_SS_EUlSR_E0_NS1_11comp_targetILNS1_3genE3ELNS1_11target_archE908ELNS1_3gpuE7ELNS1_3repE0EEENS1_30default_config_static_selectorELNS0_4arch9wavefront6targetE1EEEvT1_, .Lfunc_end59-_ZN7rocprim17ROCPRIM_400000_NS6detail17trampoline_kernelINS0_14default_configENS1_20scan_config_selectorIdEEZZNS1_9scan_implILNS1_25lookback_scan_determinismE0ELb0ELb0ES3_PKdPddZZZN2at6native31launch_logcumsumexp_cuda_kernelERKNSB_10TensorBaseESF_lENKUlvE_clEvENKUlvE_clEvEUlddE_dEEDaPvRmT3_T4_T5_mT6_P12ihipStream_tbENKUlT_T0_E_clISt17integral_constantIbLb1EESV_IbLb0EEEEDaSR_SS_EUlSR_E0_NS1_11comp_targetILNS1_3genE3ELNS1_11target_archE908ELNS1_3gpuE7ELNS1_3repE0EEENS1_30default_config_static_selectorELNS0_4arch9wavefront6targetE1EEEvT1_
                                        ; -- End function
	.set _ZN7rocprim17ROCPRIM_400000_NS6detail17trampoline_kernelINS0_14default_configENS1_20scan_config_selectorIdEEZZNS1_9scan_implILNS1_25lookback_scan_determinismE0ELb0ELb0ES3_PKdPddZZZN2at6native31launch_logcumsumexp_cuda_kernelERKNSB_10TensorBaseESF_lENKUlvE_clEvENKUlvE_clEvEUlddE_dEEDaPvRmT3_T4_T5_mT6_P12ihipStream_tbENKUlT_T0_E_clISt17integral_constantIbLb1EESV_IbLb0EEEEDaSR_SS_EUlSR_E0_NS1_11comp_targetILNS1_3genE3ELNS1_11target_archE908ELNS1_3gpuE7ELNS1_3repE0EEENS1_30default_config_static_selectorELNS0_4arch9wavefront6targetE1EEEvT1_.num_vgpr, 0
	.set _ZN7rocprim17ROCPRIM_400000_NS6detail17trampoline_kernelINS0_14default_configENS1_20scan_config_selectorIdEEZZNS1_9scan_implILNS1_25lookback_scan_determinismE0ELb0ELb0ES3_PKdPddZZZN2at6native31launch_logcumsumexp_cuda_kernelERKNSB_10TensorBaseESF_lENKUlvE_clEvENKUlvE_clEvEUlddE_dEEDaPvRmT3_T4_T5_mT6_P12ihipStream_tbENKUlT_T0_E_clISt17integral_constantIbLb1EESV_IbLb0EEEEDaSR_SS_EUlSR_E0_NS1_11comp_targetILNS1_3genE3ELNS1_11target_archE908ELNS1_3gpuE7ELNS1_3repE0EEENS1_30default_config_static_selectorELNS0_4arch9wavefront6targetE1EEEvT1_.num_agpr, 0
	.set _ZN7rocprim17ROCPRIM_400000_NS6detail17trampoline_kernelINS0_14default_configENS1_20scan_config_selectorIdEEZZNS1_9scan_implILNS1_25lookback_scan_determinismE0ELb0ELb0ES3_PKdPddZZZN2at6native31launch_logcumsumexp_cuda_kernelERKNSB_10TensorBaseESF_lENKUlvE_clEvENKUlvE_clEvEUlddE_dEEDaPvRmT3_T4_T5_mT6_P12ihipStream_tbENKUlT_T0_E_clISt17integral_constantIbLb1EESV_IbLb0EEEEDaSR_SS_EUlSR_E0_NS1_11comp_targetILNS1_3genE3ELNS1_11target_archE908ELNS1_3gpuE7ELNS1_3repE0EEENS1_30default_config_static_selectorELNS0_4arch9wavefront6targetE1EEEvT1_.numbered_sgpr, 0
	.set _ZN7rocprim17ROCPRIM_400000_NS6detail17trampoline_kernelINS0_14default_configENS1_20scan_config_selectorIdEEZZNS1_9scan_implILNS1_25lookback_scan_determinismE0ELb0ELb0ES3_PKdPddZZZN2at6native31launch_logcumsumexp_cuda_kernelERKNSB_10TensorBaseESF_lENKUlvE_clEvENKUlvE_clEvEUlddE_dEEDaPvRmT3_T4_T5_mT6_P12ihipStream_tbENKUlT_T0_E_clISt17integral_constantIbLb1EESV_IbLb0EEEEDaSR_SS_EUlSR_E0_NS1_11comp_targetILNS1_3genE3ELNS1_11target_archE908ELNS1_3gpuE7ELNS1_3repE0EEENS1_30default_config_static_selectorELNS0_4arch9wavefront6targetE1EEEvT1_.num_named_barrier, 0
	.set _ZN7rocprim17ROCPRIM_400000_NS6detail17trampoline_kernelINS0_14default_configENS1_20scan_config_selectorIdEEZZNS1_9scan_implILNS1_25lookback_scan_determinismE0ELb0ELb0ES3_PKdPddZZZN2at6native31launch_logcumsumexp_cuda_kernelERKNSB_10TensorBaseESF_lENKUlvE_clEvENKUlvE_clEvEUlddE_dEEDaPvRmT3_T4_T5_mT6_P12ihipStream_tbENKUlT_T0_E_clISt17integral_constantIbLb1EESV_IbLb0EEEEDaSR_SS_EUlSR_E0_NS1_11comp_targetILNS1_3genE3ELNS1_11target_archE908ELNS1_3gpuE7ELNS1_3repE0EEENS1_30default_config_static_selectorELNS0_4arch9wavefront6targetE1EEEvT1_.private_seg_size, 0
	.set _ZN7rocprim17ROCPRIM_400000_NS6detail17trampoline_kernelINS0_14default_configENS1_20scan_config_selectorIdEEZZNS1_9scan_implILNS1_25lookback_scan_determinismE0ELb0ELb0ES3_PKdPddZZZN2at6native31launch_logcumsumexp_cuda_kernelERKNSB_10TensorBaseESF_lENKUlvE_clEvENKUlvE_clEvEUlddE_dEEDaPvRmT3_T4_T5_mT6_P12ihipStream_tbENKUlT_T0_E_clISt17integral_constantIbLb1EESV_IbLb0EEEEDaSR_SS_EUlSR_E0_NS1_11comp_targetILNS1_3genE3ELNS1_11target_archE908ELNS1_3gpuE7ELNS1_3repE0EEENS1_30default_config_static_selectorELNS0_4arch9wavefront6targetE1EEEvT1_.uses_vcc, 0
	.set _ZN7rocprim17ROCPRIM_400000_NS6detail17trampoline_kernelINS0_14default_configENS1_20scan_config_selectorIdEEZZNS1_9scan_implILNS1_25lookback_scan_determinismE0ELb0ELb0ES3_PKdPddZZZN2at6native31launch_logcumsumexp_cuda_kernelERKNSB_10TensorBaseESF_lENKUlvE_clEvENKUlvE_clEvEUlddE_dEEDaPvRmT3_T4_T5_mT6_P12ihipStream_tbENKUlT_T0_E_clISt17integral_constantIbLb1EESV_IbLb0EEEEDaSR_SS_EUlSR_E0_NS1_11comp_targetILNS1_3genE3ELNS1_11target_archE908ELNS1_3gpuE7ELNS1_3repE0EEENS1_30default_config_static_selectorELNS0_4arch9wavefront6targetE1EEEvT1_.uses_flat_scratch, 0
	.set _ZN7rocprim17ROCPRIM_400000_NS6detail17trampoline_kernelINS0_14default_configENS1_20scan_config_selectorIdEEZZNS1_9scan_implILNS1_25lookback_scan_determinismE0ELb0ELb0ES3_PKdPddZZZN2at6native31launch_logcumsumexp_cuda_kernelERKNSB_10TensorBaseESF_lENKUlvE_clEvENKUlvE_clEvEUlddE_dEEDaPvRmT3_T4_T5_mT6_P12ihipStream_tbENKUlT_T0_E_clISt17integral_constantIbLb1EESV_IbLb0EEEEDaSR_SS_EUlSR_E0_NS1_11comp_targetILNS1_3genE3ELNS1_11target_archE908ELNS1_3gpuE7ELNS1_3repE0EEENS1_30default_config_static_selectorELNS0_4arch9wavefront6targetE1EEEvT1_.has_dyn_sized_stack, 0
	.set _ZN7rocprim17ROCPRIM_400000_NS6detail17trampoline_kernelINS0_14default_configENS1_20scan_config_selectorIdEEZZNS1_9scan_implILNS1_25lookback_scan_determinismE0ELb0ELb0ES3_PKdPddZZZN2at6native31launch_logcumsumexp_cuda_kernelERKNSB_10TensorBaseESF_lENKUlvE_clEvENKUlvE_clEvEUlddE_dEEDaPvRmT3_T4_T5_mT6_P12ihipStream_tbENKUlT_T0_E_clISt17integral_constantIbLb1EESV_IbLb0EEEEDaSR_SS_EUlSR_E0_NS1_11comp_targetILNS1_3genE3ELNS1_11target_archE908ELNS1_3gpuE7ELNS1_3repE0EEENS1_30default_config_static_selectorELNS0_4arch9wavefront6targetE1EEEvT1_.has_recursion, 0
	.set _ZN7rocprim17ROCPRIM_400000_NS6detail17trampoline_kernelINS0_14default_configENS1_20scan_config_selectorIdEEZZNS1_9scan_implILNS1_25lookback_scan_determinismE0ELb0ELb0ES3_PKdPddZZZN2at6native31launch_logcumsumexp_cuda_kernelERKNSB_10TensorBaseESF_lENKUlvE_clEvENKUlvE_clEvEUlddE_dEEDaPvRmT3_T4_T5_mT6_P12ihipStream_tbENKUlT_T0_E_clISt17integral_constantIbLb1EESV_IbLb0EEEEDaSR_SS_EUlSR_E0_NS1_11comp_targetILNS1_3genE3ELNS1_11target_archE908ELNS1_3gpuE7ELNS1_3repE0EEENS1_30default_config_static_selectorELNS0_4arch9wavefront6targetE1EEEvT1_.has_indirect_call, 0
	.section	.AMDGPU.csdata,"",@progbits
; Kernel info:
; codeLenInByte = 0
; TotalNumSgprs: 4
; NumVgprs: 0
; ScratchSize: 0
; MemoryBound: 0
; FloatMode: 240
; IeeeMode: 1
; LDSByteSize: 0 bytes/workgroup (compile time only)
; SGPRBlocks: 0
; VGPRBlocks: 0
; NumSGPRsForWavesPerEU: 4
; NumVGPRsForWavesPerEU: 1
; Occupancy: 10
; WaveLimiterHint : 0
; COMPUTE_PGM_RSRC2:SCRATCH_EN: 0
; COMPUTE_PGM_RSRC2:USER_SGPR: 6
; COMPUTE_PGM_RSRC2:TRAP_HANDLER: 0
; COMPUTE_PGM_RSRC2:TGID_X_EN: 1
; COMPUTE_PGM_RSRC2:TGID_Y_EN: 0
; COMPUTE_PGM_RSRC2:TGID_Z_EN: 0
; COMPUTE_PGM_RSRC2:TIDIG_COMP_CNT: 0
	.section	.text._ZN7rocprim17ROCPRIM_400000_NS6detail17trampoline_kernelINS0_14default_configENS1_20scan_config_selectorIdEEZZNS1_9scan_implILNS1_25lookback_scan_determinismE0ELb0ELb0ES3_PKdPddZZZN2at6native31launch_logcumsumexp_cuda_kernelERKNSB_10TensorBaseESF_lENKUlvE_clEvENKUlvE_clEvEUlddE_dEEDaPvRmT3_T4_T5_mT6_P12ihipStream_tbENKUlT_T0_E_clISt17integral_constantIbLb1EESV_IbLb0EEEEDaSR_SS_EUlSR_E0_NS1_11comp_targetILNS1_3genE2ELNS1_11target_archE906ELNS1_3gpuE6ELNS1_3repE0EEENS1_30default_config_static_selectorELNS0_4arch9wavefront6targetE1EEEvT1_,"axG",@progbits,_ZN7rocprim17ROCPRIM_400000_NS6detail17trampoline_kernelINS0_14default_configENS1_20scan_config_selectorIdEEZZNS1_9scan_implILNS1_25lookback_scan_determinismE0ELb0ELb0ES3_PKdPddZZZN2at6native31launch_logcumsumexp_cuda_kernelERKNSB_10TensorBaseESF_lENKUlvE_clEvENKUlvE_clEvEUlddE_dEEDaPvRmT3_T4_T5_mT6_P12ihipStream_tbENKUlT_T0_E_clISt17integral_constantIbLb1EESV_IbLb0EEEEDaSR_SS_EUlSR_E0_NS1_11comp_targetILNS1_3genE2ELNS1_11target_archE906ELNS1_3gpuE6ELNS1_3repE0EEENS1_30default_config_static_selectorELNS0_4arch9wavefront6targetE1EEEvT1_,comdat
	.globl	_ZN7rocprim17ROCPRIM_400000_NS6detail17trampoline_kernelINS0_14default_configENS1_20scan_config_selectorIdEEZZNS1_9scan_implILNS1_25lookback_scan_determinismE0ELb0ELb0ES3_PKdPddZZZN2at6native31launch_logcumsumexp_cuda_kernelERKNSB_10TensorBaseESF_lENKUlvE_clEvENKUlvE_clEvEUlddE_dEEDaPvRmT3_T4_T5_mT6_P12ihipStream_tbENKUlT_T0_E_clISt17integral_constantIbLb1EESV_IbLb0EEEEDaSR_SS_EUlSR_E0_NS1_11comp_targetILNS1_3genE2ELNS1_11target_archE906ELNS1_3gpuE6ELNS1_3repE0EEENS1_30default_config_static_selectorELNS0_4arch9wavefront6targetE1EEEvT1_ ; -- Begin function _ZN7rocprim17ROCPRIM_400000_NS6detail17trampoline_kernelINS0_14default_configENS1_20scan_config_selectorIdEEZZNS1_9scan_implILNS1_25lookback_scan_determinismE0ELb0ELb0ES3_PKdPddZZZN2at6native31launch_logcumsumexp_cuda_kernelERKNSB_10TensorBaseESF_lENKUlvE_clEvENKUlvE_clEvEUlddE_dEEDaPvRmT3_T4_T5_mT6_P12ihipStream_tbENKUlT_T0_E_clISt17integral_constantIbLb1EESV_IbLb0EEEEDaSR_SS_EUlSR_E0_NS1_11comp_targetILNS1_3genE2ELNS1_11target_archE906ELNS1_3gpuE6ELNS1_3repE0EEENS1_30default_config_static_selectorELNS0_4arch9wavefront6targetE1EEEvT1_
	.p2align	8
	.type	_ZN7rocprim17ROCPRIM_400000_NS6detail17trampoline_kernelINS0_14default_configENS1_20scan_config_selectorIdEEZZNS1_9scan_implILNS1_25lookback_scan_determinismE0ELb0ELb0ES3_PKdPddZZZN2at6native31launch_logcumsumexp_cuda_kernelERKNSB_10TensorBaseESF_lENKUlvE_clEvENKUlvE_clEvEUlddE_dEEDaPvRmT3_T4_T5_mT6_P12ihipStream_tbENKUlT_T0_E_clISt17integral_constantIbLb1EESV_IbLb0EEEEDaSR_SS_EUlSR_E0_NS1_11comp_targetILNS1_3genE2ELNS1_11target_archE906ELNS1_3gpuE6ELNS1_3repE0EEENS1_30default_config_static_selectorELNS0_4arch9wavefront6targetE1EEEvT1_,@function
_ZN7rocprim17ROCPRIM_400000_NS6detail17trampoline_kernelINS0_14default_configENS1_20scan_config_selectorIdEEZZNS1_9scan_implILNS1_25lookback_scan_determinismE0ELb0ELb0ES3_PKdPddZZZN2at6native31launch_logcumsumexp_cuda_kernelERKNSB_10TensorBaseESF_lENKUlvE_clEvENKUlvE_clEvEUlddE_dEEDaPvRmT3_T4_T5_mT6_P12ihipStream_tbENKUlT_T0_E_clISt17integral_constantIbLb1EESV_IbLb0EEEEDaSR_SS_EUlSR_E0_NS1_11comp_targetILNS1_3genE2ELNS1_11target_archE906ELNS1_3gpuE6ELNS1_3repE0EEENS1_30default_config_static_selectorELNS0_4arch9wavefront6targetE1EEEvT1_: ; @_ZN7rocprim17ROCPRIM_400000_NS6detail17trampoline_kernelINS0_14default_configENS1_20scan_config_selectorIdEEZZNS1_9scan_implILNS1_25lookback_scan_determinismE0ELb0ELb0ES3_PKdPddZZZN2at6native31launch_logcumsumexp_cuda_kernelERKNSB_10TensorBaseESF_lENKUlvE_clEvENKUlvE_clEvEUlddE_dEEDaPvRmT3_T4_T5_mT6_P12ihipStream_tbENKUlT_T0_E_clISt17integral_constantIbLb1EESV_IbLb0EEEEDaSR_SS_EUlSR_E0_NS1_11comp_targetILNS1_3genE2ELNS1_11target_archE906ELNS1_3gpuE6ELNS1_3repE0EEENS1_30default_config_static_selectorELNS0_4arch9wavefront6targetE1EEEvT1_
; %bb.0:
	s_load_dwordx4 s[20:23], s[4:5], 0x0
	v_lshlrev_b32_e32 v57, 3, v0
	s_waitcnt lgkmcnt(0)
	s_load_dwordx2 s[18:19], s[20:21], 0x0
	v_cmp_gt_u32_e32 vcc, s22, v0
	s_waitcnt lgkmcnt(0)
	v_mov_b32_e32 v1, s18
	v_mov_b32_e32 v2, s19
	s_and_saveexec_b64 s[0:1], vcc
	s_cbranch_execz .LBB60_2
; %bb.1:
	global_load_dwordx2 v[1:2], v57, s[20:21]
.LBB60_2:
	s_or_b64 exec, exec, s[0:1]
	v_or_b32_e32 v3, 0x80, v0
	v_cmp_gt_u32_e64 s[0:1], s22, v3
	v_mov_b32_e32 v3, s18
	v_mov_b32_e32 v4, s19
	s_and_saveexec_b64 s[2:3], s[0:1]
	s_cbranch_execz .LBB60_4
; %bb.3:
	global_load_dwordx2 v[3:4], v57, s[20:21] offset:1024
.LBB60_4:
	s_or_b64 exec, exec, s[2:3]
	v_or_b32_e32 v5, 0x100, v0
	v_cmp_gt_u32_e64 s[2:3], s22, v5
	v_mov_b32_e32 v5, s18
	v_mov_b32_e32 v6, s19
	s_and_saveexec_b64 s[6:7], s[2:3]
	s_cbranch_execz .LBB60_6
; %bb.5:
	global_load_dwordx2 v[5:6], v57, s[20:21] offset:2048
.LBB60_6:
	;; [unrolled: 10-line block ×3, first 2 shown]
	s_or_b64 exec, exec, s[6:7]
	v_or_b32_e32 v11, 0x200, v0
	v_mov_b32_e32 v9, s18
	v_cmp_gt_u32_e64 s[6:7], s22, v11
	v_mov_b32_e32 v10, s19
	s_and_saveexec_b64 s[8:9], s[6:7]
	s_cbranch_execz .LBB60_10
; %bb.9:
	v_lshlrev_b32_e32 v9, 3, v11
	global_load_dwordx2 v[9:10], v9, s[20:21]
.LBB60_10:
	s_or_b64 exec, exec, s[8:9]
	v_or_b32_e32 v13, 0x280, v0
	v_mov_b32_e32 v11, s18
	v_cmp_gt_u32_e64 s[8:9], s22, v13
	v_mov_b32_e32 v12, s19
	s_and_saveexec_b64 s[10:11], s[8:9]
	s_cbranch_execz .LBB60_12
; %bb.11:
	v_lshlrev_b32_e32 v11, 3, v13
	global_load_dwordx2 v[11:12], v11, s[20:21]
.LBB60_12:
	;; [unrolled: 11-line block ×6, first 2 shown]
	s_or_b64 exec, exec, s[18:19]
	s_movk_i32 s18, 0x48
	s_waitcnt vmcnt(0)
	ds_write2st64_b64 v57, v[1:2], v[3:4] offset1:2
	ds_write2st64_b64 v57, v[5:6], v[7:8] offset0:4 offset1:6
	ds_write2st64_b64 v57, v[9:10], v[11:12] offset0:8 offset1:10
	;; [unrolled: 1-line block ×4, first 2 shown]
	v_mad_u32_u24 v5, v0, s18, v57
	s_waitcnt lgkmcnt(0)
	s_barrier
	ds_read_b128 v[1:4], v5
	ds_read_b128 v[17:20], v5 offset:16
	s_movk_i32 s30, 0x1f8
	s_waitcnt lgkmcnt(1)
	v_max_f64 v[29:30], v[3:4], v[3:4]
	v_max_f64 v[47:48], v[1:2], v[1:2]
	v_cmp_u_f64_e64 s[38:39], v[1:2], v[1:2]
	v_cmp_u_f64_e64 s[18:19], v[3:4], v[3:4]
	v_mov_b32_e32 v50, v2
	v_mov_b32_e32 v49, v1
	v_min_f64 v[43:44], v[47:48], v[29:30]
	v_max_f64 v[45:46], v[47:48], v[29:30]
	v_cndmask_b32_e64 v6, v43, v1, s[38:39]
	v_cndmask_b32_e64 v7, v44, v2, s[38:39]
	;; [unrolled: 1-line block ×8, first 2 shown]
	v_cmp_neq_f64_e64 s[20:21], v[23:24], v[21:22]
	v_cmp_class_f64_e64 s[22:23], v[23:24], s30
	ds_read_b128 v[13:16], v5 offset:32
	ds_read_b128 v[9:12], v5 offset:48
	ds_read_b128 v[5:8], v5 offset:64
	s_waitcnt lgkmcnt(0)
	s_barrier
	s_or_b64 s[20:21], s[20:21], s[22:23]
	s_and_saveexec_b64 s[24:25], s[20:21]
	s_cbranch_execz .LBB60_22
; %bb.21:
	v_add_f64 v[23:24], v[23:24], -v[21:22]
	s_mov_b32 s20, 0x652b82fe
	s_mov_b32 s21, 0x3ff71547
	;; [unrolled: 1-line block ×6, first 2 shown]
	v_mov_b32_e32 v31, 0xfca7ab0c
	v_mul_f64 v[25:26], v[23:24], s[20:21]
	s_mov_b32 s20, 0x6a5dcb37
	v_mov_b32_e32 v32, 0x3e928af3
	s_mov_b32 s21, 0x3e5ade15
	s_mov_b32 s22, 0
	;; [unrolled: 1-line block ×3, first 2 shown]
	v_cmp_ngt_f64_e64 s[22:23], s[22:23], v[23:24]
	v_mov_b32_e32 v55, 0x7ff00000
	v_rndne_f64_e32 v[25:26], v[25:26]
	v_fma_f64 v[27:28], v[25:26], s[26:27], v[23:24]
	s_mov_b32 s27, 0x3fe62e42
	v_fma_f64 v[27:28], v[25:26], s[28:29], v[27:28]
	v_cvt_i32_f64_e32 v25, v[25:26]
	s_mov_b32 s29, 0x3c7abc9e
	v_fma_f64 v[31:32], v[27:28], s[20:21], v[31:32]
	s_mov_b32 s20, 0x623fde64
	s_mov_b32 s21, 0x3ec71dee
	v_fma_f64 v[31:32], v[27:28], v[31:32], s[20:21]
	s_mov_b32 s20, 0x7c89e6b0
	;; [unrolled: 3-line block ×9, first 2 shown]
	s_mov_b32 s21, 0x40900000
	v_cmp_nlt_f64_e64 s[20:21], s[20:21], v[23:24]
	v_fma_f64 v[31:32], v[27:28], v[31:32], 1.0
	v_fma_f64 v[27:28], v[27:28], v[31:32], 1.0
	v_ldexp_f64 v[25:26], v[27:28], v25
	v_cndmask_b32_e64 v26, v55, v26, s[20:21]
	s_and_b64 s[20:21], s[22:23], s[20:21]
	v_cndmask_b32_e64 v24, 0, v26, s[22:23]
	v_cndmask_b32_e64 v23, 0, v25, s[20:21]
	v_add_f64 v[25:26], v[23:24], 1.0
	s_mov_b32 s23, 0x3fe55555
	s_mov_b32 s22, 0x55555555
	v_frexp_mant_f64_e32 v[31:32], v[25:26]
	v_frexp_exp_i32_f64_e32 v35, v[25:26]
	v_add_f64 v[27:28], v[25:26], -1.0
	v_cmp_gt_f64_e64 s[20:21], s[22:23], v[31:32]
	s_mov_b32 s22, 0x55555780
	v_add_f64 v[33:34], v[27:28], -v[25:26]
	v_add_f64 v[27:28], v[23:24], -v[27:28]
	v_subbrev_co_u32_e64 v56, s[20:21], 0, v35, s[20:21]
	v_sub_u32_e32 v35, 0, v56
	v_ldexp_f64 v[25:26], v[25:26], v35
	v_add_f64 v[31:32], v[33:34], 1.0
	s_mov_b32 s20, 0xbf559e2b
	s_mov_b32 s21, 0x3fc3ab76
	v_add_f64 v[33:34], v[25:26], 1.0
	v_add_f64 v[27:28], v[27:28], v[31:32]
	v_add_f64 v[39:40], v[25:26], -1.0
	v_add_f64 v[31:32], v[33:34], -1.0
	v_ldexp_f64 v[27:28], v[27:28], v35
	v_add_f64 v[41:42], v[39:40], 1.0
	v_add_f64 v[31:32], v[25:26], -v[31:32]
	v_add_f64 v[25:26], v[25:26], -v[41:42]
	v_add_f64 v[31:32], v[27:28], v[31:32]
	v_add_f64 v[25:26], v[27:28], v[25:26]
	;; [unrolled: 1-line block ×4, first 2 shown]
	v_rcp_f64_e32 v[37:38], v[35:36]
	v_add_f64 v[33:34], v[35:36], -v[33:34]
	v_add_f64 v[39:40], v[41:42], -v[39:40]
	v_add_f64 v[31:32], v[31:32], -v[33:34]
	v_add_f64 v[25:26], v[25:26], -v[39:40]
	v_fma_f64 v[49:50], -v[35:36], v[37:38], 1.0
	v_fma_f64 v[37:38], v[49:50], v[37:38], v[37:38]
	v_fma_f64 v[27:28], -v[35:36], v[37:38], 1.0
	v_fma_f64 v[27:28], v[27:28], v[37:38], v[37:38]
	v_mul_f64 v[37:38], v[41:42], v[27:28]
	v_mul_f64 v[49:50], v[35:36], v[37:38]
	v_fma_f64 v[33:34], v[37:38], v[35:36], -v[49:50]
	v_fma_f64 v[33:34], v[37:38], v[31:32], v[33:34]
	v_add_f64 v[51:52], v[49:50], v[33:34]
	v_add_f64 v[53:54], v[41:42], -v[51:52]
	v_add_f64 v[39:40], v[51:52], -v[49:50]
	;; [unrolled: 1-line block ×5, first 2 shown]
	v_add_f64 v[25:26], v[25:26], v[41:42]
	v_add_f64 v[25:26], v[33:34], v[25:26]
	;; [unrolled: 1-line block ×3, first 2 shown]
	v_mul_f64 v[39:40], v[27:28], v[33:34]
	v_add_f64 v[51:52], v[53:54], -v[33:34]
	v_mul_f64 v[41:42], v[35:36], v[39:40]
	v_add_f64 v[25:26], v[25:26], v[51:52]
	v_fma_f64 v[35:36], v[39:40], v[35:36], -v[41:42]
	v_fma_f64 v[31:32], v[39:40], v[31:32], v[35:36]
	v_add_f64 v[35:36], v[41:42], v[31:32]
	v_add_f64 v[49:50], v[33:34], -v[35:36]
	v_add_f64 v[41:42], v[35:36], -v[41:42]
	;; [unrolled: 1-line block ×5, first 2 shown]
	v_mov_b32_e32 v35, 0x6b47b09a
	v_mov_b32_e32 v36, 0x3fc38538
	v_add_f64 v[25:26], v[25:26], v[33:34]
	v_add_f64 v[33:34], v[37:38], v[39:40]
	;; [unrolled: 1-line block ×3, first 2 shown]
	v_add_f64 v[31:32], v[33:34], -v[37:38]
	v_add_f64 v[25:26], v[49:50], v[25:26]
	v_add_f64 v[31:32], v[39:40], -v[31:32]
	v_mul_f64 v[25:26], v[27:28], v[25:26]
	v_add_f64 v[25:26], v[31:32], v[25:26]
	v_add_f64 v[27:28], v[33:34], v[25:26]
	v_mul_f64 v[31:32], v[27:28], v[27:28]
	v_fma_f64 v[35:36], v[31:32], s[20:21], v[35:36]
	s_mov_b32 s20, 0xd7f4df2e
	s_mov_b32 s21, 0x3fc7474d
	v_mul_f64 v[37:38], v[27:28], v[31:32]
	v_fma_f64 v[35:36], v[31:32], v[35:36], s[20:21]
	s_mov_b32 s20, 0x16291751
	s_mov_b32 s21, 0x3fcc71c0
	v_fma_f64 v[35:36], v[31:32], v[35:36], s[20:21]
	s_mov_b32 s20, 0x9b27acf1
	s_mov_b32 s21, 0x3fd24924
	;; [unrolled: 3-line block ×3, first 2 shown]
	v_fma_f64 v[35:36], v[31:32], v[35:36], s[20:21]
	v_cmp_nge_f64_e64 s[20:21], -1.0, v[23:24]
	v_fma_f64 v[31:32], v[31:32], v[35:36], s[22:23]
	v_ldexp_f64 v[35:36], v[27:28], 1
	v_add_f64 v[27:28], v[27:28], -v[33:34]
	s_mov_b32 s22, 0
	s_mov_b32 s23, 0x7ff00000
	v_cmp_neq_f64_e64 s[22:23], s[22:23], v[23:24]
	v_mul_f64 v[31:32], v[37:38], v[31:32]
	v_cvt_f64_i32_e32 v[37:38], v56
	v_add_f64 v[25:26], v[25:26], -v[27:28]
	v_mul_f64 v[39:40], v[37:38], s[26:27]
	s_and_b64 s[20:21], s[20:21], s[22:23]
	v_add_f64 v[33:34], v[35:36], v[31:32]
	v_ldexp_f64 v[25:26], v[25:26], 1
	v_add_f64 v[27:28], v[33:34], -v[35:36]
	v_fma_f64 v[35:36], v[37:38], s[26:27], -v[39:40]
	v_add_f64 v[27:28], v[31:32], -v[27:28]
	v_fma_f64 v[31:32], v[37:38], s[28:29], v[35:36]
	v_add_f64 v[25:26], v[25:26], v[27:28]
	v_add_f64 v[27:28], v[39:40], v[31:32]
	;; [unrolled: 1-line block ×3, first 2 shown]
	v_add_f64 v[39:40], v[27:28], -v[39:40]
	v_add_f64 v[37:38], v[27:28], v[35:36]
	v_add_f64 v[33:34], v[35:36], -v[33:34]
	v_add_f64 v[31:32], v[31:32], -v[39:40]
	;; [unrolled: 1-line block ×6, first 2 shown]
	v_add_f64 v[35:36], v[31:32], v[25:26]
	v_add_f64 v[27:28], v[27:28], -v[49:50]
	v_add_f64 v[27:28], v[33:34], v[27:28]
	v_add_f64 v[33:34], v[35:36], -v[31:32]
	;; [unrolled: 2-line block ×3, first 2 shown]
	v_add_f64 v[25:26], v[25:26], -v[33:34]
	v_add_f64 v[39:40], v[37:38], v[27:28]
	v_add_f64 v[31:32], v[31:32], -v[35:36]
	v_add_f64 v[33:34], v[39:40], -v[37:38]
	v_add_f64 v[25:26], v[25:26], v[31:32]
	v_add_f64 v[27:28], v[27:28], -v[33:34]
	v_add_f64 v[25:26], v[25:26], v[27:28]
	v_mov_b32_e32 v27, 0x7ff80000
	v_mov_b32_e32 v28, 0xfff00000
	v_add_f64 v[25:26], v[39:40], v[25:26]
	v_cndmask_b32_e64 v25, 0, v25, s[20:21]
	v_cmp_ngt_f64_e64 s[20:21], -1.0, v[23:24]
	v_cndmask_b32_e64 v26, v55, v26, s[22:23]
	v_cndmask_b32_e64 v26, v27, v26, s[20:21]
	v_cmp_neq_f64_e64 s[20:21], -1.0, v[23:24]
	v_cndmask_b32_e64 v26, v28, v26, s[20:21]
	v_add_f64 v[49:50], v[21:22], v[25:26]
.LBB60_22:
	s_or_b64 exec, exec, s[24:25]
	v_max_f64 v[25:26], v[17:18], v[17:18]
	v_max_f64 v[21:22], v[49:50], v[49:50]
	v_cmp_u_f64_e64 s[20:21], v[49:50], v[49:50]
	v_cmp_u_f64_e64 s[22:23], v[17:18], v[17:18]
	v_min_f64 v[23:24], v[21:22], v[25:26]
	v_max_f64 v[21:22], v[21:22], v[25:26]
	v_cndmask_b32_e64 v23, v23, v49, s[20:21]
	v_cndmask_b32_e64 v24, v24, v50, s[20:21]
	;; [unrolled: 1-line block ×8, first 2 shown]
	v_cmp_neq_f64_e64 s[20:21], v[23:24], v[21:22]
	v_cmp_class_f64_e64 s[24:25], v[23:24], s30
	s_or_b64 s[20:21], s[20:21], s[24:25]
	s_and_saveexec_b64 s[26:27], s[20:21]
	s_cbranch_execz .LBB60_24
; %bb.23:
	v_add_f64 v[23:24], v[23:24], -v[21:22]
	s_mov_b32 s20, 0x652b82fe
	s_mov_b32 s21, 0x3ff71547
	;; [unrolled: 1-line block ×6, first 2 shown]
	v_mov_b32_e32 v33, 0xfca7ab0c
	v_mul_f64 v[27:28], v[23:24], s[20:21]
	s_mov_b32 s20, 0x6a5dcb37
	v_mov_b32_e32 v34, 0x3e928af3
	s_mov_b32 s21, 0x3e5ade15
	s_mov_b32 s24, 0
	;; [unrolled: 1-line block ×3, first 2 shown]
	v_cmp_ngt_f64_e64 s[24:25], s[24:25], v[23:24]
	v_mov_b32_e32 v58, 0x7ff00000
	v_rndne_f64_e32 v[27:28], v[27:28]
	v_fma_f64 v[31:32], v[27:28], s[28:29], v[23:24]
	s_mov_b32 s29, 0x3fe62e42
	v_fma_f64 v[31:32], v[27:28], s[30:31], v[31:32]
	v_cvt_i32_f64_e32 v27, v[27:28]
	s_mov_b32 s31, 0x3c7abc9e
	v_fma_f64 v[33:34], v[31:32], s[20:21], v[33:34]
	s_mov_b32 s20, 0x623fde64
	s_mov_b32 s21, 0x3ec71dee
	v_fma_f64 v[33:34], v[31:32], v[33:34], s[20:21]
	s_mov_b32 s20, 0x7c89e6b0
	;; [unrolled: 3-line block ×9, first 2 shown]
	s_mov_b32 s21, 0x40900000
	v_cmp_nlt_f64_e64 s[20:21], s[20:21], v[23:24]
	v_fma_f64 v[33:34], v[31:32], v[33:34], 1.0
	v_fma_f64 v[31:32], v[31:32], v[33:34], 1.0
	v_ldexp_f64 v[27:28], v[31:32], v27
	v_cndmask_b32_e64 v28, v58, v28, s[20:21]
	s_and_b64 s[20:21], s[24:25], s[20:21]
	v_cndmask_b32_e64 v24, 0, v28, s[24:25]
	v_cndmask_b32_e64 v23, 0, v27, s[20:21]
	v_add_f64 v[27:28], v[23:24], 1.0
	s_mov_b32 s25, 0x3fe55555
	s_mov_b32 s24, 0x55555555
	v_frexp_mant_f64_e32 v[33:34], v[27:28]
	v_frexp_exp_i32_f64_e32 v37, v[27:28]
	v_add_f64 v[31:32], v[27:28], -1.0
	v_cmp_gt_f64_e64 s[20:21], s[24:25], v[33:34]
	s_mov_b32 s24, 0x55555780
	v_add_f64 v[35:36], v[31:32], -v[27:28]
	v_add_f64 v[31:32], v[23:24], -v[31:32]
	v_subbrev_co_u32_e64 v59, s[20:21], 0, v37, s[20:21]
	v_sub_u32_e32 v37, 0, v59
	v_ldexp_f64 v[27:28], v[27:28], v37
	v_add_f64 v[33:34], v[35:36], 1.0
	s_mov_b32 s20, 0xbf559e2b
	s_mov_b32 s21, 0x3fc3ab76
	v_add_f64 v[35:36], v[27:28], 1.0
	v_add_f64 v[31:32], v[31:32], v[33:34]
	v_add_f64 v[41:42], v[27:28], -1.0
	v_add_f64 v[33:34], v[35:36], -1.0
	v_ldexp_f64 v[31:32], v[31:32], v37
	v_add_f64 v[49:50], v[41:42], 1.0
	v_add_f64 v[33:34], v[27:28], -v[33:34]
	v_add_f64 v[27:28], v[27:28], -v[49:50]
	v_add_f64 v[33:34], v[31:32], v[33:34]
	v_add_f64 v[27:28], v[31:32], v[27:28]
	;; [unrolled: 1-line block ×4, first 2 shown]
	v_rcp_f64_e32 v[39:40], v[37:38]
	v_add_f64 v[35:36], v[37:38], -v[35:36]
	v_add_f64 v[41:42], v[49:50], -v[41:42]
	;; [unrolled: 1-line block ×4, first 2 shown]
	v_fma_f64 v[51:52], -v[37:38], v[39:40], 1.0
	v_fma_f64 v[39:40], v[51:52], v[39:40], v[39:40]
	v_fma_f64 v[31:32], -v[37:38], v[39:40], 1.0
	v_fma_f64 v[31:32], v[31:32], v[39:40], v[39:40]
	v_mul_f64 v[39:40], v[49:50], v[31:32]
	v_mul_f64 v[51:52], v[37:38], v[39:40]
	v_fma_f64 v[35:36], v[39:40], v[37:38], -v[51:52]
	v_fma_f64 v[35:36], v[39:40], v[33:34], v[35:36]
	v_add_f64 v[53:54], v[51:52], v[35:36]
	v_add_f64 v[55:56], v[49:50], -v[53:54]
	v_add_f64 v[41:42], v[53:54], -v[51:52]
	;; [unrolled: 1-line block ×5, first 2 shown]
	v_add_f64 v[27:28], v[27:28], v[49:50]
	v_add_f64 v[27:28], v[35:36], v[27:28]
	v_add_f64 v[35:36], v[55:56], v[27:28]
	v_mul_f64 v[41:42], v[31:32], v[35:36]
	v_add_f64 v[53:54], v[55:56], -v[35:36]
	v_mul_f64 v[49:50], v[37:38], v[41:42]
	v_add_f64 v[27:28], v[27:28], v[53:54]
	v_fma_f64 v[37:38], v[41:42], v[37:38], -v[49:50]
	v_fma_f64 v[33:34], v[41:42], v[33:34], v[37:38]
	v_add_f64 v[37:38], v[49:50], v[33:34]
	v_add_f64 v[51:52], v[35:36], -v[37:38]
	v_add_f64 v[49:50], v[37:38], -v[49:50]
	;; [unrolled: 1-line block ×5, first 2 shown]
	v_mov_b32_e32 v37, 0x6b47b09a
	v_mov_b32_e32 v38, 0x3fc38538
	v_add_f64 v[27:28], v[27:28], v[35:36]
	v_add_f64 v[35:36], v[39:40], v[41:42]
	;; [unrolled: 1-line block ×3, first 2 shown]
	v_add_f64 v[33:34], v[35:36], -v[39:40]
	v_add_f64 v[27:28], v[51:52], v[27:28]
	v_add_f64 v[33:34], v[41:42], -v[33:34]
	v_mul_f64 v[27:28], v[31:32], v[27:28]
	v_add_f64 v[27:28], v[33:34], v[27:28]
	v_add_f64 v[31:32], v[35:36], v[27:28]
	v_mul_f64 v[33:34], v[31:32], v[31:32]
	v_fma_f64 v[37:38], v[33:34], s[20:21], v[37:38]
	s_mov_b32 s20, 0xd7f4df2e
	s_mov_b32 s21, 0x3fc7474d
	v_mul_f64 v[39:40], v[31:32], v[33:34]
	v_fma_f64 v[37:38], v[33:34], v[37:38], s[20:21]
	s_mov_b32 s20, 0x16291751
	s_mov_b32 s21, 0x3fcc71c0
	v_fma_f64 v[37:38], v[33:34], v[37:38], s[20:21]
	s_mov_b32 s20, 0x9b27acf1
	s_mov_b32 s21, 0x3fd24924
	;; [unrolled: 3-line block ×3, first 2 shown]
	v_fma_f64 v[37:38], v[33:34], v[37:38], s[20:21]
	v_cmp_nge_f64_e64 s[20:21], -1.0, v[23:24]
	v_fma_f64 v[33:34], v[33:34], v[37:38], s[24:25]
	v_ldexp_f64 v[37:38], v[31:32], 1
	v_add_f64 v[31:32], v[31:32], -v[35:36]
	s_mov_b32 s24, 0
	s_mov_b32 s25, 0x7ff00000
	v_cmp_neq_f64_e64 s[24:25], s[24:25], v[23:24]
	v_mul_f64 v[33:34], v[39:40], v[33:34]
	v_cvt_f64_i32_e32 v[39:40], v59
	v_add_f64 v[27:28], v[27:28], -v[31:32]
	v_mul_f64 v[41:42], v[39:40], s[28:29]
	s_and_b64 s[20:21], s[20:21], s[24:25]
	v_add_f64 v[35:36], v[37:38], v[33:34]
	v_ldexp_f64 v[27:28], v[27:28], 1
	v_add_f64 v[31:32], v[35:36], -v[37:38]
	v_fma_f64 v[37:38], v[39:40], s[28:29], -v[41:42]
	v_add_f64 v[31:32], v[33:34], -v[31:32]
	v_fma_f64 v[33:34], v[39:40], s[30:31], v[37:38]
	v_add_f64 v[27:28], v[27:28], v[31:32]
	v_add_f64 v[31:32], v[41:42], v[33:34]
	;; [unrolled: 1-line block ×3, first 2 shown]
	v_add_f64 v[41:42], v[31:32], -v[41:42]
	v_add_f64 v[39:40], v[31:32], v[37:38]
	v_add_f64 v[35:36], v[37:38], -v[35:36]
	v_add_f64 v[33:34], v[33:34], -v[41:42]
	;; [unrolled: 1-line block ×6, first 2 shown]
	v_add_f64 v[37:38], v[33:34], v[27:28]
	v_add_f64 v[31:32], v[31:32], -v[51:52]
	v_add_f64 v[31:32], v[35:36], v[31:32]
	v_add_f64 v[35:36], v[37:38], -v[33:34]
	;; [unrolled: 2-line block ×3, first 2 shown]
	v_add_f64 v[27:28], v[27:28], -v[35:36]
	v_add_f64 v[41:42], v[39:40], v[31:32]
	v_add_f64 v[33:34], v[33:34], -v[37:38]
	v_add_f64 v[35:36], v[41:42], -v[39:40]
	v_add_f64 v[27:28], v[27:28], v[33:34]
	v_add_f64 v[31:32], v[31:32], -v[35:36]
	v_add_f64 v[27:28], v[27:28], v[31:32]
	v_mov_b32_e32 v31, 0x7ff80000
	v_mov_b32_e32 v32, 0xfff00000
	v_add_f64 v[27:28], v[41:42], v[27:28]
	v_cndmask_b32_e64 v27, 0, v27, s[20:21]
	v_cmp_ngt_f64_e64 s[20:21], -1.0, v[23:24]
	v_cndmask_b32_e64 v28, v58, v28, s[24:25]
	v_cndmask_b32_e64 v28, v31, v28, s[20:21]
	v_cmp_neq_f64_e64 s[20:21], -1.0, v[23:24]
	v_cndmask_b32_e64 v28, v32, v28, s[20:21]
	v_add_f64 v[49:50], v[21:22], v[27:28]
.LBB60_24:
	s_or_b64 exec, exec, s[26:27]
	v_max_f64 v[27:28], v[19:20], v[19:20]
	v_max_f64 v[21:22], v[49:50], v[49:50]
	v_cmp_u_f64_e64 s[24:25], v[49:50], v[49:50]
	v_cmp_u_f64_e64 s[20:21], v[19:20], v[19:20]
	s_movk_i32 s33, 0x1f8
	v_min_f64 v[23:24], v[21:22], v[27:28]
	v_max_f64 v[21:22], v[21:22], v[27:28]
	v_cndmask_b32_e64 v23, v23, v49, s[24:25]
	v_cndmask_b32_e64 v24, v24, v50, s[24:25]
	;; [unrolled: 1-line block ×8, first 2 shown]
	v_cmp_neq_f64_e64 s[24:25], v[23:24], v[21:22]
	v_cmp_class_f64_e64 s[26:27], v[23:24], s33
	s_or_b64 s[24:25], s[24:25], s[26:27]
	s_and_saveexec_b64 s[28:29], s[24:25]
	s_cbranch_execz .LBB60_26
; %bb.25:
	v_add_f64 v[23:24], v[23:24], -v[21:22]
	s_mov_b32 s24, 0x652b82fe
	s_mov_b32 s25, 0x3ff71547
	;; [unrolled: 1-line block ×6, first 2 shown]
	v_mov_b32_e32 v35, 0xfca7ab0c
	v_mul_f64 v[31:32], v[23:24], s[24:25]
	s_mov_b32 s24, 0x6a5dcb37
	v_mov_b32_e32 v36, 0x3e928af3
	s_mov_b32 s25, 0x3e5ade15
	s_mov_b32 s26, 0
	;; [unrolled: 1-line block ×3, first 2 shown]
	v_cmp_ngt_f64_e64 s[26:27], s[26:27], v[23:24]
	v_mov_b32_e32 v60, 0x7ff00000
	v_rndne_f64_e32 v[31:32], v[31:32]
	v_fma_f64 v[33:34], v[31:32], s[30:31], v[23:24]
	s_mov_b32 s31, 0x3fe62e42
	v_fma_f64 v[33:34], v[31:32], s[34:35], v[33:34]
	v_cvt_i32_f64_e32 v31, v[31:32]
	s_mov_b32 s35, 0x3c7abc9e
	v_fma_f64 v[35:36], v[33:34], s[24:25], v[35:36]
	s_mov_b32 s24, 0x623fde64
	s_mov_b32 s25, 0x3ec71dee
	v_fma_f64 v[35:36], v[33:34], v[35:36], s[24:25]
	s_mov_b32 s24, 0x7c89e6b0
	;; [unrolled: 3-line block ×9, first 2 shown]
	s_mov_b32 s25, 0x40900000
	v_cmp_nlt_f64_e64 s[24:25], s[24:25], v[23:24]
	v_fma_f64 v[35:36], v[33:34], v[35:36], 1.0
	v_fma_f64 v[33:34], v[33:34], v[35:36], 1.0
	v_ldexp_f64 v[31:32], v[33:34], v31
	v_cndmask_b32_e64 v32, v60, v32, s[24:25]
	s_and_b64 s[24:25], s[26:27], s[24:25]
	v_cndmask_b32_e64 v24, 0, v32, s[26:27]
	v_cndmask_b32_e64 v23, 0, v31, s[24:25]
	v_add_f64 v[31:32], v[23:24], 1.0
	s_mov_b32 s27, 0x3fe55555
	s_mov_b32 s26, 0x55555555
	v_frexp_mant_f64_e32 v[35:36], v[31:32]
	v_frexp_exp_i32_f64_e32 v39, v[31:32]
	v_add_f64 v[33:34], v[31:32], -1.0
	v_cmp_gt_f64_e64 s[24:25], s[26:27], v[35:36]
	s_mov_b32 s26, 0x55555780
	v_add_f64 v[37:38], v[33:34], -v[31:32]
	v_add_f64 v[33:34], v[23:24], -v[33:34]
	v_subbrev_co_u32_e64 v61, s[24:25], 0, v39, s[24:25]
	v_sub_u32_e32 v39, 0, v61
	v_ldexp_f64 v[31:32], v[31:32], v39
	v_add_f64 v[35:36], v[37:38], 1.0
	s_mov_b32 s24, 0xbf559e2b
	s_mov_b32 s25, 0x3fc3ab76
	v_add_f64 v[37:38], v[31:32], 1.0
	v_add_f64 v[33:34], v[33:34], v[35:36]
	v_add_f64 v[49:50], v[31:32], -1.0
	v_add_f64 v[35:36], v[37:38], -1.0
	v_ldexp_f64 v[33:34], v[33:34], v39
	v_add_f64 v[51:52], v[49:50], 1.0
	v_add_f64 v[35:36], v[31:32], -v[35:36]
	v_add_f64 v[31:32], v[31:32], -v[51:52]
	v_add_f64 v[35:36], v[33:34], v[35:36]
	v_add_f64 v[31:32], v[33:34], v[31:32]
	;; [unrolled: 1-line block ×4, first 2 shown]
	v_rcp_f64_e32 v[41:42], v[39:40]
	v_add_f64 v[37:38], v[39:40], -v[37:38]
	v_add_f64 v[49:50], v[51:52], -v[49:50]
	;; [unrolled: 1-line block ×4, first 2 shown]
	v_fma_f64 v[53:54], -v[39:40], v[41:42], 1.0
	v_fma_f64 v[41:42], v[53:54], v[41:42], v[41:42]
	v_fma_f64 v[33:34], -v[39:40], v[41:42], 1.0
	v_fma_f64 v[33:34], v[33:34], v[41:42], v[41:42]
	v_mul_f64 v[41:42], v[51:52], v[33:34]
	v_mul_f64 v[53:54], v[39:40], v[41:42]
	v_fma_f64 v[37:38], v[41:42], v[39:40], -v[53:54]
	v_fma_f64 v[37:38], v[41:42], v[35:36], v[37:38]
	v_add_f64 v[55:56], v[53:54], v[37:38]
	v_add_f64 v[58:59], v[51:52], -v[55:56]
	v_add_f64 v[49:50], v[55:56], -v[53:54]
	;; [unrolled: 1-line block ×5, first 2 shown]
	v_add_f64 v[31:32], v[31:32], v[51:52]
	v_add_f64 v[31:32], v[37:38], v[31:32]
	;; [unrolled: 1-line block ×3, first 2 shown]
	v_mul_f64 v[49:50], v[33:34], v[37:38]
	v_add_f64 v[55:56], v[58:59], -v[37:38]
	v_mul_f64 v[51:52], v[39:40], v[49:50]
	v_add_f64 v[31:32], v[31:32], v[55:56]
	v_fma_f64 v[39:40], v[49:50], v[39:40], -v[51:52]
	v_fma_f64 v[35:36], v[49:50], v[35:36], v[39:40]
	v_add_f64 v[39:40], v[51:52], v[35:36]
	v_add_f64 v[53:54], v[37:38], -v[39:40]
	v_add_f64 v[51:52], v[39:40], -v[51:52]
	;; [unrolled: 1-line block ×5, first 2 shown]
	v_mov_b32_e32 v39, 0x6b47b09a
	v_mov_b32_e32 v40, 0x3fc38538
	v_add_f64 v[31:32], v[31:32], v[37:38]
	v_add_f64 v[37:38], v[41:42], v[49:50]
	;; [unrolled: 1-line block ×3, first 2 shown]
	v_add_f64 v[35:36], v[37:38], -v[41:42]
	v_add_f64 v[31:32], v[53:54], v[31:32]
	v_add_f64 v[35:36], v[49:50], -v[35:36]
	v_mul_f64 v[31:32], v[33:34], v[31:32]
	v_add_f64 v[31:32], v[35:36], v[31:32]
	v_add_f64 v[33:34], v[37:38], v[31:32]
	v_mul_f64 v[35:36], v[33:34], v[33:34]
	v_fma_f64 v[39:40], v[35:36], s[24:25], v[39:40]
	s_mov_b32 s24, 0xd7f4df2e
	s_mov_b32 s25, 0x3fc7474d
	v_mul_f64 v[41:42], v[33:34], v[35:36]
	v_fma_f64 v[39:40], v[35:36], v[39:40], s[24:25]
	s_mov_b32 s24, 0x16291751
	s_mov_b32 s25, 0x3fcc71c0
	v_fma_f64 v[39:40], v[35:36], v[39:40], s[24:25]
	s_mov_b32 s24, 0x9b27acf1
	s_mov_b32 s25, 0x3fd24924
	;; [unrolled: 3-line block ×3, first 2 shown]
	v_fma_f64 v[39:40], v[35:36], v[39:40], s[24:25]
	v_cmp_nge_f64_e64 s[24:25], -1.0, v[23:24]
	v_fma_f64 v[35:36], v[35:36], v[39:40], s[26:27]
	v_ldexp_f64 v[39:40], v[33:34], 1
	v_add_f64 v[33:34], v[33:34], -v[37:38]
	s_mov_b32 s26, 0
	s_mov_b32 s27, 0x7ff00000
	v_cmp_neq_f64_e64 s[26:27], s[26:27], v[23:24]
	v_mul_f64 v[35:36], v[41:42], v[35:36]
	v_cvt_f64_i32_e32 v[41:42], v61
	v_add_f64 v[31:32], v[31:32], -v[33:34]
	v_mul_f64 v[49:50], v[41:42], s[30:31]
	s_and_b64 s[24:25], s[24:25], s[26:27]
	v_add_f64 v[37:38], v[39:40], v[35:36]
	v_ldexp_f64 v[31:32], v[31:32], 1
	v_add_f64 v[33:34], v[37:38], -v[39:40]
	v_fma_f64 v[39:40], v[41:42], s[30:31], -v[49:50]
	v_add_f64 v[33:34], v[35:36], -v[33:34]
	v_fma_f64 v[35:36], v[41:42], s[34:35], v[39:40]
	v_add_f64 v[31:32], v[31:32], v[33:34]
	v_add_f64 v[33:34], v[49:50], v[35:36]
	;; [unrolled: 1-line block ×3, first 2 shown]
	v_add_f64 v[49:50], v[33:34], -v[49:50]
	v_add_f64 v[41:42], v[33:34], v[39:40]
	v_add_f64 v[37:38], v[39:40], -v[37:38]
	v_add_f64 v[35:36], v[35:36], -v[49:50]
	;; [unrolled: 1-line block ×6, first 2 shown]
	v_add_f64 v[39:40], v[35:36], v[31:32]
	v_add_f64 v[33:34], v[33:34], -v[53:54]
	v_add_f64 v[33:34], v[37:38], v[33:34]
	v_add_f64 v[37:38], v[39:40], -v[35:36]
	;; [unrolled: 2-line block ×3, first 2 shown]
	v_add_f64 v[31:32], v[31:32], -v[37:38]
	v_add_f64 v[49:50], v[41:42], v[33:34]
	v_add_f64 v[35:36], v[35:36], -v[39:40]
	v_add_f64 v[37:38], v[49:50], -v[41:42]
	v_add_f64 v[31:32], v[31:32], v[35:36]
	v_add_f64 v[33:34], v[33:34], -v[37:38]
	v_add_f64 v[31:32], v[31:32], v[33:34]
	v_mov_b32_e32 v33, 0x7ff80000
	v_mov_b32_e32 v34, 0xfff00000
	v_add_f64 v[31:32], v[49:50], v[31:32]
	v_cndmask_b32_e64 v31, 0, v31, s[24:25]
	v_cmp_ngt_f64_e64 s[24:25], -1.0, v[23:24]
	v_cndmask_b32_e64 v32, v60, v32, s[26:27]
	v_cndmask_b32_e64 v32, v33, v32, s[24:25]
	v_cmp_neq_f64_e64 s[24:25], -1.0, v[23:24]
	v_cndmask_b32_e64 v32, v34, v32, s[24:25]
	v_add_f64 v[49:50], v[21:22], v[31:32]
.LBB60_26:
	s_or_b64 exec, exec, s[28:29]
	v_max_f64 v[31:32], v[13:14], v[13:14]
	v_max_f64 v[21:22], v[49:50], v[49:50]
	v_cmp_u_f64_e64 s[24:25], v[49:50], v[49:50]
	v_cmp_u_f64_e64 s[26:27], v[13:14], v[13:14]
	v_min_f64 v[23:24], v[21:22], v[31:32]
	v_max_f64 v[21:22], v[21:22], v[31:32]
	v_cndmask_b32_e64 v23, v23, v49, s[24:25]
	v_cndmask_b32_e64 v24, v24, v50, s[24:25]
	;; [unrolled: 1-line block ×8, first 2 shown]
	v_cmp_neq_f64_e64 s[24:25], v[23:24], v[21:22]
	v_cmp_class_f64_e64 s[28:29], v[23:24], s33
	s_or_b64 s[24:25], s[24:25], s[28:29]
	s_and_saveexec_b64 s[30:31], s[24:25]
	s_cbranch_execz .LBB60_28
; %bb.27:
	v_add_f64 v[23:24], v[23:24], -v[21:22]
	s_mov_b32 s24, 0x652b82fe
	s_mov_b32 s25, 0x3ff71547
	;; [unrolled: 1-line block ×6, first 2 shown]
	v_mov_b32_e32 v37, 0xfca7ab0c
	v_mul_f64 v[33:34], v[23:24], s[24:25]
	s_mov_b32 s24, 0x6a5dcb37
	v_mov_b32_e32 v38, 0x3e928af3
	s_mov_b32 s25, 0x3e5ade15
	s_mov_b32 s28, 0
	;; [unrolled: 1-line block ×3, first 2 shown]
	v_cmp_ngt_f64_e64 s[28:29], s[28:29], v[23:24]
	v_mov_b32_e32 v62, 0x7ff00000
	v_rndne_f64_e32 v[33:34], v[33:34]
	v_fma_f64 v[35:36], v[33:34], s[34:35], v[23:24]
	s_mov_b32 s35, 0x3fe62e42
	v_fma_f64 v[35:36], v[33:34], s[36:37], v[35:36]
	v_cvt_i32_f64_e32 v33, v[33:34]
	s_mov_b32 s37, 0x3c7abc9e
	v_fma_f64 v[37:38], v[35:36], s[24:25], v[37:38]
	s_mov_b32 s24, 0x623fde64
	s_mov_b32 s25, 0x3ec71dee
	v_fma_f64 v[37:38], v[35:36], v[37:38], s[24:25]
	s_mov_b32 s24, 0x7c89e6b0
	;; [unrolled: 3-line block ×9, first 2 shown]
	s_mov_b32 s25, 0x40900000
	v_cmp_nlt_f64_e64 s[24:25], s[24:25], v[23:24]
	v_fma_f64 v[37:38], v[35:36], v[37:38], 1.0
	v_fma_f64 v[35:36], v[35:36], v[37:38], 1.0
	v_ldexp_f64 v[33:34], v[35:36], v33
	v_cndmask_b32_e64 v34, v62, v34, s[24:25]
	s_and_b64 s[24:25], s[28:29], s[24:25]
	v_cndmask_b32_e64 v24, 0, v34, s[28:29]
	v_cndmask_b32_e64 v23, 0, v33, s[24:25]
	v_add_f64 v[33:34], v[23:24], 1.0
	s_mov_b32 s29, 0x3fe55555
	s_mov_b32 s28, 0x55555555
	v_frexp_mant_f64_e32 v[37:38], v[33:34]
	v_frexp_exp_i32_f64_e32 v41, v[33:34]
	v_add_f64 v[35:36], v[33:34], -1.0
	v_cmp_gt_f64_e64 s[24:25], s[28:29], v[37:38]
	s_mov_b32 s28, 0x55555780
	v_add_f64 v[39:40], v[35:36], -v[33:34]
	v_add_f64 v[35:36], v[23:24], -v[35:36]
	v_subbrev_co_u32_e64 v63, s[24:25], 0, v41, s[24:25]
	v_sub_u32_e32 v41, 0, v63
	v_ldexp_f64 v[33:34], v[33:34], v41
	v_add_f64 v[37:38], v[39:40], 1.0
	s_mov_b32 s24, 0xbf559e2b
	s_mov_b32 s25, 0x3fc3ab76
	v_add_f64 v[39:40], v[33:34], 1.0
	v_add_f64 v[35:36], v[35:36], v[37:38]
	v_add_f64 v[51:52], v[33:34], -1.0
	v_add_f64 v[37:38], v[39:40], -1.0
	v_ldexp_f64 v[35:36], v[35:36], v41
	v_add_f64 v[53:54], v[51:52], 1.0
	v_add_f64 v[37:38], v[33:34], -v[37:38]
	v_add_f64 v[33:34], v[33:34], -v[53:54]
	v_add_f64 v[37:38], v[35:36], v[37:38]
	v_add_f64 v[33:34], v[35:36], v[33:34]
	;; [unrolled: 1-line block ×4, first 2 shown]
	v_rcp_f64_e32 v[49:50], v[41:42]
	v_add_f64 v[39:40], v[41:42], -v[39:40]
	v_add_f64 v[51:52], v[53:54], -v[51:52]
	;; [unrolled: 1-line block ×4, first 2 shown]
	v_fma_f64 v[55:56], -v[41:42], v[49:50], 1.0
	v_fma_f64 v[49:50], v[55:56], v[49:50], v[49:50]
	v_fma_f64 v[35:36], -v[41:42], v[49:50], 1.0
	v_fma_f64 v[35:36], v[35:36], v[49:50], v[49:50]
	v_mul_f64 v[49:50], v[53:54], v[35:36]
	v_mul_f64 v[55:56], v[41:42], v[49:50]
	v_fma_f64 v[39:40], v[49:50], v[41:42], -v[55:56]
	v_fma_f64 v[39:40], v[49:50], v[37:38], v[39:40]
	v_add_f64 v[58:59], v[55:56], v[39:40]
	v_add_f64 v[60:61], v[53:54], -v[58:59]
	v_add_f64 v[51:52], v[58:59], -v[55:56]
	;; [unrolled: 1-line block ×5, first 2 shown]
	v_add_f64 v[33:34], v[33:34], v[53:54]
	v_add_f64 v[33:34], v[39:40], v[33:34]
	v_add_f64 v[39:40], v[60:61], v[33:34]
	v_mul_f64 v[51:52], v[35:36], v[39:40]
	v_add_f64 v[58:59], v[60:61], -v[39:40]
	v_mul_f64 v[53:54], v[41:42], v[51:52]
	v_add_f64 v[33:34], v[33:34], v[58:59]
	v_fma_f64 v[41:42], v[51:52], v[41:42], -v[53:54]
	v_fma_f64 v[37:38], v[51:52], v[37:38], v[41:42]
	v_add_f64 v[41:42], v[53:54], v[37:38]
	v_add_f64 v[55:56], v[39:40], -v[41:42]
	v_add_f64 v[53:54], v[41:42], -v[53:54]
	;; [unrolled: 1-line block ×5, first 2 shown]
	v_mov_b32_e32 v41, 0x6b47b09a
	v_mov_b32_e32 v42, 0x3fc38538
	v_add_f64 v[33:34], v[33:34], v[39:40]
	v_add_f64 v[39:40], v[49:50], v[51:52]
	;; [unrolled: 1-line block ×3, first 2 shown]
	v_add_f64 v[37:38], v[39:40], -v[49:50]
	v_add_f64 v[33:34], v[55:56], v[33:34]
	v_add_f64 v[37:38], v[51:52], -v[37:38]
	v_mul_f64 v[33:34], v[35:36], v[33:34]
	v_add_f64 v[33:34], v[37:38], v[33:34]
	v_add_f64 v[35:36], v[39:40], v[33:34]
	v_mul_f64 v[37:38], v[35:36], v[35:36]
	v_fma_f64 v[41:42], v[37:38], s[24:25], v[41:42]
	s_mov_b32 s24, 0xd7f4df2e
	s_mov_b32 s25, 0x3fc7474d
	v_mul_f64 v[49:50], v[35:36], v[37:38]
	v_fma_f64 v[41:42], v[37:38], v[41:42], s[24:25]
	s_mov_b32 s24, 0x16291751
	s_mov_b32 s25, 0x3fcc71c0
	v_fma_f64 v[41:42], v[37:38], v[41:42], s[24:25]
	s_mov_b32 s24, 0x9b27acf1
	s_mov_b32 s25, 0x3fd24924
	;; [unrolled: 3-line block ×3, first 2 shown]
	v_fma_f64 v[41:42], v[37:38], v[41:42], s[24:25]
	v_cmp_nge_f64_e64 s[24:25], -1.0, v[23:24]
	v_fma_f64 v[37:38], v[37:38], v[41:42], s[28:29]
	v_ldexp_f64 v[41:42], v[35:36], 1
	v_add_f64 v[35:36], v[35:36], -v[39:40]
	s_mov_b32 s28, 0
	s_mov_b32 s29, 0x7ff00000
	v_cmp_neq_f64_e64 s[28:29], s[28:29], v[23:24]
	v_mul_f64 v[37:38], v[49:50], v[37:38]
	v_cvt_f64_i32_e32 v[49:50], v63
	v_add_f64 v[33:34], v[33:34], -v[35:36]
	v_mul_f64 v[51:52], v[49:50], s[34:35]
	s_and_b64 s[24:25], s[24:25], s[28:29]
	v_add_f64 v[39:40], v[41:42], v[37:38]
	v_ldexp_f64 v[33:34], v[33:34], 1
	v_add_f64 v[35:36], v[39:40], -v[41:42]
	v_fma_f64 v[41:42], v[49:50], s[34:35], -v[51:52]
	v_add_f64 v[35:36], v[37:38], -v[35:36]
	v_fma_f64 v[37:38], v[49:50], s[36:37], v[41:42]
	v_add_f64 v[33:34], v[33:34], v[35:36]
	v_add_f64 v[35:36], v[51:52], v[37:38]
	;; [unrolled: 1-line block ×3, first 2 shown]
	v_add_f64 v[51:52], v[35:36], -v[51:52]
	v_add_f64 v[49:50], v[35:36], v[41:42]
	v_add_f64 v[39:40], v[41:42], -v[39:40]
	v_add_f64 v[37:38], v[37:38], -v[51:52]
	v_add_f64 v[53:54], v[49:50], -v[35:36]
	v_add_f64 v[33:34], v[33:34], -v[39:40]
	v_add_f64 v[55:56], v[49:50], -v[53:54]
	v_add_f64 v[39:40], v[41:42], -v[53:54]
	v_add_f64 v[41:42], v[37:38], v[33:34]
	v_add_f64 v[35:36], v[35:36], -v[55:56]
	v_add_f64 v[35:36], v[39:40], v[35:36]
	v_add_f64 v[39:40], v[41:42], -v[37:38]
	;; [unrolled: 2-line block ×3, first 2 shown]
	v_add_f64 v[33:34], v[33:34], -v[39:40]
	v_add_f64 v[51:52], v[49:50], v[35:36]
	v_add_f64 v[37:38], v[37:38], -v[41:42]
	v_add_f64 v[39:40], v[51:52], -v[49:50]
	v_add_f64 v[33:34], v[33:34], v[37:38]
	v_add_f64 v[35:36], v[35:36], -v[39:40]
	v_add_f64 v[33:34], v[33:34], v[35:36]
	v_mov_b32_e32 v35, 0x7ff80000
	v_mov_b32_e32 v36, 0xfff00000
	v_add_f64 v[33:34], v[51:52], v[33:34]
	v_cndmask_b32_e64 v33, 0, v33, s[24:25]
	v_cmp_ngt_f64_e64 s[24:25], -1.0, v[23:24]
	v_cndmask_b32_e64 v34, v62, v34, s[28:29]
	v_cndmask_b32_e64 v34, v35, v34, s[24:25]
	v_cmp_neq_f64_e64 s[24:25], -1.0, v[23:24]
	v_cndmask_b32_e64 v34, v36, v34, s[24:25]
	v_add_f64 v[49:50], v[21:22], v[33:34]
.LBB60_28:
	s_or_b64 exec, exec, s[30:31]
	v_max_f64 v[33:34], v[15:16], v[15:16]
	v_max_f64 v[21:22], v[49:50], v[49:50]
	v_cmp_u_f64_e64 s[28:29], v[49:50], v[49:50]
	v_cmp_u_f64_e64 s[24:25], v[15:16], v[15:16]
	v_min_f64 v[23:24], v[21:22], v[33:34]
	v_max_f64 v[21:22], v[21:22], v[33:34]
	v_cndmask_b32_e64 v23, v23, v49, s[28:29]
	v_cndmask_b32_e64 v24, v24, v50, s[28:29]
	;; [unrolled: 1-line block ×8, first 2 shown]
	v_cmp_neq_f64_e64 s[28:29], v[23:24], v[21:22]
	v_cmp_class_f64_e64 s[30:31], v[23:24], s33
	s_or_b64 s[28:29], s[28:29], s[30:31]
	s_and_saveexec_b64 s[34:35], s[28:29]
	s_cbranch_execz .LBB60_30
; %bb.29:
	v_add_f64 v[23:24], v[23:24], -v[21:22]
	s_mov_b32 s28, 0x652b82fe
	s_mov_b32 s29, 0x3ff71547
	s_mov_b32 s37, 0xbfe62e42
	s_mov_b32 s36, 0xfefa39ef
	s_mov_b32 s43, 0xbc7abc9e
	s_mov_b32 s42, 0x3b39803f
	v_mov_b32_e32 v39, 0xfca7ab0c
	v_mul_f64 v[35:36], v[23:24], s[28:29]
	s_mov_b32 s28, 0x6a5dcb37
	v_mov_b32_e32 v40, 0x3e928af3
	s_mov_b32 s29, 0x3e5ade15
	s_mov_b32 s30, 0
	;; [unrolled: 1-line block ×3, first 2 shown]
	v_cmp_ngt_f64_e64 s[30:31], s[30:31], v[23:24]
	v_mov_b32_e32 v64, 0x7ff00000
	v_rndne_f64_e32 v[35:36], v[35:36]
	v_fma_f64 v[37:38], v[35:36], s[36:37], v[23:24]
	s_mov_b32 s37, 0x3fe62e42
	v_fma_f64 v[37:38], v[35:36], s[42:43], v[37:38]
	v_cvt_i32_f64_e32 v35, v[35:36]
	s_mov_b32 s43, 0x3c7abc9e
	v_fma_f64 v[39:40], v[37:38], s[28:29], v[39:40]
	s_mov_b32 s28, 0x623fde64
	s_mov_b32 s29, 0x3ec71dee
	v_fma_f64 v[39:40], v[37:38], v[39:40], s[28:29]
	s_mov_b32 s28, 0x7c89e6b0
	;; [unrolled: 3-line block ×9, first 2 shown]
	s_mov_b32 s29, 0x40900000
	v_cmp_nlt_f64_e64 s[28:29], s[28:29], v[23:24]
	v_fma_f64 v[39:40], v[37:38], v[39:40], 1.0
	v_fma_f64 v[37:38], v[37:38], v[39:40], 1.0
	v_ldexp_f64 v[35:36], v[37:38], v35
	v_cndmask_b32_e64 v36, v64, v36, s[28:29]
	s_and_b64 s[28:29], s[30:31], s[28:29]
	v_cndmask_b32_e64 v24, 0, v36, s[30:31]
	v_cndmask_b32_e64 v23, 0, v35, s[28:29]
	v_add_f64 v[35:36], v[23:24], 1.0
	s_mov_b32 s31, 0x3fe55555
	s_mov_b32 s30, 0x55555555
	v_frexp_mant_f64_e32 v[39:40], v[35:36]
	v_frexp_exp_i32_f64_e32 v49, v[35:36]
	v_add_f64 v[37:38], v[35:36], -1.0
	v_cmp_gt_f64_e64 s[28:29], s[30:31], v[39:40]
	s_mov_b32 s30, 0x55555780
	v_add_f64 v[41:42], v[37:38], -v[35:36]
	v_add_f64 v[37:38], v[23:24], -v[37:38]
	v_subbrev_co_u32_e64 v65, s[28:29], 0, v49, s[28:29]
	v_sub_u32_e32 v49, 0, v65
	v_ldexp_f64 v[35:36], v[35:36], v49
	v_add_f64 v[39:40], v[41:42], 1.0
	s_mov_b32 s28, 0xbf559e2b
	s_mov_b32 s29, 0x3fc3ab76
	v_add_f64 v[41:42], v[35:36], 1.0
	v_add_f64 v[37:38], v[37:38], v[39:40]
	v_add_f64 v[53:54], v[35:36], -1.0
	v_add_f64 v[39:40], v[41:42], -1.0
	v_ldexp_f64 v[37:38], v[37:38], v49
	v_add_f64 v[55:56], v[53:54], 1.0
	v_add_f64 v[39:40], v[35:36], -v[39:40]
	v_add_f64 v[35:36], v[35:36], -v[55:56]
	v_add_f64 v[39:40], v[37:38], v[39:40]
	v_add_f64 v[35:36], v[37:38], v[35:36]
	;; [unrolled: 1-line block ×4, first 2 shown]
	v_rcp_f64_e32 v[51:52], v[49:50]
	v_add_f64 v[41:42], v[49:50], -v[41:42]
	v_add_f64 v[53:54], v[55:56], -v[53:54]
	;; [unrolled: 1-line block ×4, first 2 shown]
	v_fma_f64 v[58:59], -v[49:50], v[51:52], 1.0
	v_fma_f64 v[51:52], v[58:59], v[51:52], v[51:52]
	v_fma_f64 v[37:38], -v[49:50], v[51:52], 1.0
	v_fma_f64 v[37:38], v[37:38], v[51:52], v[51:52]
	v_mul_f64 v[51:52], v[55:56], v[37:38]
	v_mul_f64 v[58:59], v[49:50], v[51:52]
	v_fma_f64 v[41:42], v[51:52], v[49:50], -v[58:59]
	v_fma_f64 v[41:42], v[51:52], v[39:40], v[41:42]
	v_add_f64 v[60:61], v[58:59], v[41:42]
	v_add_f64 v[62:63], v[55:56], -v[60:61]
	v_add_f64 v[53:54], v[60:61], -v[58:59]
	;; [unrolled: 1-line block ×5, first 2 shown]
	v_add_f64 v[35:36], v[35:36], v[55:56]
	v_add_f64 v[35:36], v[41:42], v[35:36]
	;; [unrolled: 1-line block ×3, first 2 shown]
	v_mul_f64 v[53:54], v[37:38], v[41:42]
	v_add_f64 v[60:61], v[62:63], -v[41:42]
	v_mul_f64 v[55:56], v[49:50], v[53:54]
	v_add_f64 v[35:36], v[35:36], v[60:61]
	v_fma_f64 v[49:50], v[53:54], v[49:50], -v[55:56]
	v_fma_f64 v[39:40], v[53:54], v[39:40], v[49:50]
	v_add_f64 v[49:50], v[55:56], v[39:40]
	v_add_f64 v[58:59], v[41:42], -v[49:50]
	v_add_f64 v[55:56], v[49:50], -v[55:56]
	v_add_f64 v[41:42], v[41:42], -v[58:59]
	v_add_f64 v[39:40], v[55:56], -v[39:40]
	v_add_f64 v[41:42], v[41:42], -v[49:50]
	v_mov_b32_e32 v49, 0x6b47b09a
	v_mov_b32_e32 v50, 0x3fc38538
	v_add_f64 v[35:36], v[35:36], v[41:42]
	v_add_f64 v[41:42], v[51:52], v[53:54]
	;; [unrolled: 1-line block ×3, first 2 shown]
	v_add_f64 v[39:40], v[41:42], -v[51:52]
	v_add_f64 v[35:36], v[58:59], v[35:36]
	v_add_f64 v[39:40], v[53:54], -v[39:40]
	v_mul_f64 v[35:36], v[37:38], v[35:36]
	v_add_f64 v[35:36], v[39:40], v[35:36]
	v_add_f64 v[37:38], v[41:42], v[35:36]
	v_mul_f64 v[39:40], v[37:38], v[37:38]
	v_fma_f64 v[49:50], v[39:40], s[28:29], v[49:50]
	s_mov_b32 s28, 0xd7f4df2e
	s_mov_b32 s29, 0x3fc7474d
	v_mul_f64 v[51:52], v[37:38], v[39:40]
	v_fma_f64 v[49:50], v[39:40], v[49:50], s[28:29]
	s_mov_b32 s28, 0x16291751
	s_mov_b32 s29, 0x3fcc71c0
	v_fma_f64 v[49:50], v[39:40], v[49:50], s[28:29]
	s_mov_b32 s28, 0x9b27acf1
	s_mov_b32 s29, 0x3fd24924
	;; [unrolled: 3-line block ×3, first 2 shown]
	v_fma_f64 v[49:50], v[39:40], v[49:50], s[28:29]
	v_cmp_nge_f64_e64 s[28:29], -1.0, v[23:24]
	v_fma_f64 v[39:40], v[39:40], v[49:50], s[30:31]
	v_ldexp_f64 v[49:50], v[37:38], 1
	v_add_f64 v[37:38], v[37:38], -v[41:42]
	s_mov_b32 s30, 0
	s_mov_b32 s31, 0x7ff00000
	v_cmp_neq_f64_e64 s[30:31], s[30:31], v[23:24]
	v_mul_f64 v[39:40], v[51:52], v[39:40]
	v_cvt_f64_i32_e32 v[51:52], v65
	v_add_f64 v[35:36], v[35:36], -v[37:38]
	v_mul_f64 v[53:54], v[51:52], s[36:37]
	s_and_b64 s[28:29], s[28:29], s[30:31]
	v_add_f64 v[41:42], v[49:50], v[39:40]
	v_ldexp_f64 v[35:36], v[35:36], 1
	v_add_f64 v[37:38], v[41:42], -v[49:50]
	v_fma_f64 v[49:50], v[51:52], s[36:37], -v[53:54]
	v_add_f64 v[37:38], v[39:40], -v[37:38]
	v_fma_f64 v[39:40], v[51:52], s[42:43], v[49:50]
	v_add_f64 v[35:36], v[35:36], v[37:38]
	v_add_f64 v[37:38], v[53:54], v[39:40]
	;; [unrolled: 1-line block ×3, first 2 shown]
	v_add_f64 v[53:54], v[37:38], -v[53:54]
	v_add_f64 v[51:52], v[37:38], v[49:50]
	v_add_f64 v[41:42], v[49:50], -v[41:42]
	v_add_f64 v[39:40], v[39:40], -v[53:54]
	;; [unrolled: 1-line block ×6, first 2 shown]
	v_add_f64 v[49:50], v[39:40], v[35:36]
	v_add_f64 v[37:38], v[37:38], -v[58:59]
	v_add_f64 v[37:38], v[41:42], v[37:38]
	v_add_f64 v[41:42], v[49:50], -v[39:40]
	;; [unrolled: 2-line block ×3, first 2 shown]
	v_add_f64 v[35:36], v[35:36], -v[41:42]
	v_add_f64 v[53:54], v[51:52], v[37:38]
	v_add_f64 v[39:40], v[39:40], -v[49:50]
	v_add_f64 v[41:42], v[53:54], -v[51:52]
	v_add_f64 v[35:36], v[35:36], v[39:40]
	v_add_f64 v[37:38], v[37:38], -v[41:42]
	v_add_f64 v[35:36], v[35:36], v[37:38]
	v_mov_b32_e32 v37, 0x7ff80000
	v_mov_b32_e32 v38, 0xfff00000
	v_add_f64 v[35:36], v[53:54], v[35:36]
	v_cndmask_b32_e64 v35, 0, v35, s[28:29]
	v_cmp_ngt_f64_e64 s[28:29], -1.0, v[23:24]
	v_cndmask_b32_e64 v36, v64, v36, s[30:31]
	v_cndmask_b32_e64 v36, v37, v36, s[28:29]
	v_cmp_neq_f64_e64 s[28:29], -1.0, v[23:24]
	v_cndmask_b32_e64 v36, v38, v36, s[28:29]
	v_add_f64 v[49:50], v[21:22], v[35:36]
.LBB60_30:
	s_or_b64 exec, exec, s[34:35]
	v_max_f64 v[35:36], v[9:10], v[9:10]
	v_max_f64 v[21:22], v[49:50], v[49:50]
	v_cmp_u_f64_e64 s[28:29], v[49:50], v[49:50]
	v_cmp_u_f64_e64 s[30:31], v[9:10], v[9:10]
	v_min_f64 v[23:24], v[21:22], v[35:36]
	v_max_f64 v[21:22], v[21:22], v[35:36]
	v_cndmask_b32_e64 v23, v23, v49, s[28:29]
	v_cndmask_b32_e64 v24, v24, v50, s[28:29]
	;; [unrolled: 1-line block ×8, first 2 shown]
	v_cmp_neq_f64_e64 s[28:29], v[23:24], v[21:22]
	v_cmp_class_f64_e64 s[34:35], v[23:24], s33
	s_or_b64 s[28:29], s[28:29], s[34:35]
	s_and_saveexec_b64 s[36:37], s[28:29]
	s_cbranch_execz .LBB60_32
; %bb.31:
	v_add_f64 v[23:24], v[23:24], -v[21:22]
	s_mov_b32 s28, 0x652b82fe
	s_mov_b32 s29, 0x3ff71547
	;; [unrolled: 1-line block ×6, first 2 shown]
	v_mov_b32_e32 v41, 0xfca7ab0c
	v_mul_f64 v[37:38], v[23:24], s[28:29]
	s_mov_b32 s28, 0x6a5dcb37
	v_mov_b32_e32 v42, 0x3e928af3
	s_mov_b32 s29, 0x3e5ade15
	s_mov_b32 s34, 0
	;; [unrolled: 1-line block ×3, first 2 shown]
	v_cmp_ngt_f64_e64 s[34:35], s[34:35], v[23:24]
	v_mov_b32_e32 v66, 0x7ff00000
	v_rndne_f64_e32 v[37:38], v[37:38]
	v_fma_f64 v[39:40], v[37:38], s[42:43], v[23:24]
	s_mov_b32 s43, 0x3fe62e42
	v_fma_f64 v[39:40], v[37:38], s[44:45], v[39:40]
	v_cvt_i32_f64_e32 v37, v[37:38]
	s_mov_b32 s45, 0x3c7abc9e
	v_fma_f64 v[41:42], v[39:40], s[28:29], v[41:42]
	s_mov_b32 s28, 0x623fde64
	s_mov_b32 s29, 0x3ec71dee
	v_fma_f64 v[41:42], v[39:40], v[41:42], s[28:29]
	s_mov_b32 s28, 0x7c89e6b0
	;; [unrolled: 3-line block ×9, first 2 shown]
	s_mov_b32 s29, 0x40900000
	v_cmp_nlt_f64_e64 s[28:29], s[28:29], v[23:24]
	v_fma_f64 v[41:42], v[39:40], v[41:42], 1.0
	v_fma_f64 v[39:40], v[39:40], v[41:42], 1.0
	v_ldexp_f64 v[37:38], v[39:40], v37
	v_cndmask_b32_e64 v38, v66, v38, s[28:29]
	s_and_b64 s[28:29], s[34:35], s[28:29]
	v_cndmask_b32_e64 v24, 0, v38, s[34:35]
	v_cndmask_b32_e64 v23, 0, v37, s[28:29]
	v_add_f64 v[37:38], v[23:24], 1.0
	s_mov_b32 s35, 0x3fe55555
	s_mov_b32 s34, 0x55555555
	v_frexp_mant_f64_e32 v[41:42], v[37:38]
	v_frexp_exp_i32_f64_e32 v51, v[37:38]
	v_add_f64 v[39:40], v[37:38], -1.0
	v_cmp_gt_f64_e64 s[28:29], s[34:35], v[41:42]
	s_mov_b32 s34, 0x55555780
	v_add_f64 v[49:50], v[39:40], -v[37:38]
	v_add_f64 v[39:40], v[23:24], -v[39:40]
	v_subbrev_co_u32_e64 v67, s[28:29], 0, v51, s[28:29]
	v_sub_u32_e32 v51, 0, v67
	v_ldexp_f64 v[37:38], v[37:38], v51
	v_add_f64 v[41:42], v[49:50], 1.0
	s_mov_b32 s28, 0xbf559e2b
	s_mov_b32 s29, 0x3fc3ab76
	v_add_f64 v[49:50], v[37:38], 1.0
	v_add_f64 v[39:40], v[39:40], v[41:42]
	v_add_f64 v[55:56], v[37:38], -1.0
	v_add_f64 v[41:42], v[49:50], -1.0
	v_ldexp_f64 v[39:40], v[39:40], v51
	v_add_f64 v[58:59], v[55:56], 1.0
	v_add_f64 v[41:42], v[37:38], -v[41:42]
	v_add_f64 v[37:38], v[37:38], -v[58:59]
	v_add_f64 v[41:42], v[39:40], v[41:42]
	v_add_f64 v[37:38], v[39:40], v[37:38]
	;; [unrolled: 1-line block ×4, first 2 shown]
	v_rcp_f64_e32 v[53:54], v[51:52]
	v_add_f64 v[49:50], v[51:52], -v[49:50]
	v_add_f64 v[55:56], v[58:59], -v[55:56]
	;; [unrolled: 1-line block ×4, first 2 shown]
	v_fma_f64 v[60:61], -v[51:52], v[53:54], 1.0
	v_fma_f64 v[53:54], v[60:61], v[53:54], v[53:54]
	v_fma_f64 v[39:40], -v[51:52], v[53:54], 1.0
	v_fma_f64 v[39:40], v[39:40], v[53:54], v[53:54]
	v_mul_f64 v[53:54], v[58:59], v[39:40]
	v_mul_f64 v[60:61], v[51:52], v[53:54]
	v_fma_f64 v[49:50], v[53:54], v[51:52], -v[60:61]
	v_fma_f64 v[49:50], v[53:54], v[41:42], v[49:50]
	v_add_f64 v[62:63], v[60:61], v[49:50]
	v_add_f64 v[64:65], v[58:59], -v[62:63]
	v_add_f64 v[55:56], v[62:63], -v[60:61]
	;; [unrolled: 1-line block ×5, first 2 shown]
	v_add_f64 v[37:38], v[37:38], v[58:59]
	v_add_f64 v[37:38], v[49:50], v[37:38]
	;; [unrolled: 1-line block ×3, first 2 shown]
	v_mul_f64 v[55:56], v[39:40], v[49:50]
	v_add_f64 v[62:63], v[64:65], -v[49:50]
	v_mul_f64 v[58:59], v[51:52], v[55:56]
	v_add_f64 v[37:38], v[37:38], v[62:63]
	v_fma_f64 v[51:52], v[55:56], v[51:52], -v[58:59]
	v_fma_f64 v[41:42], v[55:56], v[41:42], v[51:52]
	v_add_f64 v[51:52], v[58:59], v[41:42]
	v_add_f64 v[60:61], v[49:50], -v[51:52]
	v_add_f64 v[58:59], v[51:52], -v[58:59]
	;; [unrolled: 1-line block ×5, first 2 shown]
	v_mov_b32_e32 v51, 0x6b47b09a
	v_mov_b32_e32 v52, 0x3fc38538
	v_add_f64 v[37:38], v[37:38], v[49:50]
	v_add_f64 v[49:50], v[53:54], v[55:56]
	;; [unrolled: 1-line block ×3, first 2 shown]
	v_add_f64 v[41:42], v[49:50], -v[53:54]
	v_add_f64 v[37:38], v[60:61], v[37:38]
	v_add_f64 v[41:42], v[55:56], -v[41:42]
	v_mul_f64 v[37:38], v[39:40], v[37:38]
	v_add_f64 v[37:38], v[41:42], v[37:38]
	v_add_f64 v[39:40], v[49:50], v[37:38]
	v_mul_f64 v[41:42], v[39:40], v[39:40]
	v_fma_f64 v[51:52], v[41:42], s[28:29], v[51:52]
	s_mov_b32 s28, 0xd7f4df2e
	s_mov_b32 s29, 0x3fc7474d
	v_mul_f64 v[53:54], v[39:40], v[41:42]
	v_fma_f64 v[51:52], v[41:42], v[51:52], s[28:29]
	s_mov_b32 s28, 0x16291751
	s_mov_b32 s29, 0x3fcc71c0
	v_fma_f64 v[51:52], v[41:42], v[51:52], s[28:29]
	s_mov_b32 s28, 0x9b27acf1
	s_mov_b32 s29, 0x3fd24924
	v_fma_f64 v[51:52], v[41:42], v[51:52], s[28:29]
	s_mov_b32 s28, 0x998ef7b6
	s_mov_b32 s29, 0x3fd99999
	v_fma_f64 v[51:52], v[41:42], v[51:52], s[28:29]
	v_cmp_nge_f64_e64 s[28:29], -1.0, v[23:24]
	v_fma_f64 v[41:42], v[41:42], v[51:52], s[34:35]
	v_ldexp_f64 v[51:52], v[39:40], 1
	v_add_f64 v[39:40], v[39:40], -v[49:50]
	s_mov_b32 s34, 0
	s_mov_b32 s35, 0x7ff00000
	v_cmp_neq_f64_e64 s[34:35], s[34:35], v[23:24]
	v_mul_f64 v[41:42], v[53:54], v[41:42]
	v_cvt_f64_i32_e32 v[53:54], v67
	v_add_f64 v[37:38], v[37:38], -v[39:40]
	v_mul_f64 v[55:56], v[53:54], s[42:43]
	s_and_b64 s[28:29], s[28:29], s[34:35]
	v_add_f64 v[49:50], v[51:52], v[41:42]
	v_ldexp_f64 v[37:38], v[37:38], 1
	v_add_f64 v[39:40], v[49:50], -v[51:52]
	v_fma_f64 v[51:52], v[53:54], s[42:43], -v[55:56]
	v_add_f64 v[39:40], v[41:42], -v[39:40]
	v_fma_f64 v[41:42], v[53:54], s[44:45], v[51:52]
	v_add_f64 v[37:38], v[37:38], v[39:40]
	v_add_f64 v[39:40], v[55:56], v[41:42]
	;; [unrolled: 1-line block ×3, first 2 shown]
	v_add_f64 v[55:56], v[39:40], -v[55:56]
	v_add_f64 v[53:54], v[39:40], v[51:52]
	v_add_f64 v[49:50], v[51:52], -v[49:50]
	v_add_f64 v[41:42], v[41:42], -v[55:56]
	;; [unrolled: 1-line block ×6, first 2 shown]
	v_add_f64 v[51:52], v[41:42], v[37:38]
	v_add_f64 v[39:40], v[39:40], -v[60:61]
	v_add_f64 v[39:40], v[49:50], v[39:40]
	v_add_f64 v[49:50], v[51:52], -v[41:42]
	;; [unrolled: 2-line block ×3, first 2 shown]
	v_add_f64 v[37:38], v[37:38], -v[49:50]
	v_add_f64 v[55:56], v[53:54], v[39:40]
	v_add_f64 v[41:42], v[41:42], -v[51:52]
	v_add_f64 v[49:50], v[55:56], -v[53:54]
	v_add_f64 v[37:38], v[37:38], v[41:42]
	v_add_f64 v[39:40], v[39:40], -v[49:50]
	v_add_f64 v[37:38], v[37:38], v[39:40]
	v_mov_b32_e32 v39, 0x7ff80000
	v_mov_b32_e32 v40, 0xfff00000
	v_add_f64 v[37:38], v[55:56], v[37:38]
	v_cndmask_b32_e64 v37, 0, v37, s[28:29]
	v_cmp_ngt_f64_e64 s[28:29], -1.0, v[23:24]
	v_cndmask_b32_e64 v38, v66, v38, s[34:35]
	v_cndmask_b32_e64 v38, v39, v38, s[28:29]
	v_cmp_neq_f64_e64 s[28:29], -1.0, v[23:24]
	v_cndmask_b32_e64 v38, v40, v38, s[28:29]
	v_add_f64 v[49:50], v[21:22], v[37:38]
.LBB60_32:
	s_or_b64 exec, exec, s[36:37]
	v_max_f64 v[37:38], v[11:12], v[11:12]
	v_max_f64 v[21:22], v[49:50], v[49:50]
	v_cmp_u_f64_e64 s[34:35], v[49:50], v[49:50]
	v_cmp_u_f64_e64 s[28:29], v[11:12], v[11:12]
	v_min_f64 v[23:24], v[21:22], v[37:38]
	v_max_f64 v[21:22], v[21:22], v[37:38]
	v_cndmask_b32_e64 v23, v23, v49, s[34:35]
	v_cndmask_b32_e64 v24, v24, v50, s[34:35]
	;; [unrolled: 1-line block ×8, first 2 shown]
	v_cmp_neq_f64_e64 s[34:35], v[23:24], v[21:22]
	v_cmp_class_f64_e64 s[36:37], v[23:24], s33
	s_or_b64 s[34:35], s[34:35], s[36:37]
	s_and_saveexec_b64 s[42:43], s[34:35]
	s_cbranch_execz .LBB60_34
; %bb.33:
	v_add_f64 v[23:24], v[23:24], -v[21:22]
	s_mov_b32 s34, 0x652b82fe
	s_mov_b32 s35, 0x3ff71547
	;; [unrolled: 1-line block ×6, first 2 shown]
	v_mov_b32_e32 v49, 0xfca7ab0c
	v_mul_f64 v[39:40], v[23:24], s[34:35]
	s_mov_b32 s34, 0x6a5dcb37
	v_mov_b32_e32 v50, 0x3e928af3
	s_mov_b32 s35, 0x3e5ade15
	s_mov_b32 s36, 0
	s_mov_b32 s37, 0xc090cc00
	v_cmp_ngt_f64_e64 s[36:37], s[36:37], v[23:24]
	v_mov_b32_e32 v68, 0x7ff00000
	v_rndne_f64_e32 v[39:40], v[39:40]
	v_fma_f64 v[41:42], v[39:40], s[44:45], v[23:24]
	s_mov_b32 s45, 0x3fe62e42
	v_fma_f64 v[41:42], v[39:40], s[46:47], v[41:42]
	v_cvt_i32_f64_e32 v39, v[39:40]
	s_mov_b32 s47, 0x3c7abc9e
	v_fma_f64 v[49:50], v[41:42], s[34:35], v[49:50]
	s_mov_b32 s34, 0x623fde64
	s_mov_b32 s35, 0x3ec71dee
	v_fma_f64 v[49:50], v[41:42], v[49:50], s[34:35]
	s_mov_b32 s34, 0x7c89e6b0
	;; [unrolled: 3-line block ×9, first 2 shown]
	s_mov_b32 s35, 0x40900000
	v_cmp_nlt_f64_e64 s[34:35], s[34:35], v[23:24]
	v_fma_f64 v[49:50], v[41:42], v[49:50], 1.0
	v_fma_f64 v[41:42], v[41:42], v[49:50], 1.0
	v_ldexp_f64 v[39:40], v[41:42], v39
	v_cndmask_b32_e64 v40, v68, v40, s[34:35]
	s_and_b64 s[34:35], s[36:37], s[34:35]
	v_cndmask_b32_e64 v24, 0, v40, s[36:37]
	v_cndmask_b32_e64 v23, 0, v39, s[34:35]
	v_add_f64 v[39:40], v[23:24], 1.0
	s_mov_b32 s37, 0x3fe55555
	s_mov_b32 s36, 0x55555555
	v_frexp_mant_f64_e32 v[49:50], v[39:40]
	v_frexp_exp_i32_f64_e32 v53, v[39:40]
	v_add_f64 v[41:42], v[39:40], -1.0
	v_cmp_gt_f64_e64 s[34:35], s[36:37], v[49:50]
	s_mov_b32 s36, 0x55555780
	v_add_f64 v[51:52], v[41:42], -v[39:40]
	v_add_f64 v[41:42], v[23:24], -v[41:42]
	v_subbrev_co_u32_e64 v69, s[34:35], 0, v53, s[34:35]
	v_sub_u32_e32 v53, 0, v69
	v_ldexp_f64 v[39:40], v[39:40], v53
	v_add_f64 v[49:50], v[51:52], 1.0
	s_mov_b32 s34, 0xbf559e2b
	s_mov_b32 s35, 0x3fc3ab76
	v_add_f64 v[51:52], v[39:40], 1.0
	v_add_f64 v[41:42], v[41:42], v[49:50]
	v_add_f64 v[58:59], v[39:40], -1.0
	v_add_f64 v[49:50], v[51:52], -1.0
	v_ldexp_f64 v[41:42], v[41:42], v53
	v_add_f64 v[60:61], v[58:59], 1.0
	v_add_f64 v[49:50], v[39:40], -v[49:50]
	v_add_f64 v[39:40], v[39:40], -v[60:61]
	v_add_f64 v[49:50], v[41:42], v[49:50]
	v_add_f64 v[39:40], v[41:42], v[39:40]
	;; [unrolled: 1-line block ×4, first 2 shown]
	v_rcp_f64_e32 v[55:56], v[53:54]
	v_add_f64 v[51:52], v[53:54], -v[51:52]
	v_add_f64 v[58:59], v[60:61], -v[58:59]
	;; [unrolled: 1-line block ×4, first 2 shown]
	v_fma_f64 v[62:63], -v[53:54], v[55:56], 1.0
	v_fma_f64 v[55:56], v[62:63], v[55:56], v[55:56]
	v_fma_f64 v[41:42], -v[53:54], v[55:56], 1.0
	v_fma_f64 v[41:42], v[41:42], v[55:56], v[55:56]
	v_mul_f64 v[55:56], v[60:61], v[41:42]
	v_mul_f64 v[62:63], v[53:54], v[55:56]
	v_fma_f64 v[51:52], v[55:56], v[53:54], -v[62:63]
	v_fma_f64 v[51:52], v[55:56], v[49:50], v[51:52]
	v_add_f64 v[64:65], v[62:63], v[51:52]
	v_add_f64 v[66:67], v[60:61], -v[64:65]
	v_add_f64 v[58:59], v[64:65], -v[62:63]
	;; [unrolled: 1-line block ×5, first 2 shown]
	v_add_f64 v[39:40], v[39:40], v[60:61]
	v_add_f64 v[39:40], v[51:52], v[39:40]
	;; [unrolled: 1-line block ×3, first 2 shown]
	v_mul_f64 v[58:59], v[41:42], v[51:52]
	v_add_f64 v[64:65], v[66:67], -v[51:52]
	v_mul_f64 v[60:61], v[53:54], v[58:59]
	v_add_f64 v[39:40], v[39:40], v[64:65]
	v_fma_f64 v[53:54], v[58:59], v[53:54], -v[60:61]
	v_fma_f64 v[49:50], v[58:59], v[49:50], v[53:54]
	v_add_f64 v[53:54], v[60:61], v[49:50]
	v_add_f64 v[62:63], v[51:52], -v[53:54]
	v_add_f64 v[60:61], v[53:54], -v[60:61]
	;; [unrolled: 1-line block ×5, first 2 shown]
	v_mov_b32_e32 v53, 0x6b47b09a
	v_mov_b32_e32 v54, 0x3fc38538
	v_add_f64 v[39:40], v[39:40], v[51:52]
	v_add_f64 v[51:52], v[55:56], v[58:59]
	;; [unrolled: 1-line block ×3, first 2 shown]
	v_add_f64 v[49:50], v[51:52], -v[55:56]
	v_add_f64 v[39:40], v[62:63], v[39:40]
	v_add_f64 v[49:50], v[58:59], -v[49:50]
	v_mul_f64 v[39:40], v[41:42], v[39:40]
	v_add_f64 v[39:40], v[49:50], v[39:40]
	v_add_f64 v[41:42], v[51:52], v[39:40]
	v_mul_f64 v[49:50], v[41:42], v[41:42]
	v_fma_f64 v[53:54], v[49:50], s[34:35], v[53:54]
	s_mov_b32 s34, 0xd7f4df2e
	s_mov_b32 s35, 0x3fc7474d
	v_mul_f64 v[55:56], v[41:42], v[49:50]
	v_fma_f64 v[53:54], v[49:50], v[53:54], s[34:35]
	s_mov_b32 s34, 0x16291751
	s_mov_b32 s35, 0x3fcc71c0
	v_fma_f64 v[53:54], v[49:50], v[53:54], s[34:35]
	s_mov_b32 s34, 0x9b27acf1
	s_mov_b32 s35, 0x3fd24924
	;; [unrolled: 3-line block ×3, first 2 shown]
	v_fma_f64 v[53:54], v[49:50], v[53:54], s[34:35]
	v_cmp_nge_f64_e64 s[34:35], -1.0, v[23:24]
	v_fma_f64 v[49:50], v[49:50], v[53:54], s[36:37]
	v_ldexp_f64 v[53:54], v[41:42], 1
	v_add_f64 v[41:42], v[41:42], -v[51:52]
	s_mov_b32 s36, 0
	s_mov_b32 s37, 0x7ff00000
	v_cmp_neq_f64_e64 s[36:37], s[36:37], v[23:24]
	v_mul_f64 v[49:50], v[55:56], v[49:50]
	v_cvt_f64_i32_e32 v[55:56], v69
	v_add_f64 v[39:40], v[39:40], -v[41:42]
	v_mul_f64 v[58:59], v[55:56], s[44:45]
	s_and_b64 s[34:35], s[34:35], s[36:37]
	v_add_f64 v[51:52], v[53:54], v[49:50]
	v_ldexp_f64 v[39:40], v[39:40], 1
	v_add_f64 v[41:42], v[51:52], -v[53:54]
	v_fma_f64 v[53:54], v[55:56], s[44:45], -v[58:59]
	v_add_f64 v[41:42], v[49:50], -v[41:42]
	v_fma_f64 v[49:50], v[55:56], s[46:47], v[53:54]
	v_add_f64 v[39:40], v[39:40], v[41:42]
	v_add_f64 v[41:42], v[58:59], v[49:50]
	;; [unrolled: 1-line block ×3, first 2 shown]
	v_add_f64 v[58:59], v[41:42], -v[58:59]
	v_add_f64 v[55:56], v[41:42], v[53:54]
	v_add_f64 v[51:52], v[53:54], -v[51:52]
	v_add_f64 v[49:50], v[49:50], -v[58:59]
	;; [unrolled: 1-line block ×6, first 2 shown]
	v_add_f64 v[53:54], v[49:50], v[39:40]
	v_add_f64 v[41:42], v[41:42], -v[62:63]
	v_add_f64 v[41:42], v[51:52], v[41:42]
	v_add_f64 v[51:52], v[53:54], -v[49:50]
	;; [unrolled: 2-line block ×3, first 2 shown]
	v_add_f64 v[39:40], v[39:40], -v[51:52]
	v_add_f64 v[58:59], v[55:56], v[41:42]
	v_add_f64 v[49:50], v[49:50], -v[53:54]
	v_add_f64 v[51:52], v[58:59], -v[55:56]
	v_add_f64 v[39:40], v[39:40], v[49:50]
	v_add_f64 v[41:42], v[41:42], -v[51:52]
	v_add_f64 v[39:40], v[39:40], v[41:42]
	v_mov_b32_e32 v41, 0x7ff80000
	v_mov_b32_e32 v42, 0xfff00000
	v_add_f64 v[39:40], v[58:59], v[39:40]
	v_cndmask_b32_e64 v39, 0, v39, s[34:35]
	v_cmp_ngt_f64_e64 s[34:35], -1.0, v[23:24]
	v_cndmask_b32_e64 v40, v68, v40, s[36:37]
	v_cndmask_b32_e64 v40, v41, v40, s[34:35]
	v_cmp_neq_f64_e64 s[34:35], -1.0, v[23:24]
	v_cndmask_b32_e64 v40, v42, v40, s[34:35]
	v_add_f64 v[49:50], v[21:22], v[39:40]
.LBB60_34:
	s_or_b64 exec, exec, s[42:43]
	v_max_f64 v[39:40], v[5:6], v[5:6]
	v_max_f64 v[21:22], v[49:50], v[49:50]
	v_cmp_u_f64_e64 s[34:35], v[49:50], v[49:50]
	v_cmp_u_f64_e64 s[36:37], v[5:6], v[5:6]
	v_min_f64 v[23:24], v[21:22], v[39:40]
	v_max_f64 v[21:22], v[21:22], v[39:40]
	v_cndmask_b32_e64 v23, v23, v49, s[34:35]
	v_cndmask_b32_e64 v24, v24, v50, s[34:35]
	;; [unrolled: 1-line block ×8, first 2 shown]
	v_cmp_neq_f64_e64 s[34:35], v[23:24], v[21:22]
	v_cmp_class_f64_e64 s[42:43], v[23:24], s33
	s_or_b64 s[34:35], s[34:35], s[42:43]
	s_and_saveexec_b64 s[44:45], s[34:35]
	s_cbranch_execz .LBB60_36
; %bb.35:
	v_add_f64 v[23:24], v[23:24], -v[21:22]
	s_mov_b32 s34, 0x652b82fe
	s_mov_b32 s35, 0x3ff71547
	;; [unrolled: 1-line block ×6, first 2 shown]
	v_mov_b32_e32 v51, 0xfca7ab0c
	v_mul_f64 v[41:42], v[23:24], s[34:35]
	s_mov_b32 s34, 0x6a5dcb37
	v_mov_b32_e32 v52, 0x3e928af3
	s_mov_b32 s35, 0x3e5ade15
	s_mov_b32 s42, 0
	;; [unrolled: 1-line block ×3, first 2 shown]
	v_cmp_ngt_f64_e64 s[42:43], s[42:43], v[23:24]
	v_mov_b32_e32 v70, 0x7ff00000
	v_rndne_f64_e32 v[41:42], v[41:42]
	v_fma_f64 v[49:50], v[41:42], s[46:47], v[23:24]
	s_mov_b32 s47, 0x3fe62e42
	v_fma_f64 v[49:50], v[41:42], s[48:49], v[49:50]
	v_cvt_i32_f64_e32 v41, v[41:42]
	s_mov_b32 s49, 0x3c7abc9e
	v_fma_f64 v[51:52], v[49:50], s[34:35], v[51:52]
	s_mov_b32 s34, 0x623fde64
	s_mov_b32 s35, 0x3ec71dee
	v_fma_f64 v[51:52], v[49:50], v[51:52], s[34:35]
	s_mov_b32 s34, 0x7c89e6b0
	;; [unrolled: 3-line block ×9, first 2 shown]
	s_mov_b32 s35, 0x40900000
	v_cmp_nlt_f64_e64 s[34:35], s[34:35], v[23:24]
	v_fma_f64 v[51:52], v[49:50], v[51:52], 1.0
	v_fma_f64 v[49:50], v[49:50], v[51:52], 1.0
	v_ldexp_f64 v[41:42], v[49:50], v41
	v_cndmask_b32_e64 v42, v70, v42, s[34:35]
	s_and_b64 s[34:35], s[42:43], s[34:35]
	v_cndmask_b32_e64 v24, 0, v42, s[42:43]
	v_cndmask_b32_e64 v23, 0, v41, s[34:35]
	v_add_f64 v[41:42], v[23:24], 1.0
	s_mov_b32 s43, 0x3fe55555
	s_mov_b32 s42, 0x55555555
	v_frexp_mant_f64_e32 v[51:52], v[41:42]
	v_frexp_exp_i32_f64_e32 v55, v[41:42]
	v_add_f64 v[49:50], v[41:42], -1.0
	v_cmp_gt_f64_e64 s[34:35], s[42:43], v[51:52]
	s_mov_b32 s42, 0x55555780
	v_add_f64 v[53:54], v[49:50], -v[41:42]
	v_add_f64 v[49:50], v[23:24], -v[49:50]
	v_subbrev_co_u32_e64 v71, s[34:35], 0, v55, s[34:35]
	v_sub_u32_e32 v55, 0, v71
	v_ldexp_f64 v[41:42], v[41:42], v55
	v_add_f64 v[51:52], v[53:54], 1.0
	s_mov_b32 s34, 0xbf559e2b
	s_mov_b32 s35, 0x3fc3ab76
	v_add_f64 v[53:54], v[41:42], 1.0
	v_add_f64 v[49:50], v[49:50], v[51:52]
	v_add_f64 v[60:61], v[41:42], -1.0
	v_add_f64 v[51:52], v[53:54], -1.0
	v_ldexp_f64 v[49:50], v[49:50], v55
	v_add_f64 v[62:63], v[60:61], 1.0
	v_add_f64 v[51:52], v[41:42], -v[51:52]
	v_add_f64 v[41:42], v[41:42], -v[62:63]
	v_add_f64 v[51:52], v[49:50], v[51:52]
	v_add_f64 v[41:42], v[49:50], v[41:42]
	;; [unrolled: 1-line block ×4, first 2 shown]
	v_rcp_f64_e32 v[58:59], v[55:56]
	v_add_f64 v[53:54], v[55:56], -v[53:54]
	v_add_f64 v[60:61], v[62:63], -v[60:61]
	;; [unrolled: 1-line block ×4, first 2 shown]
	v_fma_f64 v[64:65], -v[55:56], v[58:59], 1.0
	v_fma_f64 v[58:59], v[64:65], v[58:59], v[58:59]
	v_fma_f64 v[49:50], -v[55:56], v[58:59], 1.0
	v_fma_f64 v[49:50], v[49:50], v[58:59], v[58:59]
	v_mul_f64 v[58:59], v[62:63], v[49:50]
	v_mul_f64 v[64:65], v[55:56], v[58:59]
	v_fma_f64 v[53:54], v[58:59], v[55:56], -v[64:65]
	v_fma_f64 v[53:54], v[58:59], v[51:52], v[53:54]
	v_add_f64 v[66:67], v[64:65], v[53:54]
	v_add_f64 v[68:69], v[62:63], -v[66:67]
	v_add_f64 v[60:61], v[66:67], -v[64:65]
	;; [unrolled: 1-line block ×5, first 2 shown]
	v_add_f64 v[41:42], v[41:42], v[62:63]
	v_add_f64 v[41:42], v[53:54], v[41:42]
	;; [unrolled: 1-line block ×3, first 2 shown]
	v_mul_f64 v[60:61], v[49:50], v[53:54]
	v_add_f64 v[66:67], v[68:69], -v[53:54]
	v_mul_f64 v[62:63], v[55:56], v[60:61]
	v_add_f64 v[41:42], v[41:42], v[66:67]
	v_fma_f64 v[55:56], v[60:61], v[55:56], -v[62:63]
	v_fma_f64 v[51:52], v[60:61], v[51:52], v[55:56]
	v_add_f64 v[55:56], v[62:63], v[51:52]
	v_add_f64 v[64:65], v[53:54], -v[55:56]
	v_add_f64 v[62:63], v[55:56], -v[62:63]
	;; [unrolled: 1-line block ×5, first 2 shown]
	v_mov_b32_e32 v55, 0x6b47b09a
	v_mov_b32_e32 v56, 0x3fc38538
	v_add_f64 v[41:42], v[41:42], v[53:54]
	v_add_f64 v[53:54], v[58:59], v[60:61]
	;; [unrolled: 1-line block ×3, first 2 shown]
	v_add_f64 v[51:52], v[53:54], -v[58:59]
	v_add_f64 v[41:42], v[64:65], v[41:42]
	v_add_f64 v[51:52], v[60:61], -v[51:52]
	v_mul_f64 v[41:42], v[49:50], v[41:42]
	v_add_f64 v[41:42], v[51:52], v[41:42]
	v_add_f64 v[49:50], v[53:54], v[41:42]
	v_mul_f64 v[51:52], v[49:50], v[49:50]
	v_fma_f64 v[55:56], v[51:52], s[34:35], v[55:56]
	s_mov_b32 s34, 0xd7f4df2e
	s_mov_b32 s35, 0x3fc7474d
	v_mul_f64 v[58:59], v[49:50], v[51:52]
	v_fma_f64 v[55:56], v[51:52], v[55:56], s[34:35]
	s_mov_b32 s34, 0x16291751
	s_mov_b32 s35, 0x3fcc71c0
	v_fma_f64 v[55:56], v[51:52], v[55:56], s[34:35]
	s_mov_b32 s34, 0x9b27acf1
	s_mov_b32 s35, 0x3fd24924
	;; [unrolled: 3-line block ×3, first 2 shown]
	v_fma_f64 v[55:56], v[51:52], v[55:56], s[34:35]
	v_cmp_nge_f64_e64 s[34:35], -1.0, v[23:24]
	v_fma_f64 v[51:52], v[51:52], v[55:56], s[42:43]
	v_ldexp_f64 v[55:56], v[49:50], 1
	v_add_f64 v[49:50], v[49:50], -v[53:54]
	s_mov_b32 s42, 0
	s_mov_b32 s43, 0x7ff00000
	v_cmp_neq_f64_e64 s[42:43], s[42:43], v[23:24]
	v_mul_f64 v[51:52], v[58:59], v[51:52]
	v_cvt_f64_i32_e32 v[58:59], v71
	v_add_f64 v[41:42], v[41:42], -v[49:50]
	v_mul_f64 v[60:61], v[58:59], s[46:47]
	s_and_b64 s[34:35], s[34:35], s[42:43]
	v_add_f64 v[53:54], v[55:56], v[51:52]
	v_ldexp_f64 v[41:42], v[41:42], 1
	v_add_f64 v[49:50], v[53:54], -v[55:56]
	v_fma_f64 v[55:56], v[58:59], s[46:47], -v[60:61]
	v_add_f64 v[49:50], v[51:52], -v[49:50]
	v_fma_f64 v[51:52], v[58:59], s[48:49], v[55:56]
	v_add_f64 v[41:42], v[41:42], v[49:50]
	v_add_f64 v[49:50], v[60:61], v[51:52]
	;; [unrolled: 1-line block ×3, first 2 shown]
	v_add_f64 v[60:61], v[49:50], -v[60:61]
	v_add_f64 v[58:59], v[49:50], v[55:56]
	v_add_f64 v[53:54], v[55:56], -v[53:54]
	v_add_f64 v[51:52], v[51:52], -v[60:61]
	;; [unrolled: 1-line block ×6, first 2 shown]
	v_add_f64 v[55:56], v[51:52], v[41:42]
	v_add_f64 v[49:50], v[49:50], -v[64:65]
	v_add_f64 v[49:50], v[53:54], v[49:50]
	v_add_f64 v[53:54], v[55:56], -v[51:52]
	;; [unrolled: 2-line block ×3, first 2 shown]
	v_add_f64 v[41:42], v[41:42], -v[53:54]
	v_add_f64 v[60:61], v[58:59], v[49:50]
	v_add_f64 v[51:52], v[51:52], -v[55:56]
	v_add_f64 v[53:54], v[60:61], -v[58:59]
	v_add_f64 v[41:42], v[41:42], v[51:52]
	v_add_f64 v[49:50], v[49:50], -v[53:54]
	v_add_f64 v[41:42], v[41:42], v[49:50]
	v_mov_b32_e32 v49, 0x7ff80000
	v_mov_b32_e32 v50, 0xfff00000
	v_add_f64 v[41:42], v[60:61], v[41:42]
	v_cndmask_b32_e64 v41, 0, v41, s[34:35]
	v_cmp_ngt_f64_e64 s[34:35], -1.0, v[23:24]
	v_cndmask_b32_e64 v42, v70, v42, s[42:43]
	v_cndmask_b32_e64 v42, v49, v42, s[34:35]
	v_cmp_neq_f64_e64 s[34:35], -1.0, v[23:24]
	v_cndmask_b32_e64 v42, v50, v42, s[34:35]
	v_add_f64 v[49:50], v[21:22], v[41:42]
.LBB60_36:
	s_or_b64 exec, exec, s[44:45]
	v_max_f64 v[41:42], v[7:8], v[7:8]
	v_max_f64 v[21:22], v[49:50], v[49:50]
	v_cmp_u_f64_e64 s[42:43], v[49:50], v[49:50]
	v_cmp_u_f64_e64 s[34:35], v[7:8], v[7:8]
	v_min_f64 v[23:24], v[21:22], v[41:42]
	v_max_f64 v[21:22], v[21:22], v[41:42]
	v_cndmask_b32_e64 v23, v23, v49, s[42:43]
	v_cndmask_b32_e64 v24, v24, v50, s[42:43]
	;; [unrolled: 1-line block ×8, first 2 shown]
	v_cmp_neq_f64_e64 s[42:43], v[23:24], v[21:22]
	v_cmp_class_f64_e64 s[44:45], v[23:24], s33
	s_or_b64 s[42:43], s[42:43], s[44:45]
	s_and_saveexec_b64 s[46:47], s[42:43]
	s_cbranch_execz .LBB60_38
; %bb.37:
	v_add_f64 v[23:24], v[23:24], -v[21:22]
	s_mov_b32 s42, 0x652b82fe
	s_mov_b32 s43, 0x3ff71547
	;; [unrolled: 1-line block ×6, first 2 shown]
	v_mov_b32_e32 v53, 0xfca7ab0c
	v_mul_f64 v[49:50], v[23:24], s[42:43]
	s_mov_b32 s42, 0x6a5dcb37
	v_mov_b32_e32 v54, 0x3e928af3
	s_mov_b32 s43, 0x3e5ade15
	s_mov_b32 s44, 0
	s_mov_b32 s45, 0xc090cc00
	v_cmp_ngt_f64_e64 s[44:45], s[44:45], v[23:24]
	v_mov_b32_e32 v72, 0x7ff00000
	v_rndne_f64_e32 v[49:50], v[49:50]
	v_fma_f64 v[51:52], v[49:50], s[48:49], v[23:24]
	s_mov_b32 s49, 0x3fe62e42
	v_fma_f64 v[51:52], v[49:50], s[50:51], v[51:52]
	v_cvt_i32_f64_e32 v49, v[49:50]
	s_mov_b32 s51, 0x3c7abc9e
	v_fma_f64 v[53:54], v[51:52], s[42:43], v[53:54]
	s_mov_b32 s42, 0x623fde64
	s_mov_b32 s43, 0x3ec71dee
	v_fma_f64 v[53:54], v[51:52], v[53:54], s[42:43]
	s_mov_b32 s42, 0x7c89e6b0
	;; [unrolled: 3-line block ×9, first 2 shown]
	s_mov_b32 s43, 0x40900000
	v_cmp_nlt_f64_e64 s[42:43], s[42:43], v[23:24]
	v_fma_f64 v[53:54], v[51:52], v[53:54], 1.0
	v_fma_f64 v[51:52], v[51:52], v[53:54], 1.0
	v_ldexp_f64 v[49:50], v[51:52], v49
	v_cndmask_b32_e64 v50, v72, v50, s[42:43]
	s_and_b64 s[42:43], s[44:45], s[42:43]
	v_cndmask_b32_e64 v24, 0, v50, s[44:45]
	v_cndmask_b32_e64 v23, 0, v49, s[42:43]
	v_add_f64 v[49:50], v[23:24], 1.0
	s_mov_b32 s45, 0x3fe55555
	s_mov_b32 s44, 0x55555555
	v_frexp_mant_f64_e32 v[53:54], v[49:50]
	v_frexp_exp_i32_f64_e32 v58, v[49:50]
	v_add_f64 v[51:52], v[49:50], -1.0
	v_cmp_gt_f64_e64 s[42:43], s[44:45], v[53:54]
	s_mov_b32 s44, 0x55555780
	v_add_f64 v[55:56], v[51:52], -v[49:50]
	v_add_f64 v[51:52], v[23:24], -v[51:52]
	v_subbrev_co_u32_e64 v73, s[42:43], 0, v58, s[42:43]
	v_sub_u32_e32 v58, 0, v73
	v_ldexp_f64 v[49:50], v[49:50], v58
	v_add_f64 v[53:54], v[55:56], 1.0
	s_mov_b32 s42, 0xbf559e2b
	s_mov_b32 s43, 0x3fc3ab76
	v_add_f64 v[55:56], v[49:50], 1.0
	v_add_f64 v[51:52], v[51:52], v[53:54]
	v_add_f64 v[62:63], v[49:50], -1.0
	v_add_f64 v[53:54], v[55:56], -1.0
	v_ldexp_f64 v[51:52], v[51:52], v58
	v_add_f64 v[64:65], v[62:63], 1.0
	v_add_f64 v[53:54], v[49:50], -v[53:54]
	v_add_f64 v[49:50], v[49:50], -v[64:65]
	v_add_f64 v[53:54], v[51:52], v[53:54]
	v_add_f64 v[49:50], v[51:52], v[49:50]
	;; [unrolled: 1-line block ×4, first 2 shown]
	v_rcp_f64_e32 v[60:61], v[58:59]
	v_add_f64 v[55:56], v[58:59], -v[55:56]
	v_add_f64 v[62:63], v[64:65], -v[62:63]
	v_add_f64 v[53:54], v[53:54], -v[55:56]
	v_add_f64 v[49:50], v[49:50], -v[62:63]
	v_fma_f64 v[66:67], -v[58:59], v[60:61], 1.0
	v_fma_f64 v[60:61], v[66:67], v[60:61], v[60:61]
	v_fma_f64 v[51:52], -v[58:59], v[60:61], 1.0
	v_fma_f64 v[51:52], v[51:52], v[60:61], v[60:61]
	v_mul_f64 v[60:61], v[64:65], v[51:52]
	v_mul_f64 v[66:67], v[58:59], v[60:61]
	v_fma_f64 v[55:56], v[60:61], v[58:59], -v[66:67]
	v_fma_f64 v[55:56], v[60:61], v[53:54], v[55:56]
	v_add_f64 v[68:69], v[66:67], v[55:56]
	v_add_f64 v[70:71], v[64:65], -v[68:69]
	v_add_f64 v[62:63], v[68:69], -v[66:67]
	;; [unrolled: 1-line block ×5, first 2 shown]
	v_add_f64 v[49:50], v[49:50], v[64:65]
	v_add_f64 v[49:50], v[55:56], v[49:50]
	;; [unrolled: 1-line block ×3, first 2 shown]
	v_mul_f64 v[62:63], v[51:52], v[55:56]
	v_add_f64 v[68:69], v[70:71], -v[55:56]
	v_mul_f64 v[64:65], v[58:59], v[62:63]
	v_add_f64 v[49:50], v[49:50], v[68:69]
	v_fma_f64 v[58:59], v[62:63], v[58:59], -v[64:65]
	v_fma_f64 v[53:54], v[62:63], v[53:54], v[58:59]
	v_add_f64 v[58:59], v[64:65], v[53:54]
	v_add_f64 v[66:67], v[55:56], -v[58:59]
	v_add_f64 v[64:65], v[58:59], -v[64:65]
	;; [unrolled: 1-line block ×5, first 2 shown]
	v_mov_b32_e32 v58, 0x6b47b09a
	v_mov_b32_e32 v59, 0x3fc38538
	v_add_f64 v[49:50], v[49:50], v[55:56]
	v_add_f64 v[55:56], v[60:61], v[62:63]
	;; [unrolled: 1-line block ×3, first 2 shown]
	v_add_f64 v[53:54], v[55:56], -v[60:61]
	v_add_f64 v[49:50], v[66:67], v[49:50]
	v_add_f64 v[53:54], v[62:63], -v[53:54]
	v_mul_f64 v[49:50], v[51:52], v[49:50]
	v_add_f64 v[49:50], v[53:54], v[49:50]
	v_add_f64 v[51:52], v[55:56], v[49:50]
	v_mul_f64 v[53:54], v[51:52], v[51:52]
	v_fma_f64 v[58:59], v[53:54], s[42:43], v[58:59]
	s_mov_b32 s42, 0xd7f4df2e
	s_mov_b32 s43, 0x3fc7474d
	v_mul_f64 v[60:61], v[51:52], v[53:54]
	v_fma_f64 v[58:59], v[53:54], v[58:59], s[42:43]
	s_mov_b32 s42, 0x16291751
	s_mov_b32 s43, 0x3fcc71c0
	v_fma_f64 v[58:59], v[53:54], v[58:59], s[42:43]
	s_mov_b32 s42, 0x9b27acf1
	s_mov_b32 s43, 0x3fd24924
	;; [unrolled: 3-line block ×3, first 2 shown]
	v_fma_f64 v[58:59], v[53:54], v[58:59], s[42:43]
	v_cmp_nge_f64_e64 s[42:43], -1.0, v[23:24]
	v_fma_f64 v[53:54], v[53:54], v[58:59], s[44:45]
	v_ldexp_f64 v[58:59], v[51:52], 1
	v_add_f64 v[51:52], v[51:52], -v[55:56]
	s_mov_b32 s44, 0
	s_mov_b32 s45, 0x7ff00000
	v_cmp_neq_f64_e64 s[44:45], s[44:45], v[23:24]
	v_mul_f64 v[53:54], v[60:61], v[53:54]
	v_cvt_f64_i32_e32 v[60:61], v73
	v_add_f64 v[49:50], v[49:50], -v[51:52]
	v_mul_f64 v[62:63], v[60:61], s[48:49]
	s_and_b64 s[42:43], s[42:43], s[44:45]
	v_add_f64 v[55:56], v[58:59], v[53:54]
	v_ldexp_f64 v[49:50], v[49:50], 1
	v_add_f64 v[51:52], v[55:56], -v[58:59]
	v_fma_f64 v[58:59], v[60:61], s[48:49], -v[62:63]
	v_add_f64 v[51:52], v[53:54], -v[51:52]
	v_fma_f64 v[53:54], v[60:61], s[50:51], v[58:59]
	v_add_f64 v[49:50], v[49:50], v[51:52]
	v_add_f64 v[51:52], v[62:63], v[53:54]
	;; [unrolled: 1-line block ×3, first 2 shown]
	v_add_f64 v[62:63], v[51:52], -v[62:63]
	v_add_f64 v[60:61], v[51:52], v[58:59]
	v_add_f64 v[55:56], v[58:59], -v[55:56]
	v_add_f64 v[53:54], v[53:54], -v[62:63]
	;; [unrolled: 1-line block ×6, first 2 shown]
	v_add_f64 v[58:59], v[53:54], v[49:50]
	v_add_f64 v[51:52], v[51:52], -v[66:67]
	v_add_f64 v[51:52], v[55:56], v[51:52]
	v_add_f64 v[55:56], v[58:59], -v[53:54]
	;; [unrolled: 2-line block ×3, first 2 shown]
	v_add_f64 v[49:50], v[49:50], -v[55:56]
	v_add_f64 v[62:63], v[60:61], v[51:52]
	v_add_f64 v[53:54], v[53:54], -v[58:59]
	v_add_f64 v[55:56], v[62:63], -v[60:61]
	v_add_f64 v[49:50], v[49:50], v[53:54]
	v_add_f64 v[51:52], v[51:52], -v[55:56]
	v_add_f64 v[49:50], v[49:50], v[51:52]
	v_mov_b32_e32 v51, 0x7ff80000
	v_mov_b32_e32 v52, 0xfff00000
	v_add_f64 v[49:50], v[62:63], v[49:50]
	v_cndmask_b32_e64 v49, 0, v49, s[42:43]
	v_cmp_ngt_f64_e64 s[42:43], -1.0, v[23:24]
	v_cndmask_b32_e64 v50, v72, v50, s[44:45]
	v_cndmask_b32_e64 v50, v51, v50, s[42:43]
	v_cmp_neq_f64_e64 s[42:43], -1.0, v[23:24]
	v_cndmask_b32_e64 v50, v52, v50, s[42:43]
	v_add_f64 v[49:50], v[21:22], v[49:50]
.LBB60_38:
	s_or_b64 exec, exec, s[46:47]
	s_load_dwordx2 s[46:47], s[4:5], 0x20
	v_lshrrev_b32_e32 v21, 2, v0
	v_and_b32_e32 v21, 24, v21
	v_lshl_add_u32 v21, v0, 3, v21
	v_cmp_gt_u32_e64 s[4:5], 64, v0
	ds_write_b64 v21, v[49:50]
	s_waitcnt lgkmcnt(0)
	s_barrier
	s_and_saveexec_b64 s[48:49], s[4:5]
	s_cbranch_execz .LBB60_70
; %bb.39:
	v_lshrrev_b32_e32 v21, 1, v0
	v_and_b32_e32 v21, 56, v21
	v_lshlrev_b32_e32 v22, 4, v0
	v_add_u32_e32 v58, v21, v22
	ds_read2_b64 v[21:24], v58 offset1:1
	s_waitcnt lgkmcnt(0)
	v_max_f64 v[53:54], v[23:24], v[23:24]
	v_max_f64 v[51:52], v[21:22], v[21:22]
	v_cmp_u_f64_e64 s[4:5], v[21:22], v[21:22]
	v_cmp_u_f64_e64 s[42:43], v[23:24], v[23:24]
	v_min_f64 v[55:56], v[51:52], v[53:54]
	v_max_f64 v[53:54], v[51:52], v[53:54]
	v_cndmask_b32_e64 v55, v55, v21, s[4:5]
	v_cndmask_b32_e64 v56, v56, v22, s[4:5]
	;; [unrolled: 1-line block ×8, first 2 shown]
	v_cmp_neq_f64_e64 s[42:43], v[55:56], v[53:54]
	v_cmp_class_f64_e64 s[44:45], v[55:56], s33
	v_mov_b32_e32 v24, v22
	v_mov_b32_e32 v23, v21
	s_or_b64 s[42:43], s[42:43], s[44:45]
	s_and_saveexec_b64 s[50:51], s[42:43]
	s_cbranch_execz .LBB60_41
; %bb.40:
	v_add_f64 v[23:24], v[55:56], -v[53:54]
	s_mov_b32 s42, 0x652b82fe
	s_mov_b32 s43, 0x3ff71547
	;; [unrolled: 1-line block ×6, first 2 shown]
	v_mov_b32_e32 v61, 0xfca7ab0c
	v_mul_f64 v[55:56], v[23:24], s[42:43]
	s_mov_b32 s42, 0x6a5dcb37
	v_mov_b32_e32 v62, 0x3e928af3
	s_mov_b32 s43, 0x3e5ade15
	s_mov_b32 s44, 0
	;; [unrolled: 1-line block ×3, first 2 shown]
	v_cmp_ngt_f64_e64 s[44:45], s[44:45], v[23:24]
	v_mov_b32_e32 v79, 0x7ff00000
	v_rndne_f64_e32 v[55:56], v[55:56]
	v_fma_f64 v[59:60], v[55:56], s[52:53], v[23:24]
	s_mov_b32 s53, 0x3fe62e42
	v_fma_f64 v[59:60], v[55:56], s[54:55], v[59:60]
	v_cvt_i32_f64_e32 v55, v[55:56]
	s_mov_b32 s55, 0x3c7abc9e
	v_fma_f64 v[61:62], v[59:60], s[42:43], v[61:62]
	s_mov_b32 s42, 0x623fde64
	s_mov_b32 s43, 0x3ec71dee
	v_fma_f64 v[61:62], v[59:60], v[61:62], s[42:43]
	s_mov_b32 s42, 0x7c89e6b0
	;; [unrolled: 3-line block ×9, first 2 shown]
	s_mov_b32 s43, 0x40900000
	v_cmp_nlt_f64_e64 s[42:43], s[42:43], v[23:24]
	v_fma_f64 v[61:62], v[59:60], v[61:62], 1.0
	v_fma_f64 v[59:60], v[59:60], v[61:62], 1.0
	v_ldexp_f64 v[55:56], v[59:60], v55
	v_cndmask_b32_e64 v56, v79, v56, s[42:43]
	s_and_b64 s[42:43], s[44:45], s[42:43]
	v_cndmask_b32_e64 v24, 0, v56, s[44:45]
	v_cndmask_b32_e64 v23, 0, v55, s[42:43]
	v_add_f64 v[55:56], v[23:24], 1.0
	s_mov_b32 s45, 0x3fe55555
	s_mov_b32 s44, 0x55555555
	v_frexp_mant_f64_e32 v[61:62], v[55:56]
	v_frexp_exp_i32_f64_e32 v65, v[55:56]
	v_add_f64 v[59:60], v[55:56], -1.0
	v_cmp_gt_f64_e64 s[42:43], s[44:45], v[61:62]
	s_mov_b32 s44, 0x55555780
	v_add_f64 v[63:64], v[59:60], -v[55:56]
	v_add_f64 v[59:60], v[23:24], -v[59:60]
	v_subbrev_co_u32_e64 v80, s[42:43], 0, v65, s[42:43]
	v_sub_u32_e32 v65, 0, v80
	v_ldexp_f64 v[55:56], v[55:56], v65
	v_add_f64 v[61:62], v[63:64], 1.0
	s_mov_b32 s42, 0xbf559e2b
	s_mov_b32 s43, 0x3fc3ab76
	v_add_f64 v[63:64], v[55:56], 1.0
	v_add_f64 v[59:60], v[59:60], v[61:62]
	v_add_f64 v[69:70], v[55:56], -1.0
	v_add_f64 v[61:62], v[63:64], -1.0
	v_ldexp_f64 v[59:60], v[59:60], v65
	v_add_f64 v[71:72], v[69:70], 1.0
	v_add_f64 v[61:62], v[55:56], -v[61:62]
	v_add_f64 v[55:56], v[55:56], -v[71:72]
	v_add_f64 v[61:62], v[59:60], v[61:62]
	v_add_f64 v[55:56], v[59:60], v[55:56]
	;; [unrolled: 1-line block ×4, first 2 shown]
	v_rcp_f64_e32 v[67:68], v[65:66]
	v_add_f64 v[63:64], v[65:66], -v[63:64]
	v_add_f64 v[69:70], v[71:72], -v[69:70]
	;; [unrolled: 1-line block ×4, first 2 shown]
	v_fma_f64 v[73:74], -v[65:66], v[67:68], 1.0
	v_fma_f64 v[67:68], v[73:74], v[67:68], v[67:68]
	v_fma_f64 v[59:60], -v[65:66], v[67:68], 1.0
	v_fma_f64 v[59:60], v[59:60], v[67:68], v[67:68]
	v_mul_f64 v[67:68], v[71:72], v[59:60]
	v_mul_f64 v[73:74], v[65:66], v[67:68]
	v_fma_f64 v[63:64], v[67:68], v[65:66], -v[73:74]
	v_fma_f64 v[63:64], v[67:68], v[61:62], v[63:64]
	v_add_f64 v[75:76], v[73:74], v[63:64]
	v_add_f64 v[77:78], v[71:72], -v[75:76]
	v_add_f64 v[69:70], v[75:76], -v[73:74]
	v_add_f64 v[71:72], v[71:72], -v[77:78]
	v_add_f64 v[63:64], v[69:70], -v[63:64]
	v_add_f64 v[71:72], v[71:72], -v[75:76]
	v_add_f64 v[55:56], v[55:56], v[71:72]
	v_add_f64 v[55:56], v[63:64], v[55:56]
	;; [unrolled: 1-line block ×3, first 2 shown]
	v_mul_f64 v[69:70], v[59:60], v[63:64]
	v_add_f64 v[75:76], v[77:78], -v[63:64]
	v_mul_f64 v[71:72], v[65:66], v[69:70]
	v_add_f64 v[55:56], v[55:56], v[75:76]
	v_fma_f64 v[65:66], v[69:70], v[65:66], -v[71:72]
	v_fma_f64 v[61:62], v[69:70], v[61:62], v[65:66]
	v_add_f64 v[65:66], v[71:72], v[61:62]
	v_add_f64 v[73:74], v[63:64], -v[65:66]
	v_add_f64 v[71:72], v[65:66], -v[71:72]
	v_add_f64 v[63:64], v[63:64], -v[73:74]
	v_add_f64 v[61:62], v[71:72], -v[61:62]
	v_add_f64 v[63:64], v[63:64], -v[65:66]
	v_mov_b32_e32 v65, 0x6b47b09a
	v_mov_b32_e32 v66, 0x3fc38538
	v_add_f64 v[55:56], v[55:56], v[63:64]
	v_add_f64 v[63:64], v[67:68], v[69:70]
	;; [unrolled: 1-line block ×3, first 2 shown]
	v_add_f64 v[61:62], v[63:64], -v[67:68]
	v_add_f64 v[55:56], v[73:74], v[55:56]
	v_add_f64 v[61:62], v[69:70], -v[61:62]
	v_mul_f64 v[55:56], v[59:60], v[55:56]
	v_add_f64 v[55:56], v[61:62], v[55:56]
	v_add_f64 v[59:60], v[63:64], v[55:56]
	v_mul_f64 v[61:62], v[59:60], v[59:60]
	v_fma_f64 v[65:66], v[61:62], s[42:43], v[65:66]
	s_mov_b32 s42, 0xd7f4df2e
	s_mov_b32 s43, 0x3fc7474d
	v_mul_f64 v[67:68], v[59:60], v[61:62]
	v_fma_f64 v[65:66], v[61:62], v[65:66], s[42:43]
	s_mov_b32 s42, 0x16291751
	s_mov_b32 s43, 0x3fcc71c0
	v_fma_f64 v[65:66], v[61:62], v[65:66], s[42:43]
	s_mov_b32 s42, 0x9b27acf1
	s_mov_b32 s43, 0x3fd24924
	;; [unrolled: 3-line block ×3, first 2 shown]
	v_fma_f64 v[65:66], v[61:62], v[65:66], s[42:43]
	v_cmp_nge_f64_e64 s[42:43], -1.0, v[23:24]
	v_fma_f64 v[61:62], v[61:62], v[65:66], s[44:45]
	v_ldexp_f64 v[65:66], v[59:60], 1
	v_add_f64 v[59:60], v[59:60], -v[63:64]
	s_mov_b32 s44, 0
	s_mov_b32 s45, 0x7ff00000
	v_cmp_neq_f64_e64 s[44:45], s[44:45], v[23:24]
	v_mul_f64 v[61:62], v[67:68], v[61:62]
	v_cvt_f64_i32_e32 v[67:68], v80
	v_add_f64 v[55:56], v[55:56], -v[59:60]
	v_mul_f64 v[69:70], v[67:68], s[52:53]
	s_and_b64 s[42:43], s[42:43], s[44:45]
	v_add_f64 v[63:64], v[65:66], v[61:62]
	v_ldexp_f64 v[55:56], v[55:56], 1
	v_add_f64 v[59:60], v[63:64], -v[65:66]
	v_fma_f64 v[65:66], v[67:68], s[52:53], -v[69:70]
	v_add_f64 v[59:60], v[61:62], -v[59:60]
	v_fma_f64 v[61:62], v[67:68], s[54:55], v[65:66]
	v_add_f64 v[55:56], v[55:56], v[59:60]
	v_add_f64 v[59:60], v[69:70], v[61:62]
	;; [unrolled: 1-line block ×3, first 2 shown]
	v_add_f64 v[69:70], v[59:60], -v[69:70]
	v_add_f64 v[67:68], v[59:60], v[65:66]
	v_add_f64 v[63:64], v[65:66], -v[63:64]
	v_add_f64 v[61:62], v[61:62], -v[69:70]
	v_add_f64 v[71:72], v[67:68], -v[59:60]
	v_add_f64 v[55:56], v[55:56], -v[63:64]
	v_add_f64 v[73:74], v[67:68], -v[71:72]
	v_add_f64 v[63:64], v[65:66], -v[71:72]
	v_add_f64 v[65:66], v[61:62], v[55:56]
	v_add_f64 v[59:60], v[59:60], -v[73:74]
	v_add_f64 v[59:60], v[63:64], v[59:60]
	v_add_f64 v[63:64], v[65:66], -v[61:62]
	;; [unrolled: 2-line block ×3, first 2 shown]
	v_add_f64 v[55:56], v[55:56], -v[63:64]
	v_add_f64 v[69:70], v[67:68], v[59:60]
	v_add_f64 v[61:62], v[61:62], -v[65:66]
	v_add_f64 v[63:64], v[69:70], -v[67:68]
	v_add_f64 v[55:56], v[55:56], v[61:62]
	v_add_f64 v[59:60], v[59:60], -v[63:64]
	v_add_f64 v[55:56], v[55:56], v[59:60]
	v_mov_b32_e32 v59, 0x7ff80000
	v_mov_b32_e32 v60, 0xfff00000
	v_add_f64 v[55:56], v[69:70], v[55:56]
	v_cndmask_b32_e64 v55, 0, v55, s[42:43]
	v_cmp_ngt_f64_e64 s[42:43], -1.0, v[23:24]
	v_cndmask_b32_e64 v56, v79, v56, s[44:45]
	v_cndmask_b32_e64 v56, v59, v56, s[42:43]
	v_cmp_neq_f64_e64 s[42:43], -1.0, v[23:24]
	v_cndmask_b32_e64 v56, v60, v56, s[42:43]
	v_add_f64 v[23:24], v[53:54], v[55:56]
.LBB60_41:
	s_or_b64 exec, exec, s[50:51]
	v_mbcnt_lo_u32_b32 v53, -1, 0
	v_mbcnt_hi_u32_b32 v59, -1, v53
	v_and_b32_e32 v60, 15, v59
	v_mov_b32_dpp v53, v23 row_shr:1 row_mask:0xf bank_mask:0xf
	v_mov_b32_dpp v54, v24 row_shr:1 row_mask:0xf bank_mask:0xf
	v_cmp_ne_u32_e64 s[42:43], 0, v60
	v_mov_b32_e32 v55, v23
	v_mov_b32_e32 v56, v24
	s_and_saveexec_b64 s[44:45], s[42:43]
	s_xor_b64 s[50:51], exec, s[44:45]
	s_cbranch_execz .LBB60_45
; %bb.42:
	v_max_f64 v[55:56], v[53:54], v[53:54]
	v_max_f64 v[61:62], v[23:24], v[23:24]
	v_cmp_u_f64_e64 s[42:43], v[53:54], v[53:54]
	v_cmp_u_f64_e64 s[44:45], v[23:24], v[23:24]
	v_min_f64 v[63:64], v[55:56], v[61:62]
	v_max_f64 v[55:56], v[55:56], v[61:62]
	v_cndmask_b32_e64 v61, v64, v54, s[42:43]
	v_cndmask_b32_e64 v62, v63, v53, s[42:43]
	;; [unrolled: 1-line block ×8, first 2 shown]
	v_cmp_neq_f64_e64 s[42:43], v[55:56], v[23:24]
	v_cmp_class_f64_e64 s[44:45], v[55:56], s33
	s_or_b64 s[42:43], s[42:43], s[44:45]
	s_and_saveexec_b64 s[52:53], s[42:43]
	s_cbranch_execz .LBB60_44
; %bb.43:
	v_add_f64 v[53:54], v[55:56], -v[23:24]
	s_mov_b32 s42, 0x652b82fe
	s_mov_b32 s43, 0x3ff71547
	;; [unrolled: 1-line block ×6, first 2 shown]
	v_mov_b32_e32 v63, 0xfca7ab0c
	v_mul_f64 v[55:56], v[53:54], s[42:43]
	s_mov_b32 s42, 0x6a5dcb37
	v_mov_b32_e32 v64, 0x3e928af3
	s_mov_b32 s43, 0x3e5ade15
	s_mov_b32 s44, 0
	;; [unrolled: 1-line block ×3, first 2 shown]
	v_cmp_ngt_f64_e64 s[44:45], s[44:45], v[53:54]
	v_mov_b32_e32 v79, 0x7ff00000
	v_rndne_f64_e32 v[55:56], v[55:56]
	v_fma_f64 v[61:62], v[55:56], s[54:55], v[53:54]
	s_mov_b32 s55, 0x3fe62e42
	v_fma_f64 v[61:62], v[55:56], s[56:57], v[61:62]
	v_cvt_i32_f64_e32 v55, v[55:56]
	s_mov_b32 s57, 0x3c7abc9e
	v_fma_f64 v[63:64], v[61:62], s[42:43], v[63:64]
	s_mov_b32 s42, 0x623fde64
	s_mov_b32 s43, 0x3ec71dee
	v_fma_f64 v[63:64], v[61:62], v[63:64], s[42:43]
	s_mov_b32 s42, 0x7c89e6b0
	;; [unrolled: 3-line block ×9, first 2 shown]
	s_mov_b32 s43, 0x40900000
	v_cmp_nlt_f64_e64 s[42:43], s[42:43], v[53:54]
	v_fma_f64 v[63:64], v[61:62], v[63:64], 1.0
	v_fma_f64 v[61:62], v[61:62], v[63:64], 1.0
	v_ldexp_f64 v[55:56], v[61:62], v55
	v_cndmask_b32_e64 v56, v79, v56, s[42:43]
	s_and_b64 s[42:43], s[44:45], s[42:43]
	v_cndmask_b32_e64 v53, 0, v55, s[42:43]
	v_cndmask_b32_e64 v54, 0, v56, s[44:45]
	v_add_f64 v[55:56], v[53:54], 1.0
	s_mov_b32 s45, 0x3fe55555
	s_mov_b32 s44, 0x55555555
	v_add_f64 v[61:62], v[55:56], -1.0
	v_frexp_exp_i32_f64_e32 v65, v[55:56]
	v_add_f64 v[63:64], v[61:62], -v[55:56]
	v_add_f64 v[61:62], v[53:54], -v[61:62]
	v_add_f64 v[63:64], v[63:64], 1.0
	v_add_f64 v[61:62], v[61:62], v[63:64]
	v_frexp_mant_f64_e32 v[63:64], v[55:56]
	v_cmp_gt_f64_e64 s[42:43], s[44:45], v[63:64]
	s_mov_b32 s44, 0x55555780
	v_subbrev_co_u32_e64 v80, s[42:43], 0, v65, s[42:43]
	v_sub_u32_e32 v63, 0, v80
	v_ldexp_f64 v[55:56], v[55:56], v63
	v_ldexp_f64 v[61:62], v[61:62], v63
	s_mov_b32 s42, 0xbf559e2b
	s_mov_b32 s43, 0x3fc3ab76
	v_add_f64 v[63:64], v[55:56], -1.0
	v_add_f64 v[65:66], v[63:64], 1.0
	v_add_f64 v[65:66], v[55:56], -v[65:66]
	v_add_f64 v[65:66], v[61:62], v[65:66]
	v_add_f64 v[67:68], v[63:64], v[65:66]
	v_add_f64 v[63:64], v[67:68], -v[63:64]
	v_add_f64 v[63:64], v[65:66], -v[63:64]
	v_add_f64 v[65:66], v[55:56], 1.0
	v_add_f64 v[69:70], v[65:66], -1.0
	v_add_f64 v[55:56], v[55:56], -v[69:70]
	v_add_f64 v[55:56], v[61:62], v[55:56]
	v_add_f64 v[61:62], v[65:66], v[55:56]
	v_add_f64 v[65:66], v[61:62], -v[65:66]
	v_add_f64 v[55:56], v[55:56], -v[65:66]
	v_rcp_f64_e32 v[65:66], v[61:62]
	v_fma_f64 v[69:70], -v[61:62], v[65:66], 1.0
	v_fma_f64 v[65:66], v[69:70], v[65:66], v[65:66]
	v_fma_f64 v[69:70], -v[61:62], v[65:66], 1.0
	v_fma_f64 v[65:66], v[69:70], v[65:66], v[65:66]
	v_mul_f64 v[69:70], v[67:68], v[65:66]
	v_mul_f64 v[71:72], v[61:62], v[69:70]
	v_fma_f64 v[73:74], v[69:70], v[61:62], -v[71:72]
	v_fma_f64 v[73:74], v[69:70], v[55:56], v[73:74]
	v_add_f64 v[75:76], v[71:72], v[73:74]
	v_add_f64 v[77:78], v[67:68], -v[75:76]
	v_add_f64 v[71:72], v[75:76], -v[71:72]
	;; [unrolled: 1-line block ×4, first 2 shown]
	v_add_f64 v[63:64], v[63:64], v[67:68]
	v_add_f64 v[67:68], v[71:72], -v[73:74]
	v_add_f64 v[63:64], v[67:68], v[63:64]
	v_add_f64 v[67:68], v[77:78], v[63:64]
	v_add_f64 v[71:72], v[77:78], -v[67:68]
	v_add_f64 v[63:64], v[63:64], v[71:72]
	v_mul_f64 v[71:72], v[65:66], v[67:68]
	v_mul_f64 v[73:74], v[61:62], v[71:72]
	v_fma_f64 v[61:62], v[71:72], v[61:62], -v[73:74]
	v_fma_f64 v[55:56], v[71:72], v[55:56], v[61:62]
	v_add_f64 v[61:62], v[73:74], v[55:56]
	v_add_f64 v[75:76], v[67:68], -v[61:62]
	v_add_f64 v[73:74], v[61:62], -v[73:74]
	;; [unrolled: 1-line block ×5, first 2 shown]
	v_cvt_f64_i32_e32 v[67:68], v80
	v_add_f64 v[61:62], v[63:64], v[61:62]
	v_add_f64 v[55:56], v[55:56], v[61:62]
	;; [unrolled: 1-line block ×4, first 2 shown]
	v_add_f64 v[63:64], v[61:62], -v[69:70]
	v_mul_f64 v[69:70], v[67:68], s[54:55]
	v_mul_f64 v[55:56], v[65:66], v[55:56]
	v_add_f64 v[63:64], v[71:72], -v[63:64]
	v_mov_b32_e32 v65, 0x6b47b09a
	v_mov_b32_e32 v66, 0x3fc38538
	v_fma_f64 v[71:72], v[67:68], s[54:55], -v[69:70]
	v_add_f64 v[55:56], v[63:64], v[55:56]
	v_fma_f64 v[67:68], v[67:68], s[56:57], v[71:72]
	v_add_f64 v[63:64], v[61:62], v[55:56]
	v_add_f64 v[71:72], v[69:70], v[67:68]
	v_add_f64 v[61:62], v[63:64], -v[61:62]
	v_add_f64 v[69:70], v[71:72], -v[69:70]
	;; [unrolled: 1-line block ×3, first 2 shown]
	v_mul_f64 v[61:62], v[63:64], v[63:64]
	v_add_f64 v[67:68], v[67:68], -v[69:70]
	v_ldexp_f64 v[69:70], v[63:64], 1
	v_ldexp_f64 v[55:56], v[55:56], 1
	v_fma_f64 v[65:66], v[61:62], s[42:43], v[65:66]
	s_mov_b32 s42, 0xd7f4df2e
	s_mov_b32 s43, 0x3fc7474d
	v_fma_f64 v[65:66], v[61:62], v[65:66], s[42:43]
	s_mov_b32 s42, 0x16291751
	s_mov_b32 s43, 0x3fcc71c0
	;; [unrolled: 3-line block ×5, first 2 shown]
	v_cmp_neq_f64_e64 s[42:43], s[42:43], v[53:54]
	v_fma_f64 v[65:66], v[61:62], v[65:66], s[44:45]
	v_mul_f64 v[61:62], v[63:64], v[61:62]
	v_cmp_ngt_f64_e64 s[44:45], -1.0, v[53:54]
	v_mul_f64 v[61:62], v[61:62], v[65:66]
	v_add_f64 v[63:64], v[69:70], v[61:62]
	v_add_f64 v[65:66], v[63:64], -v[69:70]
	v_add_f64 v[61:62], v[61:62], -v[65:66]
	v_add_f64 v[55:56], v[55:56], v[61:62]
	v_add_f64 v[61:62], v[63:64], v[55:56]
	v_add_f64 v[63:64], v[61:62], -v[63:64]
	v_add_f64 v[55:56], v[55:56], -v[63:64]
	v_add_f64 v[63:64], v[71:72], v[61:62]
	v_add_f64 v[65:66], v[63:64], -v[71:72]
	v_add_f64 v[69:70], v[63:64], -v[65:66]
	;; [unrolled: 1-line block ×3, first 2 shown]
	v_add_f64 v[65:66], v[67:68], v[55:56]
	v_add_f64 v[69:70], v[71:72], -v[69:70]
	v_add_f64 v[61:62], v[61:62], v[69:70]
	v_add_f64 v[69:70], v[65:66], -v[67:68]
	;; [unrolled: 2-line block ×3, first 2 shown]
	v_add_f64 v[55:56], v[55:56], -v[69:70]
	v_add_f64 v[65:66], v[63:64], v[61:62]
	v_add_f64 v[67:68], v[67:68], -v[71:72]
	v_add_f64 v[63:64], v[65:66], -v[63:64]
	v_add_f64 v[55:56], v[55:56], v[67:68]
	v_add_f64 v[61:62], v[61:62], -v[63:64]
	v_add_f64 v[55:56], v[55:56], v[61:62]
	v_mov_b32_e32 v61, 0x7ff80000
	v_add_f64 v[55:56], v[65:66], v[55:56]
	v_cndmask_b32_e64 v56, v79, v56, s[42:43]
	v_cndmask_b32_e64 v56, v61, v56, s[44:45]
	v_cmp_nge_f64_e64 s[44:45], -1.0, v[53:54]
	s_and_b64 s[42:43], s[44:45], s[42:43]
	v_cndmask_b32_e64 v55, 0, v55, s[42:43]
	v_cmp_neq_f64_e64 s[42:43], -1.0, v[53:54]
	v_mov_b32_e32 v53, 0xfff00000
	v_cndmask_b32_e64 v56, v53, v56, s[42:43]
	v_add_f64 v[53:54], v[23:24], v[55:56]
.LBB60_44:
	s_or_b64 exec, exec, s[52:53]
	v_mov_b32_e32 v23, v53
	v_mov_b32_e32 v55, v53
	;; [unrolled: 1-line block ×4, first 2 shown]
.LBB60_45:
	s_or_b64 exec, exec, s[50:51]
	v_mov_b32_dpp v53, v55 row_shr:2 row_mask:0xf bank_mask:0xf
	v_mov_b32_dpp v54, v56 row_shr:2 row_mask:0xf bank_mask:0xf
	v_cmp_lt_u32_e64 s[42:43], 1, v60
	s_and_saveexec_b64 s[50:51], s[42:43]
	s_cbranch_execz .LBB60_49
; %bb.46:
	v_max_f64 v[55:56], v[53:54], v[53:54]
	v_max_f64 v[61:62], v[23:24], v[23:24]
	v_cmp_u_f64_e64 s[42:43], v[53:54], v[53:54]
	v_cmp_u_f64_e64 s[44:45], v[23:24], v[23:24]
	v_min_f64 v[63:64], v[55:56], v[61:62]
	v_max_f64 v[55:56], v[55:56], v[61:62]
	v_cndmask_b32_e64 v61, v64, v54, s[42:43]
	v_cndmask_b32_e64 v62, v63, v53, s[42:43]
	;; [unrolled: 1-line block ×8, first 2 shown]
	v_cmp_neq_f64_e64 s[42:43], v[55:56], v[23:24]
	v_cmp_class_f64_e64 s[44:45], v[55:56], s33
	s_or_b64 s[42:43], s[42:43], s[44:45]
	s_and_saveexec_b64 s[52:53], s[42:43]
	s_cbranch_execz .LBB60_48
; %bb.47:
	v_add_f64 v[53:54], v[55:56], -v[23:24]
	s_mov_b32 s42, 0x652b82fe
	s_mov_b32 s43, 0x3ff71547
	;; [unrolled: 1-line block ×6, first 2 shown]
	v_mov_b32_e32 v63, 0xfca7ab0c
	v_mul_f64 v[55:56], v[53:54], s[42:43]
	s_mov_b32 s42, 0x6a5dcb37
	v_mov_b32_e32 v64, 0x3e928af3
	s_mov_b32 s43, 0x3e5ade15
	s_mov_b32 s44, 0
	;; [unrolled: 1-line block ×3, first 2 shown]
	v_cmp_ngt_f64_e64 s[44:45], s[44:45], v[53:54]
	v_mov_b32_e32 v79, 0x7ff00000
	v_rndne_f64_e32 v[55:56], v[55:56]
	v_fma_f64 v[61:62], v[55:56], s[54:55], v[53:54]
	s_mov_b32 s55, 0x3fe62e42
	v_fma_f64 v[61:62], v[55:56], s[56:57], v[61:62]
	v_cvt_i32_f64_e32 v55, v[55:56]
	s_mov_b32 s57, 0x3c7abc9e
	v_fma_f64 v[63:64], v[61:62], s[42:43], v[63:64]
	s_mov_b32 s42, 0x623fde64
	s_mov_b32 s43, 0x3ec71dee
	v_fma_f64 v[63:64], v[61:62], v[63:64], s[42:43]
	s_mov_b32 s42, 0x7c89e6b0
	;; [unrolled: 3-line block ×9, first 2 shown]
	s_mov_b32 s43, 0x40900000
	v_cmp_nlt_f64_e64 s[42:43], s[42:43], v[53:54]
	v_fma_f64 v[63:64], v[61:62], v[63:64], 1.0
	v_fma_f64 v[61:62], v[61:62], v[63:64], 1.0
	v_ldexp_f64 v[55:56], v[61:62], v55
	v_cndmask_b32_e64 v56, v79, v56, s[42:43]
	s_and_b64 s[42:43], s[44:45], s[42:43]
	v_cndmask_b32_e64 v53, 0, v55, s[42:43]
	v_cndmask_b32_e64 v54, 0, v56, s[44:45]
	v_add_f64 v[55:56], v[53:54], 1.0
	s_mov_b32 s45, 0x3fe55555
	s_mov_b32 s44, 0x55555555
	v_add_f64 v[61:62], v[55:56], -1.0
	v_frexp_exp_i32_f64_e32 v65, v[55:56]
	v_add_f64 v[63:64], v[61:62], -v[55:56]
	v_add_f64 v[61:62], v[53:54], -v[61:62]
	v_add_f64 v[63:64], v[63:64], 1.0
	v_add_f64 v[61:62], v[61:62], v[63:64]
	v_frexp_mant_f64_e32 v[63:64], v[55:56]
	v_cmp_gt_f64_e64 s[42:43], s[44:45], v[63:64]
	s_mov_b32 s44, 0x55555780
	v_subbrev_co_u32_e64 v80, s[42:43], 0, v65, s[42:43]
	v_sub_u32_e32 v63, 0, v80
	v_ldexp_f64 v[55:56], v[55:56], v63
	v_ldexp_f64 v[61:62], v[61:62], v63
	s_mov_b32 s42, 0xbf559e2b
	s_mov_b32 s43, 0x3fc3ab76
	v_add_f64 v[63:64], v[55:56], -1.0
	v_add_f64 v[65:66], v[63:64], 1.0
	v_add_f64 v[65:66], v[55:56], -v[65:66]
	v_add_f64 v[65:66], v[61:62], v[65:66]
	v_add_f64 v[67:68], v[63:64], v[65:66]
	v_add_f64 v[63:64], v[67:68], -v[63:64]
	v_add_f64 v[63:64], v[65:66], -v[63:64]
	v_add_f64 v[65:66], v[55:56], 1.0
	v_add_f64 v[69:70], v[65:66], -1.0
	v_add_f64 v[55:56], v[55:56], -v[69:70]
	v_add_f64 v[55:56], v[61:62], v[55:56]
	v_add_f64 v[61:62], v[65:66], v[55:56]
	v_add_f64 v[65:66], v[61:62], -v[65:66]
	v_add_f64 v[55:56], v[55:56], -v[65:66]
	v_rcp_f64_e32 v[65:66], v[61:62]
	v_fma_f64 v[69:70], -v[61:62], v[65:66], 1.0
	v_fma_f64 v[65:66], v[69:70], v[65:66], v[65:66]
	v_fma_f64 v[69:70], -v[61:62], v[65:66], 1.0
	v_fma_f64 v[65:66], v[69:70], v[65:66], v[65:66]
	v_mul_f64 v[69:70], v[67:68], v[65:66]
	v_mul_f64 v[71:72], v[61:62], v[69:70]
	v_fma_f64 v[73:74], v[69:70], v[61:62], -v[71:72]
	v_fma_f64 v[73:74], v[69:70], v[55:56], v[73:74]
	v_add_f64 v[75:76], v[71:72], v[73:74]
	v_add_f64 v[77:78], v[67:68], -v[75:76]
	v_add_f64 v[71:72], v[75:76], -v[71:72]
	;; [unrolled: 1-line block ×4, first 2 shown]
	v_add_f64 v[63:64], v[63:64], v[67:68]
	v_add_f64 v[67:68], v[71:72], -v[73:74]
	v_add_f64 v[63:64], v[67:68], v[63:64]
	v_add_f64 v[67:68], v[77:78], v[63:64]
	v_add_f64 v[71:72], v[77:78], -v[67:68]
	v_add_f64 v[63:64], v[63:64], v[71:72]
	v_mul_f64 v[71:72], v[65:66], v[67:68]
	v_mul_f64 v[73:74], v[61:62], v[71:72]
	v_fma_f64 v[61:62], v[71:72], v[61:62], -v[73:74]
	v_fma_f64 v[55:56], v[71:72], v[55:56], v[61:62]
	v_add_f64 v[61:62], v[73:74], v[55:56]
	v_add_f64 v[75:76], v[67:68], -v[61:62]
	v_add_f64 v[73:74], v[61:62], -v[73:74]
	;; [unrolled: 1-line block ×5, first 2 shown]
	v_cvt_f64_i32_e32 v[67:68], v80
	v_add_f64 v[61:62], v[63:64], v[61:62]
	v_add_f64 v[55:56], v[55:56], v[61:62]
	;; [unrolled: 1-line block ×4, first 2 shown]
	v_add_f64 v[63:64], v[61:62], -v[69:70]
	v_mul_f64 v[69:70], v[67:68], s[54:55]
	v_mul_f64 v[55:56], v[65:66], v[55:56]
	v_add_f64 v[63:64], v[71:72], -v[63:64]
	v_mov_b32_e32 v65, 0x6b47b09a
	v_mov_b32_e32 v66, 0x3fc38538
	v_fma_f64 v[71:72], v[67:68], s[54:55], -v[69:70]
	v_add_f64 v[55:56], v[63:64], v[55:56]
	v_fma_f64 v[67:68], v[67:68], s[56:57], v[71:72]
	v_add_f64 v[63:64], v[61:62], v[55:56]
	v_add_f64 v[71:72], v[69:70], v[67:68]
	v_add_f64 v[61:62], v[63:64], -v[61:62]
	v_add_f64 v[69:70], v[71:72], -v[69:70]
	;; [unrolled: 1-line block ×3, first 2 shown]
	v_mul_f64 v[61:62], v[63:64], v[63:64]
	v_add_f64 v[67:68], v[67:68], -v[69:70]
	v_ldexp_f64 v[69:70], v[63:64], 1
	v_ldexp_f64 v[55:56], v[55:56], 1
	v_fma_f64 v[65:66], v[61:62], s[42:43], v[65:66]
	s_mov_b32 s42, 0xd7f4df2e
	s_mov_b32 s43, 0x3fc7474d
	v_fma_f64 v[65:66], v[61:62], v[65:66], s[42:43]
	s_mov_b32 s42, 0x16291751
	s_mov_b32 s43, 0x3fcc71c0
	;; [unrolled: 3-line block ×5, first 2 shown]
	v_cmp_neq_f64_e64 s[42:43], s[42:43], v[53:54]
	v_fma_f64 v[65:66], v[61:62], v[65:66], s[44:45]
	v_mul_f64 v[61:62], v[63:64], v[61:62]
	v_cmp_ngt_f64_e64 s[44:45], -1.0, v[53:54]
	v_mul_f64 v[61:62], v[61:62], v[65:66]
	v_add_f64 v[63:64], v[69:70], v[61:62]
	v_add_f64 v[65:66], v[63:64], -v[69:70]
	v_add_f64 v[61:62], v[61:62], -v[65:66]
	v_add_f64 v[55:56], v[55:56], v[61:62]
	v_add_f64 v[61:62], v[63:64], v[55:56]
	v_add_f64 v[63:64], v[61:62], -v[63:64]
	v_add_f64 v[55:56], v[55:56], -v[63:64]
	v_add_f64 v[63:64], v[71:72], v[61:62]
	v_add_f64 v[65:66], v[63:64], -v[71:72]
	v_add_f64 v[69:70], v[63:64], -v[65:66]
	;; [unrolled: 1-line block ×3, first 2 shown]
	v_add_f64 v[65:66], v[67:68], v[55:56]
	v_add_f64 v[69:70], v[71:72], -v[69:70]
	v_add_f64 v[61:62], v[61:62], v[69:70]
	v_add_f64 v[69:70], v[65:66], -v[67:68]
	;; [unrolled: 2-line block ×3, first 2 shown]
	v_add_f64 v[55:56], v[55:56], -v[69:70]
	v_add_f64 v[65:66], v[63:64], v[61:62]
	v_add_f64 v[67:68], v[67:68], -v[71:72]
	v_add_f64 v[63:64], v[65:66], -v[63:64]
	v_add_f64 v[55:56], v[55:56], v[67:68]
	v_add_f64 v[61:62], v[61:62], -v[63:64]
	v_add_f64 v[55:56], v[55:56], v[61:62]
	v_mov_b32_e32 v61, 0x7ff80000
	v_add_f64 v[55:56], v[65:66], v[55:56]
	v_cndmask_b32_e64 v56, v79, v56, s[42:43]
	v_cndmask_b32_e64 v56, v61, v56, s[44:45]
	v_cmp_nge_f64_e64 s[44:45], -1.0, v[53:54]
	s_and_b64 s[42:43], s[44:45], s[42:43]
	v_cndmask_b32_e64 v55, 0, v55, s[42:43]
	v_cmp_neq_f64_e64 s[42:43], -1.0, v[53:54]
	v_mov_b32_e32 v53, 0xfff00000
	v_cndmask_b32_e64 v56, v53, v56, s[42:43]
	v_add_f64 v[53:54], v[23:24], v[55:56]
.LBB60_48:
	s_or_b64 exec, exec, s[52:53]
	v_mov_b32_e32 v23, v53
	v_mov_b32_e32 v24, v54
	;; [unrolled: 1-line block ×4, first 2 shown]
.LBB60_49:
	s_or_b64 exec, exec, s[50:51]
	v_mov_b32_dpp v53, v55 row_shr:4 row_mask:0xf bank_mask:0xf
	v_mov_b32_dpp v54, v56 row_shr:4 row_mask:0xf bank_mask:0xf
	v_cmp_lt_u32_e64 s[42:43], 3, v60
	s_and_saveexec_b64 s[50:51], s[42:43]
	s_cbranch_execz .LBB60_53
; %bb.50:
	v_max_f64 v[55:56], v[53:54], v[53:54]
	v_max_f64 v[61:62], v[23:24], v[23:24]
	v_cmp_u_f64_e64 s[42:43], v[53:54], v[53:54]
	v_cmp_u_f64_e64 s[44:45], v[23:24], v[23:24]
	v_min_f64 v[63:64], v[55:56], v[61:62]
	v_max_f64 v[55:56], v[55:56], v[61:62]
	v_cndmask_b32_e64 v61, v64, v54, s[42:43]
	v_cndmask_b32_e64 v62, v63, v53, s[42:43]
	;; [unrolled: 1-line block ×8, first 2 shown]
	v_cmp_neq_f64_e64 s[42:43], v[55:56], v[23:24]
	v_cmp_class_f64_e64 s[44:45], v[55:56], s33
	s_or_b64 s[42:43], s[42:43], s[44:45]
	s_and_saveexec_b64 s[52:53], s[42:43]
	s_cbranch_execz .LBB60_52
; %bb.51:
	v_add_f64 v[53:54], v[55:56], -v[23:24]
	s_mov_b32 s42, 0x652b82fe
	s_mov_b32 s43, 0x3ff71547
	;; [unrolled: 1-line block ×6, first 2 shown]
	v_mov_b32_e32 v63, 0xfca7ab0c
	v_mul_f64 v[55:56], v[53:54], s[42:43]
	s_mov_b32 s42, 0x6a5dcb37
	v_mov_b32_e32 v64, 0x3e928af3
	s_mov_b32 s43, 0x3e5ade15
	s_mov_b32 s44, 0
	;; [unrolled: 1-line block ×3, first 2 shown]
	v_cmp_ngt_f64_e64 s[44:45], s[44:45], v[53:54]
	v_mov_b32_e32 v79, 0x7ff00000
	v_rndne_f64_e32 v[55:56], v[55:56]
	v_fma_f64 v[61:62], v[55:56], s[54:55], v[53:54]
	s_mov_b32 s55, 0x3fe62e42
	v_fma_f64 v[61:62], v[55:56], s[56:57], v[61:62]
	v_cvt_i32_f64_e32 v55, v[55:56]
	s_mov_b32 s57, 0x3c7abc9e
	v_fma_f64 v[63:64], v[61:62], s[42:43], v[63:64]
	s_mov_b32 s42, 0x623fde64
	s_mov_b32 s43, 0x3ec71dee
	v_fma_f64 v[63:64], v[61:62], v[63:64], s[42:43]
	s_mov_b32 s42, 0x7c89e6b0
	;; [unrolled: 3-line block ×9, first 2 shown]
	s_mov_b32 s43, 0x40900000
	v_cmp_nlt_f64_e64 s[42:43], s[42:43], v[53:54]
	v_fma_f64 v[63:64], v[61:62], v[63:64], 1.0
	v_fma_f64 v[61:62], v[61:62], v[63:64], 1.0
	v_ldexp_f64 v[55:56], v[61:62], v55
	v_cndmask_b32_e64 v56, v79, v56, s[42:43]
	s_and_b64 s[42:43], s[44:45], s[42:43]
	v_cndmask_b32_e64 v53, 0, v55, s[42:43]
	v_cndmask_b32_e64 v54, 0, v56, s[44:45]
	v_add_f64 v[55:56], v[53:54], 1.0
	s_mov_b32 s45, 0x3fe55555
	s_mov_b32 s44, 0x55555555
	v_add_f64 v[61:62], v[55:56], -1.0
	v_frexp_exp_i32_f64_e32 v65, v[55:56]
	v_add_f64 v[63:64], v[61:62], -v[55:56]
	v_add_f64 v[61:62], v[53:54], -v[61:62]
	v_add_f64 v[63:64], v[63:64], 1.0
	v_add_f64 v[61:62], v[61:62], v[63:64]
	v_frexp_mant_f64_e32 v[63:64], v[55:56]
	v_cmp_gt_f64_e64 s[42:43], s[44:45], v[63:64]
	s_mov_b32 s44, 0x55555780
	v_subbrev_co_u32_e64 v80, s[42:43], 0, v65, s[42:43]
	v_sub_u32_e32 v63, 0, v80
	v_ldexp_f64 v[55:56], v[55:56], v63
	v_ldexp_f64 v[61:62], v[61:62], v63
	s_mov_b32 s42, 0xbf559e2b
	s_mov_b32 s43, 0x3fc3ab76
	v_add_f64 v[63:64], v[55:56], -1.0
	v_add_f64 v[65:66], v[63:64], 1.0
	v_add_f64 v[65:66], v[55:56], -v[65:66]
	v_add_f64 v[65:66], v[61:62], v[65:66]
	v_add_f64 v[67:68], v[63:64], v[65:66]
	v_add_f64 v[63:64], v[67:68], -v[63:64]
	v_add_f64 v[63:64], v[65:66], -v[63:64]
	v_add_f64 v[65:66], v[55:56], 1.0
	v_add_f64 v[69:70], v[65:66], -1.0
	v_add_f64 v[55:56], v[55:56], -v[69:70]
	v_add_f64 v[55:56], v[61:62], v[55:56]
	v_add_f64 v[61:62], v[65:66], v[55:56]
	v_add_f64 v[65:66], v[61:62], -v[65:66]
	v_add_f64 v[55:56], v[55:56], -v[65:66]
	v_rcp_f64_e32 v[65:66], v[61:62]
	v_fma_f64 v[69:70], -v[61:62], v[65:66], 1.0
	v_fma_f64 v[65:66], v[69:70], v[65:66], v[65:66]
	v_fma_f64 v[69:70], -v[61:62], v[65:66], 1.0
	v_fma_f64 v[65:66], v[69:70], v[65:66], v[65:66]
	v_mul_f64 v[69:70], v[67:68], v[65:66]
	v_mul_f64 v[71:72], v[61:62], v[69:70]
	v_fma_f64 v[73:74], v[69:70], v[61:62], -v[71:72]
	v_fma_f64 v[73:74], v[69:70], v[55:56], v[73:74]
	v_add_f64 v[75:76], v[71:72], v[73:74]
	v_add_f64 v[77:78], v[67:68], -v[75:76]
	v_add_f64 v[71:72], v[75:76], -v[71:72]
	;; [unrolled: 1-line block ×4, first 2 shown]
	v_add_f64 v[63:64], v[63:64], v[67:68]
	v_add_f64 v[67:68], v[71:72], -v[73:74]
	v_add_f64 v[63:64], v[67:68], v[63:64]
	v_add_f64 v[67:68], v[77:78], v[63:64]
	v_add_f64 v[71:72], v[77:78], -v[67:68]
	v_add_f64 v[63:64], v[63:64], v[71:72]
	v_mul_f64 v[71:72], v[65:66], v[67:68]
	v_mul_f64 v[73:74], v[61:62], v[71:72]
	v_fma_f64 v[61:62], v[71:72], v[61:62], -v[73:74]
	v_fma_f64 v[55:56], v[71:72], v[55:56], v[61:62]
	v_add_f64 v[61:62], v[73:74], v[55:56]
	v_add_f64 v[75:76], v[67:68], -v[61:62]
	v_add_f64 v[73:74], v[61:62], -v[73:74]
	;; [unrolled: 1-line block ×5, first 2 shown]
	v_cvt_f64_i32_e32 v[67:68], v80
	v_add_f64 v[61:62], v[63:64], v[61:62]
	v_add_f64 v[55:56], v[55:56], v[61:62]
	;; [unrolled: 1-line block ×4, first 2 shown]
	v_add_f64 v[63:64], v[61:62], -v[69:70]
	v_mul_f64 v[69:70], v[67:68], s[54:55]
	v_mul_f64 v[55:56], v[65:66], v[55:56]
	v_add_f64 v[63:64], v[71:72], -v[63:64]
	v_mov_b32_e32 v65, 0x6b47b09a
	v_mov_b32_e32 v66, 0x3fc38538
	v_fma_f64 v[71:72], v[67:68], s[54:55], -v[69:70]
	v_add_f64 v[55:56], v[63:64], v[55:56]
	v_fma_f64 v[67:68], v[67:68], s[56:57], v[71:72]
	v_add_f64 v[63:64], v[61:62], v[55:56]
	v_add_f64 v[71:72], v[69:70], v[67:68]
	v_add_f64 v[61:62], v[63:64], -v[61:62]
	v_add_f64 v[69:70], v[71:72], -v[69:70]
	;; [unrolled: 1-line block ×3, first 2 shown]
	v_mul_f64 v[61:62], v[63:64], v[63:64]
	v_add_f64 v[67:68], v[67:68], -v[69:70]
	v_ldexp_f64 v[69:70], v[63:64], 1
	v_ldexp_f64 v[55:56], v[55:56], 1
	v_fma_f64 v[65:66], v[61:62], s[42:43], v[65:66]
	s_mov_b32 s42, 0xd7f4df2e
	s_mov_b32 s43, 0x3fc7474d
	v_fma_f64 v[65:66], v[61:62], v[65:66], s[42:43]
	s_mov_b32 s42, 0x16291751
	s_mov_b32 s43, 0x3fcc71c0
	;; [unrolled: 3-line block ×5, first 2 shown]
	v_cmp_neq_f64_e64 s[42:43], s[42:43], v[53:54]
	v_fma_f64 v[65:66], v[61:62], v[65:66], s[44:45]
	v_mul_f64 v[61:62], v[63:64], v[61:62]
	v_cmp_ngt_f64_e64 s[44:45], -1.0, v[53:54]
	v_mul_f64 v[61:62], v[61:62], v[65:66]
	v_add_f64 v[63:64], v[69:70], v[61:62]
	v_add_f64 v[65:66], v[63:64], -v[69:70]
	v_add_f64 v[61:62], v[61:62], -v[65:66]
	v_add_f64 v[55:56], v[55:56], v[61:62]
	v_add_f64 v[61:62], v[63:64], v[55:56]
	v_add_f64 v[63:64], v[61:62], -v[63:64]
	v_add_f64 v[55:56], v[55:56], -v[63:64]
	v_add_f64 v[63:64], v[71:72], v[61:62]
	v_add_f64 v[65:66], v[63:64], -v[71:72]
	v_add_f64 v[69:70], v[63:64], -v[65:66]
	;; [unrolled: 1-line block ×3, first 2 shown]
	v_add_f64 v[65:66], v[67:68], v[55:56]
	v_add_f64 v[69:70], v[71:72], -v[69:70]
	v_add_f64 v[61:62], v[61:62], v[69:70]
	v_add_f64 v[69:70], v[65:66], -v[67:68]
	;; [unrolled: 2-line block ×3, first 2 shown]
	v_add_f64 v[55:56], v[55:56], -v[69:70]
	v_add_f64 v[65:66], v[63:64], v[61:62]
	v_add_f64 v[67:68], v[67:68], -v[71:72]
	v_add_f64 v[63:64], v[65:66], -v[63:64]
	v_add_f64 v[55:56], v[55:56], v[67:68]
	v_add_f64 v[61:62], v[61:62], -v[63:64]
	v_add_f64 v[55:56], v[55:56], v[61:62]
	v_mov_b32_e32 v61, 0x7ff80000
	v_add_f64 v[55:56], v[65:66], v[55:56]
	v_cndmask_b32_e64 v56, v79, v56, s[42:43]
	v_cndmask_b32_e64 v56, v61, v56, s[44:45]
	v_cmp_nge_f64_e64 s[44:45], -1.0, v[53:54]
	s_and_b64 s[42:43], s[44:45], s[42:43]
	v_cndmask_b32_e64 v55, 0, v55, s[42:43]
	v_cmp_neq_f64_e64 s[42:43], -1.0, v[53:54]
	v_mov_b32_e32 v53, 0xfff00000
	v_cndmask_b32_e64 v56, v53, v56, s[42:43]
	v_add_f64 v[53:54], v[23:24], v[55:56]
.LBB60_52:
	s_or_b64 exec, exec, s[52:53]
	v_mov_b32_e32 v23, v53
	v_mov_b32_e32 v24, v54
	;; [unrolled: 1-line block ×4, first 2 shown]
.LBB60_53:
	s_or_b64 exec, exec, s[50:51]
	v_mov_b32_dpp v53, v55 row_shr:8 row_mask:0xf bank_mask:0xf
	v_mov_b32_dpp v54, v56 row_shr:8 row_mask:0xf bank_mask:0xf
	v_cmp_lt_u32_e64 s[42:43], 7, v60
	s_and_saveexec_b64 s[50:51], s[42:43]
	s_cbranch_execz .LBB60_57
; %bb.54:
	v_max_f64 v[55:56], v[53:54], v[53:54]
	v_max_f64 v[60:61], v[23:24], v[23:24]
	v_cmp_u_f64_e64 s[42:43], v[53:54], v[53:54]
	v_cmp_u_f64_e64 s[44:45], v[23:24], v[23:24]
	v_min_f64 v[62:63], v[55:56], v[60:61]
	v_max_f64 v[55:56], v[55:56], v[60:61]
	v_cndmask_b32_e64 v60, v63, v54, s[42:43]
	v_cndmask_b32_e64 v61, v62, v53, s[42:43]
	;; [unrolled: 1-line block ×8, first 2 shown]
	v_cmp_neq_f64_e64 s[42:43], v[55:56], v[23:24]
	v_cmp_class_f64_e64 s[44:45], v[55:56], s33
	s_or_b64 s[42:43], s[42:43], s[44:45]
	s_and_saveexec_b64 s[52:53], s[42:43]
	s_cbranch_execz .LBB60_56
; %bb.55:
	v_add_f64 v[53:54], v[55:56], -v[23:24]
	s_mov_b32 s42, 0x652b82fe
	s_mov_b32 s43, 0x3ff71547
	;; [unrolled: 1-line block ×6, first 2 shown]
	v_mov_b32_e32 v62, 0xfca7ab0c
	v_mul_f64 v[55:56], v[53:54], s[42:43]
	s_mov_b32 s42, 0x6a5dcb37
	v_mov_b32_e32 v63, 0x3e928af3
	s_mov_b32 s43, 0x3e5ade15
	s_mov_b32 s44, 0
	;; [unrolled: 1-line block ×3, first 2 shown]
	v_cmp_ngt_f64_e64 s[44:45], s[44:45], v[53:54]
	v_mov_b32_e32 v80, 0x7ff00000
	v_rndne_f64_e32 v[55:56], v[55:56]
	v_fma_f64 v[60:61], v[55:56], s[54:55], v[53:54]
	s_mov_b32 s55, 0x3fe62e42
	v_fma_f64 v[60:61], v[55:56], s[56:57], v[60:61]
	v_cvt_i32_f64_e32 v55, v[55:56]
	s_mov_b32 s57, 0x3c7abc9e
	v_fma_f64 v[62:63], v[60:61], s[42:43], v[62:63]
	s_mov_b32 s42, 0x623fde64
	s_mov_b32 s43, 0x3ec71dee
	v_fma_f64 v[62:63], v[60:61], v[62:63], s[42:43]
	s_mov_b32 s42, 0x7c89e6b0
	;; [unrolled: 3-line block ×9, first 2 shown]
	s_mov_b32 s43, 0x40900000
	v_cmp_nlt_f64_e64 s[42:43], s[42:43], v[53:54]
	v_fma_f64 v[62:63], v[60:61], v[62:63], 1.0
	v_fma_f64 v[60:61], v[60:61], v[62:63], 1.0
	v_ldexp_f64 v[55:56], v[60:61], v55
	v_cndmask_b32_e64 v56, v80, v56, s[42:43]
	s_and_b64 s[42:43], s[44:45], s[42:43]
	v_cndmask_b32_e64 v54, 0, v56, s[44:45]
	v_cndmask_b32_e64 v53, 0, v55, s[42:43]
	v_add_f64 v[55:56], v[53:54], 1.0
	s_mov_b32 s45, 0x3fe55555
	s_mov_b32 s44, 0x55555555
	v_frexp_mant_f64_e32 v[62:63], v[55:56]
	v_frexp_exp_i32_f64_e32 v66, v[55:56]
	v_add_f64 v[60:61], v[55:56], -1.0
	v_cmp_gt_f64_e64 s[42:43], s[44:45], v[62:63]
	s_mov_b32 s44, 0x55555780
	v_add_f64 v[64:65], v[60:61], -v[55:56]
	v_add_f64 v[60:61], v[53:54], -v[60:61]
	v_subbrev_co_u32_e64 v81, s[42:43], 0, v66, s[42:43]
	v_sub_u32_e32 v66, 0, v81
	v_ldexp_f64 v[55:56], v[55:56], v66
	v_add_f64 v[62:63], v[64:65], 1.0
	s_mov_b32 s42, 0xbf559e2b
	s_mov_b32 s43, 0x3fc3ab76
	v_add_f64 v[64:65], v[55:56], 1.0
	v_add_f64 v[60:61], v[60:61], v[62:63]
	v_add_f64 v[70:71], v[55:56], -1.0
	v_add_f64 v[62:63], v[64:65], -1.0
	v_ldexp_f64 v[60:61], v[60:61], v66
	v_add_f64 v[72:73], v[70:71], 1.0
	v_add_f64 v[62:63], v[55:56], -v[62:63]
	v_add_f64 v[55:56], v[55:56], -v[72:73]
	v_add_f64 v[62:63], v[60:61], v[62:63]
	v_add_f64 v[55:56], v[60:61], v[55:56]
	;; [unrolled: 1-line block ×4, first 2 shown]
	v_rcp_f64_e32 v[68:69], v[66:67]
	v_add_f64 v[64:65], v[66:67], -v[64:65]
	v_add_f64 v[70:71], v[72:73], -v[70:71]
	;; [unrolled: 1-line block ×4, first 2 shown]
	v_fma_f64 v[74:75], -v[66:67], v[68:69], 1.0
	v_fma_f64 v[68:69], v[74:75], v[68:69], v[68:69]
	v_fma_f64 v[60:61], -v[66:67], v[68:69], 1.0
	v_fma_f64 v[60:61], v[60:61], v[68:69], v[68:69]
	v_mul_f64 v[68:69], v[72:73], v[60:61]
	v_mul_f64 v[74:75], v[66:67], v[68:69]
	v_fma_f64 v[64:65], v[68:69], v[66:67], -v[74:75]
	v_fma_f64 v[64:65], v[68:69], v[62:63], v[64:65]
	v_add_f64 v[76:77], v[74:75], v[64:65]
	v_add_f64 v[78:79], v[72:73], -v[76:77]
	v_add_f64 v[70:71], v[76:77], -v[74:75]
	;; [unrolled: 1-line block ×5, first 2 shown]
	v_add_f64 v[55:56], v[55:56], v[72:73]
	v_add_f64 v[55:56], v[64:65], v[55:56]
	;; [unrolled: 1-line block ×3, first 2 shown]
	v_mul_f64 v[70:71], v[60:61], v[64:65]
	v_add_f64 v[76:77], v[78:79], -v[64:65]
	v_mul_f64 v[72:73], v[66:67], v[70:71]
	v_add_f64 v[55:56], v[55:56], v[76:77]
	v_fma_f64 v[66:67], v[70:71], v[66:67], -v[72:73]
	v_fma_f64 v[62:63], v[70:71], v[62:63], v[66:67]
	v_add_f64 v[66:67], v[72:73], v[62:63]
	v_add_f64 v[74:75], v[64:65], -v[66:67]
	v_add_f64 v[72:73], v[66:67], -v[72:73]
	;; [unrolled: 1-line block ×5, first 2 shown]
	v_mov_b32_e32 v66, 0x6b47b09a
	v_mov_b32_e32 v67, 0x3fc38538
	v_add_f64 v[55:56], v[55:56], v[64:65]
	v_add_f64 v[64:65], v[68:69], v[70:71]
	;; [unrolled: 1-line block ×3, first 2 shown]
	v_add_f64 v[62:63], v[64:65], -v[68:69]
	v_add_f64 v[55:56], v[74:75], v[55:56]
	v_add_f64 v[62:63], v[70:71], -v[62:63]
	v_mul_f64 v[55:56], v[60:61], v[55:56]
	v_add_f64 v[55:56], v[62:63], v[55:56]
	v_add_f64 v[60:61], v[64:65], v[55:56]
	v_mul_f64 v[62:63], v[60:61], v[60:61]
	v_fma_f64 v[66:67], v[62:63], s[42:43], v[66:67]
	s_mov_b32 s42, 0xd7f4df2e
	s_mov_b32 s43, 0x3fc7474d
	v_mul_f64 v[68:69], v[60:61], v[62:63]
	v_fma_f64 v[66:67], v[62:63], v[66:67], s[42:43]
	s_mov_b32 s42, 0x16291751
	s_mov_b32 s43, 0x3fcc71c0
	v_fma_f64 v[66:67], v[62:63], v[66:67], s[42:43]
	s_mov_b32 s42, 0x9b27acf1
	s_mov_b32 s43, 0x3fd24924
	;; [unrolled: 3-line block ×3, first 2 shown]
	v_fma_f64 v[66:67], v[62:63], v[66:67], s[42:43]
	v_cmp_nge_f64_e64 s[42:43], -1.0, v[53:54]
	v_fma_f64 v[62:63], v[62:63], v[66:67], s[44:45]
	v_ldexp_f64 v[66:67], v[60:61], 1
	v_add_f64 v[60:61], v[60:61], -v[64:65]
	s_mov_b32 s44, 0
	s_mov_b32 s45, 0x7ff00000
	v_cmp_neq_f64_e64 s[44:45], s[44:45], v[53:54]
	v_mul_f64 v[62:63], v[68:69], v[62:63]
	v_cvt_f64_i32_e32 v[68:69], v81
	v_add_f64 v[55:56], v[55:56], -v[60:61]
	v_mul_f64 v[70:71], v[68:69], s[54:55]
	s_and_b64 s[42:43], s[42:43], s[44:45]
	v_add_f64 v[64:65], v[66:67], v[62:63]
	v_ldexp_f64 v[55:56], v[55:56], 1
	v_add_f64 v[60:61], v[64:65], -v[66:67]
	v_fma_f64 v[66:67], v[68:69], s[54:55], -v[70:71]
	v_add_f64 v[60:61], v[62:63], -v[60:61]
	v_fma_f64 v[62:63], v[68:69], s[56:57], v[66:67]
	v_add_f64 v[55:56], v[55:56], v[60:61]
	v_add_f64 v[60:61], v[70:71], v[62:63]
	;; [unrolled: 1-line block ×3, first 2 shown]
	v_add_f64 v[70:71], v[60:61], -v[70:71]
	v_add_f64 v[68:69], v[60:61], v[66:67]
	v_add_f64 v[64:65], v[66:67], -v[64:65]
	v_add_f64 v[62:63], v[62:63], -v[70:71]
	;; [unrolled: 1-line block ×6, first 2 shown]
	v_add_f64 v[66:67], v[62:63], v[55:56]
	v_add_f64 v[60:61], v[60:61], -v[74:75]
	v_add_f64 v[60:61], v[64:65], v[60:61]
	v_add_f64 v[64:65], v[66:67], -v[62:63]
	;; [unrolled: 2-line block ×3, first 2 shown]
	v_add_f64 v[55:56], v[55:56], -v[64:65]
	v_add_f64 v[70:71], v[68:69], v[60:61]
	v_add_f64 v[62:63], v[62:63], -v[66:67]
	v_add_f64 v[64:65], v[70:71], -v[68:69]
	v_add_f64 v[55:56], v[55:56], v[62:63]
	v_add_f64 v[60:61], v[60:61], -v[64:65]
	v_add_f64 v[55:56], v[55:56], v[60:61]
	v_mov_b32_e32 v60, 0x7ff80000
	v_mov_b32_e32 v61, 0xfff00000
	v_add_f64 v[55:56], v[70:71], v[55:56]
	v_cndmask_b32_e64 v55, 0, v55, s[42:43]
	v_cmp_ngt_f64_e64 s[42:43], -1.0, v[53:54]
	v_cndmask_b32_e64 v56, v80, v56, s[44:45]
	v_cndmask_b32_e64 v56, v60, v56, s[42:43]
	v_cmp_neq_f64_e64 s[42:43], -1.0, v[53:54]
	v_cndmask_b32_e64 v56, v61, v56, s[42:43]
	v_add_f64 v[53:54], v[23:24], v[55:56]
.LBB60_56:
	s_or_b64 exec, exec, s[52:53]
	v_mov_b32_e32 v23, v53
	v_mov_b32_e32 v24, v54
	;; [unrolled: 1-line block ×4, first 2 shown]
.LBB60_57:
	s_or_b64 exec, exec, s[50:51]
	v_and_b32_e32 v60, 16, v59
	v_mov_b32_dpp v53, v55 row_bcast:15 row_mask:0xf bank_mask:0xf
	v_mov_b32_dpp v54, v56 row_bcast:15 row_mask:0xf bank_mask:0xf
	v_cmp_ne_u32_e64 s[42:43], 0, v60
	s_and_saveexec_b64 s[50:51], s[42:43]
	s_cbranch_execz .LBB60_61
; %bb.58:
	v_max_f64 v[55:56], v[53:54], v[53:54]
	v_max_f64 v[60:61], v[23:24], v[23:24]
	v_cmp_u_f64_e64 s[42:43], v[53:54], v[53:54]
	v_cmp_u_f64_e64 s[44:45], v[23:24], v[23:24]
	v_min_f64 v[62:63], v[55:56], v[60:61]
	v_max_f64 v[55:56], v[55:56], v[60:61]
	v_cndmask_b32_e64 v60, v63, v54, s[42:43]
	v_cndmask_b32_e64 v61, v62, v53, s[42:43]
	;; [unrolled: 1-line block ×8, first 2 shown]
	v_cmp_neq_f64_e64 s[42:43], v[55:56], v[23:24]
	v_cmp_class_f64_e64 s[44:45], v[55:56], s33
	s_or_b64 s[42:43], s[42:43], s[44:45]
	s_and_saveexec_b64 s[52:53], s[42:43]
	s_cbranch_execz .LBB60_60
; %bb.59:
	v_add_f64 v[53:54], v[55:56], -v[23:24]
	s_mov_b32 s42, 0x652b82fe
	s_mov_b32 s43, 0x3ff71547
	;; [unrolled: 1-line block ×6, first 2 shown]
	v_mov_b32_e32 v62, 0xfca7ab0c
	v_mul_f64 v[55:56], v[53:54], s[42:43]
	s_mov_b32 s42, 0x6a5dcb37
	v_mov_b32_e32 v63, 0x3e928af3
	s_mov_b32 s43, 0x3e5ade15
	s_mov_b32 s44, 0
	;; [unrolled: 1-line block ×3, first 2 shown]
	v_cmp_ngt_f64_e64 s[44:45], s[44:45], v[53:54]
	v_mov_b32_e32 v80, 0x7ff00000
	v_rndne_f64_e32 v[55:56], v[55:56]
	v_fma_f64 v[60:61], v[55:56], s[54:55], v[53:54]
	s_mov_b32 s55, 0x3fe62e42
	v_fma_f64 v[60:61], v[55:56], s[56:57], v[60:61]
	v_cvt_i32_f64_e32 v55, v[55:56]
	s_mov_b32 s57, 0x3c7abc9e
	v_fma_f64 v[62:63], v[60:61], s[42:43], v[62:63]
	s_mov_b32 s42, 0x623fde64
	s_mov_b32 s43, 0x3ec71dee
	v_fma_f64 v[62:63], v[60:61], v[62:63], s[42:43]
	s_mov_b32 s42, 0x7c89e6b0
	s_mov_b32 s43, 0x3efa0199
	v_fma_f64 v[62:63], v[60:61], v[62:63], s[42:43]
	s_mov_b32 s42, 0x14761f6e
	s_mov_b32 s43, 0x3f2a01a0
	v_fma_f64 v[62:63], v[60:61], v[62:63], s[42:43]
	s_mov_b32 s42, 0x1852b7b0
	s_mov_b32 s43, 0x3f56c16c
	v_fma_f64 v[62:63], v[60:61], v[62:63], s[42:43]
	s_mov_b32 s42, 0x11122322
	s_mov_b32 s43, 0x3f811111
	v_fma_f64 v[62:63], v[60:61], v[62:63], s[42:43]
	s_mov_b32 s42, 0x555502a1
	s_mov_b32 s43, 0x3fa55555
	v_fma_f64 v[62:63], v[60:61], v[62:63], s[42:43]
	s_mov_b32 s42, 0x55555511
	s_mov_b32 s43, 0x3fc55555
	v_fma_f64 v[62:63], v[60:61], v[62:63], s[42:43]
	s_mov_b32 s42, 11
	s_mov_b32 s43, 0x3fe00000
	v_fma_f64 v[62:63], v[60:61], v[62:63], s[42:43]
	s_mov_b32 s42, 0
	s_mov_b32 s43, 0x40900000
	v_cmp_nlt_f64_e64 s[42:43], s[42:43], v[53:54]
	v_fma_f64 v[62:63], v[60:61], v[62:63], 1.0
	v_fma_f64 v[60:61], v[60:61], v[62:63], 1.0
	v_ldexp_f64 v[55:56], v[60:61], v55
	v_cndmask_b32_e64 v56, v80, v56, s[42:43]
	s_and_b64 s[42:43], s[44:45], s[42:43]
	v_cndmask_b32_e64 v54, 0, v56, s[44:45]
	v_cndmask_b32_e64 v53, 0, v55, s[42:43]
	v_add_f64 v[55:56], v[53:54], 1.0
	s_mov_b32 s45, 0x3fe55555
	s_mov_b32 s44, 0x55555555
	v_frexp_mant_f64_e32 v[62:63], v[55:56]
	v_frexp_exp_i32_f64_e32 v66, v[55:56]
	v_add_f64 v[60:61], v[55:56], -1.0
	v_cmp_gt_f64_e64 s[42:43], s[44:45], v[62:63]
	s_mov_b32 s44, 0x55555780
	v_add_f64 v[64:65], v[60:61], -v[55:56]
	v_add_f64 v[60:61], v[53:54], -v[60:61]
	v_subbrev_co_u32_e64 v81, s[42:43], 0, v66, s[42:43]
	v_sub_u32_e32 v66, 0, v81
	v_ldexp_f64 v[55:56], v[55:56], v66
	v_add_f64 v[62:63], v[64:65], 1.0
	s_mov_b32 s42, 0xbf559e2b
	s_mov_b32 s43, 0x3fc3ab76
	v_add_f64 v[64:65], v[55:56], 1.0
	v_add_f64 v[60:61], v[60:61], v[62:63]
	v_add_f64 v[70:71], v[55:56], -1.0
	v_add_f64 v[62:63], v[64:65], -1.0
	v_ldexp_f64 v[60:61], v[60:61], v66
	v_add_f64 v[72:73], v[70:71], 1.0
	v_add_f64 v[62:63], v[55:56], -v[62:63]
	v_add_f64 v[55:56], v[55:56], -v[72:73]
	v_add_f64 v[62:63], v[60:61], v[62:63]
	v_add_f64 v[55:56], v[60:61], v[55:56]
	v_add_f64 v[66:67], v[64:65], v[62:63]
	v_add_f64 v[72:73], v[70:71], v[55:56]
	v_rcp_f64_e32 v[68:69], v[66:67]
	v_add_f64 v[64:65], v[66:67], -v[64:65]
	v_add_f64 v[70:71], v[72:73], -v[70:71]
	;; [unrolled: 1-line block ×4, first 2 shown]
	v_fma_f64 v[74:75], -v[66:67], v[68:69], 1.0
	v_fma_f64 v[68:69], v[74:75], v[68:69], v[68:69]
	v_fma_f64 v[60:61], -v[66:67], v[68:69], 1.0
	v_fma_f64 v[60:61], v[60:61], v[68:69], v[68:69]
	v_mul_f64 v[68:69], v[72:73], v[60:61]
	v_mul_f64 v[74:75], v[66:67], v[68:69]
	v_fma_f64 v[64:65], v[68:69], v[66:67], -v[74:75]
	v_fma_f64 v[64:65], v[68:69], v[62:63], v[64:65]
	v_add_f64 v[76:77], v[74:75], v[64:65]
	v_add_f64 v[78:79], v[72:73], -v[76:77]
	v_add_f64 v[70:71], v[76:77], -v[74:75]
	v_add_f64 v[72:73], v[72:73], -v[78:79]
	v_add_f64 v[64:65], v[70:71], -v[64:65]
	v_add_f64 v[72:73], v[72:73], -v[76:77]
	v_add_f64 v[55:56], v[55:56], v[72:73]
	v_add_f64 v[55:56], v[64:65], v[55:56]
	v_add_f64 v[64:65], v[78:79], v[55:56]
	v_mul_f64 v[70:71], v[60:61], v[64:65]
	v_add_f64 v[76:77], v[78:79], -v[64:65]
	v_mul_f64 v[72:73], v[66:67], v[70:71]
	v_add_f64 v[55:56], v[55:56], v[76:77]
	v_fma_f64 v[66:67], v[70:71], v[66:67], -v[72:73]
	v_fma_f64 v[62:63], v[70:71], v[62:63], v[66:67]
	v_add_f64 v[66:67], v[72:73], v[62:63]
	v_add_f64 v[74:75], v[64:65], -v[66:67]
	v_add_f64 v[72:73], v[66:67], -v[72:73]
	;; [unrolled: 1-line block ×5, first 2 shown]
	v_mov_b32_e32 v66, 0x6b47b09a
	v_mov_b32_e32 v67, 0x3fc38538
	v_add_f64 v[55:56], v[55:56], v[64:65]
	v_add_f64 v[64:65], v[68:69], v[70:71]
	;; [unrolled: 1-line block ×3, first 2 shown]
	v_add_f64 v[62:63], v[64:65], -v[68:69]
	v_add_f64 v[55:56], v[74:75], v[55:56]
	v_add_f64 v[62:63], v[70:71], -v[62:63]
	v_mul_f64 v[55:56], v[60:61], v[55:56]
	v_add_f64 v[55:56], v[62:63], v[55:56]
	v_add_f64 v[60:61], v[64:65], v[55:56]
	v_mul_f64 v[62:63], v[60:61], v[60:61]
	v_fma_f64 v[66:67], v[62:63], s[42:43], v[66:67]
	s_mov_b32 s42, 0xd7f4df2e
	s_mov_b32 s43, 0x3fc7474d
	v_mul_f64 v[68:69], v[60:61], v[62:63]
	v_fma_f64 v[66:67], v[62:63], v[66:67], s[42:43]
	s_mov_b32 s42, 0x16291751
	s_mov_b32 s43, 0x3fcc71c0
	v_fma_f64 v[66:67], v[62:63], v[66:67], s[42:43]
	s_mov_b32 s42, 0x9b27acf1
	s_mov_b32 s43, 0x3fd24924
	;; [unrolled: 3-line block ×3, first 2 shown]
	v_fma_f64 v[66:67], v[62:63], v[66:67], s[42:43]
	v_cmp_nge_f64_e64 s[42:43], -1.0, v[53:54]
	v_fma_f64 v[62:63], v[62:63], v[66:67], s[44:45]
	v_ldexp_f64 v[66:67], v[60:61], 1
	v_add_f64 v[60:61], v[60:61], -v[64:65]
	s_mov_b32 s44, 0
	s_mov_b32 s45, 0x7ff00000
	v_cmp_neq_f64_e64 s[44:45], s[44:45], v[53:54]
	v_mul_f64 v[62:63], v[68:69], v[62:63]
	v_cvt_f64_i32_e32 v[68:69], v81
	v_add_f64 v[55:56], v[55:56], -v[60:61]
	v_mul_f64 v[70:71], v[68:69], s[54:55]
	s_and_b64 s[42:43], s[42:43], s[44:45]
	v_add_f64 v[64:65], v[66:67], v[62:63]
	v_ldexp_f64 v[55:56], v[55:56], 1
	v_add_f64 v[60:61], v[64:65], -v[66:67]
	v_fma_f64 v[66:67], v[68:69], s[54:55], -v[70:71]
	v_add_f64 v[60:61], v[62:63], -v[60:61]
	v_fma_f64 v[62:63], v[68:69], s[56:57], v[66:67]
	v_add_f64 v[55:56], v[55:56], v[60:61]
	v_add_f64 v[60:61], v[70:71], v[62:63]
	;; [unrolled: 1-line block ×3, first 2 shown]
	v_add_f64 v[70:71], v[60:61], -v[70:71]
	v_add_f64 v[68:69], v[60:61], v[66:67]
	v_add_f64 v[64:65], v[66:67], -v[64:65]
	v_add_f64 v[62:63], v[62:63], -v[70:71]
	;; [unrolled: 1-line block ×6, first 2 shown]
	v_add_f64 v[66:67], v[62:63], v[55:56]
	v_add_f64 v[60:61], v[60:61], -v[74:75]
	v_add_f64 v[60:61], v[64:65], v[60:61]
	v_add_f64 v[64:65], v[66:67], -v[62:63]
	;; [unrolled: 2-line block ×3, first 2 shown]
	v_add_f64 v[55:56], v[55:56], -v[64:65]
	v_add_f64 v[70:71], v[68:69], v[60:61]
	v_add_f64 v[62:63], v[62:63], -v[66:67]
	v_add_f64 v[64:65], v[70:71], -v[68:69]
	v_add_f64 v[55:56], v[55:56], v[62:63]
	v_add_f64 v[60:61], v[60:61], -v[64:65]
	v_add_f64 v[55:56], v[55:56], v[60:61]
	v_mov_b32_e32 v60, 0x7ff80000
	v_mov_b32_e32 v61, 0xfff00000
	v_add_f64 v[55:56], v[70:71], v[55:56]
	v_cndmask_b32_e64 v55, 0, v55, s[42:43]
	v_cmp_ngt_f64_e64 s[42:43], -1.0, v[53:54]
	v_cndmask_b32_e64 v56, v80, v56, s[44:45]
	v_cndmask_b32_e64 v56, v60, v56, s[42:43]
	v_cmp_neq_f64_e64 s[42:43], -1.0, v[53:54]
	v_cndmask_b32_e64 v56, v61, v56, s[42:43]
	v_add_f64 v[53:54], v[23:24], v[55:56]
.LBB60_60:
	s_or_b64 exec, exec, s[52:53]
	v_mov_b32_e32 v23, v53
	v_mov_b32_e32 v55, v53
	;; [unrolled: 1-line block ×4, first 2 shown]
.LBB60_61:
	s_or_b64 exec, exec, s[50:51]
	v_mov_b32_dpp v53, v55 row_bcast:31 row_mask:0xf bank_mask:0xf
	v_mov_b32_dpp v54, v56 row_bcast:31 row_mask:0xf bank_mask:0xf
	v_cmp_lt_u32_e64 s[42:43], 31, v59
	s_and_saveexec_b64 s[50:51], s[42:43]
	s_cbranch_execz .LBB60_65
; %bb.62:
	v_max_f64 v[55:56], v[53:54], v[53:54]
	v_max_f64 v[60:61], v[23:24], v[23:24]
	v_cmp_u_f64_e64 s[42:43], v[53:54], v[53:54]
	v_cmp_u_f64_e64 s[44:45], v[23:24], v[23:24]
	v_min_f64 v[62:63], v[55:56], v[60:61]
	v_max_f64 v[55:56], v[55:56], v[60:61]
	v_cndmask_b32_e64 v60, v63, v54, s[42:43]
	v_cndmask_b32_e64 v61, v62, v53, s[42:43]
	;; [unrolled: 1-line block ×8, first 2 shown]
	v_cmp_neq_f64_e64 s[42:43], v[55:56], v[23:24]
	v_cmp_class_f64_e64 s[44:45], v[55:56], s33
	s_or_b64 s[42:43], s[42:43], s[44:45]
	s_and_saveexec_b64 s[52:53], s[42:43]
	s_cbranch_execz .LBB60_64
; %bb.63:
	v_add_f64 v[53:54], v[55:56], -v[23:24]
	s_mov_b32 s42, 0x652b82fe
	s_mov_b32 s43, 0x3ff71547
	;; [unrolled: 1-line block ×6, first 2 shown]
	v_mov_b32_e32 v62, 0xfca7ab0c
	v_mul_f64 v[55:56], v[53:54], s[42:43]
	s_mov_b32 s42, 0x6a5dcb37
	v_mov_b32_e32 v63, 0x3e928af3
	s_mov_b32 s43, 0x3e5ade15
	s_mov_b32 s44, 0
	;; [unrolled: 1-line block ×3, first 2 shown]
	v_cmp_ngt_f64_e64 s[44:45], s[44:45], v[53:54]
	v_mov_b32_e32 v80, 0x7ff00000
	v_rndne_f64_e32 v[55:56], v[55:56]
	v_fma_f64 v[60:61], v[55:56], s[54:55], v[53:54]
	s_mov_b32 s55, 0x3fe62e42
	v_fma_f64 v[60:61], v[55:56], s[56:57], v[60:61]
	v_cvt_i32_f64_e32 v55, v[55:56]
	s_mov_b32 s57, 0x3c7abc9e
	v_fma_f64 v[62:63], v[60:61], s[42:43], v[62:63]
	s_mov_b32 s42, 0x623fde64
	s_mov_b32 s43, 0x3ec71dee
	v_fma_f64 v[62:63], v[60:61], v[62:63], s[42:43]
	s_mov_b32 s42, 0x7c89e6b0
	;; [unrolled: 3-line block ×9, first 2 shown]
	s_mov_b32 s43, 0x40900000
	v_cmp_nlt_f64_e64 s[42:43], s[42:43], v[53:54]
	v_fma_f64 v[62:63], v[60:61], v[62:63], 1.0
	v_fma_f64 v[60:61], v[60:61], v[62:63], 1.0
	v_ldexp_f64 v[55:56], v[60:61], v55
	v_cndmask_b32_e64 v56, v80, v56, s[42:43]
	s_and_b64 s[42:43], s[44:45], s[42:43]
	v_cndmask_b32_e64 v54, 0, v56, s[44:45]
	v_cndmask_b32_e64 v53, 0, v55, s[42:43]
	v_add_f64 v[55:56], v[53:54], 1.0
	s_mov_b32 s45, 0x3fe55555
	s_mov_b32 s44, 0x55555555
	v_frexp_mant_f64_e32 v[62:63], v[55:56]
	v_frexp_exp_i32_f64_e32 v66, v[55:56]
	v_add_f64 v[60:61], v[55:56], -1.0
	v_cmp_gt_f64_e64 s[42:43], s[44:45], v[62:63]
	s_mov_b32 s44, 0x55555780
	v_add_f64 v[64:65], v[60:61], -v[55:56]
	v_add_f64 v[60:61], v[53:54], -v[60:61]
	v_subbrev_co_u32_e64 v81, s[42:43], 0, v66, s[42:43]
	v_sub_u32_e32 v66, 0, v81
	v_ldexp_f64 v[55:56], v[55:56], v66
	v_add_f64 v[62:63], v[64:65], 1.0
	s_mov_b32 s42, 0xbf559e2b
	s_mov_b32 s43, 0x3fc3ab76
	v_add_f64 v[64:65], v[55:56], 1.0
	v_add_f64 v[60:61], v[60:61], v[62:63]
	v_add_f64 v[70:71], v[55:56], -1.0
	v_add_f64 v[62:63], v[64:65], -1.0
	v_ldexp_f64 v[60:61], v[60:61], v66
	v_add_f64 v[72:73], v[70:71], 1.0
	v_add_f64 v[62:63], v[55:56], -v[62:63]
	v_add_f64 v[55:56], v[55:56], -v[72:73]
	v_add_f64 v[62:63], v[60:61], v[62:63]
	v_add_f64 v[55:56], v[60:61], v[55:56]
	;; [unrolled: 1-line block ×4, first 2 shown]
	v_rcp_f64_e32 v[68:69], v[66:67]
	v_add_f64 v[64:65], v[66:67], -v[64:65]
	v_add_f64 v[70:71], v[72:73], -v[70:71]
	;; [unrolled: 1-line block ×4, first 2 shown]
	v_fma_f64 v[74:75], -v[66:67], v[68:69], 1.0
	v_fma_f64 v[68:69], v[74:75], v[68:69], v[68:69]
	v_fma_f64 v[60:61], -v[66:67], v[68:69], 1.0
	v_fma_f64 v[60:61], v[60:61], v[68:69], v[68:69]
	v_mul_f64 v[68:69], v[72:73], v[60:61]
	v_mul_f64 v[74:75], v[66:67], v[68:69]
	v_fma_f64 v[64:65], v[68:69], v[66:67], -v[74:75]
	v_fma_f64 v[64:65], v[68:69], v[62:63], v[64:65]
	v_add_f64 v[76:77], v[74:75], v[64:65]
	v_add_f64 v[78:79], v[72:73], -v[76:77]
	v_add_f64 v[70:71], v[76:77], -v[74:75]
	;; [unrolled: 1-line block ×5, first 2 shown]
	v_add_f64 v[55:56], v[55:56], v[72:73]
	v_add_f64 v[55:56], v[64:65], v[55:56]
	;; [unrolled: 1-line block ×3, first 2 shown]
	v_mul_f64 v[70:71], v[60:61], v[64:65]
	v_add_f64 v[76:77], v[78:79], -v[64:65]
	v_mul_f64 v[72:73], v[66:67], v[70:71]
	v_add_f64 v[55:56], v[55:56], v[76:77]
	v_fma_f64 v[66:67], v[70:71], v[66:67], -v[72:73]
	v_fma_f64 v[62:63], v[70:71], v[62:63], v[66:67]
	v_add_f64 v[66:67], v[72:73], v[62:63]
	v_add_f64 v[74:75], v[64:65], -v[66:67]
	v_add_f64 v[72:73], v[66:67], -v[72:73]
	;; [unrolled: 1-line block ×5, first 2 shown]
	v_mov_b32_e32 v66, 0x6b47b09a
	v_mov_b32_e32 v67, 0x3fc38538
	v_add_f64 v[55:56], v[55:56], v[64:65]
	v_add_f64 v[64:65], v[68:69], v[70:71]
	;; [unrolled: 1-line block ×3, first 2 shown]
	v_add_f64 v[62:63], v[64:65], -v[68:69]
	v_add_f64 v[55:56], v[74:75], v[55:56]
	v_add_f64 v[62:63], v[70:71], -v[62:63]
	v_mul_f64 v[55:56], v[60:61], v[55:56]
	v_add_f64 v[55:56], v[62:63], v[55:56]
	v_add_f64 v[60:61], v[64:65], v[55:56]
	v_mul_f64 v[62:63], v[60:61], v[60:61]
	v_fma_f64 v[66:67], v[62:63], s[42:43], v[66:67]
	s_mov_b32 s42, 0xd7f4df2e
	s_mov_b32 s43, 0x3fc7474d
	v_mul_f64 v[68:69], v[60:61], v[62:63]
	v_fma_f64 v[66:67], v[62:63], v[66:67], s[42:43]
	s_mov_b32 s42, 0x16291751
	s_mov_b32 s43, 0x3fcc71c0
	v_fma_f64 v[66:67], v[62:63], v[66:67], s[42:43]
	s_mov_b32 s42, 0x9b27acf1
	s_mov_b32 s43, 0x3fd24924
	;; [unrolled: 3-line block ×3, first 2 shown]
	v_fma_f64 v[66:67], v[62:63], v[66:67], s[42:43]
	v_cmp_nge_f64_e64 s[42:43], -1.0, v[53:54]
	v_fma_f64 v[62:63], v[62:63], v[66:67], s[44:45]
	v_ldexp_f64 v[66:67], v[60:61], 1
	v_add_f64 v[60:61], v[60:61], -v[64:65]
	s_mov_b32 s44, 0
	s_mov_b32 s45, 0x7ff00000
	v_cmp_neq_f64_e64 s[44:45], s[44:45], v[53:54]
	v_mul_f64 v[62:63], v[68:69], v[62:63]
	v_cvt_f64_i32_e32 v[68:69], v81
	v_add_f64 v[55:56], v[55:56], -v[60:61]
	v_mul_f64 v[70:71], v[68:69], s[54:55]
	s_and_b64 s[42:43], s[42:43], s[44:45]
	v_add_f64 v[64:65], v[66:67], v[62:63]
	v_ldexp_f64 v[55:56], v[55:56], 1
	v_add_f64 v[60:61], v[64:65], -v[66:67]
	v_fma_f64 v[66:67], v[68:69], s[54:55], -v[70:71]
	v_add_f64 v[60:61], v[62:63], -v[60:61]
	v_fma_f64 v[62:63], v[68:69], s[56:57], v[66:67]
	v_add_f64 v[55:56], v[55:56], v[60:61]
	v_add_f64 v[60:61], v[70:71], v[62:63]
	;; [unrolled: 1-line block ×3, first 2 shown]
	v_add_f64 v[70:71], v[60:61], -v[70:71]
	v_add_f64 v[68:69], v[60:61], v[66:67]
	v_add_f64 v[64:65], v[66:67], -v[64:65]
	v_add_f64 v[62:63], v[62:63], -v[70:71]
	;; [unrolled: 1-line block ×6, first 2 shown]
	v_add_f64 v[66:67], v[62:63], v[55:56]
	v_add_f64 v[60:61], v[60:61], -v[74:75]
	v_add_f64 v[60:61], v[64:65], v[60:61]
	v_add_f64 v[64:65], v[66:67], -v[62:63]
	;; [unrolled: 2-line block ×3, first 2 shown]
	v_add_f64 v[55:56], v[55:56], -v[64:65]
	v_add_f64 v[70:71], v[68:69], v[60:61]
	v_add_f64 v[62:63], v[62:63], -v[66:67]
	v_add_f64 v[64:65], v[70:71], -v[68:69]
	v_add_f64 v[55:56], v[55:56], v[62:63]
	v_add_f64 v[60:61], v[60:61], -v[64:65]
	v_add_f64 v[55:56], v[55:56], v[60:61]
	v_mov_b32_e32 v60, 0x7ff80000
	v_mov_b32_e32 v61, 0xfff00000
	v_add_f64 v[55:56], v[70:71], v[55:56]
	v_cndmask_b32_e64 v55, 0, v55, s[42:43]
	v_cmp_ngt_f64_e64 s[42:43], -1.0, v[53:54]
	v_cndmask_b32_e64 v56, v80, v56, s[44:45]
	v_cndmask_b32_e64 v56, v60, v56, s[42:43]
	v_cmp_neq_f64_e64 s[42:43], -1.0, v[53:54]
	v_cndmask_b32_e64 v56, v61, v56, s[42:43]
	v_add_f64 v[53:54], v[23:24], v[55:56]
.LBB60_64:
	s_or_b64 exec, exec, s[52:53]
	v_mov_b32_e32 v23, v53
	v_mov_b32_e32 v24, v54
.LBB60_65:
	s_or_b64 exec, exec, s[50:51]
	v_add_u32_e32 v53, -1, v59
	v_and_b32_e32 v54, 64, v59
	v_cmp_lt_i32_e64 s[42:43], v53, v54
	v_cndmask_b32_e64 v53, v53, v59, s[42:43]
	v_lshlrev_b32_e32 v53, 2, v53
	ds_bpermute_b32 v23, v53, v23
	ds_bpermute_b32 v24, v53, v24
	s_waitcnt lgkmcnt(0)
	v_max_f64 v[53:54], v[23:24], v[23:24]
	v_cmp_u_f64_e64 s[42:43], v[23:24], v[23:24]
	v_min_f64 v[55:56], v[53:54], v[51:52]
	v_max_f64 v[51:52], v[53:54], v[51:52]
	v_cndmask_b32_e64 v53, v55, v23, s[42:43]
	v_cndmask_b32_e64 v54, v56, v24, s[42:43]
	;; [unrolled: 1-line block ×8, first 2 shown]
	v_cmp_neq_f64_e64 s[4:5], v[51:52], v[21:22]
	v_cmp_class_f64_e64 s[42:43], v[51:52], s33
	s_or_b64 s[4:5], s[4:5], s[42:43]
	s_and_saveexec_b64 s[44:45], s[4:5]
	s_cbranch_execz .LBB60_67
; %bb.66:
	v_add_f64 v[23:24], v[51:52], -v[21:22]
	s_mov_b32 s4, 0x652b82fe
	s_mov_b32 s5, 0x3ff71547
	s_mov_b32 s51, 0xbfe62e42
	s_mov_b32 s50, 0xfefa39ef
	s_mov_b32 s53, 0xbc7abc9e
	s_mov_b32 s52, 0x3b39803f
	v_mov_b32_e32 v55, 0xfca7ab0c
	v_mul_f64 v[51:52], v[23:24], s[4:5]
	s_mov_b32 s4, 0x6a5dcb37
	v_mov_b32_e32 v56, 0x3e928af3
	s_mov_b32 s5, 0x3e5ade15
	s_mov_b32 s42, 0
	;; [unrolled: 1-line block ×3, first 2 shown]
	v_cmp_ngt_f64_e64 s[42:43], s[42:43], v[23:24]
	v_mov_b32_e32 v75, 0x7ff00000
	v_rndne_f64_e32 v[51:52], v[51:52]
	v_fma_f64 v[53:54], v[51:52], s[50:51], v[23:24]
	s_mov_b32 s51, 0x3fe62e42
	v_fma_f64 v[53:54], v[51:52], s[52:53], v[53:54]
	v_cvt_i32_f64_e32 v51, v[51:52]
	s_mov_b32 s53, 0x3c7abc9e
	v_fma_f64 v[55:56], v[53:54], s[4:5], v[55:56]
	s_mov_b32 s4, 0x623fde64
	s_mov_b32 s5, 0x3ec71dee
	v_fma_f64 v[55:56], v[53:54], v[55:56], s[4:5]
	s_mov_b32 s4, 0x7c89e6b0
	;; [unrolled: 3-line block ×9, first 2 shown]
	s_mov_b32 s5, 0x40900000
	v_cmp_nlt_f64_e64 s[4:5], s[4:5], v[23:24]
	v_fma_f64 v[55:56], v[53:54], v[55:56], 1.0
	v_fma_f64 v[53:54], v[53:54], v[55:56], 1.0
	v_ldexp_f64 v[51:52], v[53:54], v51
	v_cndmask_b32_e64 v52, v75, v52, s[4:5]
	s_and_b64 s[4:5], s[42:43], s[4:5]
	v_cndmask_b32_e64 v24, 0, v52, s[42:43]
	v_cndmask_b32_e64 v23, 0, v51, s[4:5]
	v_add_f64 v[51:52], v[23:24], 1.0
	s_mov_b32 s43, 0x3fe55555
	s_mov_b32 s42, 0x55555555
	v_frexp_mant_f64_e32 v[55:56], v[51:52]
	v_frexp_exp_i32_f64_e32 v61, v[51:52]
	v_add_f64 v[53:54], v[51:52], -1.0
	v_cmp_gt_f64_e64 s[4:5], s[42:43], v[55:56]
	s_mov_b32 s42, 0x55555780
	v_add_f64 v[59:60], v[53:54], -v[51:52]
	v_add_f64 v[53:54], v[23:24], -v[53:54]
	v_subbrev_co_u32_e64 v76, s[4:5], 0, v61, s[4:5]
	v_sub_u32_e32 v61, 0, v76
	v_ldexp_f64 v[51:52], v[51:52], v61
	v_add_f64 v[55:56], v[59:60], 1.0
	s_mov_b32 s4, 0xbf559e2b
	s_mov_b32 s5, 0x3fc3ab76
	v_add_f64 v[59:60], v[51:52], 1.0
	v_add_f64 v[53:54], v[53:54], v[55:56]
	v_add_f64 v[65:66], v[51:52], -1.0
	v_add_f64 v[55:56], v[59:60], -1.0
	v_ldexp_f64 v[53:54], v[53:54], v61
	v_add_f64 v[67:68], v[65:66], 1.0
	v_add_f64 v[55:56], v[51:52], -v[55:56]
	v_add_f64 v[51:52], v[51:52], -v[67:68]
	v_add_f64 v[55:56], v[53:54], v[55:56]
	v_add_f64 v[51:52], v[53:54], v[51:52]
	;; [unrolled: 1-line block ×4, first 2 shown]
	v_rcp_f64_e32 v[63:64], v[61:62]
	v_add_f64 v[59:60], v[61:62], -v[59:60]
	v_add_f64 v[65:66], v[67:68], -v[65:66]
	;; [unrolled: 1-line block ×4, first 2 shown]
	v_fma_f64 v[69:70], -v[61:62], v[63:64], 1.0
	v_fma_f64 v[63:64], v[69:70], v[63:64], v[63:64]
	v_fma_f64 v[53:54], -v[61:62], v[63:64], 1.0
	v_fma_f64 v[53:54], v[53:54], v[63:64], v[63:64]
	v_mul_f64 v[63:64], v[67:68], v[53:54]
	v_mul_f64 v[69:70], v[61:62], v[63:64]
	v_fma_f64 v[59:60], v[63:64], v[61:62], -v[69:70]
	v_fma_f64 v[59:60], v[63:64], v[55:56], v[59:60]
	v_add_f64 v[71:72], v[69:70], v[59:60]
	v_add_f64 v[73:74], v[67:68], -v[71:72]
	v_add_f64 v[65:66], v[71:72], -v[69:70]
	;; [unrolled: 1-line block ×5, first 2 shown]
	v_add_f64 v[51:52], v[51:52], v[67:68]
	v_add_f64 v[51:52], v[59:60], v[51:52]
	;; [unrolled: 1-line block ×3, first 2 shown]
	v_mul_f64 v[65:66], v[53:54], v[59:60]
	v_add_f64 v[71:72], v[73:74], -v[59:60]
	v_mul_f64 v[67:68], v[61:62], v[65:66]
	v_add_f64 v[51:52], v[51:52], v[71:72]
	v_fma_f64 v[61:62], v[65:66], v[61:62], -v[67:68]
	v_fma_f64 v[55:56], v[65:66], v[55:56], v[61:62]
	v_add_f64 v[61:62], v[67:68], v[55:56]
	v_add_f64 v[69:70], v[59:60], -v[61:62]
	v_add_f64 v[67:68], v[61:62], -v[67:68]
	;; [unrolled: 1-line block ×5, first 2 shown]
	v_mov_b32_e32 v61, 0x6b47b09a
	v_mov_b32_e32 v62, 0x3fc38538
	v_add_f64 v[51:52], v[51:52], v[59:60]
	v_add_f64 v[59:60], v[63:64], v[65:66]
	;; [unrolled: 1-line block ×3, first 2 shown]
	v_add_f64 v[55:56], v[59:60], -v[63:64]
	v_add_f64 v[51:52], v[69:70], v[51:52]
	v_add_f64 v[55:56], v[65:66], -v[55:56]
	v_mul_f64 v[51:52], v[53:54], v[51:52]
	v_add_f64 v[51:52], v[55:56], v[51:52]
	v_add_f64 v[53:54], v[59:60], v[51:52]
	v_mul_f64 v[55:56], v[53:54], v[53:54]
	v_fma_f64 v[61:62], v[55:56], s[4:5], v[61:62]
	s_mov_b32 s4, 0xd7f4df2e
	s_mov_b32 s5, 0x3fc7474d
	v_mul_f64 v[63:64], v[53:54], v[55:56]
	v_fma_f64 v[61:62], v[55:56], v[61:62], s[4:5]
	s_mov_b32 s4, 0x16291751
	s_mov_b32 s5, 0x3fcc71c0
	v_fma_f64 v[61:62], v[55:56], v[61:62], s[4:5]
	s_mov_b32 s4, 0x9b27acf1
	s_mov_b32 s5, 0x3fd24924
	;; [unrolled: 3-line block ×3, first 2 shown]
	v_fma_f64 v[61:62], v[55:56], v[61:62], s[4:5]
	v_cmp_nge_f64_e64 s[4:5], -1.0, v[23:24]
	v_fma_f64 v[55:56], v[55:56], v[61:62], s[42:43]
	v_ldexp_f64 v[61:62], v[53:54], 1
	v_add_f64 v[53:54], v[53:54], -v[59:60]
	s_mov_b32 s42, 0
	s_mov_b32 s43, 0x7ff00000
	v_cmp_neq_f64_e64 s[42:43], s[42:43], v[23:24]
	v_mul_f64 v[55:56], v[63:64], v[55:56]
	v_cvt_f64_i32_e32 v[63:64], v76
	v_add_f64 v[51:52], v[51:52], -v[53:54]
	v_mul_f64 v[65:66], v[63:64], s[50:51]
	s_and_b64 s[4:5], s[4:5], s[42:43]
	v_add_f64 v[59:60], v[61:62], v[55:56]
	v_ldexp_f64 v[51:52], v[51:52], 1
	v_add_f64 v[53:54], v[59:60], -v[61:62]
	v_fma_f64 v[61:62], v[63:64], s[50:51], -v[65:66]
	v_add_f64 v[53:54], v[55:56], -v[53:54]
	v_fma_f64 v[55:56], v[63:64], s[52:53], v[61:62]
	v_add_f64 v[51:52], v[51:52], v[53:54]
	v_add_f64 v[53:54], v[65:66], v[55:56]
	;; [unrolled: 1-line block ×3, first 2 shown]
	v_add_f64 v[65:66], v[53:54], -v[65:66]
	v_add_f64 v[63:64], v[53:54], v[61:62]
	v_add_f64 v[59:60], v[61:62], -v[59:60]
	v_add_f64 v[55:56], v[55:56], -v[65:66]
	;; [unrolled: 1-line block ×6, first 2 shown]
	v_add_f64 v[61:62], v[55:56], v[51:52]
	v_add_f64 v[53:54], v[53:54], -v[69:70]
	v_add_f64 v[53:54], v[59:60], v[53:54]
	v_add_f64 v[59:60], v[61:62], -v[55:56]
	;; [unrolled: 2-line block ×3, first 2 shown]
	v_add_f64 v[51:52], v[51:52], -v[59:60]
	v_add_f64 v[65:66], v[63:64], v[53:54]
	v_add_f64 v[55:56], v[55:56], -v[61:62]
	v_add_f64 v[59:60], v[65:66], -v[63:64]
	v_add_f64 v[51:52], v[51:52], v[55:56]
	v_add_f64 v[53:54], v[53:54], -v[59:60]
	v_add_f64 v[51:52], v[51:52], v[53:54]
	v_mov_b32_e32 v53, 0x7ff80000
	v_mov_b32_e32 v54, 0xfff00000
	v_add_f64 v[51:52], v[65:66], v[51:52]
	v_cndmask_b32_e64 v51, 0, v51, s[4:5]
	v_cmp_ngt_f64_e64 s[4:5], -1.0, v[23:24]
	v_cndmask_b32_e64 v52, v75, v52, s[42:43]
	v_cndmask_b32_e64 v52, v53, v52, s[4:5]
	v_cmp_neq_f64_e64 s[4:5], -1.0, v[23:24]
	v_cndmask_b32_e64 v52, v54, v52, s[4:5]
	v_add_f64 v[23:24], v[21:22], v[51:52]
.LBB60_67:
	s_or_b64 exec, exec, s[44:45]
	v_cmp_eq_u32_e64 s[4:5], 0, v0
	v_cndmask_b32_e64 v24, v24, v50, s[4:5]
	v_cndmask_b32_e64 v23, v23, v49, s[4:5]
	; wave barrier
	ds_write_b64 v58, v[23:24]
	; wave barrier
	ds_read_b64 v[21:22], v58 offset:8
	v_max_f64 v[49:50], v[23:24], v[23:24]
	v_cmp_u_f64_e64 s[4:5], v[23:24], v[23:24]
	s_waitcnt lgkmcnt(0)
	v_max_f64 v[51:52], v[21:22], v[21:22]
	v_cmp_u_f64_e64 s[42:43], v[21:22], v[21:22]
	v_min_f64 v[53:54], v[49:50], v[51:52]
	v_max_f64 v[49:50], v[49:50], v[51:52]
	v_cndmask_b32_e64 v51, v53, v23, s[4:5]
	v_cndmask_b32_e64 v52, v54, v24, s[4:5]
	;; [unrolled: 1-line block ×8, first 2 shown]
	v_cmp_neq_f64_e64 s[4:5], v[49:50], v[21:22]
	v_cmp_class_f64_e64 s[42:43], v[49:50], s33
	s_or_b64 s[4:5], s[4:5], s[42:43]
	s_and_saveexec_b64 s[44:45], s[4:5]
	s_cbranch_execz .LBB60_69
; %bb.68:
	v_add_f64 v[23:24], v[49:50], -v[21:22]
	s_mov_b32 s4, 0x652b82fe
	s_mov_b32 s5, 0x3ff71547
	s_mov_b32 s51, 0xbfe62e42
	s_mov_b32 s50, 0xfefa39ef
	s_mov_b32 s53, 0xbc7abc9e
	s_mov_b32 s52, 0x3b39803f
	v_mov_b32_e32 v53, 0xfca7ab0c
	v_mul_f64 v[49:50], v[23:24], s[4:5]
	s_mov_b32 s4, 0x6a5dcb37
	v_mov_b32_e32 v54, 0x3e928af3
	s_mov_b32 s5, 0x3e5ade15
	s_mov_b32 s42, 0
	;; [unrolled: 1-line block ×3, first 2 shown]
	v_cmp_ngt_f64_e64 s[42:43], s[42:43], v[23:24]
	v_mov_b32_e32 v73, 0x7ff00000
	v_rndne_f64_e32 v[49:50], v[49:50]
	v_fma_f64 v[51:52], v[49:50], s[50:51], v[23:24]
	s_mov_b32 s51, 0x3fe62e42
	v_fma_f64 v[51:52], v[49:50], s[52:53], v[51:52]
	v_cvt_i32_f64_e32 v49, v[49:50]
	s_mov_b32 s53, 0x3c7abc9e
	v_fma_f64 v[53:54], v[51:52], s[4:5], v[53:54]
	s_mov_b32 s4, 0x623fde64
	s_mov_b32 s5, 0x3ec71dee
	v_fma_f64 v[53:54], v[51:52], v[53:54], s[4:5]
	s_mov_b32 s4, 0x7c89e6b0
	;; [unrolled: 3-line block ×9, first 2 shown]
	s_mov_b32 s5, 0x40900000
	v_cmp_nlt_f64_e64 s[4:5], s[4:5], v[23:24]
	v_fma_f64 v[53:54], v[51:52], v[53:54], 1.0
	v_fma_f64 v[51:52], v[51:52], v[53:54], 1.0
	v_ldexp_f64 v[49:50], v[51:52], v49
	v_cndmask_b32_e64 v50, v73, v50, s[4:5]
	s_and_b64 s[4:5], s[42:43], s[4:5]
	v_cndmask_b32_e64 v24, 0, v50, s[42:43]
	v_cndmask_b32_e64 v23, 0, v49, s[4:5]
	v_add_f64 v[49:50], v[23:24], 1.0
	s_mov_b32 s43, 0x3fe55555
	s_mov_b32 s42, 0x55555555
	v_frexp_mant_f64_e32 v[53:54], v[49:50]
	v_frexp_exp_i32_f64_e32 v59, v[49:50]
	v_add_f64 v[51:52], v[49:50], -1.0
	v_cmp_gt_f64_e64 s[4:5], s[42:43], v[53:54]
	s_mov_b32 s42, 0x55555780
	v_add_f64 v[55:56], v[51:52], -v[49:50]
	v_add_f64 v[51:52], v[23:24], -v[51:52]
	v_subbrev_co_u32_e64 v74, s[4:5], 0, v59, s[4:5]
	v_sub_u32_e32 v59, 0, v74
	v_ldexp_f64 v[49:50], v[49:50], v59
	v_add_f64 v[53:54], v[55:56], 1.0
	s_mov_b32 s4, 0xbf559e2b
	s_mov_b32 s5, 0x3fc3ab76
	v_add_f64 v[55:56], v[49:50], 1.0
	v_add_f64 v[51:52], v[51:52], v[53:54]
	v_add_f64 v[63:64], v[49:50], -1.0
	v_add_f64 v[53:54], v[55:56], -1.0
	v_ldexp_f64 v[51:52], v[51:52], v59
	v_add_f64 v[65:66], v[63:64], 1.0
	v_add_f64 v[53:54], v[49:50], -v[53:54]
	v_add_f64 v[49:50], v[49:50], -v[65:66]
	v_add_f64 v[53:54], v[51:52], v[53:54]
	v_add_f64 v[49:50], v[51:52], v[49:50]
	;; [unrolled: 1-line block ×4, first 2 shown]
	v_rcp_f64_e32 v[61:62], v[59:60]
	v_add_f64 v[55:56], v[59:60], -v[55:56]
	v_add_f64 v[63:64], v[65:66], -v[63:64]
	;; [unrolled: 1-line block ×4, first 2 shown]
	v_fma_f64 v[67:68], -v[59:60], v[61:62], 1.0
	v_fma_f64 v[61:62], v[67:68], v[61:62], v[61:62]
	v_fma_f64 v[51:52], -v[59:60], v[61:62], 1.0
	v_fma_f64 v[51:52], v[51:52], v[61:62], v[61:62]
	v_mul_f64 v[61:62], v[65:66], v[51:52]
	v_mul_f64 v[67:68], v[59:60], v[61:62]
	v_fma_f64 v[55:56], v[61:62], v[59:60], -v[67:68]
	v_fma_f64 v[55:56], v[61:62], v[53:54], v[55:56]
	v_add_f64 v[69:70], v[67:68], v[55:56]
	v_add_f64 v[71:72], v[65:66], -v[69:70]
	v_add_f64 v[63:64], v[69:70], -v[67:68]
	;; [unrolled: 1-line block ×5, first 2 shown]
	v_add_f64 v[49:50], v[49:50], v[65:66]
	v_add_f64 v[49:50], v[55:56], v[49:50]
	;; [unrolled: 1-line block ×3, first 2 shown]
	v_mul_f64 v[63:64], v[51:52], v[55:56]
	v_add_f64 v[69:70], v[71:72], -v[55:56]
	v_mul_f64 v[65:66], v[59:60], v[63:64]
	v_add_f64 v[49:50], v[49:50], v[69:70]
	v_fma_f64 v[59:60], v[63:64], v[59:60], -v[65:66]
	v_fma_f64 v[53:54], v[63:64], v[53:54], v[59:60]
	v_add_f64 v[59:60], v[65:66], v[53:54]
	v_add_f64 v[67:68], v[55:56], -v[59:60]
	v_add_f64 v[65:66], v[59:60], -v[65:66]
	;; [unrolled: 1-line block ×5, first 2 shown]
	v_mov_b32_e32 v59, 0x6b47b09a
	v_mov_b32_e32 v60, 0x3fc38538
	v_add_f64 v[49:50], v[49:50], v[55:56]
	v_add_f64 v[55:56], v[61:62], v[63:64]
	;; [unrolled: 1-line block ×3, first 2 shown]
	v_add_f64 v[53:54], v[55:56], -v[61:62]
	v_add_f64 v[49:50], v[67:68], v[49:50]
	v_add_f64 v[53:54], v[63:64], -v[53:54]
	v_mul_f64 v[49:50], v[51:52], v[49:50]
	v_add_f64 v[49:50], v[53:54], v[49:50]
	v_add_f64 v[51:52], v[55:56], v[49:50]
	v_mul_f64 v[53:54], v[51:52], v[51:52]
	v_fma_f64 v[59:60], v[53:54], s[4:5], v[59:60]
	s_mov_b32 s4, 0xd7f4df2e
	s_mov_b32 s5, 0x3fc7474d
	v_mul_f64 v[61:62], v[51:52], v[53:54]
	v_fma_f64 v[59:60], v[53:54], v[59:60], s[4:5]
	s_mov_b32 s4, 0x16291751
	s_mov_b32 s5, 0x3fcc71c0
	v_fma_f64 v[59:60], v[53:54], v[59:60], s[4:5]
	s_mov_b32 s4, 0x9b27acf1
	s_mov_b32 s5, 0x3fd24924
	;; [unrolled: 3-line block ×3, first 2 shown]
	v_fma_f64 v[59:60], v[53:54], v[59:60], s[4:5]
	v_cmp_nge_f64_e64 s[4:5], -1.0, v[23:24]
	v_fma_f64 v[53:54], v[53:54], v[59:60], s[42:43]
	v_ldexp_f64 v[59:60], v[51:52], 1
	v_add_f64 v[51:52], v[51:52], -v[55:56]
	s_mov_b32 s42, 0
	s_mov_b32 s43, 0x7ff00000
	v_cmp_neq_f64_e64 s[42:43], s[42:43], v[23:24]
	v_mul_f64 v[53:54], v[61:62], v[53:54]
	v_cvt_f64_i32_e32 v[61:62], v74
	v_add_f64 v[49:50], v[49:50], -v[51:52]
	v_mul_f64 v[63:64], v[61:62], s[50:51]
	s_and_b64 s[4:5], s[4:5], s[42:43]
	v_add_f64 v[55:56], v[59:60], v[53:54]
	v_ldexp_f64 v[49:50], v[49:50], 1
	v_add_f64 v[51:52], v[55:56], -v[59:60]
	v_fma_f64 v[59:60], v[61:62], s[50:51], -v[63:64]
	v_add_f64 v[51:52], v[53:54], -v[51:52]
	v_fma_f64 v[53:54], v[61:62], s[52:53], v[59:60]
	v_add_f64 v[49:50], v[49:50], v[51:52]
	v_add_f64 v[51:52], v[63:64], v[53:54]
	;; [unrolled: 1-line block ×3, first 2 shown]
	v_add_f64 v[63:64], v[51:52], -v[63:64]
	v_add_f64 v[61:62], v[51:52], v[59:60]
	v_add_f64 v[55:56], v[59:60], -v[55:56]
	v_add_f64 v[53:54], v[53:54], -v[63:64]
	v_add_f64 v[65:66], v[61:62], -v[51:52]
	v_add_f64 v[49:50], v[49:50], -v[55:56]
	v_add_f64 v[67:68], v[61:62], -v[65:66]
	v_add_f64 v[55:56], v[59:60], -v[65:66]
	v_add_f64 v[59:60], v[53:54], v[49:50]
	v_add_f64 v[51:52], v[51:52], -v[67:68]
	v_add_f64 v[51:52], v[55:56], v[51:52]
	v_add_f64 v[55:56], v[59:60], -v[53:54]
	;; [unrolled: 2-line block ×3, first 2 shown]
	v_add_f64 v[49:50], v[49:50], -v[55:56]
	v_add_f64 v[63:64], v[61:62], v[51:52]
	v_add_f64 v[53:54], v[53:54], -v[59:60]
	v_add_f64 v[55:56], v[63:64], -v[61:62]
	v_add_f64 v[49:50], v[49:50], v[53:54]
	v_add_f64 v[51:52], v[51:52], -v[55:56]
	v_add_f64 v[49:50], v[49:50], v[51:52]
	v_mov_b32_e32 v51, 0x7ff80000
	v_mov_b32_e32 v52, 0xfff00000
	v_add_f64 v[49:50], v[63:64], v[49:50]
	v_cndmask_b32_e64 v49, 0, v49, s[4:5]
	v_cmp_ngt_f64_e64 s[4:5], -1.0, v[23:24]
	v_cndmask_b32_e64 v50, v73, v50, s[42:43]
	v_cndmask_b32_e64 v50, v51, v50, s[4:5]
	v_cmp_neq_f64_e64 s[4:5], -1.0, v[23:24]
	v_cndmask_b32_e64 v50, v52, v50, s[4:5]
	v_add_f64 v[23:24], v[21:22], v[49:50]
.LBB60_69:
	s_or_b64 exec, exec, s[44:45]
	ds_write_b64 v58, v[23:24] offset:8
.LBB60_70:
	s_or_b64 exec, exec, s[48:49]
	v_mul_u32_u24_e32 v49, 0x48, v0
	v_cmp_ne_u32_e64 s[4:5], 0, v0
	s_waitcnt lgkmcnt(0)
	s_barrier
	s_and_saveexec_b64 s[42:43], s[4:5]
	s_cbranch_execz .LBB60_74
; %bb.71:
	v_add_u32_e32 v0, -1, v0
	v_lshrrev_b32_e32 v21, 2, v0
	v_and_b32_e32 v21, 0x3ffffff8, v21
	v_lshl_add_u32 v0, v0, 3, v21
	ds_read_b64 v[21:22], v0
	s_waitcnt lgkmcnt(0)
	v_max_f64 v[23:24], v[21:22], v[21:22]
	v_cmp_u_f64_e64 s[4:5], v[21:22], v[21:22]
	v_min_f64 v[43:44], v[23:24], v[47:48]
	v_max_f64 v[23:24], v[23:24], v[47:48]
	v_cndmask_b32_e64 v0, v43, v21, s[4:5]
	v_cndmask_b32_e64 v43, v44, v22, s[4:5]
	;; [unrolled: 1-line block ×8, first 2 shown]
	v_cmp_neq_f64_e64 s[4:5], v[23:24], v[1:2]
	v_cmp_class_f64_e64 s[38:39], v[23:24], s33
	s_or_b64 s[4:5], s[4:5], s[38:39]
	s_and_saveexec_b64 s[44:45], s[4:5]
	s_cbranch_execz .LBB60_73
; %bb.72:
	v_add_f64 v[21:22], v[23:24], -v[1:2]
	s_mov_b32 s4, 0x652b82fe
	s_mov_b32 s5, 0x3ff71547
	;; [unrolled: 1-line block ×6, first 2 shown]
	v_mov_b32_e32 v45, 0xfca7ab0c
	v_mul_f64 v[23:24], v[21:22], s[4:5]
	s_mov_b32 s4, 0x6a5dcb37
	v_mov_b32_e32 v46, 0x3e928af3
	s_mov_b32 s5, 0x3e5ade15
	s_mov_b32 s38, 0
	s_mov_b32 s39, 0xc090cc00
	v_cmp_ngt_f64_e64 s[38:39], s[38:39], v[21:22]
	v_rndne_f64_e32 v[23:24], v[23:24]
	v_fma_f64 v[43:44], v[23:24], s[48:49], v[21:22]
	v_cvt_i32_f64_e32 v0, v[23:24]
	s_mov_b32 s49, 0x3fe62e42
	v_fma_f64 v[43:44], v[23:24], s[50:51], v[43:44]
	s_mov_b32 s51, 0x3c7abc9e
	v_fma_f64 v[45:46], v[43:44], s[4:5], v[45:46]
	s_mov_b32 s4, 0x623fde64
	s_mov_b32 s5, 0x3ec71dee
	v_fma_f64 v[45:46], v[43:44], v[45:46], s[4:5]
	s_mov_b32 s4, 0x7c89e6b0
	;; [unrolled: 3-line block ×9, first 2 shown]
	s_mov_b32 s5, 0x40900000
	v_cmp_nlt_f64_e64 s[4:5], s[4:5], v[21:22]
	v_fma_f64 v[45:46], v[43:44], v[45:46], 1.0
	v_fma_f64 v[43:44], v[43:44], v[45:46], 1.0
	v_ldexp_f64 v[23:24], v[43:44], v0
	v_mov_b32_e32 v0, 0x7ff00000
	v_cndmask_b32_e64 v24, v0, v24, s[4:5]
	s_and_b64 s[4:5], s[38:39], s[4:5]
	v_cndmask_b32_e64 v22, 0, v24, s[38:39]
	v_cndmask_b32_e64 v21, 0, v23, s[4:5]
	v_add_f64 v[23:24], v[21:22], 1.0
	s_mov_b32 s39, 0x3fe55555
	s_mov_b32 s38, 0x55555555
	v_frexp_mant_f64_e32 v[45:46], v[23:24]
	v_frexp_exp_i32_f64_e32 v50, v[23:24]
	v_add_f64 v[43:44], v[23:24], -1.0
	v_cmp_gt_f64_e64 s[4:5], s[38:39], v[45:46]
	s_mov_b32 s38, 0x55555780
	v_add_f64 v[47:48], v[43:44], -v[23:24]
	v_add_f64 v[43:44], v[21:22], -v[43:44]
	v_subbrev_co_u32_e64 v56, s[4:5], 0, v50, s[4:5]
	v_sub_u32_e32 v50, 0, v56
	v_ldexp_f64 v[23:24], v[23:24], v50
	v_add_f64 v[45:46], v[47:48], 1.0
	s_mov_b32 s4, 0xbf559e2b
	s_mov_b32 s5, 0x3fc3ab76
	v_add_f64 v[47:48], v[23:24], 1.0
	v_add_f64 v[43:44], v[43:44], v[45:46]
	v_add_f64 v[54:55], v[23:24], -1.0
	v_add_f64 v[45:46], v[47:48], -1.0
	v_ldexp_f64 v[43:44], v[43:44], v50
	v_add_f64 v[58:59], v[54:55], 1.0
	v_add_f64 v[45:46], v[23:24], -v[45:46]
	v_add_f64 v[23:24], v[23:24], -v[58:59]
	v_add_f64 v[45:46], v[43:44], v[45:46]
	v_add_f64 v[23:24], v[43:44], v[23:24]
	;; [unrolled: 1-line block ×4, first 2 shown]
	v_rcp_f64_e32 v[52:53], v[50:51]
	v_add_f64 v[47:48], v[50:51], -v[47:48]
	v_add_f64 v[54:55], v[58:59], -v[54:55]
	;; [unrolled: 1-line block ×4, first 2 shown]
	v_fma_f64 v[60:61], -v[50:51], v[52:53], 1.0
	v_fma_f64 v[52:53], v[60:61], v[52:53], v[52:53]
	v_fma_f64 v[43:44], -v[50:51], v[52:53], 1.0
	v_fma_f64 v[43:44], v[43:44], v[52:53], v[52:53]
	v_mul_f64 v[52:53], v[58:59], v[43:44]
	v_mul_f64 v[60:61], v[50:51], v[52:53]
	v_fma_f64 v[47:48], v[52:53], v[50:51], -v[60:61]
	v_fma_f64 v[47:48], v[52:53], v[45:46], v[47:48]
	v_add_f64 v[62:63], v[60:61], v[47:48]
	v_add_f64 v[64:65], v[58:59], -v[62:63]
	v_add_f64 v[54:55], v[62:63], -v[60:61]
	;; [unrolled: 1-line block ×5, first 2 shown]
	v_add_f64 v[23:24], v[23:24], v[58:59]
	v_add_f64 v[23:24], v[47:48], v[23:24]
	;; [unrolled: 1-line block ×3, first 2 shown]
	v_mul_f64 v[54:55], v[43:44], v[47:48]
	v_add_f64 v[62:63], v[64:65], -v[47:48]
	v_mul_f64 v[58:59], v[50:51], v[54:55]
	v_add_f64 v[23:24], v[23:24], v[62:63]
	v_fma_f64 v[50:51], v[54:55], v[50:51], -v[58:59]
	v_fma_f64 v[45:46], v[54:55], v[45:46], v[50:51]
	v_add_f64 v[50:51], v[58:59], v[45:46]
	v_add_f64 v[60:61], v[47:48], -v[50:51]
	v_add_f64 v[58:59], v[50:51], -v[58:59]
	;; [unrolled: 1-line block ×5, first 2 shown]
	v_mov_b32_e32 v50, 0x6b47b09a
	v_mov_b32_e32 v51, 0x3fc38538
	v_add_f64 v[23:24], v[23:24], v[47:48]
	v_add_f64 v[47:48], v[52:53], v[54:55]
	;; [unrolled: 1-line block ×3, first 2 shown]
	v_add_f64 v[45:46], v[47:48], -v[52:53]
	v_add_f64 v[23:24], v[60:61], v[23:24]
	v_add_f64 v[45:46], v[54:55], -v[45:46]
	v_mul_f64 v[23:24], v[43:44], v[23:24]
	v_add_f64 v[23:24], v[45:46], v[23:24]
	v_add_f64 v[43:44], v[47:48], v[23:24]
	v_mul_f64 v[45:46], v[43:44], v[43:44]
	v_fma_f64 v[50:51], v[45:46], s[4:5], v[50:51]
	s_mov_b32 s4, 0xd7f4df2e
	s_mov_b32 s5, 0x3fc7474d
	v_mul_f64 v[52:53], v[43:44], v[45:46]
	v_fma_f64 v[50:51], v[45:46], v[50:51], s[4:5]
	s_mov_b32 s4, 0x16291751
	s_mov_b32 s5, 0x3fcc71c0
	v_fma_f64 v[50:51], v[45:46], v[50:51], s[4:5]
	s_mov_b32 s4, 0x9b27acf1
	s_mov_b32 s5, 0x3fd24924
	;; [unrolled: 3-line block ×3, first 2 shown]
	v_fma_f64 v[50:51], v[45:46], v[50:51], s[4:5]
	v_cmp_nge_f64_e64 s[4:5], -1.0, v[21:22]
	v_fma_f64 v[45:46], v[45:46], v[50:51], s[38:39]
	v_ldexp_f64 v[50:51], v[43:44], 1
	v_add_f64 v[43:44], v[43:44], -v[47:48]
	s_mov_b32 s38, 0
	s_mov_b32 s39, 0x7ff00000
	v_cmp_neq_f64_e64 s[38:39], s[38:39], v[21:22]
	v_mul_f64 v[45:46], v[52:53], v[45:46]
	v_cvt_f64_i32_e32 v[52:53], v56
	v_add_f64 v[23:24], v[23:24], -v[43:44]
	v_mul_f64 v[54:55], v[52:53], s[48:49]
	s_and_b64 s[4:5], s[4:5], s[38:39]
	v_add_f64 v[47:48], v[50:51], v[45:46]
	v_ldexp_f64 v[23:24], v[23:24], 1
	v_add_f64 v[43:44], v[47:48], -v[50:51]
	v_fma_f64 v[50:51], v[52:53], s[48:49], -v[54:55]
	v_add_f64 v[43:44], v[45:46], -v[43:44]
	v_fma_f64 v[45:46], v[52:53], s[50:51], v[50:51]
	v_add_f64 v[23:24], v[23:24], v[43:44]
	v_add_f64 v[43:44], v[54:55], v[45:46]
	;; [unrolled: 1-line block ×3, first 2 shown]
	v_add_f64 v[54:55], v[43:44], -v[54:55]
	v_add_f64 v[52:53], v[43:44], v[50:51]
	v_add_f64 v[47:48], v[50:51], -v[47:48]
	v_add_f64 v[45:46], v[45:46], -v[54:55]
	;; [unrolled: 1-line block ×6, first 2 shown]
	v_add_f64 v[50:51], v[45:46], v[23:24]
	v_add_f64 v[43:44], v[43:44], -v[60:61]
	v_add_f64 v[43:44], v[47:48], v[43:44]
	v_add_f64 v[47:48], v[50:51], -v[45:46]
	;; [unrolled: 2-line block ×3, first 2 shown]
	v_add_f64 v[23:24], v[23:24], -v[47:48]
	v_add_f64 v[54:55], v[52:53], v[43:44]
	v_add_f64 v[45:46], v[45:46], -v[50:51]
	v_add_f64 v[47:48], v[54:55], -v[52:53]
	v_add_f64 v[23:24], v[23:24], v[45:46]
	v_add_f64 v[43:44], v[43:44], -v[47:48]
	v_add_f64 v[23:24], v[23:24], v[43:44]
	v_mov_b32_e32 v43, 0x7ff80000
	v_mov_b32_e32 v44, 0xfff00000
	v_add_f64 v[23:24], v[54:55], v[23:24]
	v_cndmask_b32_e64 v23, 0, v23, s[4:5]
	v_cmp_ngt_f64_e64 s[4:5], -1.0, v[21:22]
	v_cndmask_b32_e64 v0, v0, v24, s[38:39]
	v_cndmask_b32_e64 v0, v43, v0, s[4:5]
	v_cmp_neq_f64_e64 s[4:5], -1.0, v[21:22]
	v_cndmask_b32_e64 v24, v44, v0, s[4:5]
	v_add_f64 v[21:22], v[1:2], v[23:24]
.LBB60_73:
	s_or_b64 exec, exec, s[44:45]
	v_max_f64 v[0:1], v[21:22], v[21:22]
	;;#ASMSTART
	;;#ASMEND
	v_min_f64 v[43:44], v[0:1], v[29:30]
	v_max_f64 v[45:46], v[0:1], v[29:30]
	v_mov_b32_e32 v1, v21
	v_mov_b32_e32 v2, v22
.LBB60_74:
	s_or_b64 exec, exec, s[42:43]
	v_cmp_u_f64_e64 s[4:5], v[1:2], v[1:2]
	v_cndmask_b32_e64 v0, v43, v1, s[4:5]
	v_cndmask_b32_e64 v23, v0, v3, s[18:19]
	;; [unrolled: 1-line block ×8, first 2 shown]
	v_cmp_neq_f64_e64 s[4:5], v[23:24], v[21:22]
	v_cmp_class_f64_e64 s[18:19], v[23:24], s33
	v_mov_b32_e32 v4, v2
	v_mov_b32_e32 v3, v1
	s_or_b64 s[4:5], s[4:5], s[18:19]
	s_and_saveexec_b64 s[38:39], s[4:5]
	s_cbranch_execz .LBB60_76
; %bb.75:
	v_add_f64 v[3:4], v[23:24], -v[21:22]
	s_mov_b32 s4, 0x652b82fe
	s_mov_b32 s5, 0x3ff71547
	;; [unrolled: 1-line block ×6, first 2 shown]
	v_mov_b32_e32 v43, 0xfca7ab0c
	v_mul_f64 v[23:24], v[3:4], s[4:5]
	s_mov_b32 s4, 0x6a5dcb37
	v_mov_b32_e32 v44, 0x3e928af3
	s_mov_b32 s5, 0x3e5ade15
	s_mov_b32 s18, 0
	;; [unrolled: 1-line block ×3, first 2 shown]
	v_cmp_ngt_f64_e64 s[18:19], s[18:19], v[3:4]
	v_rndne_f64_e32 v[23:24], v[23:24]
	v_fma_f64 v[29:30], v[23:24], s[42:43], v[3:4]
	v_cvt_i32_f64_e32 v0, v[23:24]
	s_mov_b32 s43, 0x3fe62e42
	v_fma_f64 v[29:30], v[23:24], s[44:45], v[29:30]
	s_mov_b32 s45, 0x3c7abc9e
	v_fma_f64 v[43:44], v[29:30], s[4:5], v[43:44]
	s_mov_b32 s4, 0x623fde64
	s_mov_b32 s5, 0x3ec71dee
	v_fma_f64 v[43:44], v[29:30], v[43:44], s[4:5]
	s_mov_b32 s4, 0x7c89e6b0
	;; [unrolled: 3-line block ×9, first 2 shown]
	s_mov_b32 s5, 0x40900000
	v_cmp_nlt_f64_e64 s[4:5], s[4:5], v[3:4]
	v_fma_f64 v[43:44], v[29:30], v[43:44], 1.0
	v_fma_f64 v[29:30], v[29:30], v[43:44], 1.0
	v_ldexp_f64 v[23:24], v[29:30], v0
	v_mov_b32_e32 v0, 0x7ff00000
	v_cndmask_b32_e64 v24, v0, v24, s[4:5]
	s_and_b64 s[4:5], s[18:19], s[4:5]
	v_cndmask_b32_e64 v4, 0, v24, s[18:19]
	v_cndmask_b32_e64 v3, 0, v23, s[4:5]
	v_add_f64 v[23:24], v[3:4], 1.0
	s_mov_b32 s19, 0x3fe55555
	s_mov_b32 s18, 0x55555555
	v_frexp_mant_f64_e32 v[43:44], v[23:24]
	v_frexp_exp_i32_f64_e32 v47, v[23:24]
	v_add_f64 v[29:30], v[23:24], -1.0
	v_cmp_gt_f64_e64 s[4:5], s[18:19], v[43:44]
	s_mov_b32 s18, 0x55555780
	v_add_f64 v[45:46], v[29:30], -v[23:24]
	v_add_f64 v[29:30], v[3:4], -v[29:30]
	v_subbrev_co_u32_e64 v56, s[4:5], 0, v47, s[4:5]
	v_sub_u32_e32 v47, 0, v56
	v_ldexp_f64 v[23:24], v[23:24], v47
	v_add_f64 v[43:44], v[45:46], 1.0
	s_mov_b32 s4, 0xbf559e2b
	s_mov_b32 s5, 0x3fc3ab76
	v_add_f64 v[45:46], v[23:24], 1.0
	v_add_f64 v[29:30], v[29:30], v[43:44]
	v_add_f64 v[52:53], v[23:24], -1.0
	v_add_f64 v[43:44], v[45:46], -1.0
	v_ldexp_f64 v[29:30], v[29:30], v47
	v_add_f64 v[54:55], v[52:53], 1.0
	v_add_f64 v[43:44], v[23:24], -v[43:44]
	v_add_f64 v[23:24], v[23:24], -v[54:55]
	v_add_f64 v[43:44], v[29:30], v[43:44]
	v_add_f64 v[23:24], v[29:30], v[23:24]
	;; [unrolled: 1-line block ×4, first 2 shown]
	v_rcp_f64_e32 v[50:51], v[47:48]
	v_add_f64 v[45:46], v[47:48], -v[45:46]
	v_add_f64 v[52:53], v[54:55], -v[52:53]
	;; [unrolled: 1-line block ×4, first 2 shown]
	v_fma_f64 v[58:59], -v[47:48], v[50:51], 1.0
	v_fma_f64 v[50:51], v[58:59], v[50:51], v[50:51]
	v_fma_f64 v[29:30], -v[47:48], v[50:51], 1.0
	v_fma_f64 v[29:30], v[29:30], v[50:51], v[50:51]
	v_mul_f64 v[50:51], v[54:55], v[29:30]
	v_mul_f64 v[58:59], v[47:48], v[50:51]
	v_fma_f64 v[45:46], v[50:51], v[47:48], -v[58:59]
	v_fma_f64 v[45:46], v[50:51], v[43:44], v[45:46]
	v_add_f64 v[60:61], v[58:59], v[45:46]
	v_add_f64 v[62:63], v[54:55], -v[60:61]
	v_add_f64 v[52:53], v[60:61], -v[58:59]
	;; [unrolled: 1-line block ×5, first 2 shown]
	v_add_f64 v[23:24], v[23:24], v[54:55]
	v_add_f64 v[23:24], v[45:46], v[23:24]
	;; [unrolled: 1-line block ×3, first 2 shown]
	v_mul_f64 v[52:53], v[29:30], v[45:46]
	v_add_f64 v[60:61], v[62:63], -v[45:46]
	v_mul_f64 v[54:55], v[47:48], v[52:53]
	v_add_f64 v[23:24], v[23:24], v[60:61]
	v_fma_f64 v[47:48], v[52:53], v[47:48], -v[54:55]
	v_fma_f64 v[43:44], v[52:53], v[43:44], v[47:48]
	v_add_f64 v[47:48], v[54:55], v[43:44]
	v_add_f64 v[58:59], v[45:46], -v[47:48]
	v_add_f64 v[54:55], v[47:48], -v[54:55]
	;; [unrolled: 1-line block ×5, first 2 shown]
	v_mov_b32_e32 v47, 0x6b47b09a
	v_mov_b32_e32 v48, 0x3fc38538
	v_add_f64 v[23:24], v[23:24], v[45:46]
	v_add_f64 v[45:46], v[50:51], v[52:53]
	v_add_f64 v[23:24], v[43:44], v[23:24]
	v_add_f64 v[43:44], v[45:46], -v[50:51]
	v_add_f64 v[23:24], v[58:59], v[23:24]
	v_add_f64 v[43:44], v[52:53], -v[43:44]
	v_mul_f64 v[23:24], v[29:30], v[23:24]
	v_add_f64 v[23:24], v[43:44], v[23:24]
	v_add_f64 v[29:30], v[45:46], v[23:24]
	v_mul_f64 v[43:44], v[29:30], v[29:30]
	v_fma_f64 v[47:48], v[43:44], s[4:5], v[47:48]
	s_mov_b32 s4, 0xd7f4df2e
	s_mov_b32 s5, 0x3fc7474d
	v_mul_f64 v[50:51], v[29:30], v[43:44]
	v_fma_f64 v[47:48], v[43:44], v[47:48], s[4:5]
	s_mov_b32 s4, 0x16291751
	s_mov_b32 s5, 0x3fcc71c0
	v_fma_f64 v[47:48], v[43:44], v[47:48], s[4:5]
	s_mov_b32 s4, 0x9b27acf1
	s_mov_b32 s5, 0x3fd24924
	;; [unrolled: 3-line block ×3, first 2 shown]
	v_fma_f64 v[47:48], v[43:44], v[47:48], s[4:5]
	v_cmp_nge_f64_e64 s[4:5], -1.0, v[3:4]
	v_fma_f64 v[43:44], v[43:44], v[47:48], s[18:19]
	v_ldexp_f64 v[47:48], v[29:30], 1
	v_add_f64 v[29:30], v[29:30], -v[45:46]
	s_mov_b32 s18, 0
	s_mov_b32 s19, 0x7ff00000
	v_cmp_neq_f64_e64 s[18:19], s[18:19], v[3:4]
	v_mul_f64 v[43:44], v[50:51], v[43:44]
	v_cvt_f64_i32_e32 v[50:51], v56
	v_add_f64 v[23:24], v[23:24], -v[29:30]
	v_mul_f64 v[52:53], v[50:51], s[42:43]
	s_and_b64 s[4:5], s[4:5], s[18:19]
	v_add_f64 v[45:46], v[47:48], v[43:44]
	v_ldexp_f64 v[23:24], v[23:24], 1
	v_add_f64 v[29:30], v[45:46], -v[47:48]
	v_fma_f64 v[47:48], v[50:51], s[42:43], -v[52:53]
	v_add_f64 v[29:30], v[43:44], -v[29:30]
	v_fma_f64 v[43:44], v[50:51], s[44:45], v[47:48]
	v_add_f64 v[23:24], v[23:24], v[29:30]
	v_add_f64 v[29:30], v[52:53], v[43:44]
	;; [unrolled: 1-line block ×3, first 2 shown]
	v_add_f64 v[52:53], v[29:30], -v[52:53]
	v_add_f64 v[50:51], v[29:30], v[47:48]
	v_add_f64 v[45:46], v[47:48], -v[45:46]
	v_add_f64 v[43:44], v[43:44], -v[52:53]
	;; [unrolled: 1-line block ×6, first 2 shown]
	v_add_f64 v[47:48], v[43:44], v[23:24]
	v_add_f64 v[29:30], v[29:30], -v[58:59]
	v_add_f64 v[29:30], v[45:46], v[29:30]
	v_add_f64 v[45:46], v[47:48], -v[43:44]
	;; [unrolled: 2-line block ×3, first 2 shown]
	v_add_f64 v[23:24], v[23:24], -v[45:46]
	v_add_f64 v[52:53], v[50:51], v[29:30]
	v_add_f64 v[43:44], v[43:44], -v[47:48]
	v_add_f64 v[45:46], v[52:53], -v[50:51]
	v_add_f64 v[23:24], v[23:24], v[43:44]
	v_add_f64 v[29:30], v[29:30], -v[45:46]
	v_add_f64 v[23:24], v[23:24], v[29:30]
	v_mov_b32_e32 v29, 0x7ff80000
	v_mov_b32_e32 v30, 0xfff00000
	v_add_f64 v[23:24], v[52:53], v[23:24]
	v_cndmask_b32_e64 v23, 0, v23, s[4:5]
	v_cmp_ngt_f64_e64 s[4:5], -1.0, v[3:4]
	v_cndmask_b32_e64 v0, v0, v24, s[18:19]
	v_cndmask_b32_e64 v0, v29, v0, s[4:5]
	v_cmp_neq_f64_e64 s[4:5], -1.0, v[3:4]
	v_cndmask_b32_e64 v24, v30, v0, s[4:5]
	v_add_f64 v[3:4], v[21:22], v[23:24]
.LBB60_76:
	s_or_b64 exec, exec, s[38:39]
	v_max_f64 v[21:22], v[3:4], v[3:4]
	v_cmp_u_f64_e64 s[4:5], v[3:4], v[3:4]
	v_min_f64 v[23:24], v[21:22], v[25:26]
	v_max_f64 v[21:22], v[21:22], v[25:26]
	v_cndmask_b32_e64 v0, v23, v3, s[4:5]
	v_cndmask_b32_e64 v23, v24, v4, s[4:5]
	;; [unrolled: 1-line block ×8, first 2 shown]
	v_cmp_neq_f64_e64 s[4:5], v[23:24], v[21:22]
	v_cmp_class_f64_e64 s[18:19], v[23:24], s33
	v_mov_b32_e32 v18, v4
	v_mov_b32_e32 v17, v3
	s_or_b64 s[4:5], s[4:5], s[18:19]
	s_and_saveexec_b64 s[22:23], s[4:5]
	s_cbranch_execz .LBB60_78
; %bb.77:
	v_add_f64 v[17:18], v[23:24], -v[21:22]
	s_mov_b32 s4, 0x652b82fe
	s_mov_b32 s5, 0x3ff71547
	;; [unrolled: 1-line block ×6, first 2 shown]
	v_mov_b32_e32 v29, 0xfca7ab0c
	v_mul_f64 v[23:24], v[17:18], s[4:5]
	s_mov_b32 s4, 0x6a5dcb37
	v_mov_b32_e32 v30, 0x3e928af3
	s_mov_b32 s5, 0x3e5ade15
	s_mov_b32 s18, 0
	;; [unrolled: 1-line block ×3, first 2 shown]
	v_cmp_ngt_f64_e64 s[18:19], s[18:19], v[17:18]
	v_rndne_f64_e32 v[23:24], v[23:24]
	v_fma_f64 v[25:26], v[23:24], s[38:39], v[17:18]
	v_cvt_i32_f64_e32 v0, v[23:24]
	s_mov_b32 s39, 0x3fe62e42
	v_fma_f64 v[25:26], v[23:24], s[42:43], v[25:26]
	s_mov_b32 s43, 0x3c7abc9e
	v_fma_f64 v[29:30], v[25:26], s[4:5], v[29:30]
	s_mov_b32 s4, 0x623fde64
	s_mov_b32 s5, 0x3ec71dee
	v_fma_f64 v[29:30], v[25:26], v[29:30], s[4:5]
	s_mov_b32 s4, 0x7c89e6b0
	;; [unrolled: 3-line block ×9, first 2 shown]
	s_mov_b32 s5, 0x40900000
	v_cmp_nlt_f64_e64 s[4:5], s[4:5], v[17:18]
	v_fma_f64 v[29:30], v[25:26], v[29:30], 1.0
	v_fma_f64 v[25:26], v[25:26], v[29:30], 1.0
	v_ldexp_f64 v[23:24], v[25:26], v0
	v_mov_b32_e32 v0, 0x7ff00000
	v_cndmask_b32_e64 v24, v0, v24, s[4:5]
	s_and_b64 s[4:5], s[18:19], s[4:5]
	v_cndmask_b32_e64 v18, 0, v24, s[18:19]
	v_cndmask_b32_e64 v17, 0, v23, s[4:5]
	v_add_f64 v[23:24], v[17:18], 1.0
	s_mov_b32 s19, 0x3fe55555
	s_mov_b32 s18, 0x55555555
	v_frexp_mant_f64_e32 v[29:30], v[23:24]
	v_frexp_exp_i32_f64_e32 v45, v[23:24]
	v_add_f64 v[25:26], v[23:24], -1.0
	v_cmp_gt_f64_e64 s[4:5], s[18:19], v[29:30]
	s_mov_b32 s18, 0x55555780
	v_add_f64 v[43:44], v[25:26], -v[23:24]
	v_add_f64 v[25:26], v[17:18], -v[25:26]
	v_subbrev_co_u32_e64 v56, s[4:5], 0, v45, s[4:5]
	v_sub_u32_e32 v45, 0, v56
	v_ldexp_f64 v[23:24], v[23:24], v45
	v_add_f64 v[29:30], v[43:44], 1.0
	s_mov_b32 s4, 0xbf559e2b
	s_mov_b32 s5, 0x3fc3ab76
	v_add_f64 v[43:44], v[23:24], 1.0
	v_add_f64 v[25:26], v[25:26], v[29:30]
	v_add_f64 v[50:51], v[23:24], -1.0
	v_add_f64 v[29:30], v[43:44], -1.0
	v_ldexp_f64 v[25:26], v[25:26], v45
	v_add_f64 v[52:53], v[50:51], 1.0
	v_add_f64 v[29:30], v[23:24], -v[29:30]
	v_add_f64 v[23:24], v[23:24], -v[52:53]
	v_add_f64 v[29:30], v[25:26], v[29:30]
	v_add_f64 v[23:24], v[25:26], v[23:24]
	;; [unrolled: 1-line block ×4, first 2 shown]
	v_rcp_f64_e32 v[47:48], v[45:46]
	v_add_f64 v[43:44], v[45:46], -v[43:44]
	v_add_f64 v[50:51], v[52:53], -v[50:51]
	;; [unrolled: 1-line block ×4, first 2 shown]
	v_fma_f64 v[54:55], -v[45:46], v[47:48], 1.0
	v_fma_f64 v[47:48], v[54:55], v[47:48], v[47:48]
	v_fma_f64 v[25:26], -v[45:46], v[47:48], 1.0
	v_fma_f64 v[25:26], v[25:26], v[47:48], v[47:48]
	v_mul_f64 v[47:48], v[52:53], v[25:26]
	v_mul_f64 v[54:55], v[45:46], v[47:48]
	v_fma_f64 v[43:44], v[47:48], v[45:46], -v[54:55]
	v_fma_f64 v[43:44], v[47:48], v[29:30], v[43:44]
	v_add_f64 v[58:59], v[54:55], v[43:44]
	v_add_f64 v[60:61], v[52:53], -v[58:59]
	v_add_f64 v[50:51], v[58:59], -v[54:55]
	;; [unrolled: 1-line block ×5, first 2 shown]
	v_add_f64 v[23:24], v[23:24], v[52:53]
	v_add_f64 v[23:24], v[43:44], v[23:24]
	;; [unrolled: 1-line block ×3, first 2 shown]
	v_mul_f64 v[50:51], v[25:26], v[43:44]
	v_add_f64 v[58:59], v[60:61], -v[43:44]
	v_mul_f64 v[52:53], v[45:46], v[50:51]
	v_add_f64 v[23:24], v[23:24], v[58:59]
	v_fma_f64 v[45:46], v[50:51], v[45:46], -v[52:53]
	v_fma_f64 v[29:30], v[50:51], v[29:30], v[45:46]
	v_add_f64 v[45:46], v[52:53], v[29:30]
	v_add_f64 v[54:55], v[43:44], -v[45:46]
	v_add_f64 v[52:53], v[45:46], -v[52:53]
	;; [unrolled: 1-line block ×5, first 2 shown]
	v_mov_b32_e32 v45, 0x6b47b09a
	v_mov_b32_e32 v46, 0x3fc38538
	v_add_f64 v[23:24], v[23:24], v[43:44]
	v_add_f64 v[43:44], v[47:48], v[50:51]
	v_add_f64 v[23:24], v[29:30], v[23:24]
	v_add_f64 v[29:30], v[43:44], -v[47:48]
	v_add_f64 v[23:24], v[54:55], v[23:24]
	v_add_f64 v[29:30], v[50:51], -v[29:30]
	v_mul_f64 v[23:24], v[25:26], v[23:24]
	v_add_f64 v[23:24], v[29:30], v[23:24]
	v_add_f64 v[25:26], v[43:44], v[23:24]
	v_mul_f64 v[29:30], v[25:26], v[25:26]
	v_fma_f64 v[45:46], v[29:30], s[4:5], v[45:46]
	s_mov_b32 s4, 0xd7f4df2e
	s_mov_b32 s5, 0x3fc7474d
	v_mul_f64 v[47:48], v[25:26], v[29:30]
	v_fma_f64 v[45:46], v[29:30], v[45:46], s[4:5]
	s_mov_b32 s4, 0x16291751
	s_mov_b32 s5, 0x3fcc71c0
	v_fma_f64 v[45:46], v[29:30], v[45:46], s[4:5]
	s_mov_b32 s4, 0x9b27acf1
	s_mov_b32 s5, 0x3fd24924
	;; [unrolled: 3-line block ×3, first 2 shown]
	v_fma_f64 v[45:46], v[29:30], v[45:46], s[4:5]
	v_cmp_nge_f64_e64 s[4:5], -1.0, v[17:18]
	v_fma_f64 v[29:30], v[29:30], v[45:46], s[18:19]
	v_ldexp_f64 v[45:46], v[25:26], 1
	v_add_f64 v[25:26], v[25:26], -v[43:44]
	s_mov_b32 s18, 0
	s_mov_b32 s19, 0x7ff00000
	v_cmp_neq_f64_e64 s[18:19], s[18:19], v[17:18]
	v_mul_f64 v[29:30], v[47:48], v[29:30]
	v_cvt_f64_i32_e32 v[47:48], v56
	v_add_f64 v[23:24], v[23:24], -v[25:26]
	v_mul_f64 v[50:51], v[47:48], s[38:39]
	s_and_b64 s[4:5], s[4:5], s[18:19]
	v_add_f64 v[43:44], v[45:46], v[29:30]
	v_ldexp_f64 v[23:24], v[23:24], 1
	v_add_f64 v[25:26], v[43:44], -v[45:46]
	v_fma_f64 v[45:46], v[47:48], s[38:39], -v[50:51]
	v_add_f64 v[25:26], v[29:30], -v[25:26]
	v_fma_f64 v[29:30], v[47:48], s[42:43], v[45:46]
	v_add_f64 v[23:24], v[23:24], v[25:26]
	v_add_f64 v[25:26], v[50:51], v[29:30]
	;; [unrolled: 1-line block ×3, first 2 shown]
	v_add_f64 v[50:51], v[25:26], -v[50:51]
	v_add_f64 v[47:48], v[25:26], v[45:46]
	v_add_f64 v[43:44], v[45:46], -v[43:44]
	v_add_f64 v[29:30], v[29:30], -v[50:51]
	;; [unrolled: 1-line block ×6, first 2 shown]
	v_add_f64 v[45:46], v[29:30], v[23:24]
	v_add_f64 v[25:26], v[25:26], -v[54:55]
	v_add_f64 v[25:26], v[43:44], v[25:26]
	v_add_f64 v[43:44], v[45:46], -v[29:30]
	;; [unrolled: 2-line block ×3, first 2 shown]
	v_add_f64 v[23:24], v[23:24], -v[43:44]
	v_add_f64 v[50:51], v[47:48], v[25:26]
	v_add_f64 v[29:30], v[29:30], -v[45:46]
	v_add_f64 v[43:44], v[50:51], -v[47:48]
	v_add_f64 v[23:24], v[23:24], v[29:30]
	v_add_f64 v[25:26], v[25:26], -v[43:44]
	v_add_f64 v[23:24], v[23:24], v[25:26]
	v_mov_b32_e32 v25, 0x7ff80000
	v_mov_b32_e32 v26, 0xfff00000
	v_add_f64 v[23:24], v[50:51], v[23:24]
	v_cndmask_b32_e64 v23, 0, v23, s[4:5]
	v_cmp_ngt_f64_e64 s[4:5], -1.0, v[17:18]
	v_cndmask_b32_e64 v0, v0, v24, s[18:19]
	v_cndmask_b32_e64 v0, v25, v0, s[4:5]
	v_cmp_neq_f64_e64 s[4:5], -1.0, v[17:18]
	v_cndmask_b32_e64 v24, v26, v0, s[4:5]
	v_add_f64 v[17:18], v[21:22], v[23:24]
.LBB60_78:
	s_or_b64 exec, exec, s[22:23]
	v_max_f64 v[21:22], v[17:18], v[17:18]
	v_cmp_u_f64_e64 s[4:5], v[17:18], v[17:18]
	v_min_f64 v[23:24], v[21:22], v[27:28]
	v_max_f64 v[21:22], v[21:22], v[27:28]
	v_cndmask_b32_e64 v0, v23, v17, s[4:5]
	v_cndmask_b32_e64 v23, v24, v18, s[4:5]
	;; [unrolled: 1-line block ×8, first 2 shown]
	v_cmp_neq_f64_e64 s[4:5], v[23:24], v[21:22]
	v_cmp_class_f64_e64 s[18:19], v[23:24], s33
	v_mov_b32_e32 v20, v18
	v_mov_b32_e32 v19, v17
	s_or_b64 s[4:5], s[4:5], s[18:19]
	s_and_saveexec_b64 s[20:21], s[4:5]
	s_cbranch_execz .LBB60_80
; %bb.79:
	v_add_f64 v[19:20], v[23:24], -v[21:22]
	s_mov_b32 s4, 0x652b82fe
	s_mov_b32 s5, 0x3ff71547
	;; [unrolled: 1-line block ×6, first 2 shown]
	v_mov_b32_e32 v27, 0xfca7ab0c
	v_mul_f64 v[23:24], v[19:20], s[4:5]
	s_mov_b32 s4, 0x6a5dcb37
	v_mov_b32_e32 v28, 0x3e928af3
	s_mov_b32 s5, 0x3e5ade15
	s_mov_b32 s18, 0
	;; [unrolled: 1-line block ×3, first 2 shown]
	v_cmp_ngt_f64_e64 s[18:19], s[18:19], v[19:20]
	v_rndne_f64_e32 v[23:24], v[23:24]
	v_fma_f64 v[25:26], v[23:24], s[22:23], v[19:20]
	v_cvt_i32_f64_e32 v0, v[23:24]
	s_mov_b32 s23, 0x3fe62e42
	v_fma_f64 v[25:26], v[23:24], s[38:39], v[25:26]
	s_mov_b32 s39, 0x3c7abc9e
	v_fma_f64 v[27:28], v[25:26], s[4:5], v[27:28]
	s_mov_b32 s4, 0x623fde64
	s_mov_b32 s5, 0x3ec71dee
	v_fma_f64 v[27:28], v[25:26], v[27:28], s[4:5]
	s_mov_b32 s4, 0x7c89e6b0
	;; [unrolled: 3-line block ×9, first 2 shown]
	s_mov_b32 s5, 0x40900000
	v_cmp_nlt_f64_e64 s[4:5], s[4:5], v[19:20]
	v_fma_f64 v[27:28], v[25:26], v[27:28], 1.0
	v_fma_f64 v[25:26], v[25:26], v[27:28], 1.0
	v_ldexp_f64 v[23:24], v[25:26], v0
	v_mov_b32_e32 v0, 0x7ff00000
	v_cndmask_b32_e64 v24, v0, v24, s[4:5]
	s_and_b64 s[4:5], s[18:19], s[4:5]
	v_cndmask_b32_e64 v20, 0, v24, s[18:19]
	v_cndmask_b32_e64 v19, 0, v23, s[4:5]
	v_add_f64 v[23:24], v[19:20], 1.0
	s_mov_b32 s19, 0x3fe55555
	s_mov_b32 s18, 0x55555555
	v_frexp_mant_f64_e32 v[27:28], v[23:24]
	v_frexp_exp_i32_f64_e32 v43, v[23:24]
	v_add_f64 v[25:26], v[23:24], -1.0
	v_cmp_gt_f64_e64 s[4:5], s[18:19], v[27:28]
	s_mov_b32 s18, 0x55555780
	v_add_f64 v[29:30], v[25:26], -v[23:24]
	v_add_f64 v[25:26], v[19:20], -v[25:26]
	v_subbrev_co_u32_e64 v56, s[4:5], 0, v43, s[4:5]
	v_sub_u32_e32 v43, 0, v56
	v_ldexp_f64 v[23:24], v[23:24], v43
	v_add_f64 v[27:28], v[29:30], 1.0
	s_mov_b32 s4, 0xbf559e2b
	s_mov_b32 s5, 0x3fc3ab76
	v_add_f64 v[29:30], v[23:24], 1.0
	v_add_f64 v[25:26], v[25:26], v[27:28]
	v_add_f64 v[47:48], v[23:24], -1.0
	v_add_f64 v[27:28], v[29:30], -1.0
	v_ldexp_f64 v[25:26], v[25:26], v43
	v_add_f64 v[50:51], v[47:48], 1.0
	v_add_f64 v[27:28], v[23:24], -v[27:28]
	v_add_f64 v[23:24], v[23:24], -v[50:51]
	v_add_f64 v[27:28], v[25:26], v[27:28]
	v_add_f64 v[23:24], v[25:26], v[23:24]
	;; [unrolled: 1-line block ×4, first 2 shown]
	v_rcp_f64_e32 v[45:46], v[43:44]
	v_add_f64 v[29:30], v[43:44], -v[29:30]
	v_add_f64 v[47:48], v[50:51], -v[47:48]
	;; [unrolled: 1-line block ×4, first 2 shown]
	v_fma_f64 v[52:53], -v[43:44], v[45:46], 1.0
	v_fma_f64 v[45:46], v[52:53], v[45:46], v[45:46]
	v_fma_f64 v[25:26], -v[43:44], v[45:46], 1.0
	v_fma_f64 v[25:26], v[25:26], v[45:46], v[45:46]
	v_mul_f64 v[45:46], v[50:51], v[25:26]
	v_mul_f64 v[52:53], v[43:44], v[45:46]
	v_fma_f64 v[29:30], v[45:46], v[43:44], -v[52:53]
	v_fma_f64 v[29:30], v[45:46], v[27:28], v[29:30]
	v_add_f64 v[54:55], v[52:53], v[29:30]
	v_add_f64 v[58:59], v[50:51], -v[54:55]
	v_add_f64 v[47:48], v[54:55], -v[52:53]
	;; [unrolled: 1-line block ×5, first 2 shown]
	v_add_f64 v[23:24], v[23:24], v[50:51]
	v_add_f64 v[23:24], v[29:30], v[23:24]
	;; [unrolled: 1-line block ×3, first 2 shown]
	v_mul_f64 v[47:48], v[25:26], v[29:30]
	v_add_f64 v[54:55], v[58:59], -v[29:30]
	v_mul_f64 v[50:51], v[43:44], v[47:48]
	v_add_f64 v[23:24], v[23:24], v[54:55]
	v_fma_f64 v[43:44], v[47:48], v[43:44], -v[50:51]
	v_fma_f64 v[27:28], v[47:48], v[27:28], v[43:44]
	v_add_f64 v[43:44], v[50:51], v[27:28]
	v_add_f64 v[52:53], v[29:30], -v[43:44]
	v_add_f64 v[50:51], v[43:44], -v[50:51]
	;; [unrolled: 1-line block ×5, first 2 shown]
	v_mov_b32_e32 v43, 0x6b47b09a
	v_mov_b32_e32 v44, 0x3fc38538
	v_add_f64 v[23:24], v[23:24], v[29:30]
	v_add_f64 v[29:30], v[45:46], v[47:48]
	;; [unrolled: 1-line block ×3, first 2 shown]
	v_add_f64 v[27:28], v[29:30], -v[45:46]
	v_add_f64 v[23:24], v[52:53], v[23:24]
	v_add_f64 v[27:28], v[47:48], -v[27:28]
	v_mul_f64 v[23:24], v[25:26], v[23:24]
	v_add_f64 v[23:24], v[27:28], v[23:24]
	v_add_f64 v[25:26], v[29:30], v[23:24]
	v_mul_f64 v[27:28], v[25:26], v[25:26]
	v_fma_f64 v[43:44], v[27:28], s[4:5], v[43:44]
	s_mov_b32 s4, 0xd7f4df2e
	s_mov_b32 s5, 0x3fc7474d
	v_mul_f64 v[45:46], v[25:26], v[27:28]
	v_fma_f64 v[43:44], v[27:28], v[43:44], s[4:5]
	s_mov_b32 s4, 0x16291751
	s_mov_b32 s5, 0x3fcc71c0
	v_fma_f64 v[43:44], v[27:28], v[43:44], s[4:5]
	s_mov_b32 s4, 0x9b27acf1
	s_mov_b32 s5, 0x3fd24924
	;; [unrolled: 3-line block ×3, first 2 shown]
	v_fma_f64 v[43:44], v[27:28], v[43:44], s[4:5]
	v_cmp_nge_f64_e64 s[4:5], -1.0, v[19:20]
	v_fma_f64 v[27:28], v[27:28], v[43:44], s[18:19]
	v_ldexp_f64 v[43:44], v[25:26], 1
	v_add_f64 v[25:26], v[25:26], -v[29:30]
	s_mov_b32 s18, 0
	s_mov_b32 s19, 0x7ff00000
	v_cmp_neq_f64_e64 s[18:19], s[18:19], v[19:20]
	v_mul_f64 v[27:28], v[45:46], v[27:28]
	v_cvt_f64_i32_e32 v[45:46], v56
	v_add_f64 v[23:24], v[23:24], -v[25:26]
	v_mul_f64 v[47:48], v[45:46], s[22:23]
	s_and_b64 s[4:5], s[4:5], s[18:19]
	v_add_f64 v[29:30], v[43:44], v[27:28]
	v_ldexp_f64 v[23:24], v[23:24], 1
	v_add_f64 v[25:26], v[29:30], -v[43:44]
	v_fma_f64 v[43:44], v[45:46], s[22:23], -v[47:48]
	v_add_f64 v[25:26], v[27:28], -v[25:26]
	v_fma_f64 v[27:28], v[45:46], s[38:39], v[43:44]
	v_add_f64 v[23:24], v[23:24], v[25:26]
	v_add_f64 v[25:26], v[47:48], v[27:28]
	;; [unrolled: 1-line block ×3, first 2 shown]
	v_add_f64 v[47:48], v[25:26], -v[47:48]
	v_add_f64 v[45:46], v[25:26], v[43:44]
	v_add_f64 v[29:30], v[43:44], -v[29:30]
	v_add_f64 v[27:28], v[27:28], -v[47:48]
	;; [unrolled: 1-line block ×6, first 2 shown]
	v_add_f64 v[43:44], v[27:28], v[23:24]
	v_add_f64 v[25:26], v[25:26], -v[52:53]
	v_add_f64 v[25:26], v[29:30], v[25:26]
	v_add_f64 v[29:30], v[43:44], -v[27:28]
	;; [unrolled: 2-line block ×3, first 2 shown]
	v_add_f64 v[23:24], v[23:24], -v[29:30]
	v_add_f64 v[47:48], v[45:46], v[25:26]
	v_add_f64 v[27:28], v[27:28], -v[43:44]
	v_add_f64 v[29:30], v[47:48], -v[45:46]
	v_add_f64 v[23:24], v[23:24], v[27:28]
	v_add_f64 v[25:26], v[25:26], -v[29:30]
	v_add_f64 v[23:24], v[23:24], v[25:26]
	v_mov_b32_e32 v25, 0x7ff80000
	v_mov_b32_e32 v26, 0xfff00000
	v_add_f64 v[23:24], v[47:48], v[23:24]
	v_cndmask_b32_e64 v23, 0, v23, s[4:5]
	v_cmp_ngt_f64_e64 s[4:5], -1.0, v[19:20]
	v_cndmask_b32_e64 v0, v0, v24, s[18:19]
	v_cndmask_b32_e64 v0, v25, v0, s[4:5]
	v_cmp_neq_f64_e64 s[4:5], -1.0, v[19:20]
	v_cndmask_b32_e64 v24, v26, v0, s[4:5]
	v_add_f64 v[19:20], v[21:22], v[23:24]
.LBB60_80:
	s_or_b64 exec, exec, s[20:21]
	v_max_f64 v[21:22], v[19:20], v[19:20]
	v_cmp_u_f64_e64 s[4:5], v[19:20], v[19:20]
	v_min_f64 v[23:24], v[21:22], v[31:32]
	v_max_f64 v[21:22], v[21:22], v[31:32]
	v_cndmask_b32_e64 v0, v23, v19, s[4:5]
	v_cndmask_b32_e64 v23, v24, v20, s[4:5]
	v_cndmask_b32_e64 v21, v21, v19, s[4:5]
	v_cndmask_b32_e64 v22, v22, v20, s[4:5]
	v_cndmask_b32_e64 v24, v23, v14, s[26:27]
	v_cndmask_b32_e64 v23, v0, v13, s[26:27]
	v_cndmask_b32_e64 v22, v22, v14, s[26:27]
	v_cndmask_b32_e64 v21, v21, v13, s[26:27]
	v_cmp_neq_f64_e64 s[4:5], v[23:24], v[21:22]
	v_cmp_class_f64_e64 s[18:19], v[23:24], s33
	v_mov_b32_e32 v13, v19
	v_mov_b32_e32 v14, v20
	s_or_b64 s[4:5], s[4:5], s[18:19]
	s_and_saveexec_b64 s[20:21], s[4:5]
	s_cbranch_execz .LBB60_82
; %bb.81:
	v_add_f64 v[13:14], v[23:24], -v[21:22]
	s_mov_b32 s4, 0x652b82fe
	s_mov_b32 s5, 0x3ff71547
	;; [unrolled: 1-line block ×6, first 2 shown]
	v_mov_b32_e32 v27, 0xfca7ab0c
	v_mul_f64 v[23:24], v[13:14], s[4:5]
	s_mov_b32 s4, 0x6a5dcb37
	v_mov_b32_e32 v28, 0x3e928af3
	s_mov_b32 s5, 0x3e5ade15
	s_mov_b32 s18, 0
	s_mov_b32 s19, 0xc090cc00
	v_cmp_ngt_f64_e64 s[18:19], s[18:19], v[13:14]
	v_rndne_f64_e32 v[23:24], v[23:24]
	v_fma_f64 v[25:26], v[23:24], s[22:23], v[13:14]
	v_cvt_i32_f64_e32 v0, v[23:24]
	s_mov_b32 s23, 0x3fe62e42
	v_fma_f64 v[25:26], v[23:24], s[26:27], v[25:26]
	s_mov_b32 s27, 0x3c7abc9e
	v_fma_f64 v[27:28], v[25:26], s[4:5], v[27:28]
	s_mov_b32 s4, 0x623fde64
	s_mov_b32 s5, 0x3ec71dee
	v_fma_f64 v[27:28], v[25:26], v[27:28], s[4:5]
	s_mov_b32 s4, 0x7c89e6b0
	;; [unrolled: 3-line block ×9, first 2 shown]
	s_mov_b32 s5, 0x40900000
	v_cmp_nlt_f64_e64 s[4:5], s[4:5], v[13:14]
	v_fma_f64 v[27:28], v[25:26], v[27:28], 1.0
	v_fma_f64 v[25:26], v[25:26], v[27:28], 1.0
	v_ldexp_f64 v[23:24], v[25:26], v0
	v_mov_b32_e32 v0, 0x7ff00000
	v_cndmask_b32_e64 v24, v0, v24, s[4:5]
	s_and_b64 s[4:5], s[18:19], s[4:5]
	v_cndmask_b32_e64 v14, 0, v24, s[18:19]
	v_cndmask_b32_e64 v13, 0, v23, s[4:5]
	v_add_f64 v[23:24], v[13:14], 1.0
	s_mov_b32 s19, 0x3fe55555
	s_mov_b32 s18, 0x55555555
	v_frexp_mant_f64_e32 v[27:28], v[23:24]
	v_frexp_exp_i32_f64_e32 v31, v[23:24]
	v_add_f64 v[25:26], v[23:24], -1.0
	v_cmp_gt_f64_e64 s[4:5], s[18:19], v[27:28]
	s_mov_b32 s18, 0x55555780
	v_add_f64 v[29:30], v[25:26], -v[23:24]
	v_add_f64 v[25:26], v[13:14], -v[25:26]
	v_subbrev_co_u32_e64 v56, s[4:5], 0, v31, s[4:5]
	v_sub_u32_e32 v31, 0, v56
	v_ldexp_f64 v[23:24], v[23:24], v31
	v_add_f64 v[27:28], v[29:30], 1.0
	s_mov_b32 s4, 0xbf559e2b
	s_mov_b32 s5, 0x3fc3ab76
	v_add_f64 v[29:30], v[23:24], 1.0
	v_add_f64 v[25:26], v[25:26], v[27:28]
	v_add_f64 v[45:46], v[23:24], -1.0
	v_add_f64 v[27:28], v[29:30], -1.0
	v_ldexp_f64 v[25:26], v[25:26], v31
	v_add_f64 v[47:48], v[45:46], 1.0
	v_add_f64 v[27:28], v[23:24], -v[27:28]
	v_add_f64 v[23:24], v[23:24], -v[47:48]
	v_add_f64 v[27:28], v[25:26], v[27:28]
	v_add_f64 v[23:24], v[25:26], v[23:24]
	;; [unrolled: 1-line block ×4, first 2 shown]
	v_rcp_f64_e32 v[43:44], v[31:32]
	v_add_f64 v[29:30], v[31:32], -v[29:30]
	v_add_f64 v[45:46], v[47:48], -v[45:46]
	;; [unrolled: 1-line block ×4, first 2 shown]
	v_fma_f64 v[50:51], -v[31:32], v[43:44], 1.0
	v_fma_f64 v[43:44], v[50:51], v[43:44], v[43:44]
	v_fma_f64 v[25:26], -v[31:32], v[43:44], 1.0
	v_fma_f64 v[25:26], v[25:26], v[43:44], v[43:44]
	v_mul_f64 v[43:44], v[47:48], v[25:26]
	v_mul_f64 v[50:51], v[31:32], v[43:44]
	v_fma_f64 v[29:30], v[43:44], v[31:32], -v[50:51]
	v_fma_f64 v[29:30], v[43:44], v[27:28], v[29:30]
	v_add_f64 v[52:53], v[50:51], v[29:30]
	v_add_f64 v[54:55], v[47:48], -v[52:53]
	v_add_f64 v[45:46], v[52:53], -v[50:51]
	;; [unrolled: 1-line block ×5, first 2 shown]
	v_add_f64 v[23:24], v[23:24], v[47:48]
	v_add_f64 v[23:24], v[29:30], v[23:24]
	;; [unrolled: 1-line block ×3, first 2 shown]
	v_mul_f64 v[45:46], v[25:26], v[29:30]
	v_add_f64 v[52:53], v[54:55], -v[29:30]
	v_mul_f64 v[47:48], v[31:32], v[45:46]
	v_add_f64 v[23:24], v[23:24], v[52:53]
	v_fma_f64 v[31:32], v[45:46], v[31:32], -v[47:48]
	v_fma_f64 v[27:28], v[45:46], v[27:28], v[31:32]
	v_add_f64 v[31:32], v[47:48], v[27:28]
	v_add_f64 v[50:51], v[29:30], -v[31:32]
	v_add_f64 v[47:48], v[31:32], -v[47:48]
	v_add_f64 v[29:30], v[29:30], -v[50:51]
	v_add_f64 v[27:28], v[47:48], -v[27:28]
	v_add_f64 v[29:30], v[29:30], -v[31:32]
	v_mov_b32_e32 v31, 0x6b47b09a
	v_mov_b32_e32 v32, 0x3fc38538
	v_add_f64 v[23:24], v[23:24], v[29:30]
	v_add_f64 v[29:30], v[43:44], v[45:46]
	;; [unrolled: 1-line block ×3, first 2 shown]
	v_add_f64 v[27:28], v[29:30], -v[43:44]
	v_add_f64 v[23:24], v[50:51], v[23:24]
	v_add_f64 v[27:28], v[45:46], -v[27:28]
	v_mul_f64 v[23:24], v[25:26], v[23:24]
	v_add_f64 v[23:24], v[27:28], v[23:24]
	v_add_f64 v[25:26], v[29:30], v[23:24]
	v_mul_f64 v[27:28], v[25:26], v[25:26]
	v_fma_f64 v[31:32], v[27:28], s[4:5], v[31:32]
	s_mov_b32 s4, 0xd7f4df2e
	s_mov_b32 s5, 0x3fc7474d
	v_mul_f64 v[43:44], v[25:26], v[27:28]
	v_fma_f64 v[31:32], v[27:28], v[31:32], s[4:5]
	s_mov_b32 s4, 0x16291751
	s_mov_b32 s5, 0x3fcc71c0
	v_fma_f64 v[31:32], v[27:28], v[31:32], s[4:5]
	s_mov_b32 s4, 0x9b27acf1
	s_mov_b32 s5, 0x3fd24924
	;; [unrolled: 3-line block ×3, first 2 shown]
	v_fma_f64 v[31:32], v[27:28], v[31:32], s[4:5]
	v_cmp_nge_f64_e64 s[4:5], -1.0, v[13:14]
	v_fma_f64 v[27:28], v[27:28], v[31:32], s[18:19]
	v_ldexp_f64 v[31:32], v[25:26], 1
	v_add_f64 v[25:26], v[25:26], -v[29:30]
	s_mov_b32 s18, 0
	s_mov_b32 s19, 0x7ff00000
	v_cmp_neq_f64_e64 s[18:19], s[18:19], v[13:14]
	v_mul_f64 v[27:28], v[43:44], v[27:28]
	v_cvt_f64_i32_e32 v[43:44], v56
	v_add_f64 v[23:24], v[23:24], -v[25:26]
	v_mul_f64 v[45:46], v[43:44], s[22:23]
	s_and_b64 s[4:5], s[4:5], s[18:19]
	v_add_f64 v[29:30], v[31:32], v[27:28]
	v_ldexp_f64 v[23:24], v[23:24], 1
	v_add_f64 v[25:26], v[29:30], -v[31:32]
	v_fma_f64 v[31:32], v[43:44], s[22:23], -v[45:46]
	v_add_f64 v[25:26], v[27:28], -v[25:26]
	v_fma_f64 v[27:28], v[43:44], s[26:27], v[31:32]
	v_add_f64 v[23:24], v[23:24], v[25:26]
	v_add_f64 v[25:26], v[45:46], v[27:28]
	;; [unrolled: 1-line block ×3, first 2 shown]
	v_add_f64 v[45:46], v[25:26], -v[45:46]
	v_add_f64 v[43:44], v[25:26], v[31:32]
	v_add_f64 v[29:30], v[31:32], -v[29:30]
	v_add_f64 v[27:28], v[27:28], -v[45:46]
	v_add_f64 v[47:48], v[43:44], -v[25:26]
	v_add_f64 v[23:24], v[23:24], -v[29:30]
	v_add_f64 v[50:51], v[43:44], -v[47:48]
	v_add_f64 v[29:30], v[31:32], -v[47:48]
	v_add_f64 v[31:32], v[27:28], v[23:24]
	v_add_f64 v[25:26], v[25:26], -v[50:51]
	v_add_f64 v[25:26], v[29:30], v[25:26]
	v_add_f64 v[29:30], v[31:32], -v[27:28]
	;; [unrolled: 2-line block ×3, first 2 shown]
	v_add_f64 v[23:24], v[23:24], -v[29:30]
	v_add_f64 v[45:46], v[43:44], v[25:26]
	v_add_f64 v[27:28], v[27:28], -v[31:32]
	v_add_f64 v[29:30], v[45:46], -v[43:44]
	v_add_f64 v[23:24], v[23:24], v[27:28]
	v_add_f64 v[25:26], v[25:26], -v[29:30]
	v_add_f64 v[23:24], v[23:24], v[25:26]
	v_mov_b32_e32 v25, 0x7ff80000
	v_mov_b32_e32 v26, 0xfff00000
	v_add_f64 v[23:24], v[45:46], v[23:24]
	v_cndmask_b32_e64 v23, 0, v23, s[4:5]
	v_cmp_ngt_f64_e64 s[4:5], -1.0, v[13:14]
	v_cndmask_b32_e64 v0, v0, v24, s[18:19]
	v_cndmask_b32_e64 v0, v25, v0, s[4:5]
	v_cmp_neq_f64_e64 s[4:5], -1.0, v[13:14]
	v_cndmask_b32_e64 v24, v26, v0, s[4:5]
	v_add_f64 v[13:14], v[21:22], v[23:24]
.LBB60_82:
	s_or_b64 exec, exec, s[20:21]
	v_max_f64 v[21:22], v[13:14], v[13:14]
	v_cmp_u_f64_e64 s[4:5], v[13:14], v[13:14]
	s_movk_i32 s26, 0x1f8
	v_min_f64 v[23:24], v[21:22], v[33:34]
	v_max_f64 v[21:22], v[21:22], v[33:34]
	v_cndmask_b32_e64 v0, v23, v13, s[4:5]
	v_cndmask_b32_e64 v23, v24, v14, s[4:5]
	;; [unrolled: 1-line block ×8, first 2 shown]
	v_cmp_neq_f64_e64 s[4:5], v[23:24], v[21:22]
	v_cmp_class_f64_e64 s[18:19], v[23:24], s26
	v_mov_b32_e32 v16, v14
	v_mov_b32_e32 v15, v13
	s_or_b64 s[4:5], s[4:5], s[18:19]
	s_and_saveexec_b64 s[20:21], s[4:5]
	s_cbranch_execz .LBB60_84
; %bb.83:
	v_add_f64 v[15:16], v[23:24], -v[21:22]
	s_mov_b32 s4, 0x652b82fe
	s_mov_b32 s5, 0x3ff71547
	s_mov_b32 s23, 0xbfe62e42
	s_mov_b32 s22, 0xfefa39ef
	s_mov_b32 s25, 0xbc7abc9e
	s_mov_b32 s24, 0x3b39803f
	v_mov_b32_e32 v27, 0xfca7ab0c
	v_mul_f64 v[23:24], v[15:16], s[4:5]
	s_mov_b32 s4, 0x6a5dcb37
	v_mov_b32_e32 v28, 0x3e928af3
	s_mov_b32 s5, 0x3e5ade15
	s_mov_b32 s18, 0
	;; [unrolled: 1-line block ×3, first 2 shown]
	v_cmp_ngt_f64_e64 s[18:19], s[18:19], v[15:16]
	v_rndne_f64_e32 v[23:24], v[23:24]
	v_fma_f64 v[25:26], v[23:24], s[22:23], v[15:16]
	v_cvt_i32_f64_e32 v0, v[23:24]
	s_mov_b32 s23, 0x3fe62e42
	v_fma_f64 v[25:26], v[23:24], s[24:25], v[25:26]
	s_mov_b32 s25, 0x3c7abc9e
	v_fma_f64 v[27:28], v[25:26], s[4:5], v[27:28]
	s_mov_b32 s4, 0x623fde64
	s_mov_b32 s5, 0x3ec71dee
	v_fma_f64 v[27:28], v[25:26], v[27:28], s[4:5]
	s_mov_b32 s4, 0x7c89e6b0
	;; [unrolled: 3-line block ×9, first 2 shown]
	s_mov_b32 s5, 0x40900000
	v_cmp_nlt_f64_e64 s[4:5], s[4:5], v[15:16]
	v_fma_f64 v[27:28], v[25:26], v[27:28], 1.0
	v_fma_f64 v[25:26], v[25:26], v[27:28], 1.0
	v_ldexp_f64 v[23:24], v[25:26], v0
	v_mov_b32_e32 v0, 0x7ff00000
	v_cndmask_b32_e64 v24, v0, v24, s[4:5]
	s_and_b64 s[4:5], s[18:19], s[4:5]
	v_cndmask_b32_e64 v16, 0, v24, s[18:19]
	v_cndmask_b32_e64 v15, 0, v23, s[4:5]
	v_add_f64 v[23:24], v[15:16], 1.0
	s_mov_b32 s19, 0x3fe55555
	s_mov_b32 s18, 0x55555555
	v_frexp_mant_f64_e32 v[27:28], v[23:24]
	v_frexp_exp_i32_f64_e32 v31, v[23:24]
	v_add_f64 v[25:26], v[23:24], -1.0
	v_cmp_gt_f64_e64 s[4:5], s[18:19], v[27:28]
	s_mov_b32 s18, 0x55555780
	v_add_f64 v[29:30], v[25:26], -v[23:24]
	v_add_f64 v[25:26], v[15:16], -v[25:26]
	v_subbrev_co_u32_e64 v54, s[4:5], 0, v31, s[4:5]
	v_sub_u32_e32 v31, 0, v54
	v_ldexp_f64 v[23:24], v[23:24], v31
	v_add_f64 v[27:28], v[29:30], 1.0
	s_mov_b32 s4, 0xbf559e2b
	s_mov_b32 s5, 0x3fc3ab76
	v_add_f64 v[29:30], v[23:24], 1.0
	v_add_f64 v[25:26], v[25:26], v[27:28]
	v_add_f64 v[43:44], v[23:24], -1.0
	v_add_f64 v[27:28], v[29:30], -1.0
	v_ldexp_f64 v[25:26], v[25:26], v31
	v_add_f64 v[45:46], v[43:44], 1.0
	v_add_f64 v[27:28], v[23:24], -v[27:28]
	v_add_f64 v[23:24], v[23:24], -v[45:46]
	v_add_f64 v[27:28], v[25:26], v[27:28]
	v_add_f64 v[23:24], v[25:26], v[23:24]
	;; [unrolled: 1-line block ×4, first 2 shown]
	v_rcp_f64_e32 v[33:34], v[31:32]
	v_add_f64 v[29:30], v[31:32], -v[29:30]
	v_add_f64 v[43:44], v[45:46], -v[43:44]
	;; [unrolled: 1-line block ×4, first 2 shown]
	v_fma_f64 v[47:48], -v[31:32], v[33:34], 1.0
	v_fma_f64 v[33:34], v[47:48], v[33:34], v[33:34]
	v_fma_f64 v[25:26], -v[31:32], v[33:34], 1.0
	v_fma_f64 v[25:26], v[25:26], v[33:34], v[33:34]
	v_mul_f64 v[33:34], v[45:46], v[25:26]
	v_mul_f64 v[47:48], v[31:32], v[33:34]
	v_fma_f64 v[29:30], v[33:34], v[31:32], -v[47:48]
	v_fma_f64 v[29:30], v[33:34], v[27:28], v[29:30]
	v_add_f64 v[50:51], v[47:48], v[29:30]
	v_add_f64 v[52:53], v[45:46], -v[50:51]
	v_add_f64 v[43:44], v[50:51], -v[47:48]
	;; [unrolled: 1-line block ×5, first 2 shown]
	v_add_f64 v[23:24], v[23:24], v[45:46]
	v_add_f64 v[23:24], v[29:30], v[23:24]
	;; [unrolled: 1-line block ×3, first 2 shown]
	v_mul_f64 v[43:44], v[25:26], v[29:30]
	v_add_f64 v[50:51], v[52:53], -v[29:30]
	v_mul_f64 v[45:46], v[31:32], v[43:44]
	v_add_f64 v[23:24], v[23:24], v[50:51]
	v_fma_f64 v[31:32], v[43:44], v[31:32], -v[45:46]
	v_fma_f64 v[27:28], v[43:44], v[27:28], v[31:32]
	v_add_f64 v[31:32], v[45:46], v[27:28]
	v_add_f64 v[47:48], v[29:30], -v[31:32]
	v_add_f64 v[45:46], v[31:32], -v[45:46]
	;; [unrolled: 1-line block ×5, first 2 shown]
	v_mov_b32_e32 v31, 0x6b47b09a
	v_mov_b32_e32 v32, 0x3fc38538
	v_add_f64 v[23:24], v[23:24], v[29:30]
	v_add_f64 v[29:30], v[33:34], v[43:44]
	;; [unrolled: 1-line block ×3, first 2 shown]
	v_add_f64 v[27:28], v[29:30], -v[33:34]
	v_add_f64 v[23:24], v[47:48], v[23:24]
	v_add_f64 v[27:28], v[43:44], -v[27:28]
	v_mul_f64 v[23:24], v[25:26], v[23:24]
	v_add_f64 v[23:24], v[27:28], v[23:24]
	v_add_f64 v[25:26], v[29:30], v[23:24]
	v_mul_f64 v[27:28], v[25:26], v[25:26]
	v_fma_f64 v[31:32], v[27:28], s[4:5], v[31:32]
	s_mov_b32 s4, 0xd7f4df2e
	s_mov_b32 s5, 0x3fc7474d
	v_mul_f64 v[33:34], v[25:26], v[27:28]
	v_fma_f64 v[31:32], v[27:28], v[31:32], s[4:5]
	s_mov_b32 s4, 0x16291751
	s_mov_b32 s5, 0x3fcc71c0
	v_fma_f64 v[31:32], v[27:28], v[31:32], s[4:5]
	s_mov_b32 s4, 0x9b27acf1
	s_mov_b32 s5, 0x3fd24924
	;; [unrolled: 3-line block ×3, first 2 shown]
	v_fma_f64 v[31:32], v[27:28], v[31:32], s[4:5]
	v_cmp_nge_f64_e64 s[4:5], -1.0, v[15:16]
	v_fma_f64 v[27:28], v[27:28], v[31:32], s[18:19]
	v_ldexp_f64 v[31:32], v[25:26], 1
	v_add_f64 v[25:26], v[25:26], -v[29:30]
	s_mov_b32 s18, 0
	s_mov_b32 s19, 0x7ff00000
	v_cmp_neq_f64_e64 s[18:19], s[18:19], v[15:16]
	v_mul_f64 v[27:28], v[33:34], v[27:28]
	v_cvt_f64_i32_e32 v[33:34], v54
	v_add_f64 v[23:24], v[23:24], -v[25:26]
	v_mul_f64 v[43:44], v[33:34], s[22:23]
	s_and_b64 s[4:5], s[4:5], s[18:19]
	v_add_f64 v[29:30], v[31:32], v[27:28]
	v_ldexp_f64 v[23:24], v[23:24], 1
	v_add_f64 v[25:26], v[29:30], -v[31:32]
	v_fma_f64 v[31:32], v[33:34], s[22:23], -v[43:44]
	v_add_f64 v[25:26], v[27:28], -v[25:26]
	v_fma_f64 v[27:28], v[33:34], s[24:25], v[31:32]
	v_add_f64 v[23:24], v[23:24], v[25:26]
	v_add_f64 v[25:26], v[43:44], v[27:28]
	;; [unrolled: 1-line block ×3, first 2 shown]
	v_add_f64 v[43:44], v[25:26], -v[43:44]
	v_add_f64 v[33:34], v[25:26], v[31:32]
	v_add_f64 v[29:30], v[31:32], -v[29:30]
	v_add_f64 v[27:28], v[27:28], -v[43:44]
	;; [unrolled: 1-line block ×6, first 2 shown]
	v_add_f64 v[31:32], v[27:28], v[23:24]
	v_add_f64 v[25:26], v[25:26], -v[47:48]
	v_add_f64 v[25:26], v[29:30], v[25:26]
	v_add_f64 v[29:30], v[31:32], -v[27:28]
	v_add_f64 v[25:26], v[31:32], v[25:26]
	v_add_f64 v[31:32], v[31:32], -v[29:30]
	v_add_f64 v[23:24], v[23:24], -v[29:30]
	v_add_f64 v[43:44], v[33:34], v[25:26]
	v_add_f64 v[27:28], v[27:28], -v[31:32]
	v_add_f64 v[29:30], v[43:44], -v[33:34]
	v_add_f64 v[23:24], v[23:24], v[27:28]
	v_add_f64 v[25:26], v[25:26], -v[29:30]
	v_add_f64 v[23:24], v[23:24], v[25:26]
	v_mov_b32_e32 v25, 0x7ff80000
	v_mov_b32_e32 v26, 0xfff00000
	v_add_f64 v[23:24], v[43:44], v[23:24]
	v_cndmask_b32_e64 v23, 0, v23, s[4:5]
	v_cmp_ngt_f64_e64 s[4:5], -1.0, v[15:16]
	v_cndmask_b32_e64 v0, v0, v24, s[18:19]
	v_cndmask_b32_e64 v0, v25, v0, s[4:5]
	v_cmp_neq_f64_e64 s[4:5], -1.0, v[15:16]
	v_cndmask_b32_e64 v24, v26, v0, s[4:5]
	v_add_f64 v[15:16], v[21:22], v[23:24]
.LBB60_84:
	s_or_b64 exec, exec, s[20:21]
	v_max_f64 v[21:22], v[15:16], v[15:16]
	v_cmp_u_f64_e64 s[4:5], v[15:16], v[15:16]
	v_min_f64 v[23:24], v[21:22], v[35:36]
	v_max_f64 v[21:22], v[21:22], v[35:36]
	v_cndmask_b32_e64 v0, v23, v15, s[4:5]
	v_cndmask_b32_e64 v23, v24, v16, s[4:5]
	;; [unrolled: 1-line block ×8, first 2 shown]
	v_cmp_neq_f64_e64 s[4:5], v[23:24], v[21:22]
	v_cmp_class_f64_e64 s[18:19], v[23:24], s26
	v_mov_b32_e32 v9, v15
	v_mov_b32_e32 v10, v16
	s_or_b64 s[4:5], s[4:5], s[18:19]
	s_and_saveexec_b64 s[20:21], s[4:5]
	s_cbranch_execz .LBB60_86
; %bb.85:
	v_add_f64 v[9:10], v[23:24], -v[21:22]
	s_mov_b32 s4, 0x652b82fe
	s_mov_b32 s5, 0x3ff71547
	;; [unrolled: 1-line block ×6, first 2 shown]
	v_mov_b32_e32 v27, 0xfca7ab0c
	v_mul_f64 v[23:24], v[9:10], s[4:5]
	s_mov_b32 s4, 0x6a5dcb37
	v_mov_b32_e32 v28, 0x3e928af3
	s_mov_b32 s5, 0x3e5ade15
	s_mov_b32 s18, 0
	;; [unrolled: 1-line block ×3, first 2 shown]
	v_cmp_ngt_f64_e64 s[18:19], s[18:19], v[9:10]
	v_rndne_f64_e32 v[23:24], v[23:24]
	v_fma_f64 v[25:26], v[23:24], s[22:23], v[9:10]
	v_cvt_i32_f64_e32 v0, v[23:24]
	s_mov_b32 s23, 0x3fe62e42
	v_fma_f64 v[25:26], v[23:24], s[24:25], v[25:26]
	s_mov_b32 s25, 0x3c7abc9e
	v_fma_f64 v[27:28], v[25:26], s[4:5], v[27:28]
	s_mov_b32 s4, 0x623fde64
	s_mov_b32 s5, 0x3ec71dee
	v_fma_f64 v[27:28], v[25:26], v[27:28], s[4:5]
	s_mov_b32 s4, 0x7c89e6b0
	;; [unrolled: 3-line block ×9, first 2 shown]
	s_mov_b32 s5, 0x40900000
	v_cmp_nlt_f64_e64 s[4:5], s[4:5], v[9:10]
	v_fma_f64 v[27:28], v[25:26], v[27:28], 1.0
	v_fma_f64 v[25:26], v[25:26], v[27:28], 1.0
	v_ldexp_f64 v[23:24], v[25:26], v0
	v_mov_b32_e32 v0, 0x7ff00000
	v_cndmask_b32_e64 v24, v0, v24, s[4:5]
	s_and_b64 s[4:5], s[18:19], s[4:5]
	v_cndmask_b32_e64 v10, 0, v24, s[18:19]
	v_cndmask_b32_e64 v9, 0, v23, s[4:5]
	v_add_f64 v[23:24], v[9:10], 1.0
	s_mov_b32 s19, 0x3fe55555
	s_mov_b32 s18, 0x55555555
	v_frexp_mant_f64_e32 v[27:28], v[23:24]
	v_frexp_exp_i32_f64_e32 v31, v[23:24]
	v_add_f64 v[25:26], v[23:24], -1.0
	v_cmp_gt_f64_e64 s[4:5], s[18:19], v[27:28]
	s_mov_b32 s18, 0x55555780
	v_add_f64 v[29:30], v[25:26], -v[23:24]
	v_add_f64 v[25:26], v[9:10], -v[25:26]
	v_subbrev_co_u32_e64 v52, s[4:5], 0, v31, s[4:5]
	v_sub_u32_e32 v31, 0, v52
	v_ldexp_f64 v[23:24], v[23:24], v31
	v_add_f64 v[27:28], v[29:30], 1.0
	s_mov_b32 s4, 0xbf559e2b
	s_mov_b32 s5, 0x3fc3ab76
	v_add_f64 v[29:30], v[23:24], 1.0
	v_add_f64 v[25:26], v[25:26], v[27:28]
	v_add_f64 v[35:36], v[23:24], -1.0
	v_add_f64 v[27:28], v[29:30], -1.0
	v_ldexp_f64 v[25:26], v[25:26], v31
	v_add_f64 v[43:44], v[35:36], 1.0
	v_add_f64 v[27:28], v[23:24], -v[27:28]
	v_add_f64 v[23:24], v[23:24], -v[43:44]
	v_add_f64 v[27:28], v[25:26], v[27:28]
	v_add_f64 v[23:24], v[25:26], v[23:24]
	;; [unrolled: 1-line block ×4, first 2 shown]
	v_rcp_f64_e32 v[33:34], v[31:32]
	v_add_f64 v[29:30], v[31:32], -v[29:30]
	v_add_f64 v[35:36], v[43:44], -v[35:36]
	;; [unrolled: 1-line block ×4, first 2 shown]
	v_fma_f64 v[45:46], -v[31:32], v[33:34], 1.0
	v_fma_f64 v[33:34], v[45:46], v[33:34], v[33:34]
	v_fma_f64 v[25:26], -v[31:32], v[33:34], 1.0
	v_fma_f64 v[25:26], v[25:26], v[33:34], v[33:34]
	v_mul_f64 v[33:34], v[43:44], v[25:26]
	v_mul_f64 v[45:46], v[31:32], v[33:34]
	v_fma_f64 v[29:30], v[33:34], v[31:32], -v[45:46]
	v_fma_f64 v[29:30], v[33:34], v[27:28], v[29:30]
	v_add_f64 v[47:48], v[45:46], v[29:30]
	v_add_f64 v[50:51], v[43:44], -v[47:48]
	v_add_f64 v[35:36], v[47:48], -v[45:46]
	;; [unrolled: 1-line block ×5, first 2 shown]
	v_add_f64 v[23:24], v[23:24], v[43:44]
	v_add_f64 v[23:24], v[29:30], v[23:24]
	;; [unrolled: 1-line block ×3, first 2 shown]
	v_mul_f64 v[35:36], v[25:26], v[29:30]
	v_add_f64 v[47:48], v[50:51], -v[29:30]
	v_mul_f64 v[43:44], v[31:32], v[35:36]
	v_add_f64 v[23:24], v[23:24], v[47:48]
	v_fma_f64 v[31:32], v[35:36], v[31:32], -v[43:44]
	v_fma_f64 v[27:28], v[35:36], v[27:28], v[31:32]
	v_add_f64 v[31:32], v[43:44], v[27:28]
	v_add_f64 v[45:46], v[29:30], -v[31:32]
	v_add_f64 v[43:44], v[31:32], -v[43:44]
	;; [unrolled: 1-line block ×5, first 2 shown]
	v_mov_b32_e32 v31, 0x6b47b09a
	v_mov_b32_e32 v32, 0x3fc38538
	v_add_f64 v[23:24], v[23:24], v[29:30]
	v_add_f64 v[29:30], v[33:34], v[35:36]
	;; [unrolled: 1-line block ×3, first 2 shown]
	v_add_f64 v[27:28], v[29:30], -v[33:34]
	v_add_f64 v[23:24], v[45:46], v[23:24]
	v_add_f64 v[27:28], v[35:36], -v[27:28]
	v_mul_f64 v[23:24], v[25:26], v[23:24]
	v_add_f64 v[23:24], v[27:28], v[23:24]
	v_add_f64 v[25:26], v[29:30], v[23:24]
	v_mul_f64 v[27:28], v[25:26], v[25:26]
	v_fma_f64 v[31:32], v[27:28], s[4:5], v[31:32]
	s_mov_b32 s4, 0xd7f4df2e
	s_mov_b32 s5, 0x3fc7474d
	v_mul_f64 v[33:34], v[25:26], v[27:28]
	v_fma_f64 v[31:32], v[27:28], v[31:32], s[4:5]
	s_mov_b32 s4, 0x16291751
	s_mov_b32 s5, 0x3fcc71c0
	v_fma_f64 v[31:32], v[27:28], v[31:32], s[4:5]
	s_mov_b32 s4, 0x9b27acf1
	s_mov_b32 s5, 0x3fd24924
	;; [unrolled: 3-line block ×3, first 2 shown]
	v_fma_f64 v[31:32], v[27:28], v[31:32], s[4:5]
	v_cmp_nge_f64_e64 s[4:5], -1.0, v[9:10]
	v_fma_f64 v[27:28], v[27:28], v[31:32], s[18:19]
	v_ldexp_f64 v[31:32], v[25:26], 1
	v_add_f64 v[25:26], v[25:26], -v[29:30]
	s_mov_b32 s18, 0
	s_mov_b32 s19, 0x7ff00000
	v_cmp_neq_f64_e64 s[18:19], s[18:19], v[9:10]
	v_mul_f64 v[27:28], v[33:34], v[27:28]
	v_cvt_f64_i32_e32 v[33:34], v52
	v_add_f64 v[23:24], v[23:24], -v[25:26]
	v_mul_f64 v[35:36], v[33:34], s[22:23]
	s_and_b64 s[4:5], s[4:5], s[18:19]
	v_add_f64 v[29:30], v[31:32], v[27:28]
	v_ldexp_f64 v[23:24], v[23:24], 1
	v_add_f64 v[25:26], v[29:30], -v[31:32]
	v_fma_f64 v[31:32], v[33:34], s[22:23], -v[35:36]
	v_add_f64 v[25:26], v[27:28], -v[25:26]
	v_fma_f64 v[27:28], v[33:34], s[24:25], v[31:32]
	v_add_f64 v[23:24], v[23:24], v[25:26]
	v_add_f64 v[25:26], v[35:36], v[27:28]
	;; [unrolled: 1-line block ×3, first 2 shown]
	v_add_f64 v[35:36], v[25:26], -v[35:36]
	v_add_f64 v[33:34], v[25:26], v[31:32]
	v_add_f64 v[29:30], v[31:32], -v[29:30]
	v_add_f64 v[27:28], v[27:28], -v[35:36]
	;; [unrolled: 1-line block ×6, first 2 shown]
	v_add_f64 v[31:32], v[27:28], v[23:24]
	v_add_f64 v[25:26], v[25:26], -v[45:46]
	v_add_f64 v[25:26], v[29:30], v[25:26]
	v_add_f64 v[29:30], v[31:32], -v[27:28]
	;; [unrolled: 2-line block ×3, first 2 shown]
	v_add_f64 v[23:24], v[23:24], -v[29:30]
	v_add_f64 v[35:36], v[33:34], v[25:26]
	v_add_f64 v[27:28], v[27:28], -v[31:32]
	v_add_f64 v[29:30], v[35:36], -v[33:34]
	v_add_f64 v[23:24], v[23:24], v[27:28]
	v_add_f64 v[25:26], v[25:26], -v[29:30]
	v_add_f64 v[23:24], v[23:24], v[25:26]
	v_mov_b32_e32 v25, 0x7ff80000
	v_mov_b32_e32 v26, 0xfff00000
	v_add_f64 v[23:24], v[35:36], v[23:24]
	v_cndmask_b32_e64 v23, 0, v23, s[4:5]
	v_cmp_ngt_f64_e64 s[4:5], -1.0, v[9:10]
	v_cndmask_b32_e64 v0, v0, v24, s[18:19]
	v_cndmask_b32_e64 v0, v25, v0, s[4:5]
	v_cmp_neq_f64_e64 s[4:5], -1.0, v[9:10]
	v_cndmask_b32_e64 v24, v26, v0, s[4:5]
	v_add_f64 v[9:10], v[21:22], v[23:24]
.LBB60_86:
	s_or_b64 exec, exec, s[20:21]
	v_max_f64 v[21:22], v[9:10], v[9:10]
	v_cmp_u_f64_e64 s[4:5], v[9:10], v[9:10]
	v_min_f64 v[23:24], v[21:22], v[37:38]
	v_max_f64 v[21:22], v[21:22], v[37:38]
	v_cndmask_b32_e64 v0, v23, v9, s[4:5]
	v_cndmask_b32_e64 v23, v24, v10, s[4:5]
	;; [unrolled: 1-line block ×8, first 2 shown]
	v_cmp_neq_f64_e64 s[4:5], v[23:24], v[21:22]
	v_cmp_class_f64_e64 s[18:19], v[23:24], s26
	v_mov_b32_e32 v12, v10
	v_mov_b32_e32 v11, v9
	s_or_b64 s[4:5], s[4:5], s[18:19]
	s_and_saveexec_b64 s[20:21], s[4:5]
	s_cbranch_execz .LBB60_88
; %bb.87:
	v_add_f64 v[11:12], v[23:24], -v[21:22]
	s_mov_b32 s4, 0x652b82fe
	s_mov_b32 s5, 0x3ff71547
	;; [unrolled: 1-line block ×6, first 2 shown]
	v_mov_b32_e32 v27, 0xfca7ab0c
	v_mul_f64 v[23:24], v[11:12], s[4:5]
	s_mov_b32 s4, 0x6a5dcb37
	v_mov_b32_e32 v28, 0x3e928af3
	s_mov_b32 s5, 0x3e5ade15
	s_mov_b32 s18, 0
	;; [unrolled: 1-line block ×3, first 2 shown]
	v_cmp_ngt_f64_e64 s[18:19], s[18:19], v[11:12]
	v_rndne_f64_e32 v[23:24], v[23:24]
	v_fma_f64 v[25:26], v[23:24], s[22:23], v[11:12]
	v_cvt_i32_f64_e32 v0, v[23:24]
	s_mov_b32 s23, 0x3fe62e42
	v_fma_f64 v[25:26], v[23:24], s[24:25], v[25:26]
	s_mov_b32 s25, 0x3c7abc9e
	v_fma_f64 v[27:28], v[25:26], s[4:5], v[27:28]
	s_mov_b32 s4, 0x623fde64
	s_mov_b32 s5, 0x3ec71dee
	v_fma_f64 v[27:28], v[25:26], v[27:28], s[4:5]
	s_mov_b32 s4, 0x7c89e6b0
	s_mov_b32 s5, 0x3efa0199
	v_fma_f64 v[27:28], v[25:26], v[27:28], s[4:5]
	s_mov_b32 s4, 0x14761f6e
	s_mov_b32 s5, 0x3f2a01a0
	v_fma_f64 v[27:28], v[25:26], v[27:28], s[4:5]
	s_mov_b32 s4, 0x1852b7b0
	s_mov_b32 s5, 0x3f56c16c
	v_fma_f64 v[27:28], v[25:26], v[27:28], s[4:5]
	s_mov_b32 s4, 0x11122322
	s_mov_b32 s5, 0x3f811111
	v_fma_f64 v[27:28], v[25:26], v[27:28], s[4:5]
	s_mov_b32 s4, 0x555502a1
	s_mov_b32 s5, 0x3fa55555
	v_fma_f64 v[27:28], v[25:26], v[27:28], s[4:5]
	s_mov_b32 s4, 0x55555511
	s_mov_b32 s5, 0x3fc55555
	v_fma_f64 v[27:28], v[25:26], v[27:28], s[4:5]
	s_mov_b32 s4, 11
	s_mov_b32 s5, 0x3fe00000
	v_fma_f64 v[27:28], v[25:26], v[27:28], s[4:5]
	s_mov_b32 s4, 0
	s_mov_b32 s5, 0x40900000
	v_cmp_nlt_f64_e64 s[4:5], s[4:5], v[11:12]
	v_fma_f64 v[27:28], v[25:26], v[27:28], 1.0
	v_fma_f64 v[25:26], v[25:26], v[27:28], 1.0
	v_ldexp_f64 v[23:24], v[25:26], v0
	v_mov_b32_e32 v0, 0x7ff00000
	v_cndmask_b32_e64 v24, v0, v24, s[4:5]
	s_and_b64 s[4:5], s[18:19], s[4:5]
	v_cndmask_b32_e64 v12, 0, v24, s[18:19]
	v_cndmask_b32_e64 v11, 0, v23, s[4:5]
	v_add_f64 v[23:24], v[11:12], 1.0
	s_mov_b32 s19, 0x3fe55555
	s_mov_b32 s18, 0x55555555
	v_frexp_mant_f64_e32 v[27:28], v[23:24]
	v_frexp_exp_i32_f64_e32 v31, v[23:24]
	v_add_f64 v[25:26], v[23:24], -1.0
	v_cmp_gt_f64_e64 s[4:5], s[18:19], v[27:28]
	s_mov_b32 s18, 0x55555780
	v_add_f64 v[29:30], v[25:26], -v[23:24]
	v_add_f64 v[25:26], v[11:12], -v[25:26]
	v_subbrev_co_u32_e64 v50, s[4:5], 0, v31, s[4:5]
	v_sub_u32_e32 v31, 0, v50
	v_ldexp_f64 v[23:24], v[23:24], v31
	v_add_f64 v[27:28], v[29:30], 1.0
	s_mov_b32 s4, 0xbf559e2b
	s_mov_b32 s5, 0x3fc3ab76
	v_add_f64 v[29:30], v[23:24], 1.0
	v_add_f64 v[25:26], v[25:26], v[27:28]
	v_add_f64 v[35:36], v[23:24], -1.0
	v_add_f64 v[27:28], v[29:30], -1.0
	v_ldexp_f64 v[25:26], v[25:26], v31
	v_add_f64 v[37:38], v[35:36], 1.0
	v_add_f64 v[27:28], v[23:24], -v[27:28]
	v_add_f64 v[23:24], v[23:24], -v[37:38]
	v_add_f64 v[27:28], v[25:26], v[27:28]
	v_add_f64 v[23:24], v[25:26], v[23:24]
	;; [unrolled: 1-line block ×4, first 2 shown]
	v_rcp_f64_e32 v[33:34], v[31:32]
	v_add_f64 v[29:30], v[31:32], -v[29:30]
	v_add_f64 v[35:36], v[37:38], -v[35:36]
	v_add_f64 v[27:28], v[27:28], -v[29:30]
	v_add_f64 v[23:24], v[23:24], -v[35:36]
	v_fma_f64 v[43:44], -v[31:32], v[33:34], 1.0
	v_fma_f64 v[33:34], v[43:44], v[33:34], v[33:34]
	v_fma_f64 v[25:26], -v[31:32], v[33:34], 1.0
	v_fma_f64 v[25:26], v[25:26], v[33:34], v[33:34]
	v_mul_f64 v[33:34], v[37:38], v[25:26]
	v_mul_f64 v[43:44], v[31:32], v[33:34]
	v_fma_f64 v[29:30], v[33:34], v[31:32], -v[43:44]
	v_fma_f64 v[29:30], v[33:34], v[27:28], v[29:30]
	v_add_f64 v[45:46], v[43:44], v[29:30]
	v_add_f64 v[47:48], v[37:38], -v[45:46]
	v_add_f64 v[35:36], v[45:46], -v[43:44]
	;; [unrolled: 1-line block ×5, first 2 shown]
	v_add_f64 v[23:24], v[23:24], v[37:38]
	v_add_f64 v[23:24], v[29:30], v[23:24]
	;; [unrolled: 1-line block ×3, first 2 shown]
	v_mul_f64 v[35:36], v[25:26], v[29:30]
	v_add_f64 v[45:46], v[47:48], -v[29:30]
	v_mul_f64 v[37:38], v[31:32], v[35:36]
	v_add_f64 v[23:24], v[23:24], v[45:46]
	v_fma_f64 v[31:32], v[35:36], v[31:32], -v[37:38]
	v_fma_f64 v[27:28], v[35:36], v[27:28], v[31:32]
	v_add_f64 v[31:32], v[37:38], v[27:28]
	v_add_f64 v[43:44], v[29:30], -v[31:32]
	v_add_f64 v[37:38], v[31:32], -v[37:38]
	;; [unrolled: 1-line block ×5, first 2 shown]
	v_mov_b32_e32 v31, 0x6b47b09a
	v_mov_b32_e32 v32, 0x3fc38538
	v_add_f64 v[23:24], v[23:24], v[29:30]
	v_add_f64 v[29:30], v[33:34], v[35:36]
	;; [unrolled: 1-line block ×3, first 2 shown]
	v_add_f64 v[27:28], v[29:30], -v[33:34]
	v_add_f64 v[23:24], v[43:44], v[23:24]
	v_add_f64 v[27:28], v[35:36], -v[27:28]
	v_mul_f64 v[23:24], v[25:26], v[23:24]
	v_add_f64 v[23:24], v[27:28], v[23:24]
	v_add_f64 v[25:26], v[29:30], v[23:24]
	v_mul_f64 v[27:28], v[25:26], v[25:26]
	v_fma_f64 v[31:32], v[27:28], s[4:5], v[31:32]
	s_mov_b32 s4, 0xd7f4df2e
	s_mov_b32 s5, 0x3fc7474d
	v_mul_f64 v[33:34], v[25:26], v[27:28]
	v_fma_f64 v[31:32], v[27:28], v[31:32], s[4:5]
	s_mov_b32 s4, 0x16291751
	s_mov_b32 s5, 0x3fcc71c0
	v_fma_f64 v[31:32], v[27:28], v[31:32], s[4:5]
	s_mov_b32 s4, 0x9b27acf1
	s_mov_b32 s5, 0x3fd24924
	;; [unrolled: 3-line block ×3, first 2 shown]
	v_fma_f64 v[31:32], v[27:28], v[31:32], s[4:5]
	v_cmp_nge_f64_e64 s[4:5], -1.0, v[11:12]
	v_fma_f64 v[27:28], v[27:28], v[31:32], s[18:19]
	v_ldexp_f64 v[31:32], v[25:26], 1
	v_add_f64 v[25:26], v[25:26], -v[29:30]
	s_mov_b32 s18, 0
	s_mov_b32 s19, 0x7ff00000
	v_cmp_neq_f64_e64 s[18:19], s[18:19], v[11:12]
	v_mul_f64 v[27:28], v[33:34], v[27:28]
	v_cvt_f64_i32_e32 v[33:34], v50
	v_add_f64 v[23:24], v[23:24], -v[25:26]
	v_mul_f64 v[35:36], v[33:34], s[22:23]
	s_and_b64 s[4:5], s[4:5], s[18:19]
	v_add_f64 v[29:30], v[31:32], v[27:28]
	v_ldexp_f64 v[23:24], v[23:24], 1
	v_add_f64 v[25:26], v[29:30], -v[31:32]
	v_fma_f64 v[31:32], v[33:34], s[22:23], -v[35:36]
	v_add_f64 v[25:26], v[27:28], -v[25:26]
	v_fma_f64 v[27:28], v[33:34], s[24:25], v[31:32]
	v_add_f64 v[23:24], v[23:24], v[25:26]
	v_add_f64 v[25:26], v[35:36], v[27:28]
	;; [unrolled: 1-line block ×3, first 2 shown]
	v_add_f64 v[35:36], v[25:26], -v[35:36]
	v_add_f64 v[33:34], v[25:26], v[31:32]
	v_add_f64 v[29:30], v[31:32], -v[29:30]
	v_add_f64 v[27:28], v[27:28], -v[35:36]
	;; [unrolled: 1-line block ×6, first 2 shown]
	v_add_f64 v[31:32], v[27:28], v[23:24]
	v_add_f64 v[25:26], v[25:26], -v[43:44]
	v_add_f64 v[25:26], v[29:30], v[25:26]
	v_add_f64 v[29:30], v[31:32], -v[27:28]
	;; [unrolled: 2-line block ×3, first 2 shown]
	v_add_f64 v[23:24], v[23:24], -v[29:30]
	v_add_f64 v[35:36], v[33:34], v[25:26]
	v_add_f64 v[27:28], v[27:28], -v[31:32]
	v_add_f64 v[29:30], v[35:36], -v[33:34]
	v_add_f64 v[23:24], v[23:24], v[27:28]
	v_add_f64 v[25:26], v[25:26], -v[29:30]
	v_add_f64 v[23:24], v[23:24], v[25:26]
	v_mov_b32_e32 v25, 0x7ff80000
	v_mov_b32_e32 v26, 0xfff00000
	v_add_f64 v[23:24], v[35:36], v[23:24]
	v_cndmask_b32_e64 v23, 0, v23, s[4:5]
	v_cmp_ngt_f64_e64 s[4:5], -1.0, v[11:12]
	v_cndmask_b32_e64 v0, v0, v24, s[18:19]
	v_cndmask_b32_e64 v0, v25, v0, s[4:5]
	v_cmp_neq_f64_e64 s[4:5], -1.0, v[11:12]
	v_cndmask_b32_e64 v24, v26, v0, s[4:5]
	v_add_f64 v[11:12], v[21:22], v[23:24]
.LBB60_88:
	s_or_b64 exec, exec, s[20:21]
	v_max_f64 v[21:22], v[11:12], v[11:12]
	v_cmp_u_f64_e64 s[4:5], v[11:12], v[11:12]
	v_min_f64 v[23:24], v[21:22], v[39:40]
	v_max_f64 v[21:22], v[21:22], v[39:40]
	v_cndmask_b32_e64 v0, v23, v11, s[4:5]
	v_cndmask_b32_e64 v23, v24, v12, s[4:5]
	;; [unrolled: 1-line block ×8, first 2 shown]
	v_cmp_neq_f64_e64 s[4:5], v[23:24], v[21:22]
	v_cmp_class_f64_e64 s[18:19], v[23:24], s26
	v_mov_b32_e32 v5, v11
	v_mov_b32_e32 v6, v12
	s_or_b64 s[4:5], s[4:5], s[18:19]
	s_and_saveexec_b64 s[20:21], s[4:5]
	s_cbranch_execz .LBB60_90
; %bb.89:
	v_add_f64 v[5:6], v[23:24], -v[21:22]
	s_mov_b32 s4, 0x652b82fe
	s_mov_b32 s5, 0x3ff71547
	;; [unrolled: 1-line block ×6, first 2 shown]
	v_mov_b32_e32 v27, 0xfca7ab0c
	v_mul_f64 v[23:24], v[5:6], s[4:5]
	s_mov_b32 s4, 0x6a5dcb37
	v_mov_b32_e32 v28, 0x3e928af3
	s_mov_b32 s5, 0x3e5ade15
	s_mov_b32 s18, 0
	;; [unrolled: 1-line block ×3, first 2 shown]
	v_cmp_ngt_f64_e64 s[18:19], s[18:19], v[5:6]
	v_rndne_f64_e32 v[23:24], v[23:24]
	v_fma_f64 v[25:26], v[23:24], s[22:23], v[5:6]
	v_cvt_i32_f64_e32 v0, v[23:24]
	s_mov_b32 s23, 0x3fe62e42
	v_fma_f64 v[25:26], v[23:24], s[24:25], v[25:26]
	s_mov_b32 s25, 0x3c7abc9e
	v_fma_f64 v[27:28], v[25:26], s[4:5], v[27:28]
	s_mov_b32 s4, 0x623fde64
	s_mov_b32 s5, 0x3ec71dee
	v_fma_f64 v[27:28], v[25:26], v[27:28], s[4:5]
	s_mov_b32 s4, 0x7c89e6b0
	;; [unrolled: 3-line block ×9, first 2 shown]
	s_mov_b32 s5, 0x40900000
	v_cmp_nlt_f64_e64 s[4:5], s[4:5], v[5:6]
	v_fma_f64 v[27:28], v[25:26], v[27:28], 1.0
	v_fma_f64 v[25:26], v[25:26], v[27:28], 1.0
	v_ldexp_f64 v[23:24], v[25:26], v0
	v_mov_b32_e32 v0, 0x7ff00000
	v_cndmask_b32_e64 v24, v0, v24, s[4:5]
	s_and_b64 s[4:5], s[18:19], s[4:5]
	v_cndmask_b32_e64 v6, 0, v24, s[18:19]
	v_cndmask_b32_e64 v5, 0, v23, s[4:5]
	v_add_f64 v[23:24], v[5:6], 1.0
	s_mov_b32 s19, 0x3fe55555
	s_mov_b32 s18, 0x55555555
	v_frexp_mant_f64_e32 v[27:28], v[23:24]
	v_frexp_exp_i32_f64_e32 v31, v[23:24]
	v_add_f64 v[25:26], v[23:24], -1.0
	v_cmp_gt_f64_e64 s[4:5], s[18:19], v[27:28]
	s_mov_b32 s18, 0x55555780
	v_add_f64 v[29:30], v[25:26], -v[23:24]
	v_add_f64 v[25:26], v[5:6], -v[25:26]
	v_subbrev_co_u32_e64 v47, s[4:5], 0, v31, s[4:5]
	v_sub_u32_e32 v31, 0, v47
	v_ldexp_f64 v[23:24], v[23:24], v31
	v_add_f64 v[27:28], v[29:30], 1.0
	s_mov_b32 s4, 0xbf559e2b
	s_mov_b32 s5, 0x3fc3ab76
	v_add_f64 v[29:30], v[23:24], 1.0
	v_add_f64 v[25:26], v[25:26], v[27:28]
	v_add_f64 v[35:36], v[23:24], -1.0
	v_add_f64 v[27:28], v[29:30], -1.0
	v_ldexp_f64 v[25:26], v[25:26], v31
	v_add_f64 v[37:38], v[35:36], 1.0
	v_add_f64 v[27:28], v[23:24], -v[27:28]
	v_add_f64 v[23:24], v[23:24], -v[37:38]
	v_add_f64 v[27:28], v[25:26], v[27:28]
	v_add_f64 v[23:24], v[25:26], v[23:24]
	;; [unrolled: 1-line block ×4, first 2 shown]
	v_rcp_f64_e32 v[33:34], v[31:32]
	v_add_f64 v[29:30], v[31:32], -v[29:30]
	v_add_f64 v[35:36], v[37:38], -v[35:36]
	;; [unrolled: 1-line block ×4, first 2 shown]
	v_fma_f64 v[39:40], -v[31:32], v[33:34], 1.0
	v_fma_f64 v[33:34], v[39:40], v[33:34], v[33:34]
	v_fma_f64 v[25:26], -v[31:32], v[33:34], 1.0
	v_fma_f64 v[25:26], v[25:26], v[33:34], v[33:34]
	v_mul_f64 v[33:34], v[37:38], v[25:26]
	v_mul_f64 v[39:40], v[31:32], v[33:34]
	v_fma_f64 v[29:30], v[33:34], v[31:32], -v[39:40]
	v_fma_f64 v[29:30], v[33:34], v[27:28], v[29:30]
	v_add_f64 v[43:44], v[39:40], v[29:30]
	v_add_f64 v[45:46], v[37:38], -v[43:44]
	v_add_f64 v[35:36], v[43:44], -v[39:40]
	;; [unrolled: 1-line block ×5, first 2 shown]
	v_add_f64 v[23:24], v[23:24], v[37:38]
	v_add_f64 v[23:24], v[29:30], v[23:24]
	;; [unrolled: 1-line block ×3, first 2 shown]
	v_mul_f64 v[35:36], v[25:26], v[29:30]
	v_add_f64 v[43:44], v[45:46], -v[29:30]
	v_mul_f64 v[37:38], v[31:32], v[35:36]
	v_add_f64 v[23:24], v[23:24], v[43:44]
	v_fma_f64 v[31:32], v[35:36], v[31:32], -v[37:38]
	v_fma_f64 v[27:28], v[35:36], v[27:28], v[31:32]
	v_add_f64 v[31:32], v[37:38], v[27:28]
	v_add_f64 v[39:40], v[29:30], -v[31:32]
	v_add_f64 v[37:38], v[31:32], -v[37:38]
	;; [unrolled: 1-line block ×5, first 2 shown]
	v_mov_b32_e32 v31, 0x6b47b09a
	v_mov_b32_e32 v32, 0x3fc38538
	v_add_f64 v[23:24], v[23:24], v[29:30]
	v_add_f64 v[29:30], v[33:34], v[35:36]
	;; [unrolled: 1-line block ×3, first 2 shown]
	v_add_f64 v[27:28], v[29:30], -v[33:34]
	v_add_f64 v[23:24], v[39:40], v[23:24]
	v_add_f64 v[27:28], v[35:36], -v[27:28]
	v_mul_f64 v[23:24], v[25:26], v[23:24]
	v_add_f64 v[23:24], v[27:28], v[23:24]
	v_add_f64 v[25:26], v[29:30], v[23:24]
	v_mul_f64 v[27:28], v[25:26], v[25:26]
	v_fma_f64 v[31:32], v[27:28], s[4:5], v[31:32]
	s_mov_b32 s4, 0xd7f4df2e
	s_mov_b32 s5, 0x3fc7474d
	v_mul_f64 v[33:34], v[25:26], v[27:28]
	v_fma_f64 v[31:32], v[27:28], v[31:32], s[4:5]
	s_mov_b32 s4, 0x16291751
	s_mov_b32 s5, 0x3fcc71c0
	v_fma_f64 v[31:32], v[27:28], v[31:32], s[4:5]
	s_mov_b32 s4, 0x9b27acf1
	s_mov_b32 s5, 0x3fd24924
	;; [unrolled: 3-line block ×3, first 2 shown]
	v_fma_f64 v[31:32], v[27:28], v[31:32], s[4:5]
	v_cmp_nge_f64_e64 s[4:5], -1.0, v[5:6]
	v_fma_f64 v[27:28], v[27:28], v[31:32], s[18:19]
	v_ldexp_f64 v[31:32], v[25:26], 1
	v_add_f64 v[25:26], v[25:26], -v[29:30]
	s_mov_b32 s18, 0
	s_mov_b32 s19, 0x7ff00000
	v_cmp_neq_f64_e64 s[18:19], s[18:19], v[5:6]
	v_mul_f64 v[27:28], v[33:34], v[27:28]
	v_cvt_f64_i32_e32 v[33:34], v47
	v_add_f64 v[23:24], v[23:24], -v[25:26]
	v_mul_f64 v[35:36], v[33:34], s[22:23]
	s_and_b64 s[4:5], s[4:5], s[18:19]
	v_add_f64 v[29:30], v[31:32], v[27:28]
	v_ldexp_f64 v[23:24], v[23:24], 1
	v_add_f64 v[25:26], v[29:30], -v[31:32]
	v_fma_f64 v[31:32], v[33:34], s[22:23], -v[35:36]
	v_add_f64 v[25:26], v[27:28], -v[25:26]
	v_fma_f64 v[27:28], v[33:34], s[24:25], v[31:32]
	v_add_f64 v[23:24], v[23:24], v[25:26]
	v_add_f64 v[25:26], v[35:36], v[27:28]
	;; [unrolled: 1-line block ×3, first 2 shown]
	v_add_f64 v[35:36], v[25:26], -v[35:36]
	v_add_f64 v[33:34], v[25:26], v[31:32]
	v_add_f64 v[29:30], v[31:32], -v[29:30]
	v_add_f64 v[27:28], v[27:28], -v[35:36]
	;; [unrolled: 1-line block ×6, first 2 shown]
	v_add_f64 v[31:32], v[27:28], v[23:24]
	v_add_f64 v[25:26], v[25:26], -v[39:40]
	v_add_f64 v[25:26], v[29:30], v[25:26]
	v_add_f64 v[29:30], v[31:32], -v[27:28]
	;; [unrolled: 2-line block ×3, first 2 shown]
	v_add_f64 v[23:24], v[23:24], -v[29:30]
	v_add_f64 v[35:36], v[33:34], v[25:26]
	v_add_f64 v[27:28], v[27:28], -v[31:32]
	v_add_f64 v[29:30], v[35:36], -v[33:34]
	v_add_f64 v[23:24], v[23:24], v[27:28]
	v_add_f64 v[25:26], v[25:26], -v[29:30]
	v_add_f64 v[23:24], v[23:24], v[25:26]
	v_mov_b32_e32 v25, 0x7ff80000
	v_mov_b32_e32 v26, 0xfff00000
	v_add_f64 v[23:24], v[35:36], v[23:24]
	v_cndmask_b32_e64 v23, 0, v23, s[4:5]
	v_cmp_ngt_f64_e64 s[4:5], -1.0, v[5:6]
	v_cndmask_b32_e64 v0, v0, v24, s[18:19]
	v_cndmask_b32_e64 v0, v25, v0, s[4:5]
	v_cmp_neq_f64_e64 s[4:5], -1.0, v[5:6]
	v_cndmask_b32_e64 v24, v26, v0, s[4:5]
	v_add_f64 v[5:6], v[21:22], v[23:24]
.LBB60_90:
	s_or_b64 exec, exec, s[20:21]
	v_max_f64 v[21:22], v[5:6], v[5:6]
	v_cmp_u_f64_e64 s[4:5], v[5:6], v[5:6]
	s_movk_i32 s18, 0x1f8
	v_min_f64 v[23:24], v[21:22], v[41:42]
	v_max_f64 v[21:22], v[21:22], v[41:42]
	v_cndmask_b32_e64 v0, v23, v5, s[4:5]
	v_cndmask_b32_e64 v23, v24, v6, s[4:5]
	v_cndmask_b32_e64 v21, v21, v5, s[4:5]
	v_cndmask_b32_e64 v22, v22, v6, s[4:5]
	v_cndmask_b32_e64 v24, v23, v8, s[34:35]
	v_cndmask_b32_e64 v23, v0, v7, s[34:35]
	v_cndmask_b32_e64 v22, v22, v8, s[34:35]
	v_cndmask_b32_e64 v21, v21, v7, s[34:35]
	v_cmp_neq_f64_e64 s[4:5], v[23:24], v[21:22]
	v_cmp_class_f64_e64 s[18:19], v[23:24], s18
	v_mov_b32_e32 v8, v6
	v_mov_b32_e32 v7, v5
	s_or_b64 s[4:5], s[4:5], s[18:19]
	s_and_saveexec_b64 s[20:21], s[4:5]
	s_cbranch_execz .LBB60_92
; %bb.91:
	v_add_f64 v[7:8], v[23:24], -v[21:22]
	s_mov_b32 s4, 0x652b82fe
	s_mov_b32 s5, 0x3ff71547
	;; [unrolled: 1-line block ×6, first 2 shown]
	v_mov_b32_e32 v27, 0xfca7ab0c
	v_mul_f64 v[23:24], v[7:8], s[4:5]
	s_mov_b32 s4, 0x6a5dcb37
	v_mov_b32_e32 v28, 0x3e928af3
	s_mov_b32 s5, 0x3e5ade15
	s_mov_b32 s18, 0
	;; [unrolled: 1-line block ×3, first 2 shown]
	v_cmp_ngt_f64_e64 s[18:19], s[18:19], v[7:8]
	v_rndne_f64_e32 v[23:24], v[23:24]
	v_fma_f64 v[25:26], v[23:24], s[22:23], v[7:8]
	v_cvt_i32_f64_e32 v0, v[23:24]
	s_mov_b32 s23, 0x3fe62e42
	v_fma_f64 v[25:26], v[23:24], s[24:25], v[25:26]
	s_mov_b32 s25, 0x3c7abc9e
	v_fma_f64 v[27:28], v[25:26], s[4:5], v[27:28]
	s_mov_b32 s4, 0x623fde64
	s_mov_b32 s5, 0x3ec71dee
	v_fma_f64 v[27:28], v[25:26], v[27:28], s[4:5]
	s_mov_b32 s4, 0x7c89e6b0
	;; [unrolled: 3-line block ×9, first 2 shown]
	s_mov_b32 s5, 0x40900000
	v_cmp_nlt_f64_e64 s[4:5], s[4:5], v[7:8]
	v_fma_f64 v[27:28], v[25:26], v[27:28], 1.0
	v_fma_f64 v[25:26], v[25:26], v[27:28], 1.0
	v_ldexp_f64 v[23:24], v[25:26], v0
	v_mov_b32_e32 v0, 0x7ff00000
	v_cndmask_b32_e64 v24, v0, v24, s[4:5]
	s_and_b64 s[4:5], s[18:19], s[4:5]
	v_cndmask_b32_e64 v8, 0, v24, s[18:19]
	v_cndmask_b32_e64 v7, 0, v23, s[4:5]
	v_add_f64 v[23:24], v[7:8], 1.0
	s_mov_b32 s19, 0x3fe55555
	s_mov_b32 s18, 0x55555555
	v_frexp_mant_f64_e32 v[27:28], v[23:24]
	v_frexp_exp_i32_f64_e32 v31, v[23:24]
	v_add_f64 v[25:26], v[23:24], -1.0
	v_cmp_gt_f64_e64 s[4:5], s[18:19], v[27:28]
	s_mov_b32 s18, 0x55555780
	v_add_f64 v[29:30], v[25:26], -v[23:24]
	v_add_f64 v[25:26], v[7:8], -v[25:26]
	v_subbrev_co_u32_e64 v45, s[4:5], 0, v31, s[4:5]
	v_sub_u32_e32 v31, 0, v45
	v_ldexp_f64 v[23:24], v[23:24], v31
	v_add_f64 v[27:28], v[29:30], 1.0
	s_mov_b32 s4, 0xbf559e2b
	s_mov_b32 s5, 0x3fc3ab76
	v_add_f64 v[29:30], v[23:24], 1.0
	v_add_f64 v[25:26], v[25:26], v[27:28]
	v_add_f64 v[35:36], v[23:24], -1.0
	v_add_f64 v[27:28], v[29:30], -1.0
	v_ldexp_f64 v[25:26], v[25:26], v31
	v_add_f64 v[37:38], v[35:36], 1.0
	v_add_f64 v[27:28], v[23:24], -v[27:28]
	v_add_f64 v[23:24], v[23:24], -v[37:38]
	v_add_f64 v[27:28], v[25:26], v[27:28]
	v_add_f64 v[23:24], v[25:26], v[23:24]
	;; [unrolled: 1-line block ×4, first 2 shown]
	v_rcp_f64_e32 v[33:34], v[31:32]
	v_add_f64 v[29:30], v[31:32], -v[29:30]
	v_add_f64 v[35:36], v[37:38], -v[35:36]
	;; [unrolled: 1-line block ×4, first 2 shown]
	v_fma_f64 v[39:40], -v[31:32], v[33:34], 1.0
	v_fma_f64 v[33:34], v[39:40], v[33:34], v[33:34]
	v_fma_f64 v[25:26], -v[31:32], v[33:34], 1.0
	v_fma_f64 v[25:26], v[25:26], v[33:34], v[33:34]
	v_mul_f64 v[33:34], v[37:38], v[25:26]
	v_mul_f64 v[39:40], v[31:32], v[33:34]
	v_fma_f64 v[29:30], v[33:34], v[31:32], -v[39:40]
	v_fma_f64 v[29:30], v[33:34], v[27:28], v[29:30]
	v_add_f64 v[41:42], v[39:40], v[29:30]
	v_add_f64 v[43:44], v[37:38], -v[41:42]
	v_add_f64 v[35:36], v[41:42], -v[39:40]
	;; [unrolled: 1-line block ×5, first 2 shown]
	v_add_f64 v[23:24], v[23:24], v[37:38]
	v_add_f64 v[23:24], v[29:30], v[23:24]
	;; [unrolled: 1-line block ×3, first 2 shown]
	v_mul_f64 v[35:36], v[25:26], v[29:30]
	v_add_f64 v[41:42], v[43:44], -v[29:30]
	v_mul_f64 v[37:38], v[31:32], v[35:36]
	v_add_f64 v[23:24], v[23:24], v[41:42]
	v_fma_f64 v[31:32], v[35:36], v[31:32], -v[37:38]
	v_fma_f64 v[27:28], v[35:36], v[27:28], v[31:32]
	v_add_f64 v[31:32], v[37:38], v[27:28]
	v_add_f64 v[39:40], v[29:30], -v[31:32]
	v_add_f64 v[37:38], v[31:32], -v[37:38]
	v_add_f64 v[29:30], v[29:30], -v[39:40]
	v_add_f64 v[27:28], v[37:38], -v[27:28]
	v_add_f64 v[29:30], v[29:30], -v[31:32]
	v_mov_b32_e32 v31, 0x6b47b09a
	v_mov_b32_e32 v32, 0x3fc38538
	v_add_f64 v[23:24], v[23:24], v[29:30]
	v_add_f64 v[29:30], v[33:34], v[35:36]
	;; [unrolled: 1-line block ×3, first 2 shown]
	v_add_f64 v[27:28], v[29:30], -v[33:34]
	v_add_f64 v[23:24], v[39:40], v[23:24]
	v_add_f64 v[27:28], v[35:36], -v[27:28]
	v_mul_f64 v[23:24], v[25:26], v[23:24]
	v_add_f64 v[23:24], v[27:28], v[23:24]
	v_add_f64 v[25:26], v[29:30], v[23:24]
	v_mul_f64 v[27:28], v[25:26], v[25:26]
	v_fma_f64 v[31:32], v[27:28], s[4:5], v[31:32]
	s_mov_b32 s4, 0xd7f4df2e
	s_mov_b32 s5, 0x3fc7474d
	v_mul_f64 v[33:34], v[25:26], v[27:28]
	v_fma_f64 v[31:32], v[27:28], v[31:32], s[4:5]
	s_mov_b32 s4, 0x16291751
	s_mov_b32 s5, 0x3fcc71c0
	v_fma_f64 v[31:32], v[27:28], v[31:32], s[4:5]
	s_mov_b32 s4, 0x9b27acf1
	s_mov_b32 s5, 0x3fd24924
	;; [unrolled: 3-line block ×3, first 2 shown]
	v_fma_f64 v[31:32], v[27:28], v[31:32], s[4:5]
	v_cmp_nge_f64_e64 s[4:5], -1.0, v[7:8]
	v_fma_f64 v[27:28], v[27:28], v[31:32], s[18:19]
	v_ldexp_f64 v[31:32], v[25:26], 1
	v_add_f64 v[25:26], v[25:26], -v[29:30]
	s_mov_b32 s18, 0
	s_mov_b32 s19, 0x7ff00000
	v_cmp_neq_f64_e64 s[18:19], s[18:19], v[7:8]
	v_mul_f64 v[27:28], v[33:34], v[27:28]
	v_cvt_f64_i32_e32 v[33:34], v45
	v_add_f64 v[23:24], v[23:24], -v[25:26]
	v_mul_f64 v[35:36], v[33:34], s[22:23]
	s_and_b64 s[4:5], s[4:5], s[18:19]
	v_add_f64 v[29:30], v[31:32], v[27:28]
	v_ldexp_f64 v[23:24], v[23:24], 1
	v_add_f64 v[25:26], v[29:30], -v[31:32]
	v_fma_f64 v[31:32], v[33:34], s[22:23], -v[35:36]
	v_add_f64 v[25:26], v[27:28], -v[25:26]
	v_fma_f64 v[27:28], v[33:34], s[24:25], v[31:32]
	v_add_f64 v[23:24], v[23:24], v[25:26]
	v_add_f64 v[25:26], v[35:36], v[27:28]
	;; [unrolled: 1-line block ×3, first 2 shown]
	v_add_f64 v[35:36], v[25:26], -v[35:36]
	v_add_f64 v[33:34], v[25:26], v[31:32]
	v_add_f64 v[29:30], v[31:32], -v[29:30]
	v_add_f64 v[27:28], v[27:28], -v[35:36]
	;; [unrolled: 1-line block ×6, first 2 shown]
	v_add_f64 v[31:32], v[27:28], v[23:24]
	v_add_f64 v[25:26], v[25:26], -v[39:40]
	v_add_f64 v[25:26], v[29:30], v[25:26]
	v_add_f64 v[29:30], v[31:32], -v[27:28]
	;; [unrolled: 2-line block ×3, first 2 shown]
	v_add_f64 v[23:24], v[23:24], -v[29:30]
	v_add_f64 v[35:36], v[33:34], v[25:26]
	v_add_f64 v[27:28], v[27:28], -v[31:32]
	v_add_f64 v[29:30], v[35:36], -v[33:34]
	v_add_f64 v[23:24], v[23:24], v[27:28]
	v_add_f64 v[25:26], v[25:26], -v[29:30]
	v_add_f64 v[23:24], v[23:24], v[25:26]
	v_mov_b32_e32 v25, 0x7ff80000
	v_mov_b32_e32 v26, 0xfff00000
	v_add_f64 v[23:24], v[35:36], v[23:24]
	v_cndmask_b32_e64 v23, 0, v23, s[4:5]
	v_cmp_ngt_f64_e64 s[4:5], -1.0, v[7:8]
	v_cndmask_b32_e64 v0, v0, v24, s[18:19]
	v_cndmask_b32_e64 v0, v25, v0, s[4:5]
	v_cmp_neq_f64_e64 s[4:5], -1.0, v[7:8]
	v_cndmask_b32_e64 v24, v26, v0, s[4:5]
	v_add_f64 v[7:8], v[21:22], v[23:24]
.LBB60_92:
	s_or_b64 exec, exec, s[20:21]
	v_add_u32_e32 v0, v57, v49
	s_barrier
	ds_write_b128 v0, v[1:4]
	ds_write_b128 v0, v[17:20] offset:16
	ds_write_b128 v0, v[13:16] offset:32
	;; [unrolled: 1-line block ×4, first 2 shown]
	s_waitcnt lgkmcnt(0)
	s_barrier
	ds_read2st64_b64 v[12:15], v57 offset0:2 offset1:4
	ds_read2st64_b64 v[8:11], v57 offset0:6 offset1:8
	;; [unrolled: 1-line block ×4, first 2 shown]
	ds_read_b64 v[16:17], v57 offset:9216
	v_mov_b32_e32 v19, s47
	v_add_co_u32_e64 v18, s[4:5], s46, v57
	v_addc_co_u32_e64 v19, s[4:5], 0, v19, s[4:5]
	s_and_saveexec_b64 s[4:5], vcc
	s_cbranch_execnz .LBB60_103
; %bb.93:
	s_or_b64 exec, exec, s[4:5]
	s_and_saveexec_b64 s[4:5], s[0:1]
	s_cbranch_execnz .LBB60_104
.LBB60_94:
	s_or_b64 exec, exec, s[4:5]
	s_and_saveexec_b64 s[0:1], s[2:3]
	s_cbranch_execnz .LBB60_105
.LBB60_95:
	s_or_b64 exec, exec, s[0:1]
	s_and_saveexec_b64 s[0:1], s[40:41]
	s_cbranch_execnz .LBB60_106
.LBB60_96:
	s_or_b64 exec, exec, s[0:1]
	s_and_saveexec_b64 s[0:1], s[6:7]
	s_cbranch_execnz .LBB60_107
.LBB60_97:
	s_or_b64 exec, exec, s[0:1]
	s_and_saveexec_b64 s[0:1], s[8:9]
	s_cbranch_execnz .LBB60_108
.LBB60_98:
	s_or_b64 exec, exec, s[0:1]
	s_and_saveexec_b64 s[0:1], s[10:11]
	s_cbranch_execnz .LBB60_109
.LBB60_99:
	s_or_b64 exec, exec, s[0:1]
	s_and_saveexec_b64 s[0:1], s[12:13]
	s_cbranch_execnz .LBB60_110
.LBB60_100:
	s_or_b64 exec, exec, s[0:1]
	s_and_saveexec_b64 s[0:1], s[14:15]
	s_cbranch_execnz .LBB60_111
.LBB60_101:
	s_or_b64 exec, exec, s[0:1]
	s_and_saveexec_b64 s[0:1], s[16:17]
	s_cbranch_execnz .LBB60_112
.LBB60_102:
	s_endpgm
.LBB60_103:
	ds_read_b64 v[20:21], v57
	s_waitcnt lgkmcnt(0)
	global_store_dwordx2 v[18:19], v[20:21], off
	s_or_b64 exec, exec, s[4:5]
	s_and_saveexec_b64 s[4:5], s[0:1]
	s_cbranch_execz .LBB60_94
.LBB60_104:
	s_waitcnt lgkmcnt(4)
	global_store_dwordx2 v[18:19], v[12:13], off offset:1024
	s_or_b64 exec, exec, s[4:5]
	s_and_saveexec_b64 s[0:1], s[2:3]
	s_cbranch_execz .LBB60_95
.LBB60_105:
	s_waitcnt lgkmcnt(4)
	global_store_dwordx2 v[18:19], v[14:15], off offset:2048
	s_or_b64 exec, exec, s[0:1]
	s_and_saveexec_b64 s[0:1], s[40:41]
	s_cbranch_execz .LBB60_96
.LBB60_106:
	s_waitcnt lgkmcnt(3)
	global_store_dwordx2 v[18:19], v[8:9], off offset:3072
	s_or_b64 exec, exec, s[0:1]
	s_and_saveexec_b64 s[0:1], s[6:7]
	s_cbranch_execz .LBB60_97
.LBB60_107:
	s_waitcnt lgkmcnt(3)
	v_add_co_u32_e32 v8, vcc, 0x1000, v18
	v_addc_co_u32_e32 v9, vcc, 0, v19, vcc
	global_store_dwordx2 v[8:9], v[10:11], off
	s_or_b64 exec, exec, s[0:1]
	s_and_saveexec_b64 s[0:1], s[8:9]
	s_cbranch_execz .LBB60_98
.LBB60_108:
	s_waitcnt lgkmcnt(3)
	v_add_co_u32_e32 v8, vcc, 0x1000, v18
	v_addc_co_u32_e32 v9, vcc, 0, v19, vcc
	s_waitcnt lgkmcnt(2)
	global_store_dwordx2 v[8:9], v[4:5], off offset:1024
	s_or_b64 exec, exec, s[0:1]
	s_and_saveexec_b64 s[0:1], s[10:11]
	s_cbranch_execz .LBB60_99
.LBB60_109:
	s_waitcnt lgkmcnt(2)
	v_add_co_u32_e32 v4, vcc, 0x1000, v18
	v_addc_co_u32_e32 v5, vcc, 0, v19, vcc
	global_store_dwordx2 v[4:5], v[6:7], off offset:2048
	s_or_b64 exec, exec, s[0:1]
	s_and_saveexec_b64 s[0:1], s[12:13]
	s_cbranch_execz .LBB60_100
.LBB60_110:
	s_waitcnt lgkmcnt(2)
	v_add_co_u32_e32 v4, vcc, 0x1000, v18
	v_addc_co_u32_e32 v5, vcc, 0, v19, vcc
	s_waitcnt lgkmcnt(1)
	global_store_dwordx2 v[4:5], v[0:1], off offset:3072
	s_or_b64 exec, exec, s[0:1]
	s_and_saveexec_b64 s[0:1], s[14:15]
	s_cbranch_execz .LBB60_101
.LBB60_111:
	s_waitcnt lgkmcnt(1)
	v_add_co_u32_e32 v0, vcc, 0x2000, v18
	v_addc_co_u32_e32 v1, vcc, 0, v19, vcc
	global_store_dwordx2 v[0:1], v[2:3], off
	s_or_b64 exec, exec, s[0:1]
	s_and_saveexec_b64 s[0:1], s[16:17]
	s_cbranch_execz .LBB60_102
.LBB60_112:
	s_waitcnt lgkmcnt(1)
	v_add_co_u32_e32 v0, vcc, 0x2000, v18
	v_addc_co_u32_e32 v1, vcc, 0, v19, vcc
	s_waitcnt lgkmcnt(0)
	global_store_dwordx2 v[0:1], v[16:17], off offset:1024
	s_endpgm
	.section	.rodata,"a",@progbits
	.p2align	6, 0x0
	.amdhsa_kernel _ZN7rocprim17ROCPRIM_400000_NS6detail17trampoline_kernelINS0_14default_configENS1_20scan_config_selectorIdEEZZNS1_9scan_implILNS1_25lookback_scan_determinismE0ELb0ELb0ES3_PKdPddZZZN2at6native31launch_logcumsumexp_cuda_kernelERKNSB_10TensorBaseESF_lENKUlvE_clEvENKUlvE_clEvEUlddE_dEEDaPvRmT3_T4_T5_mT6_P12ihipStream_tbENKUlT_T0_E_clISt17integral_constantIbLb1EESV_IbLb0EEEEDaSR_SS_EUlSR_E0_NS1_11comp_targetILNS1_3genE2ELNS1_11target_archE906ELNS1_3gpuE6ELNS1_3repE0EEENS1_30default_config_static_selectorELNS0_4arch9wavefront6targetE1EEEvT1_
		.amdhsa_group_segment_fixed_size 10240
		.amdhsa_private_segment_fixed_size 0
		.amdhsa_kernarg_size 40
		.amdhsa_user_sgpr_count 6
		.amdhsa_user_sgpr_private_segment_buffer 1
		.amdhsa_user_sgpr_dispatch_ptr 0
		.amdhsa_user_sgpr_queue_ptr 0
		.amdhsa_user_sgpr_kernarg_segment_ptr 1
		.amdhsa_user_sgpr_dispatch_id 0
		.amdhsa_user_sgpr_flat_scratch_init 0
		.amdhsa_user_sgpr_private_segment_size 0
		.amdhsa_uses_dynamic_stack 0
		.amdhsa_system_sgpr_private_segment_wavefront_offset 0
		.amdhsa_system_sgpr_workgroup_id_x 1
		.amdhsa_system_sgpr_workgroup_id_y 0
		.amdhsa_system_sgpr_workgroup_id_z 0
		.amdhsa_system_sgpr_workgroup_info 0
		.amdhsa_system_vgpr_workitem_id 0
		.amdhsa_next_free_vgpr 82
		.amdhsa_next_free_sgpr 98
		.amdhsa_reserve_vcc 1
		.amdhsa_reserve_flat_scratch 0
		.amdhsa_float_round_mode_32 0
		.amdhsa_float_round_mode_16_64 0
		.amdhsa_float_denorm_mode_32 3
		.amdhsa_float_denorm_mode_16_64 3
		.amdhsa_dx10_clamp 1
		.amdhsa_ieee_mode 1
		.amdhsa_fp16_overflow 0
		.amdhsa_exception_fp_ieee_invalid_op 0
		.amdhsa_exception_fp_denorm_src 0
		.amdhsa_exception_fp_ieee_div_zero 0
		.amdhsa_exception_fp_ieee_overflow 0
		.amdhsa_exception_fp_ieee_underflow 0
		.amdhsa_exception_fp_ieee_inexact 0
		.amdhsa_exception_int_div_zero 0
	.end_amdhsa_kernel
	.section	.text._ZN7rocprim17ROCPRIM_400000_NS6detail17trampoline_kernelINS0_14default_configENS1_20scan_config_selectorIdEEZZNS1_9scan_implILNS1_25lookback_scan_determinismE0ELb0ELb0ES3_PKdPddZZZN2at6native31launch_logcumsumexp_cuda_kernelERKNSB_10TensorBaseESF_lENKUlvE_clEvENKUlvE_clEvEUlddE_dEEDaPvRmT3_T4_T5_mT6_P12ihipStream_tbENKUlT_T0_E_clISt17integral_constantIbLb1EESV_IbLb0EEEEDaSR_SS_EUlSR_E0_NS1_11comp_targetILNS1_3genE2ELNS1_11target_archE906ELNS1_3gpuE6ELNS1_3repE0EEENS1_30default_config_static_selectorELNS0_4arch9wavefront6targetE1EEEvT1_,"axG",@progbits,_ZN7rocprim17ROCPRIM_400000_NS6detail17trampoline_kernelINS0_14default_configENS1_20scan_config_selectorIdEEZZNS1_9scan_implILNS1_25lookback_scan_determinismE0ELb0ELb0ES3_PKdPddZZZN2at6native31launch_logcumsumexp_cuda_kernelERKNSB_10TensorBaseESF_lENKUlvE_clEvENKUlvE_clEvEUlddE_dEEDaPvRmT3_T4_T5_mT6_P12ihipStream_tbENKUlT_T0_E_clISt17integral_constantIbLb1EESV_IbLb0EEEEDaSR_SS_EUlSR_E0_NS1_11comp_targetILNS1_3genE2ELNS1_11target_archE906ELNS1_3gpuE6ELNS1_3repE0EEENS1_30default_config_static_selectorELNS0_4arch9wavefront6targetE1EEEvT1_,comdat
.Lfunc_end60:
	.size	_ZN7rocprim17ROCPRIM_400000_NS6detail17trampoline_kernelINS0_14default_configENS1_20scan_config_selectorIdEEZZNS1_9scan_implILNS1_25lookback_scan_determinismE0ELb0ELb0ES3_PKdPddZZZN2at6native31launch_logcumsumexp_cuda_kernelERKNSB_10TensorBaseESF_lENKUlvE_clEvENKUlvE_clEvEUlddE_dEEDaPvRmT3_T4_T5_mT6_P12ihipStream_tbENKUlT_T0_E_clISt17integral_constantIbLb1EESV_IbLb0EEEEDaSR_SS_EUlSR_E0_NS1_11comp_targetILNS1_3genE2ELNS1_11target_archE906ELNS1_3gpuE6ELNS1_3repE0EEENS1_30default_config_static_selectorELNS0_4arch9wavefront6targetE1EEEvT1_, .Lfunc_end60-_ZN7rocprim17ROCPRIM_400000_NS6detail17trampoline_kernelINS0_14default_configENS1_20scan_config_selectorIdEEZZNS1_9scan_implILNS1_25lookback_scan_determinismE0ELb0ELb0ES3_PKdPddZZZN2at6native31launch_logcumsumexp_cuda_kernelERKNSB_10TensorBaseESF_lENKUlvE_clEvENKUlvE_clEvEUlddE_dEEDaPvRmT3_T4_T5_mT6_P12ihipStream_tbENKUlT_T0_E_clISt17integral_constantIbLb1EESV_IbLb0EEEEDaSR_SS_EUlSR_E0_NS1_11comp_targetILNS1_3genE2ELNS1_11target_archE906ELNS1_3gpuE6ELNS1_3repE0EEENS1_30default_config_static_selectorELNS0_4arch9wavefront6targetE1EEEvT1_
                                        ; -- End function
	.set _ZN7rocprim17ROCPRIM_400000_NS6detail17trampoline_kernelINS0_14default_configENS1_20scan_config_selectorIdEEZZNS1_9scan_implILNS1_25lookback_scan_determinismE0ELb0ELb0ES3_PKdPddZZZN2at6native31launch_logcumsumexp_cuda_kernelERKNSB_10TensorBaseESF_lENKUlvE_clEvENKUlvE_clEvEUlddE_dEEDaPvRmT3_T4_T5_mT6_P12ihipStream_tbENKUlT_T0_E_clISt17integral_constantIbLb1EESV_IbLb0EEEEDaSR_SS_EUlSR_E0_NS1_11comp_targetILNS1_3genE2ELNS1_11target_archE906ELNS1_3gpuE6ELNS1_3repE0EEENS1_30default_config_static_selectorELNS0_4arch9wavefront6targetE1EEEvT1_.num_vgpr, 82
	.set _ZN7rocprim17ROCPRIM_400000_NS6detail17trampoline_kernelINS0_14default_configENS1_20scan_config_selectorIdEEZZNS1_9scan_implILNS1_25lookback_scan_determinismE0ELb0ELb0ES3_PKdPddZZZN2at6native31launch_logcumsumexp_cuda_kernelERKNSB_10TensorBaseESF_lENKUlvE_clEvENKUlvE_clEvEUlddE_dEEDaPvRmT3_T4_T5_mT6_P12ihipStream_tbENKUlT_T0_E_clISt17integral_constantIbLb1EESV_IbLb0EEEEDaSR_SS_EUlSR_E0_NS1_11comp_targetILNS1_3genE2ELNS1_11target_archE906ELNS1_3gpuE6ELNS1_3repE0EEENS1_30default_config_static_selectorELNS0_4arch9wavefront6targetE1EEEvT1_.num_agpr, 0
	.set _ZN7rocprim17ROCPRIM_400000_NS6detail17trampoline_kernelINS0_14default_configENS1_20scan_config_selectorIdEEZZNS1_9scan_implILNS1_25lookback_scan_determinismE0ELb0ELb0ES3_PKdPddZZZN2at6native31launch_logcumsumexp_cuda_kernelERKNSB_10TensorBaseESF_lENKUlvE_clEvENKUlvE_clEvEUlddE_dEEDaPvRmT3_T4_T5_mT6_P12ihipStream_tbENKUlT_T0_E_clISt17integral_constantIbLb1EESV_IbLb0EEEEDaSR_SS_EUlSR_E0_NS1_11comp_targetILNS1_3genE2ELNS1_11target_archE906ELNS1_3gpuE6ELNS1_3repE0EEENS1_30default_config_static_selectorELNS0_4arch9wavefront6targetE1EEEvT1_.numbered_sgpr, 58
	.set _ZN7rocprim17ROCPRIM_400000_NS6detail17trampoline_kernelINS0_14default_configENS1_20scan_config_selectorIdEEZZNS1_9scan_implILNS1_25lookback_scan_determinismE0ELb0ELb0ES3_PKdPddZZZN2at6native31launch_logcumsumexp_cuda_kernelERKNSB_10TensorBaseESF_lENKUlvE_clEvENKUlvE_clEvEUlddE_dEEDaPvRmT3_T4_T5_mT6_P12ihipStream_tbENKUlT_T0_E_clISt17integral_constantIbLb1EESV_IbLb0EEEEDaSR_SS_EUlSR_E0_NS1_11comp_targetILNS1_3genE2ELNS1_11target_archE906ELNS1_3gpuE6ELNS1_3repE0EEENS1_30default_config_static_selectorELNS0_4arch9wavefront6targetE1EEEvT1_.num_named_barrier, 0
	.set _ZN7rocprim17ROCPRIM_400000_NS6detail17trampoline_kernelINS0_14default_configENS1_20scan_config_selectorIdEEZZNS1_9scan_implILNS1_25lookback_scan_determinismE0ELb0ELb0ES3_PKdPddZZZN2at6native31launch_logcumsumexp_cuda_kernelERKNSB_10TensorBaseESF_lENKUlvE_clEvENKUlvE_clEvEUlddE_dEEDaPvRmT3_T4_T5_mT6_P12ihipStream_tbENKUlT_T0_E_clISt17integral_constantIbLb1EESV_IbLb0EEEEDaSR_SS_EUlSR_E0_NS1_11comp_targetILNS1_3genE2ELNS1_11target_archE906ELNS1_3gpuE6ELNS1_3repE0EEENS1_30default_config_static_selectorELNS0_4arch9wavefront6targetE1EEEvT1_.private_seg_size, 0
	.set _ZN7rocprim17ROCPRIM_400000_NS6detail17trampoline_kernelINS0_14default_configENS1_20scan_config_selectorIdEEZZNS1_9scan_implILNS1_25lookback_scan_determinismE0ELb0ELb0ES3_PKdPddZZZN2at6native31launch_logcumsumexp_cuda_kernelERKNSB_10TensorBaseESF_lENKUlvE_clEvENKUlvE_clEvEUlddE_dEEDaPvRmT3_T4_T5_mT6_P12ihipStream_tbENKUlT_T0_E_clISt17integral_constantIbLb1EESV_IbLb0EEEEDaSR_SS_EUlSR_E0_NS1_11comp_targetILNS1_3genE2ELNS1_11target_archE906ELNS1_3gpuE6ELNS1_3repE0EEENS1_30default_config_static_selectorELNS0_4arch9wavefront6targetE1EEEvT1_.uses_vcc, 1
	.set _ZN7rocprim17ROCPRIM_400000_NS6detail17trampoline_kernelINS0_14default_configENS1_20scan_config_selectorIdEEZZNS1_9scan_implILNS1_25lookback_scan_determinismE0ELb0ELb0ES3_PKdPddZZZN2at6native31launch_logcumsumexp_cuda_kernelERKNSB_10TensorBaseESF_lENKUlvE_clEvENKUlvE_clEvEUlddE_dEEDaPvRmT3_T4_T5_mT6_P12ihipStream_tbENKUlT_T0_E_clISt17integral_constantIbLb1EESV_IbLb0EEEEDaSR_SS_EUlSR_E0_NS1_11comp_targetILNS1_3genE2ELNS1_11target_archE906ELNS1_3gpuE6ELNS1_3repE0EEENS1_30default_config_static_selectorELNS0_4arch9wavefront6targetE1EEEvT1_.uses_flat_scratch, 0
	.set _ZN7rocprim17ROCPRIM_400000_NS6detail17trampoline_kernelINS0_14default_configENS1_20scan_config_selectorIdEEZZNS1_9scan_implILNS1_25lookback_scan_determinismE0ELb0ELb0ES3_PKdPddZZZN2at6native31launch_logcumsumexp_cuda_kernelERKNSB_10TensorBaseESF_lENKUlvE_clEvENKUlvE_clEvEUlddE_dEEDaPvRmT3_T4_T5_mT6_P12ihipStream_tbENKUlT_T0_E_clISt17integral_constantIbLb1EESV_IbLb0EEEEDaSR_SS_EUlSR_E0_NS1_11comp_targetILNS1_3genE2ELNS1_11target_archE906ELNS1_3gpuE6ELNS1_3repE0EEENS1_30default_config_static_selectorELNS0_4arch9wavefront6targetE1EEEvT1_.has_dyn_sized_stack, 0
	.set _ZN7rocprim17ROCPRIM_400000_NS6detail17trampoline_kernelINS0_14default_configENS1_20scan_config_selectorIdEEZZNS1_9scan_implILNS1_25lookback_scan_determinismE0ELb0ELb0ES3_PKdPddZZZN2at6native31launch_logcumsumexp_cuda_kernelERKNSB_10TensorBaseESF_lENKUlvE_clEvENKUlvE_clEvEUlddE_dEEDaPvRmT3_T4_T5_mT6_P12ihipStream_tbENKUlT_T0_E_clISt17integral_constantIbLb1EESV_IbLb0EEEEDaSR_SS_EUlSR_E0_NS1_11comp_targetILNS1_3genE2ELNS1_11target_archE906ELNS1_3gpuE6ELNS1_3repE0EEENS1_30default_config_static_selectorELNS0_4arch9wavefront6targetE1EEEvT1_.has_recursion, 0
	.set _ZN7rocprim17ROCPRIM_400000_NS6detail17trampoline_kernelINS0_14default_configENS1_20scan_config_selectorIdEEZZNS1_9scan_implILNS1_25lookback_scan_determinismE0ELb0ELb0ES3_PKdPddZZZN2at6native31launch_logcumsumexp_cuda_kernelERKNSB_10TensorBaseESF_lENKUlvE_clEvENKUlvE_clEvEUlddE_dEEDaPvRmT3_T4_T5_mT6_P12ihipStream_tbENKUlT_T0_E_clISt17integral_constantIbLb1EESV_IbLb0EEEEDaSR_SS_EUlSR_E0_NS1_11comp_targetILNS1_3genE2ELNS1_11target_archE906ELNS1_3gpuE6ELNS1_3repE0EEENS1_30default_config_static_selectorELNS0_4arch9wavefront6targetE1EEEvT1_.has_indirect_call, 0
	.section	.AMDGPU.csdata,"",@progbits
; Kernel info:
; codeLenInByte = 48396
; TotalNumSgprs: 62
; NumVgprs: 82
; ScratchSize: 0
; MemoryBound: 0
; FloatMode: 240
; IeeeMode: 1
; LDSByteSize: 10240 bytes/workgroup (compile time only)
; SGPRBlocks: 12
; VGPRBlocks: 20
; NumSGPRsForWavesPerEU: 102
; NumVGPRsForWavesPerEU: 82
; Occupancy: 3
; WaveLimiterHint : 0
; COMPUTE_PGM_RSRC2:SCRATCH_EN: 0
; COMPUTE_PGM_RSRC2:USER_SGPR: 6
; COMPUTE_PGM_RSRC2:TRAP_HANDLER: 0
; COMPUTE_PGM_RSRC2:TGID_X_EN: 1
; COMPUTE_PGM_RSRC2:TGID_Y_EN: 0
; COMPUTE_PGM_RSRC2:TGID_Z_EN: 0
; COMPUTE_PGM_RSRC2:TIDIG_COMP_CNT: 0
	.section	.text._ZN7rocprim17ROCPRIM_400000_NS6detail17trampoline_kernelINS0_14default_configENS1_20scan_config_selectorIdEEZZNS1_9scan_implILNS1_25lookback_scan_determinismE0ELb0ELb0ES3_PKdPddZZZN2at6native31launch_logcumsumexp_cuda_kernelERKNSB_10TensorBaseESF_lENKUlvE_clEvENKUlvE_clEvEUlddE_dEEDaPvRmT3_T4_T5_mT6_P12ihipStream_tbENKUlT_T0_E_clISt17integral_constantIbLb1EESV_IbLb0EEEEDaSR_SS_EUlSR_E0_NS1_11comp_targetILNS1_3genE10ELNS1_11target_archE1201ELNS1_3gpuE5ELNS1_3repE0EEENS1_30default_config_static_selectorELNS0_4arch9wavefront6targetE1EEEvT1_,"axG",@progbits,_ZN7rocprim17ROCPRIM_400000_NS6detail17trampoline_kernelINS0_14default_configENS1_20scan_config_selectorIdEEZZNS1_9scan_implILNS1_25lookback_scan_determinismE0ELb0ELb0ES3_PKdPddZZZN2at6native31launch_logcumsumexp_cuda_kernelERKNSB_10TensorBaseESF_lENKUlvE_clEvENKUlvE_clEvEUlddE_dEEDaPvRmT3_T4_T5_mT6_P12ihipStream_tbENKUlT_T0_E_clISt17integral_constantIbLb1EESV_IbLb0EEEEDaSR_SS_EUlSR_E0_NS1_11comp_targetILNS1_3genE10ELNS1_11target_archE1201ELNS1_3gpuE5ELNS1_3repE0EEENS1_30default_config_static_selectorELNS0_4arch9wavefront6targetE1EEEvT1_,comdat
	.globl	_ZN7rocprim17ROCPRIM_400000_NS6detail17trampoline_kernelINS0_14default_configENS1_20scan_config_selectorIdEEZZNS1_9scan_implILNS1_25lookback_scan_determinismE0ELb0ELb0ES3_PKdPddZZZN2at6native31launch_logcumsumexp_cuda_kernelERKNSB_10TensorBaseESF_lENKUlvE_clEvENKUlvE_clEvEUlddE_dEEDaPvRmT3_T4_T5_mT6_P12ihipStream_tbENKUlT_T0_E_clISt17integral_constantIbLb1EESV_IbLb0EEEEDaSR_SS_EUlSR_E0_NS1_11comp_targetILNS1_3genE10ELNS1_11target_archE1201ELNS1_3gpuE5ELNS1_3repE0EEENS1_30default_config_static_selectorELNS0_4arch9wavefront6targetE1EEEvT1_ ; -- Begin function _ZN7rocprim17ROCPRIM_400000_NS6detail17trampoline_kernelINS0_14default_configENS1_20scan_config_selectorIdEEZZNS1_9scan_implILNS1_25lookback_scan_determinismE0ELb0ELb0ES3_PKdPddZZZN2at6native31launch_logcumsumexp_cuda_kernelERKNSB_10TensorBaseESF_lENKUlvE_clEvENKUlvE_clEvEUlddE_dEEDaPvRmT3_T4_T5_mT6_P12ihipStream_tbENKUlT_T0_E_clISt17integral_constantIbLb1EESV_IbLb0EEEEDaSR_SS_EUlSR_E0_NS1_11comp_targetILNS1_3genE10ELNS1_11target_archE1201ELNS1_3gpuE5ELNS1_3repE0EEENS1_30default_config_static_selectorELNS0_4arch9wavefront6targetE1EEEvT1_
	.p2align	8
	.type	_ZN7rocprim17ROCPRIM_400000_NS6detail17trampoline_kernelINS0_14default_configENS1_20scan_config_selectorIdEEZZNS1_9scan_implILNS1_25lookback_scan_determinismE0ELb0ELb0ES3_PKdPddZZZN2at6native31launch_logcumsumexp_cuda_kernelERKNSB_10TensorBaseESF_lENKUlvE_clEvENKUlvE_clEvEUlddE_dEEDaPvRmT3_T4_T5_mT6_P12ihipStream_tbENKUlT_T0_E_clISt17integral_constantIbLb1EESV_IbLb0EEEEDaSR_SS_EUlSR_E0_NS1_11comp_targetILNS1_3genE10ELNS1_11target_archE1201ELNS1_3gpuE5ELNS1_3repE0EEENS1_30default_config_static_selectorELNS0_4arch9wavefront6targetE1EEEvT1_,@function
_ZN7rocprim17ROCPRIM_400000_NS6detail17trampoline_kernelINS0_14default_configENS1_20scan_config_selectorIdEEZZNS1_9scan_implILNS1_25lookback_scan_determinismE0ELb0ELb0ES3_PKdPddZZZN2at6native31launch_logcumsumexp_cuda_kernelERKNSB_10TensorBaseESF_lENKUlvE_clEvENKUlvE_clEvEUlddE_dEEDaPvRmT3_T4_T5_mT6_P12ihipStream_tbENKUlT_T0_E_clISt17integral_constantIbLb1EESV_IbLb0EEEEDaSR_SS_EUlSR_E0_NS1_11comp_targetILNS1_3genE10ELNS1_11target_archE1201ELNS1_3gpuE5ELNS1_3repE0EEENS1_30default_config_static_selectorELNS0_4arch9wavefront6targetE1EEEvT1_: ; @_ZN7rocprim17ROCPRIM_400000_NS6detail17trampoline_kernelINS0_14default_configENS1_20scan_config_selectorIdEEZZNS1_9scan_implILNS1_25lookback_scan_determinismE0ELb0ELb0ES3_PKdPddZZZN2at6native31launch_logcumsumexp_cuda_kernelERKNSB_10TensorBaseESF_lENKUlvE_clEvENKUlvE_clEvEUlddE_dEEDaPvRmT3_T4_T5_mT6_P12ihipStream_tbENKUlT_T0_E_clISt17integral_constantIbLb1EESV_IbLb0EEEEDaSR_SS_EUlSR_E0_NS1_11comp_targetILNS1_3genE10ELNS1_11target_archE1201ELNS1_3gpuE5ELNS1_3repE0EEENS1_30default_config_static_selectorELNS0_4arch9wavefront6targetE1EEEvT1_
; %bb.0:
	.section	.rodata,"a",@progbits
	.p2align	6, 0x0
	.amdhsa_kernel _ZN7rocprim17ROCPRIM_400000_NS6detail17trampoline_kernelINS0_14default_configENS1_20scan_config_selectorIdEEZZNS1_9scan_implILNS1_25lookback_scan_determinismE0ELb0ELb0ES3_PKdPddZZZN2at6native31launch_logcumsumexp_cuda_kernelERKNSB_10TensorBaseESF_lENKUlvE_clEvENKUlvE_clEvEUlddE_dEEDaPvRmT3_T4_T5_mT6_P12ihipStream_tbENKUlT_T0_E_clISt17integral_constantIbLb1EESV_IbLb0EEEEDaSR_SS_EUlSR_E0_NS1_11comp_targetILNS1_3genE10ELNS1_11target_archE1201ELNS1_3gpuE5ELNS1_3repE0EEENS1_30default_config_static_selectorELNS0_4arch9wavefront6targetE1EEEvT1_
		.amdhsa_group_segment_fixed_size 0
		.amdhsa_private_segment_fixed_size 0
		.amdhsa_kernarg_size 40
		.amdhsa_user_sgpr_count 6
		.amdhsa_user_sgpr_private_segment_buffer 1
		.amdhsa_user_sgpr_dispatch_ptr 0
		.amdhsa_user_sgpr_queue_ptr 0
		.amdhsa_user_sgpr_kernarg_segment_ptr 1
		.amdhsa_user_sgpr_dispatch_id 0
		.amdhsa_user_sgpr_flat_scratch_init 0
		.amdhsa_user_sgpr_private_segment_size 0
		.amdhsa_uses_dynamic_stack 0
		.amdhsa_system_sgpr_private_segment_wavefront_offset 0
		.amdhsa_system_sgpr_workgroup_id_x 1
		.amdhsa_system_sgpr_workgroup_id_y 0
		.amdhsa_system_sgpr_workgroup_id_z 0
		.amdhsa_system_sgpr_workgroup_info 0
		.amdhsa_system_vgpr_workitem_id 0
		.amdhsa_next_free_vgpr 1
		.amdhsa_next_free_sgpr 0
		.amdhsa_reserve_vcc 0
		.amdhsa_reserve_flat_scratch 0
		.amdhsa_float_round_mode_32 0
		.amdhsa_float_round_mode_16_64 0
		.amdhsa_float_denorm_mode_32 3
		.amdhsa_float_denorm_mode_16_64 3
		.amdhsa_dx10_clamp 1
		.amdhsa_ieee_mode 1
		.amdhsa_fp16_overflow 0
		.amdhsa_exception_fp_ieee_invalid_op 0
		.amdhsa_exception_fp_denorm_src 0
		.amdhsa_exception_fp_ieee_div_zero 0
		.amdhsa_exception_fp_ieee_overflow 0
		.amdhsa_exception_fp_ieee_underflow 0
		.amdhsa_exception_fp_ieee_inexact 0
		.amdhsa_exception_int_div_zero 0
	.end_amdhsa_kernel
	.section	.text._ZN7rocprim17ROCPRIM_400000_NS6detail17trampoline_kernelINS0_14default_configENS1_20scan_config_selectorIdEEZZNS1_9scan_implILNS1_25lookback_scan_determinismE0ELb0ELb0ES3_PKdPddZZZN2at6native31launch_logcumsumexp_cuda_kernelERKNSB_10TensorBaseESF_lENKUlvE_clEvENKUlvE_clEvEUlddE_dEEDaPvRmT3_T4_T5_mT6_P12ihipStream_tbENKUlT_T0_E_clISt17integral_constantIbLb1EESV_IbLb0EEEEDaSR_SS_EUlSR_E0_NS1_11comp_targetILNS1_3genE10ELNS1_11target_archE1201ELNS1_3gpuE5ELNS1_3repE0EEENS1_30default_config_static_selectorELNS0_4arch9wavefront6targetE1EEEvT1_,"axG",@progbits,_ZN7rocprim17ROCPRIM_400000_NS6detail17trampoline_kernelINS0_14default_configENS1_20scan_config_selectorIdEEZZNS1_9scan_implILNS1_25lookback_scan_determinismE0ELb0ELb0ES3_PKdPddZZZN2at6native31launch_logcumsumexp_cuda_kernelERKNSB_10TensorBaseESF_lENKUlvE_clEvENKUlvE_clEvEUlddE_dEEDaPvRmT3_T4_T5_mT6_P12ihipStream_tbENKUlT_T0_E_clISt17integral_constantIbLb1EESV_IbLb0EEEEDaSR_SS_EUlSR_E0_NS1_11comp_targetILNS1_3genE10ELNS1_11target_archE1201ELNS1_3gpuE5ELNS1_3repE0EEENS1_30default_config_static_selectorELNS0_4arch9wavefront6targetE1EEEvT1_,comdat
.Lfunc_end61:
	.size	_ZN7rocprim17ROCPRIM_400000_NS6detail17trampoline_kernelINS0_14default_configENS1_20scan_config_selectorIdEEZZNS1_9scan_implILNS1_25lookback_scan_determinismE0ELb0ELb0ES3_PKdPddZZZN2at6native31launch_logcumsumexp_cuda_kernelERKNSB_10TensorBaseESF_lENKUlvE_clEvENKUlvE_clEvEUlddE_dEEDaPvRmT3_T4_T5_mT6_P12ihipStream_tbENKUlT_T0_E_clISt17integral_constantIbLb1EESV_IbLb0EEEEDaSR_SS_EUlSR_E0_NS1_11comp_targetILNS1_3genE10ELNS1_11target_archE1201ELNS1_3gpuE5ELNS1_3repE0EEENS1_30default_config_static_selectorELNS0_4arch9wavefront6targetE1EEEvT1_, .Lfunc_end61-_ZN7rocprim17ROCPRIM_400000_NS6detail17trampoline_kernelINS0_14default_configENS1_20scan_config_selectorIdEEZZNS1_9scan_implILNS1_25lookback_scan_determinismE0ELb0ELb0ES3_PKdPddZZZN2at6native31launch_logcumsumexp_cuda_kernelERKNSB_10TensorBaseESF_lENKUlvE_clEvENKUlvE_clEvEUlddE_dEEDaPvRmT3_T4_T5_mT6_P12ihipStream_tbENKUlT_T0_E_clISt17integral_constantIbLb1EESV_IbLb0EEEEDaSR_SS_EUlSR_E0_NS1_11comp_targetILNS1_3genE10ELNS1_11target_archE1201ELNS1_3gpuE5ELNS1_3repE0EEENS1_30default_config_static_selectorELNS0_4arch9wavefront6targetE1EEEvT1_
                                        ; -- End function
	.set _ZN7rocprim17ROCPRIM_400000_NS6detail17trampoline_kernelINS0_14default_configENS1_20scan_config_selectorIdEEZZNS1_9scan_implILNS1_25lookback_scan_determinismE0ELb0ELb0ES3_PKdPddZZZN2at6native31launch_logcumsumexp_cuda_kernelERKNSB_10TensorBaseESF_lENKUlvE_clEvENKUlvE_clEvEUlddE_dEEDaPvRmT3_T4_T5_mT6_P12ihipStream_tbENKUlT_T0_E_clISt17integral_constantIbLb1EESV_IbLb0EEEEDaSR_SS_EUlSR_E0_NS1_11comp_targetILNS1_3genE10ELNS1_11target_archE1201ELNS1_3gpuE5ELNS1_3repE0EEENS1_30default_config_static_selectorELNS0_4arch9wavefront6targetE1EEEvT1_.num_vgpr, 0
	.set _ZN7rocprim17ROCPRIM_400000_NS6detail17trampoline_kernelINS0_14default_configENS1_20scan_config_selectorIdEEZZNS1_9scan_implILNS1_25lookback_scan_determinismE0ELb0ELb0ES3_PKdPddZZZN2at6native31launch_logcumsumexp_cuda_kernelERKNSB_10TensorBaseESF_lENKUlvE_clEvENKUlvE_clEvEUlddE_dEEDaPvRmT3_T4_T5_mT6_P12ihipStream_tbENKUlT_T0_E_clISt17integral_constantIbLb1EESV_IbLb0EEEEDaSR_SS_EUlSR_E0_NS1_11comp_targetILNS1_3genE10ELNS1_11target_archE1201ELNS1_3gpuE5ELNS1_3repE0EEENS1_30default_config_static_selectorELNS0_4arch9wavefront6targetE1EEEvT1_.num_agpr, 0
	.set _ZN7rocprim17ROCPRIM_400000_NS6detail17trampoline_kernelINS0_14default_configENS1_20scan_config_selectorIdEEZZNS1_9scan_implILNS1_25lookback_scan_determinismE0ELb0ELb0ES3_PKdPddZZZN2at6native31launch_logcumsumexp_cuda_kernelERKNSB_10TensorBaseESF_lENKUlvE_clEvENKUlvE_clEvEUlddE_dEEDaPvRmT3_T4_T5_mT6_P12ihipStream_tbENKUlT_T0_E_clISt17integral_constantIbLb1EESV_IbLb0EEEEDaSR_SS_EUlSR_E0_NS1_11comp_targetILNS1_3genE10ELNS1_11target_archE1201ELNS1_3gpuE5ELNS1_3repE0EEENS1_30default_config_static_selectorELNS0_4arch9wavefront6targetE1EEEvT1_.numbered_sgpr, 0
	.set _ZN7rocprim17ROCPRIM_400000_NS6detail17trampoline_kernelINS0_14default_configENS1_20scan_config_selectorIdEEZZNS1_9scan_implILNS1_25lookback_scan_determinismE0ELb0ELb0ES3_PKdPddZZZN2at6native31launch_logcumsumexp_cuda_kernelERKNSB_10TensorBaseESF_lENKUlvE_clEvENKUlvE_clEvEUlddE_dEEDaPvRmT3_T4_T5_mT6_P12ihipStream_tbENKUlT_T0_E_clISt17integral_constantIbLb1EESV_IbLb0EEEEDaSR_SS_EUlSR_E0_NS1_11comp_targetILNS1_3genE10ELNS1_11target_archE1201ELNS1_3gpuE5ELNS1_3repE0EEENS1_30default_config_static_selectorELNS0_4arch9wavefront6targetE1EEEvT1_.num_named_barrier, 0
	.set _ZN7rocprim17ROCPRIM_400000_NS6detail17trampoline_kernelINS0_14default_configENS1_20scan_config_selectorIdEEZZNS1_9scan_implILNS1_25lookback_scan_determinismE0ELb0ELb0ES3_PKdPddZZZN2at6native31launch_logcumsumexp_cuda_kernelERKNSB_10TensorBaseESF_lENKUlvE_clEvENKUlvE_clEvEUlddE_dEEDaPvRmT3_T4_T5_mT6_P12ihipStream_tbENKUlT_T0_E_clISt17integral_constantIbLb1EESV_IbLb0EEEEDaSR_SS_EUlSR_E0_NS1_11comp_targetILNS1_3genE10ELNS1_11target_archE1201ELNS1_3gpuE5ELNS1_3repE0EEENS1_30default_config_static_selectorELNS0_4arch9wavefront6targetE1EEEvT1_.private_seg_size, 0
	.set _ZN7rocprim17ROCPRIM_400000_NS6detail17trampoline_kernelINS0_14default_configENS1_20scan_config_selectorIdEEZZNS1_9scan_implILNS1_25lookback_scan_determinismE0ELb0ELb0ES3_PKdPddZZZN2at6native31launch_logcumsumexp_cuda_kernelERKNSB_10TensorBaseESF_lENKUlvE_clEvENKUlvE_clEvEUlddE_dEEDaPvRmT3_T4_T5_mT6_P12ihipStream_tbENKUlT_T0_E_clISt17integral_constantIbLb1EESV_IbLb0EEEEDaSR_SS_EUlSR_E0_NS1_11comp_targetILNS1_3genE10ELNS1_11target_archE1201ELNS1_3gpuE5ELNS1_3repE0EEENS1_30default_config_static_selectorELNS0_4arch9wavefront6targetE1EEEvT1_.uses_vcc, 0
	.set _ZN7rocprim17ROCPRIM_400000_NS6detail17trampoline_kernelINS0_14default_configENS1_20scan_config_selectorIdEEZZNS1_9scan_implILNS1_25lookback_scan_determinismE0ELb0ELb0ES3_PKdPddZZZN2at6native31launch_logcumsumexp_cuda_kernelERKNSB_10TensorBaseESF_lENKUlvE_clEvENKUlvE_clEvEUlddE_dEEDaPvRmT3_T4_T5_mT6_P12ihipStream_tbENKUlT_T0_E_clISt17integral_constantIbLb1EESV_IbLb0EEEEDaSR_SS_EUlSR_E0_NS1_11comp_targetILNS1_3genE10ELNS1_11target_archE1201ELNS1_3gpuE5ELNS1_3repE0EEENS1_30default_config_static_selectorELNS0_4arch9wavefront6targetE1EEEvT1_.uses_flat_scratch, 0
	.set _ZN7rocprim17ROCPRIM_400000_NS6detail17trampoline_kernelINS0_14default_configENS1_20scan_config_selectorIdEEZZNS1_9scan_implILNS1_25lookback_scan_determinismE0ELb0ELb0ES3_PKdPddZZZN2at6native31launch_logcumsumexp_cuda_kernelERKNSB_10TensorBaseESF_lENKUlvE_clEvENKUlvE_clEvEUlddE_dEEDaPvRmT3_T4_T5_mT6_P12ihipStream_tbENKUlT_T0_E_clISt17integral_constantIbLb1EESV_IbLb0EEEEDaSR_SS_EUlSR_E0_NS1_11comp_targetILNS1_3genE10ELNS1_11target_archE1201ELNS1_3gpuE5ELNS1_3repE0EEENS1_30default_config_static_selectorELNS0_4arch9wavefront6targetE1EEEvT1_.has_dyn_sized_stack, 0
	.set _ZN7rocprim17ROCPRIM_400000_NS6detail17trampoline_kernelINS0_14default_configENS1_20scan_config_selectorIdEEZZNS1_9scan_implILNS1_25lookback_scan_determinismE0ELb0ELb0ES3_PKdPddZZZN2at6native31launch_logcumsumexp_cuda_kernelERKNSB_10TensorBaseESF_lENKUlvE_clEvENKUlvE_clEvEUlddE_dEEDaPvRmT3_T4_T5_mT6_P12ihipStream_tbENKUlT_T0_E_clISt17integral_constantIbLb1EESV_IbLb0EEEEDaSR_SS_EUlSR_E0_NS1_11comp_targetILNS1_3genE10ELNS1_11target_archE1201ELNS1_3gpuE5ELNS1_3repE0EEENS1_30default_config_static_selectorELNS0_4arch9wavefront6targetE1EEEvT1_.has_recursion, 0
	.set _ZN7rocprim17ROCPRIM_400000_NS6detail17trampoline_kernelINS0_14default_configENS1_20scan_config_selectorIdEEZZNS1_9scan_implILNS1_25lookback_scan_determinismE0ELb0ELb0ES3_PKdPddZZZN2at6native31launch_logcumsumexp_cuda_kernelERKNSB_10TensorBaseESF_lENKUlvE_clEvENKUlvE_clEvEUlddE_dEEDaPvRmT3_T4_T5_mT6_P12ihipStream_tbENKUlT_T0_E_clISt17integral_constantIbLb1EESV_IbLb0EEEEDaSR_SS_EUlSR_E0_NS1_11comp_targetILNS1_3genE10ELNS1_11target_archE1201ELNS1_3gpuE5ELNS1_3repE0EEENS1_30default_config_static_selectorELNS0_4arch9wavefront6targetE1EEEvT1_.has_indirect_call, 0
	.section	.AMDGPU.csdata,"",@progbits
; Kernel info:
; codeLenInByte = 0
; TotalNumSgprs: 4
; NumVgprs: 0
; ScratchSize: 0
; MemoryBound: 0
; FloatMode: 240
; IeeeMode: 1
; LDSByteSize: 0 bytes/workgroup (compile time only)
; SGPRBlocks: 0
; VGPRBlocks: 0
; NumSGPRsForWavesPerEU: 4
; NumVGPRsForWavesPerEU: 1
; Occupancy: 10
; WaveLimiterHint : 0
; COMPUTE_PGM_RSRC2:SCRATCH_EN: 0
; COMPUTE_PGM_RSRC2:USER_SGPR: 6
; COMPUTE_PGM_RSRC2:TRAP_HANDLER: 0
; COMPUTE_PGM_RSRC2:TGID_X_EN: 1
; COMPUTE_PGM_RSRC2:TGID_Y_EN: 0
; COMPUTE_PGM_RSRC2:TGID_Z_EN: 0
; COMPUTE_PGM_RSRC2:TIDIG_COMP_CNT: 0
	.section	.text._ZN7rocprim17ROCPRIM_400000_NS6detail17trampoline_kernelINS0_14default_configENS1_20scan_config_selectorIdEEZZNS1_9scan_implILNS1_25lookback_scan_determinismE0ELb0ELb0ES3_PKdPddZZZN2at6native31launch_logcumsumexp_cuda_kernelERKNSB_10TensorBaseESF_lENKUlvE_clEvENKUlvE_clEvEUlddE_dEEDaPvRmT3_T4_T5_mT6_P12ihipStream_tbENKUlT_T0_E_clISt17integral_constantIbLb1EESV_IbLb0EEEEDaSR_SS_EUlSR_E0_NS1_11comp_targetILNS1_3genE10ELNS1_11target_archE1200ELNS1_3gpuE4ELNS1_3repE0EEENS1_30default_config_static_selectorELNS0_4arch9wavefront6targetE1EEEvT1_,"axG",@progbits,_ZN7rocprim17ROCPRIM_400000_NS6detail17trampoline_kernelINS0_14default_configENS1_20scan_config_selectorIdEEZZNS1_9scan_implILNS1_25lookback_scan_determinismE0ELb0ELb0ES3_PKdPddZZZN2at6native31launch_logcumsumexp_cuda_kernelERKNSB_10TensorBaseESF_lENKUlvE_clEvENKUlvE_clEvEUlddE_dEEDaPvRmT3_T4_T5_mT6_P12ihipStream_tbENKUlT_T0_E_clISt17integral_constantIbLb1EESV_IbLb0EEEEDaSR_SS_EUlSR_E0_NS1_11comp_targetILNS1_3genE10ELNS1_11target_archE1200ELNS1_3gpuE4ELNS1_3repE0EEENS1_30default_config_static_selectorELNS0_4arch9wavefront6targetE1EEEvT1_,comdat
	.globl	_ZN7rocprim17ROCPRIM_400000_NS6detail17trampoline_kernelINS0_14default_configENS1_20scan_config_selectorIdEEZZNS1_9scan_implILNS1_25lookback_scan_determinismE0ELb0ELb0ES3_PKdPddZZZN2at6native31launch_logcumsumexp_cuda_kernelERKNSB_10TensorBaseESF_lENKUlvE_clEvENKUlvE_clEvEUlddE_dEEDaPvRmT3_T4_T5_mT6_P12ihipStream_tbENKUlT_T0_E_clISt17integral_constantIbLb1EESV_IbLb0EEEEDaSR_SS_EUlSR_E0_NS1_11comp_targetILNS1_3genE10ELNS1_11target_archE1200ELNS1_3gpuE4ELNS1_3repE0EEENS1_30default_config_static_selectorELNS0_4arch9wavefront6targetE1EEEvT1_ ; -- Begin function _ZN7rocprim17ROCPRIM_400000_NS6detail17trampoline_kernelINS0_14default_configENS1_20scan_config_selectorIdEEZZNS1_9scan_implILNS1_25lookback_scan_determinismE0ELb0ELb0ES3_PKdPddZZZN2at6native31launch_logcumsumexp_cuda_kernelERKNSB_10TensorBaseESF_lENKUlvE_clEvENKUlvE_clEvEUlddE_dEEDaPvRmT3_T4_T5_mT6_P12ihipStream_tbENKUlT_T0_E_clISt17integral_constantIbLb1EESV_IbLb0EEEEDaSR_SS_EUlSR_E0_NS1_11comp_targetILNS1_3genE10ELNS1_11target_archE1200ELNS1_3gpuE4ELNS1_3repE0EEENS1_30default_config_static_selectorELNS0_4arch9wavefront6targetE1EEEvT1_
	.p2align	8
	.type	_ZN7rocprim17ROCPRIM_400000_NS6detail17trampoline_kernelINS0_14default_configENS1_20scan_config_selectorIdEEZZNS1_9scan_implILNS1_25lookback_scan_determinismE0ELb0ELb0ES3_PKdPddZZZN2at6native31launch_logcumsumexp_cuda_kernelERKNSB_10TensorBaseESF_lENKUlvE_clEvENKUlvE_clEvEUlddE_dEEDaPvRmT3_T4_T5_mT6_P12ihipStream_tbENKUlT_T0_E_clISt17integral_constantIbLb1EESV_IbLb0EEEEDaSR_SS_EUlSR_E0_NS1_11comp_targetILNS1_3genE10ELNS1_11target_archE1200ELNS1_3gpuE4ELNS1_3repE0EEENS1_30default_config_static_selectorELNS0_4arch9wavefront6targetE1EEEvT1_,@function
_ZN7rocprim17ROCPRIM_400000_NS6detail17trampoline_kernelINS0_14default_configENS1_20scan_config_selectorIdEEZZNS1_9scan_implILNS1_25lookback_scan_determinismE0ELb0ELb0ES3_PKdPddZZZN2at6native31launch_logcumsumexp_cuda_kernelERKNSB_10TensorBaseESF_lENKUlvE_clEvENKUlvE_clEvEUlddE_dEEDaPvRmT3_T4_T5_mT6_P12ihipStream_tbENKUlT_T0_E_clISt17integral_constantIbLb1EESV_IbLb0EEEEDaSR_SS_EUlSR_E0_NS1_11comp_targetILNS1_3genE10ELNS1_11target_archE1200ELNS1_3gpuE4ELNS1_3repE0EEENS1_30default_config_static_selectorELNS0_4arch9wavefront6targetE1EEEvT1_: ; @_ZN7rocprim17ROCPRIM_400000_NS6detail17trampoline_kernelINS0_14default_configENS1_20scan_config_selectorIdEEZZNS1_9scan_implILNS1_25lookback_scan_determinismE0ELb0ELb0ES3_PKdPddZZZN2at6native31launch_logcumsumexp_cuda_kernelERKNSB_10TensorBaseESF_lENKUlvE_clEvENKUlvE_clEvEUlddE_dEEDaPvRmT3_T4_T5_mT6_P12ihipStream_tbENKUlT_T0_E_clISt17integral_constantIbLb1EESV_IbLb0EEEEDaSR_SS_EUlSR_E0_NS1_11comp_targetILNS1_3genE10ELNS1_11target_archE1200ELNS1_3gpuE4ELNS1_3repE0EEENS1_30default_config_static_selectorELNS0_4arch9wavefront6targetE1EEEvT1_
; %bb.0:
	.section	.rodata,"a",@progbits
	.p2align	6, 0x0
	.amdhsa_kernel _ZN7rocprim17ROCPRIM_400000_NS6detail17trampoline_kernelINS0_14default_configENS1_20scan_config_selectorIdEEZZNS1_9scan_implILNS1_25lookback_scan_determinismE0ELb0ELb0ES3_PKdPddZZZN2at6native31launch_logcumsumexp_cuda_kernelERKNSB_10TensorBaseESF_lENKUlvE_clEvENKUlvE_clEvEUlddE_dEEDaPvRmT3_T4_T5_mT6_P12ihipStream_tbENKUlT_T0_E_clISt17integral_constantIbLb1EESV_IbLb0EEEEDaSR_SS_EUlSR_E0_NS1_11comp_targetILNS1_3genE10ELNS1_11target_archE1200ELNS1_3gpuE4ELNS1_3repE0EEENS1_30default_config_static_selectorELNS0_4arch9wavefront6targetE1EEEvT1_
		.amdhsa_group_segment_fixed_size 0
		.amdhsa_private_segment_fixed_size 0
		.amdhsa_kernarg_size 40
		.amdhsa_user_sgpr_count 6
		.amdhsa_user_sgpr_private_segment_buffer 1
		.amdhsa_user_sgpr_dispatch_ptr 0
		.amdhsa_user_sgpr_queue_ptr 0
		.amdhsa_user_sgpr_kernarg_segment_ptr 1
		.amdhsa_user_sgpr_dispatch_id 0
		.amdhsa_user_sgpr_flat_scratch_init 0
		.amdhsa_user_sgpr_private_segment_size 0
		.amdhsa_uses_dynamic_stack 0
		.amdhsa_system_sgpr_private_segment_wavefront_offset 0
		.amdhsa_system_sgpr_workgroup_id_x 1
		.amdhsa_system_sgpr_workgroup_id_y 0
		.amdhsa_system_sgpr_workgroup_id_z 0
		.amdhsa_system_sgpr_workgroup_info 0
		.amdhsa_system_vgpr_workitem_id 0
		.amdhsa_next_free_vgpr 1
		.amdhsa_next_free_sgpr 0
		.amdhsa_reserve_vcc 0
		.amdhsa_reserve_flat_scratch 0
		.amdhsa_float_round_mode_32 0
		.amdhsa_float_round_mode_16_64 0
		.amdhsa_float_denorm_mode_32 3
		.amdhsa_float_denorm_mode_16_64 3
		.amdhsa_dx10_clamp 1
		.amdhsa_ieee_mode 1
		.amdhsa_fp16_overflow 0
		.amdhsa_exception_fp_ieee_invalid_op 0
		.amdhsa_exception_fp_denorm_src 0
		.amdhsa_exception_fp_ieee_div_zero 0
		.amdhsa_exception_fp_ieee_overflow 0
		.amdhsa_exception_fp_ieee_underflow 0
		.amdhsa_exception_fp_ieee_inexact 0
		.amdhsa_exception_int_div_zero 0
	.end_amdhsa_kernel
	.section	.text._ZN7rocprim17ROCPRIM_400000_NS6detail17trampoline_kernelINS0_14default_configENS1_20scan_config_selectorIdEEZZNS1_9scan_implILNS1_25lookback_scan_determinismE0ELb0ELb0ES3_PKdPddZZZN2at6native31launch_logcumsumexp_cuda_kernelERKNSB_10TensorBaseESF_lENKUlvE_clEvENKUlvE_clEvEUlddE_dEEDaPvRmT3_T4_T5_mT6_P12ihipStream_tbENKUlT_T0_E_clISt17integral_constantIbLb1EESV_IbLb0EEEEDaSR_SS_EUlSR_E0_NS1_11comp_targetILNS1_3genE10ELNS1_11target_archE1200ELNS1_3gpuE4ELNS1_3repE0EEENS1_30default_config_static_selectorELNS0_4arch9wavefront6targetE1EEEvT1_,"axG",@progbits,_ZN7rocprim17ROCPRIM_400000_NS6detail17trampoline_kernelINS0_14default_configENS1_20scan_config_selectorIdEEZZNS1_9scan_implILNS1_25lookback_scan_determinismE0ELb0ELb0ES3_PKdPddZZZN2at6native31launch_logcumsumexp_cuda_kernelERKNSB_10TensorBaseESF_lENKUlvE_clEvENKUlvE_clEvEUlddE_dEEDaPvRmT3_T4_T5_mT6_P12ihipStream_tbENKUlT_T0_E_clISt17integral_constantIbLb1EESV_IbLb0EEEEDaSR_SS_EUlSR_E0_NS1_11comp_targetILNS1_3genE10ELNS1_11target_archE1200ELNS1_3gpuE4ELNS1_3repE0EEENS1_30default_config_static_selectorELNS0_4arch9wavefront6targetE1EEEvT1_,comdat
.Lfunc_end62:
	.size	_ZN7rocprim17ROCPRIM_400000_NS6detail17trampoline_kernelINS0_14default_configENS1_20scan_config_selectorIdEEZZNS1_9scan_implILNS1_25lookback_scan_determinismE0ELb0ELb0ES3_PKdPddZZZN2at6native31launch_logcumsumexp_cuda_kernelERKNSB_10TensorBaseESF_lENKUlvE_clEvENKUlvE_clEvEUlddE_dEEDaPvRmT3_T4_T5_mT6_P12ihipStream_tbENKUlT_T0_E_clISt17integral_constantIbLb1EESV_IbLb0EEEEDaSR_SS_EUlSR_E0_NS1_11comp_targetILNS1_3genE10ELNS1_11target_archE1200ELNS1_3gpuE4ELNS1_3repE0EEENS1_30default_config_static_selectorELNS0_4arch9wavefront6targetE1EEEvT1_, .Lfunc_end62-_ZN7rocprim17ROCPRIM_400000_NS6detail17trampoline_kernelINS0_14default_configENS1_20scan_config_selectorIdEEZZNS1_9scan_implILNS1_25lookback_scan_determinismE0ELb0ELb0ES3_PKdPddZZZN2at6native31launch_logcumsumexp_cuda_kernelERKNSB_10TensorBaseESF_lENKUlvE_clEvENKUlvE_clEvEUlddE_dEEDaPvRmT3_T4_T5_mT6_P12ihipStream_tbENKUlT_T0_E_clISt17integral_constantIbLb1EESV_IbLb0EEEEDaSR_SS_EUlSR_E0_NS1_11comp_targetILNS1_3genE10ELNS1_11target_archE1200ELNS1_3gpuE4ELNS1_3repE0EEENS1_30default_config_static_selectorELNS0_4arch9wavefront6targetE1EEEvT1_
                                        ; -- End function
	.set _ZN7rocprim17ROCPRIM_400000_NS6detail17trampoline_kernelINS0_14default_configENS1_20scan_config_selectorIdEEZZNS1_9scan_implILNS1_25lookback_scan_determinismE0ELb0ELb0ES3_PKdPddZZZN2at6native31launch_logcumsumexp_cuda_kernelERKNSB_10TensorBaseESF_lENKUlvE_clEvENKUlvE_clEvEUlddE_dEEDaPvRmT3_T4_T5_mT6_P12ihipStream_tbENKUlT_T0_E_clISt17integral_constantIbLb1EESV_IbLb0EEEEDaSR_SS_EUlSR_E0_NS1_11comp_targetILNS1_3genE10ELNS1_11target_archE1200ELNS1_3gpuE4ELNS1_3repE0EEENS1_30default_config_static_selectorELNS0_4arch9wavefront6targetE1EEEvT1_.num_vgpr, 0
	.set _ZN7rocprim17ROCPRIM_400000_NS6detail17trampoline_kernelINS0_14default_configENS1_20scan_config_selectorIdEEZZNS1_9scan_implILNS1_25lookback_scan_determinismE0ELb0ELb0ES3_PKdPddZZZN2at6native31launch_logcumsumexp_cuda_kernelERKNSB_10TensorBaseESF_lENKUlvE_clEvENKUlvE_clEvEUlddE_dEEDaPvRmT3_T4_T5_mT6_P12ihipStream_tbENKUlT_T0_E_clISt17integral_constantIbLb1EESV_IbLb0EEEEDaSR_SS_EUlSR_E0_NS1_11comp_targetILNS1_3genE10ELNS1_11target_archE1200ELNS1_3gpuE4ELNS1_3repE0EEENS1_30default_config_static_selectorELNS0_4arch9wavefront6targetE1EEEvT1_.num_agpr, 0
	.set _ZN7rocprim17ROCPRIM_400000_NS6detail17trampoline_kernelINS0_14default_configENS1_20scan_config_selectorIdEEZZNS1_9scan_implILNS1_25lookback_scan_determinismE0ELb0ELb0ES3_PKdPddZZZN2at6native31launch_logcumsumexp_cuda_kernelERKNSB_10TensorBaseESF_lENKUlvE_clEvENKUlvE_clEvEUlddE_dEEDaPvRmT3_T4_T5_mT6_P12ihipStream_tbENKUlT_T0_E_clISt17integral_constantIbLb1EESV_IbLb0EEEEDaSR_SS_EUlSR_E0_NS1_11comp_targetILNS1_3genE10ELNS1_11target_archE1200ELNS1_3gpuE4ELNS1_3repE0EEENS1_30default_config_static_selectorELNS0_4arch9wavefront6targetE1EEEvT1_.numbered_sgpr, 0
	.set _ZN7rocprim17ROCPRIM_400000_NS6detail17trampoline_kernelINS0_14default_configENS1_20scan_config_selectorIdEEZZNS1_9scan_implILNS1_25lookback_scan_determinismE0ELb0ELb0ES3_PKdPddZZZN2at6native31launch_logcumsumexp_cuda_kernelERKNSB_10TensorBaseESF_lENKUlvE_clEvENKUlvE_clEvEUlddE_dEEDaPvRmT3_T4_T5_mT6_P12ihipStream_tbENKUlT_T0_E_clISt17integral_constantIbLb1EESV_IbLb0EEEEDaSR_SS_EUlSR_E0_NS1_11comp_targetILNS1_3genE10ELNS1_11target_archE1200ELNS1_3gpuE4ELNS1_3repE0EEENS1_30default_config_static_selectorELNS0_4arch9wavefront6targetE1EEEvT1_.num_named_barrier, 0
	.set _ZN7rocprim17ROCPRIM_400000_NS6detail17trampoline_kernelINS0_14default_configENS1_20scan_config_selectorIdEEZZNS1_9scan_implILNS1_25lookback_scan_determinismE0ELb0ELb0ES3_PKdPddZZZN2at6native31launch_logcumsumexp_cuda_kernelERKNSB_10TensorBaseESF_lENKUlvE_clEvENKUlvE_clEvEUlddE_dEEDaPvRmT3_T4_T5_mT6_P12ihipStream_tbENKUlT_T0_E_clISt17integral_constantIbLb1EESV_IbLb0EEEEDaSR_SS_EUlSR_E0_NS1_11comp_targetILNS1_3genE10ELNS1_11target_archE1200ELNS1_3gpuE4ELNS1_3repE0EEENS1_30default_config_static_selectorELNS0_4arch9wavefront6targetE1EEEvT1_.private_seg_size, 0
	.set _ZN7rocprim17ROCPRIM_400000_NS6detail17trampoline_kernelINS0_14default_configENS1_20scan_config_selectorIdEEZZNS1_9scan_implILNS1_25lookback_scan_determinismE0ELb0ELb0ES3_PKdPddZZZN2at6native31launch_logcumsumexp_cuda_kernelERKNSB_10TensorBaseESF_lENKUlvE_clEvENKUlvE_clEvEUlddE_dEEDaPvRmT3_T4_T5_mT6_P12ihipStream_tbENKUlT_T0_E_clISt17integral_constantIbLb1EESV_IbLb0EEEEDaSR_SS_EUlSR_E0_NS1_11comp_targetILNS1_3genE10ELNS1_11target_archE1200ELNS1_3gpuE4ELNS1_3repE0EEENS1_30default_config_static_selectorELNS0_4arch9wavefront6targetE1EEEvT1_.uses_vcc, 0
	.set _ZN7rocprim17ROCPRIM_400000_NS6detail17trampoline_kernelINS0_14default_configENS1_20scan_config_selectorIdEEZZNS1_9scan_implILNS1_25lookback_scan_determinismE0ELb0ELb0ES3_PKdPddZZZN2at6native31launch_logcumsumexp_cuda_kernelERKNSB_10TensorBaseESF_lENKUlvE_clEvENKUlvE_clEvEUlddE_dEEDaPvRmT3_T4_T5_mT6_P12ihipStream_tbENKUlT_T0_E_clISt17integral_constantIbLb1EESV_IbLb0EEEEDaSR_SS_EUlSR_E0_NS1_11comp_targetILNS1_3genE10ELNS1_11target_archE1200ELNS1_3gpuE4ELNS1_3repE0EEENS1_30default_config_static_selectorELNS0_4arch9wavefront6targetE1EEEvT1_.uses_flat_scratch, 0
	.set _ZN7rocprim17ROCPRIM_400000_NS6detail17trampoline_kernelINS0_14default_configENS1_20scan_config_selectorIdEEZZNS1_9scan_implILNS1_25lookback_scan_determinismE0ELb0ELb0ES3_PKdPddZZZN2at6native31launch_logcumsumexp_cuda_kernelERKNSB_10TensorBaseESF_lENKUlvE_clEvENKUlvE_clEvEUlddE_dEEDaPvRmT3_T4_T5_mT6_P12ihipStream_tbENKUlT_T0_E_clISt17integral_constantIbLb1EESV_IbLb0EEEEDaSR_SS_EUlSR_E0_NS1_11comp_targetILNS1_3genE10ELNS1_11target_archE1200ELNS1_3gpuE4ELNS1_3repE0EEENS1_30default_config_static_selectorELNS0_4arch9wavefront6targetE1EEEvT1_.has_dyn_sized_stack, 0
	.set _ZN7rocprim17ROCPRIM_400000_NS6detail17trampoline_kernelINS0_14default_configENS1_20scan_config_selectorIdEEZZNS1_9scan_implILNS1_25lookback_scan_determinismE0ELb0ELb0ES3_PKdPddZZZN2at6native31launch_logcumsumexp_cuda_kernelERKNSB_10TensorBaseESF_lENKUlvE_clEvENKUlvE_clEvEUlddE_dEEDaPvRmT3_T4_T5_mT6_P12ihipStream_tbENKUlT_T0_E_clISt17integral_constantIbLb1EESV_IbLb0EEEEDaSR_SS_EUlSR_E0_NS1_11comp_targetILNS1_3genE10ELNS1_11target_archE1200ELNS1_3gpuE4ELNS1_3repE0EEENS1_30default_config_static_selectorELNS0_4arch9wavefront6targetE1EEEvT1_.has_recursion, 0
	.set _ZN7rocprim17ROCPRIM_400000_NS6detail17trampoline_kernelINS0_14default_configENS1_20scan_config_selectorIdEEZZNS1_9scan_implILNS1_25lookback_scan_determinismE0ELb0ELb0ES3_PKdPddZZZN2at6native31launch_logcumsumexp_cuda_kernelERKNSB_10TensorBaseESF_lENKUlvE_clEvENKUlvE_clEvEUlddE_dEEDaPvRmT3_T4_T5_mT6_P12ihipStream_tbENKUlT_T0_E_clISt17integral_constantIbLb1EESV_IbLb0EEEEDaSR_SS_EUlSR_E0_NS1_11comp_targetILNS1_3genE10ELNS1_11target_archE1200ELNS1_3gpuE4ELNS1_3repE0EEENS1_30default_config_static_selectorELNS0_4arch9wavefront6targetE1EEEvT1_.has_indirect_call, 0
	.section	.AMDGPU.csdata,"",@progbits
; Kernel info:
; codeLenInByte = 0
; TotalNumSgprs: 4
; NumVgprs: 0
; ScratchSize: 0
; MemoryBound: 0
; FloatMode: 240
; IeeeMode: 1
; LDSByteSize: 0 bytes/workgroup (compile time only)
; SGPRBlocks: 0
; VGPRBlocks: 0
; NumSGPRsForWavesPerEU: 4
; NumVGPRsForWavesPerEU: 1
; Occupancy: 10
; WaveLimiterHint : 0
; COMPUTE_PGM_RSRC2:SCRATCH_EN: 0
; COMPUTE_PGM_RSRC2:USER_SGPR: 6
; COMPUTE_PGM_RSRC2:TRAP_HANDLER: 0
; COMPUTE_PGM_RSRC2:TGID_X_EN: 1
; COMPUTE_PGM_RSRC2:TGID_Y_EN: 0
; COMPUTE_PGM_RSRC2:TGID_Z_EN: 0
; COMPUTE_PGM_RSRC2:TIDIG_COMP_CNT: 0
	.section	.text._ZN7rocprim17ROCPRIM_400000_NS6detail17trampoline_kernelINS0_14default_configENS1_20scan_config_selectorIdEEZZNS1_9scan_implILNS1_25lookback_scan_determinismE0ELb0ELb0ES3_PKdPddZZZN2at6native31launch_logcumsumexp_cuda_kernelERKNSB_10TensorBaseESF_lENKUlvE_clEvENKUlvE_clEvEUlddE_dEEDaPvRmT3_T4_T5_mT6_P12ihipStream_tbENKUlT_T0_E_clISt17integral_constantIbLb1EESV_IbLb0EEEEDaSR_SS_EUlSR_E0_NS1_11comp_targetILNS1_3genE9ELNS1_11target_archE1100ELNS1_3gpuE3ELNS1_3repE0EEENS1_30default_config_static_selectorELNS0_4arch9wavefront6targetE1EEEvT1_,"axG",@progbits,_ZN7rocprim17ROCPRIM_400000_NS6detail17trampoline_kernelINS0_14default_configENS1_20scan_config_selectorIdEEZZNS1_9scan_implILNS1_25lookback_scan_determinismE0ELb0ELb0ES3_PKdPddZZZN2at6native31launch_logcumsumexp_cuda_kernelERKNSB_10TensorBaseESF_lENKUlvE_clEvENKUlvE_clEvEUlddE_dEEDaPvRmT3_T4_T5_mT6_P12ihipStream_tbENKUlT_T0_E_clISt17integral_constantIbLb1EESV_IbLb0EEEEDaSR_SS_EUlSR_E0_NS1_11comp_targetILNS1_3genE9ELNS1_11target_archE1100ELNS1_3gpuE3ELNS1_3repE0EEENS1_30default_config_static_selectorELNS0_4arch9wavefront6targetE1EEEvT1_,comdat
	.globl	_ZN7rocprim17ROCPRIM_400000_NS6detail17trampoline_kernelINS0_14default_configENS1_20scan_config_selectorIdEEZZNS1_9scan_implILNS1_25lookback_scan_determinismE0ELb0ELb0ES3_PKdPddZZZN2at6native31launch_logcumsumexp_cuda_kernelERKNSB_10TensorBaseESF_lENKUlvE_clEvENKUlvE_clEvEUlddE_dEEDaPvRmT3_T4_T5_mT6_P12ihipStream_tbENKUlT_T0_E_clISt17integral_constantIbLb1EESV_IbLb0EEEEDaSR_SS_EUlSR_E0_NS1_11comp_targetILNS1_3genE9ELNS1_11target_archE1100ELNS1_3gpuE3ELNS1_3repE0EEENS1_30default_config_static_selectorELNS0_4arch9wavefront6targetE1EEEvT1_ ; -- Begin function _ZN7rocprim17ROCPRIM_400000_NS6detail17trampoline_kernelINS0_14default_configENS1_20scan_config_selectorIdEEZZNS1_9scan_implILNS1_25lookback_scan_determinismE0ELb0ELb0ES3_PKdPddZZZN2at6native31launch_logcumsumexp_cuda_kernelERKNSB_10TensorBaseESF_lENKUlvE_clEvENKUlvE_clEvEUlddE_dEEDaPvRmT3_T4_T5_mT6_P12ihipStream_tbENKUlT_T0_E_clISt17integral_constantIbLb1EESV_IbLb0EEEEDaSR_SS_EUlSR_E0_NS1_11comp_targetILNS1_3genE9ELNS1_11target_archE1100ELNS1_3gpuE3ELNS1_3repE0EEENS1_30default_config_static_selectorELNS0_4arch9wavefront6targetE1EEEvT1_
	.p2align	8
	.type	_ZN7rocprim17ROCPRIM_400000_NS6detail17trampoline_kernelINS0_14default_configENS1_20scan_config_selectorIdEEZZNS1_9scan_implILNS1_25lookback_scan_determinismE0ELb0ELb0ES3_PKdPddZZZN2at6native31launch_logcumsumexp_cuda_kernelERKNSB_10TensorBaseESF_lENKUlvE_clEvENKUlvE_clEvEUlddE_dEEDaPvRmT3_T4_T5_mT6_P12ihipStream_tbENKUlT_T0_E_clISt17integral_constantIbLb1EESV_IbLb0EEEEDaSR_SS_EUlSR_E0_NS1_11comp_targetILNS1_3genE9ELNS1_11target_archE1100ELNS1_3gpuE3ELNS1_3repE0EEENS1_30default_config_static_selectorELNS0_4arch9wavefront6targetE1EEEvT1_,@function
_ZN7rocprim17ROCPRIM_400000_NS6detail17trampoline_kernelINS0_14default_configENS1_20scan_config_selectorIdEEZZNS1_9scan_implILNS1_25lookback_scan_determinismE0ELb0ELb0ES3_PKdPddZZZN2at6native31launch_logcumsumexp_cuda_kernelERKNSB_10TensorBaseESF_lENKUlvE_clEvENKUlvE_clEvEUlddE_dEEDaPvRmT3_T4_T5_mT6_P12ihipStream_tbENKUlT_T0_E_clISt17integral_constantIbLb1EESV_IbLb0EEEEDaSR_SS_EUlSR_E0_NS1_11comp_targetILNS1_3genE9ELNS1_11target_archE1100ELNS1_3gpuE3ELNS1_3repE0EEENS1_30default_config_static_selectorELNS0_4arch9wavefront6targetE1EEEvT1_: ; @_ZN7rocprim17ROCPRIM_400000_NS6detail17trampoline_kernelINS0_14default_configENS1_20scan_config_selectorIdEEZZNS1_9scan_implILNS1_25lookback_scan_determinismE0ELb0ELb0ES3_PKdPddZZZN2at6native31launch_logcumsumexp_cuda_kernelERKNSB_10TensorBaseESF_lENKUlvE_clEvENKUlvE_clEvEUlddE_dEEDaPvRmT3_T4_T5_mT6_P12ihipStream_tbENKUlT_T0_E_clISt17integral_constantIbLb1EESV_IbLb0EEEEDaSR_SS_EUlSR_E0_NS1_11comp_targetILNS1_3genE9ELNS1_11target_archE1100ELNS1_3gpuE3ELNS1_3repE0EEENS1_30default_config_static_selectorELNS0_4arch9wavefront6targetE1EEEvT1_
; %bb.0:
	.section	.rodata,"a",@progbits
	.p2align	6, 0x0
	.amdhsa_kernel _ZN7rocprim17ROCPRIM_400000_NS6detail17trampoline_kernelINS0_14default_configENS1_20scan_config_selectorIdEEZZNS1_9scan_implILNS1_25lookback_scan_determinismE0ELb0ELb0ES3_PKdPddZZZN2at6native31launch_logcumsumexp_cuda_kernelERKNSB_10TensorBaseESF_lENKUlvE_clEvENKUlvE_clEvEUlddE_dEEDaPvRmT3_T4_T5_mT6_P12ihipStream_tbENKUlT_T0_E_clISt17integral_constantIbLb1EESV_IbLb0EEEEDaSR_SS_EUlSR_E0_NS1_11comp_targetILNS1_3genE9ELNS1_11target_archE1100ELNS1_3gpuE3ELNS1_3repE0EEENS1_30default_config_static_selectorELNS0_4arch9wavefront6targetE1EEEvT1_
		.amdhsa_group_segment_fixed_size 0
		.amdhsa_private_segment_fixed_size 0
		.amdhsa_kernarg_size 40
		.amdhsa_user_sgpr_count 6
		.amdhsa_user_sgpr_private_segment_buffer 1
		.amdhsa_user_sgpr_dispatch_ptr 0
		.amdhsa_user_sgpr_queue_ptr 0
		.amdhsa_user_sgpr_kernarg_segment_ptr 1
		.amdhsa_user_sgpr_dispatch_id 0
		.amdhsa_user_sgpr_flat_scratch_init 0
		.amdhsa_user_sgpr_private_segment_size 0
		.amdhsa_uses_dynamic_stack 0
		.amdhsa_system_sgpr_private_segment_wavefront_offset 0
		.amdhsa_system_sgpr_workgroup_id_x 1
		.amdhsa_system_sgpr_workgroup_id_y 0
		.amdhsa_system_sgpr_workgroup_id_z 0
		.amdhsa_system_sgpr_workgroup_info 0
		.amdhsa_system_vgpr_workitem_id 0
		.amdhsa_next_free_vgpr 1
		.amdhsa_next_free_sgpr 0
		.amdhsa_reserve_vcc 0
		.amdhsa_reserve_flat_scratch 0
		.amdhsa_float_round_mode_32 0
		.amdhsa_float_round_mode_16_64 0
		.amdhsa_float_denorm_mode_32 3
		.amdhsa_float_denorm_mode_16_64 3
		.amdhsa_dx10_clamp 1
		.amdhsa_ieee_mode 1
		.amdhsa_fp16_overflow 0
		.amdhsa_exception_fp_ieee_invalid_op 0
		.amdhsa_exception_fp_denorm_src 0
		.amdhsa_exception_fp_ieee_div_zero 0
		.amdhsa_exception_fp_ieee_overflow 0
		.amdhsa_exception_fp_ieee_underflow 0
		.amdhsa_exception_fp_ieee_inexact 0
		.amdhsa_exception_int_div_zero 0
	.end_amdhsa_kernel
	.section	.text._ZN7rocprim17ROCPRIM_400000_NS6detail17trampoline_kernelINS0_14default_configENS1_20scan_config_selectorIdEEZZNS1_9scan_implILNS1_25lookback_scan_determinismE0ELb0ELb0ES3_PKdPddZZZN2at6native31launch_logcumsumexp_cuda_kernelERKNSB_10TensorBaseESF_lENKUlvE_clEvENKUlvE_clEvEUlddE_dEEDaPvRmT3_T4_T5_mT6_P12ihipStream_tbENKUlT_T0_E_clISt17integral_constantIbLb1EESV_IbLb0EEEEDaSR_SS_EUlSR_E0_NS1_11comp_targetILNS1_3genE9ELNS1_11target_archE1100ELNS1_3gpuE3ELNS1_3repE0EEENS1_30default_config_static_selectorELNS0_4arch9wavefront6targetE1EEEvT1_,"axG",@progbits,_ZN7rocprim17ROCPRIM_400000_NS6detail17trampoline_kernelINS0_14default_configENS1_20scan_config_selectorIdEEZZNS1_9scan_implILNS1_25lookback_scan_determinismE0ELb0ELb0ES3_PKdPddZZZN2at6native31launch_logcumsumexp_cuda_kernelERKNSB_10TensorBaseESF_lENKUlvE_clEvENKUlvE_clEvEUlddE_dEEDaPvRmT3_T4_T5_mT6_P12ihipStream_tbENKUlT_T0_E_clISt17integral_constantIbLb1EESV_IbLb0EEEEDaSR_SS_EUlSR_E0_NS1_11comp_targetILNS1_3genE9ELNS1_11target_archE1100ELNS1_3gpuE3ELNS1_3repE0EEENS1_30default_config_static_selectorELNS0_4arch9wavefront6targetE1EEEvT1_,comdat
.Lfunc_end63:
	.size	_ZN7rocprim17ROCPRIM_400000_NS6detail17trampoline_kernelINS0_14default_configENS1_20scan_config_selectorIdEEZZNS1_9scan_implILNS1_25lookback_scan_determinismE0ELb0ELb0ES3_PKdPddZZZN2at6native31launch_logcumsumexp_cuda_kernelERKNSB_10TensorBaseESF_lENKUlvE_clEvENKUlvE_clEvEUlddE_dEEDaPvRmT3_T4_T5_mT6_P12ihipStream_tbENKUlT_T0_E_clISt17integral_constantIbLb1EESV_IbLb0EEEEDaSR_SS_EUlSR_E0_NS1_11comp_targetILNS1_3genE9ELNS1_11target_archE1100ELNS1_3gpuE3ELNS1_3repE0EEENS1_30default_config_static_selectorELNS0_4arch9wavefront6targetE1EEEvT1_, .Lfunc_end63-_ZN7rocprim17ROCPRIM_400000_NS6detail17trampoline_kernelINS0_14default_configENS1_20scan_config_selectorIdEEZZNS1_9scan_implILNS1_25lookback_scan_determinismE0ELb0ELb0ES3_PKdPddZZZN2at6native31launch_logcumsumexp_cuda_kernelERKNSB_10TensorBaseESF_lENKUlvE_clEvENKUlvE_clEvEUlddE_dEEDaPvRmT3_T4_T5_mT6_P12ihipStream_tbENKUlT_T0_E_clISt17integral_constantIbLb1EESV_IbLb0EEEEDaSR_SS_EUlSR_E0_NS1_11comp_targetILNS1_3genE9ELNS1_11target_archE1100ELNS1_3gpuE3ELNS1_3repE0EEENS1_30default_config_static_selectorELNS0_4arch9wavefront6targetE1EEEvT1_
                                        ; -- End function
	.set _ZN7rocprim17ROCPRIM_400000_NS6detail17trampoline_kernelINS0_14default_configENS1_20scan_config_selectorIdEEZZNS1_9scan_implILNS1_25lookback_scan_determinismE0ELb0ELb0ES3_PKdPddZZZN2at6native31launch_logcumsumexp_cuda_kernelERKNSB_10TensorBaseESF_lENKUlvE_clEvENKUlvE_clEvEUlddE_dEEDaPvRmT3_T4_T5_mT6_P12ihipStream_tbENKUlT_T0_E_clISt17integral_constantIbLb1EESV_IbLb0EEEEDaSR_SS_EUlSR_E0_NS1_11comp_targetILNS1_3genE9ELNS1_11target_archE1100ELNS1_3gpuE3ELNS1_3repE0EEENS1_30default_config_static_selectorELNS0_4arch9wavefront6targetE1EEEvT1_.num_vgpr, 0
	.set _ZN7rocprim17ROCPRIM_400000_NS6detail17trampoline_kernelINS0_14default_configENS1_20scan_config_selectorIdEEZZNS1_9scan_implILNS1_25lookback_scan_determinismE0ELb0ELb0ES3_PKdPddZZZN2at6native31launch_logcumsumexp_cuda_kernelERKNSB_10TensorBaseESF_lENKUlvE_clEvENKUlvE_clEvEUlddE_dEEDaPvRmT3_T4_T5_mT6_P12ihipStream_tbENKUlT_T0_E_clISt17integral_constantIbLb1EESV_IbLb0EEEEDaSR_SS_EUlSR_E0_NS1_11comp_targetILNS1_3genE9ELNS1_11target_archE1100ELNS1_3gpuE3ELNS1_3repE0EEENS1_30default_config_static_selectorELNS0_4arch9wavefront6targetE1EEEvT1_.num_agpr, 0
	.set _ZN7rocprim17ROCPRIM_400000_NS6detail17trampoline_kernelINS0_14default_configENS1_20scan_config_selectorIdEEZZNS1_9scan_implILNS1_25lookback_scan_determinismE0ELb0ELb0ES3_PKdPddZZZN2at6native31launch_logcumsumexp_cuda_kernelERKNSB_10TensorBaseESF_lENKUlvE_clEvENKUlvE_clEvEUlddE_dEEDaPvRmT3_T4_T5_mT6_P12ihipStream_tbENKUlT_T0_E_clISt17integral_constantIbLb1EESV_IbLb0EEEEDaSR_SS_EUlSR_E0_NS1_11comp_targetILNS1_3genE9ELNS1_11target_archE1100ELNS1_3gpuE3ELNS1_3repE0EEENS1_30default_config_static_selectorELNS0_4arch9wavefront6targetE1EEEvT1_.numbered_sgpr, 0
	.set _ZN7rocprim17ROCPRIM_400000_NS6detail17trampoline_kernelINS0_14default_configENS1_20scan_config_selectorIdEEZZNS1_9scan_implILNS1_25lookback_scan_determinismE0ELb0ELb0ES3_PKdPddZZZN2at6native31launch_logcumsumexp_cuda_kernelERKNSB_10TensorBaseESF_lENKUlvE_clEvENKUlvE_clEvEUlddE_dEEDaPvRmT3_T4_T5_mT6_P12ihipStream_tbENKUlT_T0_E_clISt17integral_constantIbLb1EESV_IbLb0EEEEDaSR_SS_EUlSR_E0_NS1_11comp_targetILNS1_3genE9ELNS1_11target_archE1100ELNS1_3gpuE3ELNS1_3repE0EEENS1_30default_config_static_selectorELNS0_4arch9wavefront6targetE1EEEvT1_.num_named_barrier, 0
	.set _ZN7rocprim17ROCPRIM_400000_NS6detail17trampoline_kernelINS0_14default_configENS1_20scan_config_selectorIdEEZZNS1_9scan_implILNS1_25lookback_scan_determinismE0ELb0ELb0ES3_PKdPddZZZN2at6native31launch_logcumsumexp_cuda_kernelERKNSB_10TensorBaseESF_lENKUlvE_clEvENKUlvE_clEvEUlddE_dEEDaPvRmT3_T4_T5_mT6_P12ihipStream_tbENKUlT_T0_E_clISt17integral_constantIbLb1EESV_IbLb0EEEEDaSR_SS_EUlSR_E0_NS1_11comp_targetILNS1_3genE9ELNS1_11target_archE1100ELNS1_3gpuE3ELNS1_3repE0EEENS1_30default_config_static_selectorELNS0_4arch9wavefront6targetE1EEEvT1_.private_seg_size, 0
	.set _ZN7rocprim17ROCPRIM_400000_NS6detail17trampoline_kernelINS0_14default_configENS1_20scan_config_selectorIdEEZZNS1_9scan_implILNS1_25lookback_scan_determinismE0ELb0ELb0ES3_PKdPddZZZN2at6native31launch_logcumsumexp_cuda_kernelERKNSB_10TensorBaseESF_lENKUlvE_clEvENKUlvE_clEvEUlddE_dEEDaPvRmT3_T4_T5_mT6_P12ihipStream_tbENKUlT_T0_E_clISt17integral_constantIbLb1EESV_IbLb0EEEEDaSR_SS_EUlSR_E0_NS1_11comp_targetILNS1_3genE9ELNS1_11target_archE1100ELNS1_3gpuE3ELNS1_3repE0EEENS1_30default_config_static_selectorELNS0_4arch9wavefront6targetE1EEEvT1_.uses_vcc, 0
	.set _ZN7rocprim17ROCPRIM_400000_NS6detail17trampoline_kernelINS0_14default_configENS1_20scan_config_selectorIdEEZZNS1_9scan_implILNS1_25lookback_scan_determinismE0ELb0ELb0ES3_PKdPddZZZN2at6native31launch_logcumsumexp_cuda_kernelERKNSB_10TensorBaseESF_lENKUlvE_clEvENKUlvE_clEvEUlddE_dEEDaPvRmT3_T4_T5_mT6_P12ihipStream_tbENKUlT_T0_E_clISt17integral_constantIbLb1EESV_IbLb0EEEEDaSR_SS_EUlSR_E0_NS1_11comp_targetILNS1_3genE9ELNS1_11target_archE1100ELNS1_3gpuE3ELNS1_3repE0EEENS1_30default_config_static_selectorELNS0_4arch9wavefront6targetE1EEEvT1_.uses_flat_scratch, 0
	.set _ZN7rocprim17ROCPRIM_400000_NS6detail17trampoline_kernelINS0_14default_configENS1_20scan_config_selectorIdEEZZNS1_9scan_implILNS1_25lookback_scan_determinismE0ELb0ELb0ES3_PKdPddZZZN2at6native31launch_logcumsumexp_cuda_kernelERKNSB_10TensorBaseESF_lENKUlvE_clEvENKUlvE_clEvEUlddE_dEEDaPvRmT3_T4_T5_mT6_P12ihipStream_tbENKUlT_T0_E_clISt17integral_constantIbLb1EESV_IbLb0EEEEDaSR_SS_EUlSR_E0_NS1_11comp_targetILNS1_3genE9ELNS1_11target_archE1100ELNS1_3gpuE3ELNS1_3repE0EEENS1_30default_config_static_selectorELNS0_4arch9wavefront6targetE1EEEvT1_.has_dyn_sized_stack, 0
	.set _ZN7rocprim17ROCPRIM_400000_NS6detail17trampoline_kernelINS0_14default_configENS1_20scan_config_selectorIdEEZZNS1_9scan_implILNS1_25lookback_scan_determinismE0ELb0ELb0ES3_PKdPddZZZN2at6native31launch_logcumsumexp_cuda_kernelERKNSB_10TensorBaseESF_lENKUlvE_clEvENKUlvE_clEvEUlddE_dEEDaPvRmT3_T4_T5_mT6_P12ihipStream_tbENKUlT_T0_E_clISt17integral_constantIbLb1EESV_IbLb0EEEEDaSR_SS_EUlSR_E0_NS1_11comp_targetILNS1_3genE9ELNS1_11target_archE1100ELNS1_3gpuE3ELNS1_3repE0EEENS1_30default_config_static_selectorELNS0_4arch9wavefront6targetE1EEEvT1_.has_recursion, 0
	.set _ZN7rocprim17ROCPRIM_400000_NS6detail17trampoline_kernelINS0_14default_configENS1_20scan_config_selectorIdEEZZNS1_9scan_implILNS1_25lookback_scan_determinismE0ELb0ELb0ES3_PKdPddZZZN2at6native31launch_logcumsumexp_cuda_kernelERKNSB_10TensorBaseESF_lENKUlvE_clEvENKUlvE_clEvEUlddE_dEEDaPvRmT3_T4_T5_mT6_P12ihipStream_tbENKUlT_T0_E_clISt17integral_constantIbLb1EESV_IbLb0EEEEDaSR_SS_EUlSR_E0_NS1_11comp_targetILNS1_3genE9ELNS1_11target_archE1100ELNS1_3gpuE3ELNS1_3repE0EEENS1_30default_config_static_selectorELNS0_4arch9wavefront6targetE1EEEvT1_.has_indirect_call, 0
	.section	.AMDGPU.csdata,"",@progbits
; Kernel info:
; codeLenInByte = 0
; TotalNumSgprs: 4
; NumVgprs: 0
; ScratchSize: 0
; MemoryBound: 0
; FloatMode: 240
; IeeeMode: 1
; LDSByteSize: 0 bytes/workgroup (compile time only)
; SGPRBlocks: 0
; VGPRBlocks: 0
; NumSGPRsForWavesPerEU: 4
; NumVGPRsForWavesPerEU: 1
; Occupancy: 10
; WaveLimiterHint : 0
; COMPUTE_PGM_RSRC2:SCRATCH_EN: 0
; COMPUTE_PGM_RSRC2:USER_SGPR: 6
; COMPUTE_PGM_RSRC2:TRAP_HANDLER: 0
; COMPUTE_PGM_RSRC2:TGID_X_EN: 1
; COMPUTE_PGM_RSRC2:TGID_Y_EN: 0
; COMPUTE_PGM_RSRC2:TGID_Z_EN: 0
; COMPUTE_PGM_RSRC2:TIDIG_COMP_CNT: 0
	.section	.text._ZN7rocprim17ROCPRIM_400000_NS6detail17trampoline_kernelINS0_14default_configENS1_20scan_config_selectorIdEEZZNS1_9scan_implILNS1_25lookback_scan_determinismE0ELb0ELb0ES3_PKdPddZZZN2at6native31launch_logcumsumexp_cuda_kernelERKNSB_10TensorBaseESF_lENKUlvE_clEvENKUlvE_clEvEUlddE_dEEDaPvRmT3_T4_T5_mT6_P12ihipStream_tbENKUlT_T0_E_clISt17integral_constantIbLb1EESV_IbLb0EEEEDaSR_SS_EUlSR_E0_NS1_11comp_targetILNS1_3genE8ELNS1_11target_archE1030ELNS1_3gpuE2ELNS1_3repE0EEENS1_30default_config_static_selectorELNS0_4arch9wavefront6targetE1EEEvT1_,"axG",@progbits,_ZN7rocprim17ROCPRIM_400000_NS6detail17trampoline_kernelINS0_14default_configENS1_20scan_config_selectorIdEEZZNS1_9scan_implILNS1_25lookback_scan_determinismE0ELb0ELb0ES3_PKdPddZZZN2at6native31launch_logcumsumexp_cuda_kernelERKNSB_10TensorBaseESF_lENKUlvE_clEvENKUlvE_clEvEUlddE_dEEDaPvRmT3_T4_T5_mT6_P12ihipStream_tbENKUlT_T0_E_clISt17integral_constantIbLb1EESV_IbLb0EEEEDaSR_SS_EUlSR_E0_NS1_11comp_targetILNS1_3genE8ELNS1_11target_archE1030ELNS1_3gpuE2ELNS1_3repE0EEENS1_30default_config_static_selectorELNS0_4arch9wavefront6targetE1EEEvT1_,comdat
	.globl	_ZN7rocprim17ROCPRIM_400000_NS6detail17trampoline_kernelINS0_14default_configENS1_20scan_config_selectorIdEEZZNS1_9scan_implILNS1_25lookback_scan_determinismE0ELb0ELb0ES3_PKdPddZZZN2at6native31launch_logcumsumexp_cuda_kernelERKNSB_10TensorBaseESF_lENKUlvE_clEvENKUlvE_clEvEUlddE_dEEDaPvRmT3_T4_T5_mT6_P12ihipStream_tbENKUlT_T0_E_clISt17integral_constantIbLb1EESV_IbLb0EEEEDaSR_SS_EUlSR_E0_NS1_11comp_targetILNS1_3genE8ELNS1_11target_archE1030ELNS1_3gpuE2ELNS1_3repE0EEENS1_30default_config_static_selectorELNS0_4arch9wavefront6targetE1EEEvT1_ ; -- Begin function _ZN7rocprim17ROCPRIM_400000_NS6detail17trampoline_kernelINS0_14default_configENS1_20scan_config_selectorIdEEZZNS1_9scan_implILNS1_25lookback_scan_determinismE0ELb0ELb0ES3_PKdPddZZZN2at6native31launch_logcumsumexp_cuda_kernelERKNSB_10TensorBaseESF_lENKUlvE_clEvENKUlvE_clEvEUlddE_dEEDaPvRmT3_T4_T5_mT6_P12ihipStream_tbENKUlT_T0_E_clISt17integral_constantIbLb1EESV_IbLb0EEEEDaSR_SS_EUlSR_E0_NS1_11comp_targetILNS1_3genE8ELNS1_11target_archE1030ELNS1_3gpuE2ELNS1_3repE0EEENS1_30default_config_static_selectorELNS0_4arch9wavefront6targetE1EEEvT1_
	.p2align	8
	.type	_ZN7rocprim17ROCPRIM_400000_NS6detail17trampoline_kernelINS0_14default_configENS1_20scan_config_selectorIdEEZZNS1_9scan_implILNS1_25lookback_scan_determinismE0ELb0ELb0ES3_PKdPddZZZN2at6native31launch_logcumsumexp_cuda_kernelERKNSB_10TensorBaseESF_lENKUlvE_clEvENKUlvE_clEvEUlddE_dEEDaPvRmT3_T4_T5_mT6_P12ihipStream_tbENKUlT_T0_E_clISt17integral_constantIbLb1EESV_IbLb0EEEEDaSR_SS_EUlSR_E0_NS1_11comp_targetILNS1_3genE8ELNS1_11target_archE1030ELNS1_3gpuE2ELNS1_3repE0EEENS1_30default_config_static_selectorELNS0_4arch9wavefront6targetE1EEEvT1_,@function
_ZN7rocprim17ROCPRIM_400000_NS6detail17trampoline_kernelINS0_14default_configENS1_20scan_config_selectorIdEEZZNS1_9scan_implILNS1_25lookback_scan_determinismE0ELb0ELb0ES3_PKdPddZZZN2at6native31launch_logcumsumexp_cuda_kernelERKNSB_10TensorBaseESF_lENKUlvE_clEvENKUlvE_clEvEUlddE_dEEDaPvRmT3_T4_T5_mT6_P12ihipStream_tbENKUlT_T0_E_clISt17integral_constantIbLb1EESV_IbLb0EEEEDaSR_SS_EUlSR_E0_NS1_11comp_targetILNS1_3genE8ELNS1_11target_archE1030ELNS1_3gpuE2ELNS1_3repE0EEENS1_30default_config_static_selectorELNS0_4arch9wavefront6targetE1EEEvT1_: ; @_ZN7rocprim17ROCPRIM_400000_NS6detail17trampoline_kernelINS0_14default_configENS1_20scan_config_selectorIdEEZZNS1_9scan_implILNS1_25lookback_scan_determinismE0ELb0ELb0ES3_PKdPddZZZN2at6native31launch_logcumsumexp_cuda_kernelERKNSB_10TensorBaseESF_lENKUlvE_clEvENKUlvE_clEvEUlddE_dEEDaPvRmT3_T4_T5_mT6_P12ihipStream_tbENKUlT_T0_E_clISt17integral_constantIbLb1EESV_IbLb0EEEEDaSR_SS_EUlSR_E0_NS1_11comp_targetILNS1_3genE8ELNS1_11target_archE1030ELNS1_3gpuE2ELNS1_3repE0EEENS1_30default_config_static_selectorELNS0_4arch9wavefront6targetE1EEEvT1_
; %bb.0:
	.section	.rodata,"a",@progbits
	.p2align	6, 0x0
	.amdhsa_kernel _ZN7rocprim17ROCPRIM_400000_NS6detail17trampoline_kernelINS0_14default_configENS1_20scan_config_selectorIdEEZZNS1_9scan_implILNS1_25lookback_scan_determinismE0ELb0ELb0ES3_PKdPddZZZN2at6native31launch_logcumsumexp_cuda_kernelERKNSB_10TensorBaseESF_lENKUlvE_clEvENKUlvE_clEvEUlddE_dEEDaPvRmT3_T4_T5_mT6_P12ihipStream_tbENKUlT_T0_E_clISt17integral_constantIbLb1EESV_IbLb0EEEEDaSR_SS_EUlSR_E0_NS1_11comp_targetILNS1_3genE8ELNS1_11target_archE1030ELNS1_3gpuE2ELNS1_3repE0EEENS1_30default_config_static_selectorELNS0_4arch9wavefront6targetE1EEEvT1_
		.amdhsa_group_segment_fixed_size 0
		.amdhsa_private_segment_fixed_size 0
		.amdhsa_kernarg_size 40
		.amdhsa_user_sgpr_count 6
		.amdhsa_user_sgpr_private_segment_buffer 1
		.amdhsa_user_sgpr_dispatch_ptr 0
		.amdhsa_user_sgpr_queue_ptr 0
		.amdhsa_user_sgpr_kernarg_segment_ptr 1
		.amdhsa_user_sgpr_dispatch_id 0
		.amdhsa_user_sgpr_flat_scratch_init 0
		.amdhsa_user_sgpr_private_segment_size 0
		.amdhsa_uses_dynamic_stack 0
		.amdhsa_system_sgpr_private_segment_wavefront_offset 0
		.amdhsa_system_sgpr_workgroup_id_x 1
		.amdhsa_system_sgpr_workgroup_id_y 0
		.amdhsa_system_sgpr_workgroup_id_z 0
		.amdhsa_system_sgpr_workgroup_info 0
		.amdhsa_system_vgpr_workitem_id 0
		.amdhsa_next_free_vgpr 1
		.amdhsa_next_free_sgpr 0
		.amdhsa_reserve_vcc 0
		.amdhsa_reserve_flat_scratch 0
		.amdhsa_float_round_mode_32 0
		.amdhsa_float_round_mode_16_64 0
		.amdhsa_float_denorm_mode_32 3
		.amdhsa_float_denorm_mode_16_64 3
		.amdhsa_dx10_clamp 1
		.amdhsa_ieee_mode 1
		.amdhsa_fp16_overflow 0
		.amdhsa_exception_fp_ieee_invalid_op 0
		.amdhsa_exception_fp_denorm_src 0
		.amdhsa_exception_fp_ieee_div_zero 0
		.amdhsa_exception_fp_ieee_overflow 0
		.amdhsa_exception_fp_ieee_underflow 0
		.amdhsa_exception_fp_ieee_inexact 0
		.amdhsa_exception_int_div_zero 0
	.end_amdhsa_kernel
	.section	.text._ZN7rocprim17ROCPRIM_400000_NS6detail17trampoline_kernelINS0_14default_configENS1_20scan_config_selectorIdEEZZNS1_9scan_implILNS1_25lookback_scan_determinismE0ELb0ELb0ES3_PKdPddZZZN2at6native31launch_logcumsumexp_cuda_kernelERKNSB_10TensorBaseESF_lENKUlvE_clEvENKUlvE_clEvEUlddE_dEEDaPvRmT3_T4_T5_mT6_P12ihipStream_tbENKUlT_T0_E_clISt17integral_constantIbLb1EESV_IbLb0EEEEDaSR_SS_EUlSR_E0_NS1_11comp_targetILNS1_3genE8ELNS1_11target_archE1030ELNS1_3gpuE2ELNS1_3repE0EEENS1_30default_config_static_selectorELNS0_4arch9wavefront6targetE1EEEvT1_,"axG",@progbits,_ZN7rocprim17ROCPRIM_400000_NS6detail17trampoline_kernelINS0_14default_configENS1_20scan_config_selectorIdEEZZNS1_9scan_implILNS1_25lookback_scan_determinismE0ELb0ELb0ES3_PKdPddZZZN2at6native31launch_logcumsumexp_cuda_kernelERKNSB_10TensorBaseESF_lENKUlvE_clEvENKUlvE_clEvEUlddE_dEEDaPvRmT3_T4_T5_mT6_P12ihipStream_tbENKUlT_T0_E_clISt17integral_constantIbLb1EESV_IbLb0EEEEDaSR_SS_EUlSR_E0_NS1_11comp_targetILNS1_3genE8ELNS1_11target_archE1030ELNS1_3gpuE2ELNS1_3repE0EEENS1_30default_config_static_selectorELNS0_4arch9wavefront6targetE1EEEvT1_,comdat
.Lfunc_end64:
	.size	_ZN7rocprim17ROCPRIM_400000_NS6detail17trampoline_kernelINS0_14default_configENS1_20scan_config_selectorIdEEZZNS1_9scan_implILNS1_25lookback_scan_determinismE0ELb0ELb0ES3_PKdPddZZZN2at6native31launch_logcumsumexp_cuda_kernelERKNSB_10TensorBaseESF_lENKUlvE_clEvENKUlvE_clEvEUlddE_dEEDaPvRmT3_T4_T5_mT6_P12ihipStream_tbENKUlT_T0_E_clISt17integral_constantIbLb1EESV_IbLb0EEEEDaSR_SS_EUlSR_E0_NS1_11comp_targetILNS1_3genE8ELNS1_11target_archE1030ELNS1_3gpuE2ELNS1_3repE0EEENS1_30default_config_static_selectorELNS0_4arch9wavefront6targetE1EEEvT1_, .Lfunc_end64-_ZN7rocprim17ROCPRIM_400000_NS6detail17trampoline_kernelINS0_14default_configENS1_20scan_config_selectorIdEEZZNS1_9scan_implILNS1_25lookback_scan_determinismE0ELb0ELb0ES3_PKdPddZZZN2at6native31launch_logcumsumexp_cuda_kernelERKNSB_10TensorBaseESF_lENKUlvE_clEvENKUlvE_clEvEUlddE_dEEDaPvRmT3_T4_T5_mT6_P12ihipStream_tbENKUlT_T0_E_clISt17integral_constantIbLb1EESV_IbLb0EEEEDaSR_SS_EUlSR_E0_NS1_11comp_targetILNS1_3genE8ELNS1_11target_archE1030ELNS1_3gpuE2ELNS1_3repE0EEENS1_30default_config_static_selectorELNS0_4arch9wavefront6targetE1EEEvT1_
                                        ; -- End function
	.set _ZN7rocprim17ROCPRIM_400000_NS6detail17trampoline_kernelINS0_14default_configENS1_20scan_config_selectorIdEEZZNS1_9scan_implILNS1_25lookback_scan_determinismE0ELb0ELb0ES3_PKdPddZZZN2at6native31launch_logcumsumexp_cuda_kernelERKNSB_10TensorBaseESF_lENKUlvE_clEvENKUlvE_clEvEUlddE_dEEDaPvRmT3_T4_T5_mT6_P12ihipStream_tbENKUlT_T0_E_clISt17integral_constantIbLb1EESV_IbLb0EEEEDaSR_SS_EUlSR_E0_NS1_11comp_targetILNS1_3genE8ELNS1_11target_archE1030ELNS1_3gpuE2ELNS1_3repE0EEENS1_30default_config_static_selectorELNS0_4arch9wavefront6targetE1EEEvT1_.num_vgpr, 0
	.set _ZN7rocprim17ROCPRIM_400000_NS6detail17trampoline_kernelINS0_14default_configENS1_20scan_config_selectorIdEEZZNS1_9scan_implILNS1_25lookback_scan_determinismE0ELb0ELb0ES3_PKdPddZZZN2at6native31launch_logcumsumexp_cuda_kernelERKNSB_10TensorBaseESF_lENKUlvE_clEvENKUlvE_clEvEUlddE_dEEDaPvRmT3_T4_T5_mT6_P12ihipStream_tbENKUlT_T0_E_clISt17integral_constantIbLb1EESV_IbLb0EEEEDaSR_SS_EUlSR_E0_NS1_11comp_targetILNS1_3genE8ELNS1_11target_archE1030ELNS1_3gpuE2ELNS1_3repE0EEENS1_30default_config_static_selectorELNS0_4arch9wavefront6targetE1EEEvT1_.num_agpr, 0
	.set _ZN7rocprim17ROCPRIM_400000_NS6detail17trampoline_kernelINS0_14default_configENS1_20scan_config_selectorIdEEZZNS1_9scan_implILNS1_25lookback_scan_determinismE0ELb0ELb0ES3_PKdPddZZZN2at6native31launch_logcumsumexp_cuda_kernelERKNSB_10TensorBaseESF_lENKUlvE_clEvENKUlvE_clEvEUlddE_dEEDaPvRmT3_T4_T5_mT6_P12ihipStream_tbENKUlT_T0_E_clISt17integral_constantIbLb1EESV_IbLb0EEEEDaSR_SS_EUlSR_E0_NS1_11comp_targetILNS1_3genE8ELNS1_11target_archE1030ELNS1_3gpuE2ELNS1_3repE0EEENS1_30default_config_static_selectorELNS0_4arch9wavefront6targetE1EEEvT1_.numbered_sgpr, 0
	.set _ZN7rocprim17ROCPRIM_400000_NS6detail17trampoline_kernelINS0_14default_configENS1_20scan_config_selectorIdEEZZNS1_9scan_implILNS1_25lookback_scan_determinismE0ELb0ELb0ES3_PKdPddZZZN2at6native31launch_logcumsumexp_cuda_kernelERKNSB_10TensorBaseESF_lENKUlvE_clEvENKUlvE_clEvEUlddE_dEEDaPvRmT3_T4_T5_mT6_P12ihipStream_tbENKUlT_T0_E_clISt17integral_constantIbLb1EESV_IbLb0EEEEDaSR_SS_EUlSR_E0_NS1_11comp_targetILNS1_3genE8ELNS1_11target_archE1030ELNS1_3gpuE2ELNS1_3repE0EEENS1_30default_config_static_selectorELNS0_4arch9wavefront6targetE1EEEvT1_.num_named_barrier, 0
	.set _ZN7rocprim17ROCPRIM_400000_NS6detail17trampoline_kernelINS0_14default_configENS1_20scan_config_selectorIdEEZZNS1_9scan_implILNS1_25lookback_scan_determinismE0ELb0ELb0ES3_PKdPddZZZN2at6native31launch_logcumsumexp_cuda_kernelERKNSB_10TensorBaseESF_lENKUlvE_clEvENKUlvE_clEvEUlddE_dEEDaPvRmT3_T4_T5_mT6_P12ihipStream_tbENKUlT_T0_E_clISt17integral_constantIbLb1EESV_IbLb0EEEEDaSR_SS_EUlSR_E0_NS1_11comp_targetILNS1_3genE8ELNS1_11target_archE1030ELNS1_3gpuE2ELNS1_3repE0EEENS1_30default_config_static_selectorELNS0_4arch9wavefront6targetE1EEEvT1_.private_seg_size, 0
	.set _ZN7rocprim17ROCPRIM_400000_NS6detail17trampoline_kernelINS0_14default_configENS1_20scan_config_selectorIdEEZZNS1_9scan_implILNS1_25lookback_scan_determinismE0ELb0ELb0ES3_PKdPddZZZN2at6native31launch_logcumsumexp_cuda_kernelERKNSB_10TensorBaseESF_lENKUlvE_clEvENKUlvE_clEvEUlddE_dEEDaPvRmT3_T4_T5_mT6_P12ihipStream_tbENKUlT_T0_E_clISt17integral_constantIbLb1EESV_IbLb0EEEEDaSR_SS_EUlSR_E0_NS1_11comp_targetILNS1_3genE8ELNS1_11target_archE1030ELNS1_3gpuE2ELNS1_3repE0EEENS1_30default_config_static_selectorELNS0_4arch9wavefront6targetE1EEEvT1_.uses_vcc, 0
	.set _ZN7rocprim17ROCPRIM_400000_NS6detail17trampoline_kernelINS0_14default_configENS1_20scan_config_selectorIdEEZZNS1_9scan_implILNS1_25lookback_scan_determinismE0ELb0ELb0ES3_PKdPddZZZN2at6native31launch_logcumsumexp_cuda_kernelERKNSB_10TensorBaseESF_lENKUlvE_clEvENKUlvE_clEvEUlddE_dEEDaPvRmT3_T4_T5_mT6_P12ihipStream_tbENKUlT_T0_E_clISt17integral_constantIbLb1EESV_IbLb0EEEEDaSR_SS_EUlSR_E0_NS1_11comp_targetILNS1_3genE8ELNS1_11target_archE1030ELNS1_3gpuE2ELNS1_3repE0EEENS1_30default_config_static_selectorELNS0_4arch9wavefront6targetE1EEEvT1_.uses_flat_scratch, 0
	.set _ZN7rocprim17ROCPRIM_400000_NS6detail17trampoline_kernelINS0_14default_configENS1_20scan_config_selectorIdEEZZNS1_9scan_implILNS1_25lookback_scan_determinismE0ELb0ELb0ES3_PKdPddZZZN2at6native31launch_logcumsumexp_cuda_kernelERKNSB_10TensorBaseESF_lENKUlvE_clEvENKUlvE_clEvEUlddE_dEEDaPvRmT3_T4_T5_mT6_P12ihipStream_tbENKUlT_T0_E_clISt17integral_constantIbLb1EESV_IbLb0EEEEDaSR_SS_EUlSR_E0_NS1_11comp_targetILNS1_3genE8ELNS1_11target_archE1030ELNS1_3gpuE2ELNS1_3repE0EEENS1_30default_config_static_selectorELNS0_4arch9wavefront6targetE1EEEvT1_.has_dyn_sized_stack, 0
	.set _ZN7rocprim17ROCPRIM_400000_NS6detail17trampoline_kernelINS0_14default_configENS1_20scan_config_selectorIdEEZZNS1_9scan_implILNS1_25lookback_scan_determinismE0ELb0ELb0ES3_PKdPddZZZN2at6native31launch_logcumsumexp_cuda_kernelERKNSB_10TensorBaseESF_lENKUlvE_clEvENKUlvE_clEvEUlddE_dEEDaPvRmT3_T4_T5_mT6_P12ihipStream_tbENKUlT_T0_E_clISt17integral_constantIbLb1EESV_IbLb0EEEEDaSR_SS_EUlSR_E0_NS1_11comp_targetILNS1_3genE8ELNS1_11target_archE1030ELNS1_3gpuE2ELNS1_3repE0EEENS1_30default_config_static_selectorELNS0_4arch9wavefront6targetE1EEEvT1_.has_recursion, 0
	.set _ZN7rocprim17ROCPRIM_400000_NS6detail17trampoline_kernelINS0_14default_configENS1_20scan_config_selectorIdEEZZNS1_9scan_implILNS1_25lookback_scan_determinismE0ELb0ELb0ES3_PKdPddZZZN2at6native31launch_logcumsumexp_cuda_kernelERKNSB_10TensorBaseESF_lENKUlvE_clEvENKUlvE_clEvEUlddE_dEEDaPvRmT3_T4_T5_mT6_P12ihipStream_tbENKUlT_T0_E_clISt17integral_constantIbLb1EESV_IbLb0EEEEDaSR_SS_EUlSR_E0_NS1_11comp_targetILNS1_3genE8ELNS1_11target_archE1030ELNS1_3gpuE2ELNS1_3repE0EEENS1_30default_config_static_selectorELNS0_4arch9wavefront6targetE1EEEvT1_.has_indirect_call, 0
	.section	.AMDGPU.csdata,"",@progbits
; Kernel info:
; codeLenInByte = 0
; TotalNumSgprs: 4
; NumVgprs: 0
; ScratchSize: 0
; MemoryBound: 0
; FloatMode: 240
; IeeeMode: 1
; LDSByteSize: 0 bytes/workgroup (compile time only)
; SGPRBlocks: 0
; VGPRBlocks: 0
; NumSGPRsForWavesPerEU: 4
; NumVGPRsForWavesPerEU: 1
; Occupancy: 10
; WaveLimiterHint : 0
; COMPUTE_PGM_RSRC2:SCRATCH_EN: 0
; COMPUTE_PGM_RSRC2:USER_SGPR: 6
; COMPUTE_PGM_RSRC2:TRAP_HANDLER: 0
; COMPUTE_PGM_RSRC2:TGID_X_EN: 1
; COMPUTE_PGM_RSRC2:TGID_Y_EN: 0
; COMPUTE_PGM_RSRC2:TGID_Z_EN: 0
; COMPUTE_PGM_RSRC2:TIDIG_COMP_CNT: 0
	.section	.text._ZN7rocprim17ROCPRIM_400000_NS6detail31init_lookback_scan_state_kernelINS1_19lookback_scan_stateIdLb0ELb1EEENS1_16block_id_wrapperIjLb1EEEEEvT_jT0_jPNS7_10value_typeE,"axG",@progbits,_ZN7rocprim17ROCPRIM_400000_NS6detail31init_lookback_scan_state_kernelINS1_19lookback_scan_stateIdLb0ELb1EEENS1_16block_id_wrapperIjLb1EEEEEvT_jT0_jPNS7_10value_typeE,comdat
	.protected	_ZN7rocprim17ROCPRIM_400000_NS6detail31init_lookback_scan_state_kernelINS1_19lookback_scan_stateIdLb0ELb1EEENS1_16block_id_wrapperIjLb1EEEEEvT_jT0_jPNS7_10value_typeE ; -- Begin function _ZN7rocprim17ROCPRIM_400000_NS6detail31init_lookback_scan_state_kernelINS1_19lookback_scan_stateIdLb0ELb1EEENS1_16block_id_wrapperIjLb1EEEEEvT_jT0_jPNS7_10value_typeE
	.globl	_ZN7rocprim17ROCPRIM_400000_NS6detail31init_lookback_scan_state_kernelINS1_19lookback_scan_stateIdLb0ELb1EEENS1_16block_id_wrapperIjLb1EEEEEvT_jT0_jPNS7_10value_typeE
	.p2align	8
	.type	_ZN7rocprim17ROCPRIM_400000_NS6detail31init_lookback_scan_state_kernelINS1_19lookback_scan_stateIdLb0ELb1EEENS1_16block_id_wrapperIjLb1EEEEEvT_jT0_jPNS7_10value_typeE,@function
_ZN7rocprim17ROCPRIM_400000_NS6detail31init_lookback_scan_state_kernelINS1_19lookback_scan_stateIdLb0ELb1EEENS1_16block_id_wrapperIjLb1EEEEEvT_jT0_jPNS7_10value_typeE: ; @_ZN7rocprim17ROCPRIM_400000_NS6detail31init_lookback_scan_state_kernelINS1_19lookback_scan_stateIdLb0ELb1EEENS1_16block_id_wrapperIjLb1EEEEEvT_jT0_jPNS7_10value_typeE
; %bb.0:
	s_load_dword s7, s[4:5], 0x34
	s_load_dwordx2 s[2:3], s[4:5], 0x20
	s_load_dwordx2 s[0:1], s[4:5], 0x0
	s_load_dword s14, s[4:5], 0x8
	s_waitcnt lgkmcnt(0)
	s_and_b32 s7, s7, 0xffff
	s_mul_i32 s6, s6, s7
	s_cmp_eq_u64 s[2:3], 0
	v_add_u32_e32 v0, s6, v0
	s_cbranch_scc1 .LBB65_8
; %bb.1:
	s_load_dword s8, s[4:5], 0x18
	s_mov_b32 s9, 0
	s_waitcnt lgkmcnt(0)
	s_cmp_lt_u32 s8, s14
	s_cselect_b32 s6, s8, 0
	v_cmp_eq_u32_e32 vcc, s6, v0
	s_and_saveexec_b64 s[6:7], vcc
	s_cbranch_execz .LBB65_7
; %bb.2:
	s_add_i32 s8, s8, 64
	s_lshl_b64 s[8:9], s[8:9], 4
	s_add_u32 s12, s0, s8
	s_addc_u32 s13, s1, s9
	v_mov_b32_e32 v1, s12
	v_mov_b32_e32 v2, s13
	;;#ASMSTART
	global_load_dwordx4 v[1:4], v[1:2] off glc	
s_waitcnt vmcnt(0)
	;;#ASMEND
	v_and_b32_e32 v4, 0xff, v3
	v_mov_b32_e32 v5, 0
	v_cmp_eq_u64_e32 vcc, 0, v[4:5]
	s_mov_b64 s[10:11], 0
	s_and_saveexec_b64 s[8:9], vcc
	s_cbranch_execz .LBB65_6
; %bb.3:
	v_mov_b32_e32 v6, s12
	v_mov_b32_e32 v7, s13
.LBB65_4:                               ; =>This Inner Loop Header: Depth=1
	;;#ASMSTART
	global_load_dwordx4 v[1:4], v[6:7] off glc	
s_waitcnt vmcnt(0)
	;;#ASMEND
	v_and_b32_e32 v4, 0xff, v3
	v_cmp_ne_u64_e32 vcc, 0, v[4:5]
	s_or_b64 s[10:11], vcc, s[10:11]
	s_andn2_b64 exec, exec, s[10:11]
	s_cbranch_execnz .LBB65_4
; %bb.5:
	s_or_b64 exec, exec, s[10:11]
.LBB65_6:
	s_or_b64 exec, exec, s[8:9]
	v_mov_b32_e32 v3, 0
	global_store_dwordx2 v3, v[1:2], s[2:3]
.LBB65_7:
	s_or_b64 exec, exec, s[6:7]
.LBB65_8:
	v_cmp_eq_u32_e32 vcc, 0, v0
	s_and_saveexec_b64 s[2:3], vcc
	s_cbranch_execnz .LBB65_12
; %bb.9:
	s_or_b64 exec, exec, s[2:3]
	v_cmp_gt_u32_e32 vcc, s14, v0
	s_and_saveexec_b64 s[2:3], vcc
	s_cbranch_execnz .LBB65_13
.LBB65_10:
	s_or_b64 exec, exec, s[2:3]
	v_cmp_gt_u32_e32 vcc, 64, v0
	s_and_saveexec_b64 s[2:3], vcc
	s_cbranch_execnz .LBB65_14
.LBB65_11:
	s_endpgm
.LBB65_12:
	s_load_dwordx2 s[4:5], s[4:5], 0x10
	v_mov_b32_e32 v1, 0
	s_waitcnt lgkmcnt(0)
	global_store_dword v1, v1, s[4:5]
	s_or_b64 exec, exec, s[2:3]
	v_cmp_gt_u32_e32 vcc, s14, v0
	s_and_saveexec_b64 s[2:3], vcc
	s_cbranch_execz .LBB65_10
.LBB65_13:
	v_add_u32_e32 v1, 64, v0
	v_mov_b32_e32 v2, 0
	v_lshlrev_b64 v[3:4], 4, v[1:2]
	v_mov_b32_e32 v1, s1
	v_add_co_u32_e32 v5, vcc, s0, v3
	v_addc_co_u32_e32 v6, vcc, v1, v4, vcc
	v_mov_b32_e32 v1, v2
	v_mov_b32_e32 v3, v2
	;; [unrolled: 1-line block ×3, first 2 shown]
	global_store_dwordx4 v[5:6], v[1:4], off
	s_or_b64 exec, exec, s[2:3]
	v_cmp_gt_u32_e32 vcc, 64, v0
	s_and_saveexec_b64 s[2:3], vcc
	s_cbranch_execz .LBB65_11
.LBB65_14:
	v_mov_b32_e32 v1, 0
	v_lshlrev_b64 v[2:3], 4, v[0:1]
	v_mov_b32_e32 v0, s1
	v_add_co_u32_e32 v4, vcc, s0, v2
	v_addc_co_u32_e32 v5, vcc, v0, v3, vcc
	v_mov_b32_e32 v2, 0xff
	v_mov_b32_e32 v0, v1
	;; [unrolled: 1-line block ×3, first 2 shown]
	global_store_dwordx4 v[4:5], v[0:3], off
	s_endpgm
	.section	.rodata,"a",@progbits
	.p2align	6, 0x0
	.amdhsa_kernel _ZN7rocprim17ROCPRIM_400000_NS6detail31init_lookback_scan_state_kernelINS1_19lookback_scan_stateIdLb0ELb1EEENS1_16block_id_wrapperIjLb1EEEEEvT_jT0_jPNS7_10value_typeE
		.amdhsa_group_segment_fixed_size 0
		.amdhsa_private_segment_fixed_size 0
		.amdhsa_kernarg_size 296
		.amdhsa_user_sgpr_count 6
		.amdhsa_user_sgpr_private_segment_buffer 1
		.amdhsa_user_sgpr_dispatch_ptr 0
		.amdhsa_user_sgpr_queue_ptr 0
		.amdhsa_user_sgpr_kernarg_segment_ptr 1
		.amdhsa_user_sgpr_dispatch_id 0
		.amdhsa_user_sgpr_flat_scratch_init 0
		.amdhsa_user_sgpr_private_segment_size 0
		.amdhsa_uses_dynamic_stack 0
		.amdhsa_system_sgpr_private_segment_wavefront_offset 0
		.amdhsa_system_sgpr_workgroup_id_x 1
		.amdhsa_system_sgpr_workgroup_id_y 0
		.amdhsa_system_sgpr_workgroup_id_z 0
		.amdhsa_system_sgpr_workgroup_info 0
		.amdhsa_system_vgpr_workitem_id 0
		.amdhsa_next_free_vgpr 8
		.amdhsa_next_free_sgpr 15
		.amdhsa_reserve_vcc 1
		.amdhsa_reserve_flat_scratch 0
		.amdhsa_float_round_mode_32 0
		.amdhsa_float_round_mode_16_64 0
		.amdhsa_float_denorm_mode_32 3
		.amdhsa_float_denorm_mode_16_64 3
		.amdhsa_dx10_clamp 1
		.amdhsa_ieee_mode 1
		.amdhsa_fp16_overflow 0
		.amdhsa_exception_fp_ieee_invalid_op 0
		.amdhsa_exception_fp_denorm_src 0
		.amdhsa_exception_fp_ieee_div_zero 0
		.amdhsa_exception_fp_ieee_overflow 0
		.amdhsa_exception_fp_ieee_underflow 0
		.amdhsa_exception_fp_ieee_inexact 0
		.amdhsa_exception_int_div_zero 0
	.end_amdhsa_kernel
	.section	.text._ZN7rocprim17ROCPRIM_400000_NS6detail31init_lookback_scan_state_kernelINS1_19lookback_scan_stateIdLb0ELb1EEENS1_16block_id_wrapperIjLb1EEEEEvT_jT0_jPNS7_10value_typeE,"axG",@progbits,_ZN7rocprim17ROCPRIM_400000_NS6detail31init_lookback_scan_state_kernelINS1_19lookback_scan_stateIdLb0ELb1EEENS1_16block_id_wrapperIjLb1EEEEEvT_jT0_jPNS7_10value_typeE,comdat
.Lfunc_end65:
	.size	_ZN7rocprim17ROCPRIM_400000_NS6detail31init_lookback_scan_state_kernelINS1_19lookback_scan_stateIdLb0ELb1EEENS1_16block_id_wrapperIjLb1EEEEEvT_jT0_jPNS7_10value_typeE, .Lfunc_end65-_ZN7rocprim17ROCPRIM_400000_NS6detail31init_lookback_scan_state_kernelINS1_19lookback_scan_stateIdLb0ELb1EEENS1_16block_id_wrapperIjLb1EEEEEvT_jT0_jPNS7_10value_typeE
                                        ; -- End function
	.set _ZN7rocprim17ROCPRIM_400000_NS6detail31init_lookback_scan_state_kernelINS1_19lookback_scan_stateIdLb0ELb1EEENS1_16block_id_wrapperIjLb1EEEEEvT_jT0_jPNS7_10value_typeE.num_vgpr, 8
	.set _ZN7rocprim17ROCPRIM_400000_NS6detail31init_lookback_scan_state_kernelINS1_19lookback_scan_stateIdLb0ELb1EEENS1_16block_id_wrapperIjLb1EEEEEvT_jT0_jPNS7_10value_typeE.num_agpr, 0
	.set _ZN7rocprim17ROCPRIM_400000_NS6detail31init_lookback_scan_state_kernelINS1_19lookback_scan_stateIdLb0ELb1EEENS1_16block_id_wrapperIjLb1EEEEEvT_jT0_jPNS7_10value_typeE.numbered_sgpr, 15
	.set _ZN7rocprim17ROCPRIM_400000_NS6detail31init_lookback_scan_state_kernelINS1_19lookback_scan_stateIdLb0ELb1EEENS1_16block_id_wrapperIjLb1EEEEEvT_jT0_jPNS7_10value_typeE.num_named_barrier, 0
	.set _ZN7rocprim17ROCPRIM_400000_NS6detail31init_lookback_scan_state_kernelINS1_19lookback_scan_stateIdLb0ELb1EEENS1_16block_id_wrapperIjLb1EEEEEvT_jT0_jPNS7_10value_typeE.private_seg_size, 0
	.set _ZN7rocprim17ROCPRIM_400000_NS6detail31init_lookback_scan_state_kernelINS1_19lookback_scan_stateIdLb0ELb1EEENS1_16block_id_wrapperIjLb1EEEEEvT_jT0_jPNS7_10value_typeE.uses_vcc, 1
	.set _ZN7rocprim17ROCPRIM_400000_NS6detail31init_lookback_scan_state_kernelINS1_19lookback_scan_stateIdLb0ELb1EEENS1_16block_id_wrapperIjLb1EEEEEvT_jT0_jPNS7_10value_typeE.uses_flat_scratch, 0
	.set _ZN7rocprim17ROCPRIM_400000_NS6detail31init_lookback_scan_state_kernelINS1_19lookback_scan_stateIdLb0ELb1EEENS1_16block_id_wrapperIjLb1EEEEEvT_jT0_jPNS7_10value_typeE.has_dyn_sized_stack, 0
	.set _ZN7rocprim17ROCPRIM_400000_NS6detail31init_lookback_scan_state_kernelINS1_19lookback_scan_stateIdLb0ELb1EEENS1_16block_id_wrapperIjLb1EEEEEvT_jT0_jPNS7_10value_typeE.has_recursion, 0
	.set _ZN7rocprim17ROCPRIM_400000_NS6detail31init_lookback_scan_state_kernelINS1_19lookback_scan_stateIdLb0ELb1EEENS1_16block_id_wrapperIjLb1EEEEEvT_jT0_jPNS7_10value_typeE.has_indirect_call, 0
	.section	.AMDGPU.csdata,"",@progbits
; Kernel info:
; codeLenInByte = 440
; TotalNumSgprs: 19
; NumVgprs: 8
; ScratchSize: 0
; MemoryBound: 0
; FloatMode: 240
; IeeeMode: 1
; LDSByteSize: 0 bytes/workgroup (compile time only)
; SGPRBlocks: 2
; VGPRBlocks: 1
; NumSGPRsForWavesPerEU: 19
; NumVGPRsForWavesPerEU: 8
; Occupancy: 10
; WaveLimiterHint : 0
; COMPUTE_PGM_RSRC2:SCRATCH_EN: 0
; COMPUTE_PGM_RSRC2:USER_SGPR: 6
; COMPUTE_PGM_RSRC2:TRAP_HANDLER: 0
; COMPUTE_PGM_RSRC2:TGID_X_EN: 1
; COMPUTE_PGM_RSRC2:TGID_Y_EN: 0
; COMPUTE_PGM_RSRC2:TGID_Z_EN: 0
; COMPUTE_PGM_RSRC2:TIDIG_COMP_CNT: 0
	.section	.text._ZN7rocprim17ROCPRIM_400000_NS6detail17trampoline_kernelINS0_14default_configENS1_20scan_config_selectorIdEEZZNS1_9scan_implILNS1_25lookback_scan_determinismE0ELb0ELb0ES3_PKdPddZZZN2at6native31launch_logcumsumexp_cuda_kernelERKNSB_10TensorBaseESF_lENKUlvE_clEvENKUlvE_clEvEUlddE_dEEDaPvRmT3_T4_T5_mT6_P12ihipStream_tbENKUlT_T0_E_clISt17integral_constantIbLb0EESV_IbLb1EEEEDaSR_SS_EUlSR_E_NS1_11comp_targetILNS1_3genE0ELNS1_11target_archE4294967295ELNS1_3gpuE0ELNS1_3repE0EEENS1_30default_config_static_selectorELNS0_4arch9wavefront6targetE1EEEvT1_,"axG",@progbits,_ZN7rocprim17ROCPRIM_400000_NS6detail17trampoline_kernelINS0_14default_configENS1_20scan_config_selectorIdEEZZNS1_9scan_implILNS1_25lookback_scan_determinismE0ELb0ELb0ES3_PKdPddZZZN2at6native31launch_logcumsumexp_cuda_kernelERKNSB_10TensorBaseESF_lENKUlvE_clEvENKUlvE_clEvEUlddE_dEEDaPvRmT3_T4_T5_mT6_P12ihipStream_tbENKUlT_T0_E_clISt17integral_constantIbLb0EESV_IbLb1EEEEDaSR_SS_EUlSR_E_NS1_11comp_targetILNS1_3genE0ELNS1_11target_archE4294967295ELNS1_3gpuE0ELNS1_3repE0EEENS1_30default_config_static_selectorELNS0_4arch9wavefront6targetE1EEEvT1_,comdat
	.globl	_ZN7rocprim17ROCPRIM_400000_NS6detail17trampoline_kernelINS0_14default_configENS1_20scan_config_selectorIdEEZZNS1_9scan_implILNS1_25lookback_scan_determinismE0ELb0ELb0ES3_PKdPddZZZN2at6native31launch_logcumsumexp_cuda_kernelERKNSB_10TensorBaseESF_lENKUlvE_clEvENKUlvE_clEvEUlddE_dEEDaPvRmT3_T4_T5_mT6_P12ihipStream_tbENKUlT_T0_E_clISt17integral_constantIbLb0EESV_IbLb1EEEEDaSR_SS_EUlSR_E_NS1_11comp_targetILNS1_3genE0ELNS1_11target_archE4294967295ELNS1_3gpuE0ELNS1_3repE0EEENS1_30default_config_static_selectorELNS0_4arch9wavefront6targetE1EEEvT1_ ; -- Begin function _ZN7rocprim17ROCPRIM_400000_NS6detail17trampoline_kernelINS0_14default_configENS1_20scan_config_selectorIdEEZZNS1_9scan_implILNS1_25lookback_scan_determinismE0ELb0ELb0ES3_PKdPddZZZN2at6native31launch_logcumsumexp_cuda_kernelERKNSB_10TensorBaseESF_lENKUlvE_clEvENKUlvE_clEvEUlddE_dEEDaPvRmT3_T4_T5_mT6_P12ihipStream_tbENKUlT_T0_E_clISt17integral_constantIbLb0EESV_IbLb1EEEEDaSR_SS_EUlSR_E_NS1_11comp_targetILNS1_3genE0ELNS1_11target_archE4294967295ELNS1_3gpuE0ELNS1_3repE0EEENS1_30default_config_static_selectorELNS0_4arch9wavefront6targetE1EEEvT1_
	.p2align	8
	.type	_ZN7rocprim17ROCPRIM_400000_NS6detail17trampoline_kernelINS0_14default_configENS1_20scan_config_selectorIdEEZZNS1_9scan_implILNS1_25lookback_scan_determinismE0ELb0ELb0ES3_PKdPddZZZN2at6native31launch_logcumsumexp_cuda_kernelERKNSB_10TensorBaseESF_lENKUlvE_clEvENKUlvE_clEvEUlddE_dEEDaPvRmT3_T4_T5_mT6_P12ihipStream_tbENKUlT_T0_E_clISt17integral_constantIbLb0EESV_IbLb1EEEEDaSR_SS_EUlSR_E_NS1_11comp_targetILNS1_3genE0ELNS1_11target_archE4294967295ELNS1_3gpuE0ELNS1_3repE0EEENS1_30default_config_static_selectorELNS0_4arch9wavefront6targetE1EEEvT1_,@function
_ZN7rocprim17ROCPRIM_400000_NS6detail17trampoline_kernelINS0_14default_configENS1_20scan_config_selectorIdEEZZNS1_9scan_implILNS1_25lookback_scan_determinismE0ELb0ELb0ES3_PKdPddZZZN2at6native31launch_logcumsumexp_cuda_kernelERKNSB_10TensorBaseESF_lENKUlvE_clEvENKUlvE_clEvEUlddE_dEEDaPvRmT3_T4_T5_mT6_P12ihipStream_tbENKUlT_T0_E_clISt17integral_constantIbLb0EESV_IbLb1EEEEDaSR_SS_EUlSR_E_NS1_11comp_targetILNS1_3genE0ELNS1_11target_archE4294967295ELNS1_3gpuE0ELNS1_3repE0EEENS1_30default_config_static_selectorELNS0_4arch9wavefront6targetE1EEEvT1_: ; @_ZN7rocprim17ROCPRIM_400000_NS6detail17trampoline_kernelINS0_14default_configENS1_20scan_config_selectorIdEEZZNS1_9scan_implILNS1_25lookback_scan_determinismE0ELb0ELb0ES3_PKdPddZZZN2at6native31launch_logcumsumexp_cuda_kernelERKNSB_10TensorBaseESF_lENKUlvE_clEvENKUlvE_clEvEUlddE_dEEDaPvRmT3_T4_T5_mT6_P12ihipStream_tbENKUlT_T0_E_clISt17integral_constantIbLb0EESV_IbLb1EEEEDaSR_SS_EUlSR_E_NS1_11comp_targetILNS1_3genE0ELNS1_11target_archE4294967295ELNS1_3gpuE0ELNS1_3repE0EEENS1_30default_config_static_selectorELNS0_4arch9wavefront6targetE1EEEvT1_
; %bb.0:
	.section	.rodata,"a",@progbits
	.p2align	6, 0x0
	.amdhsa_kernel _ZN7rocprim17ROCPRIM_400000_NS6detail17trampoline_kernelINS0_14default_configENS1_20scan_config_selectorIdEEZZNS1_9scan_implILNS1_25lookback_scan_determinismE0ELb0ELb0ES3_PKdPddZZZN2at6native31launch_logcumsumexp_cuda_kernelERKNSB_10TensorBaseESF_lENKUlvE_clEvENKUlvE_clEvEUlddE_dEEDaPvRmT3_T4_T5_mT6_P12ihipStream_tbENKUlT_T0_E_clISt17integral_constantIbLb0EESV_IbLb1EEEEDaSR_SS_EUlSR_E_NS1_11comp_targetILNS1_3genE0ELNS1_11target_archE4294967295ELNS1_3gpuE0ELNS1_3repE0EEENS1_30default_config_static_selectorELNS0_4arch9wavefront6targetE1EEEvT1_
		.amdhsa_group_segment_fixed_size 0
		.amdhsa_private_segment_fixed_size 0
		.amdhsa_kernarg_size 104
		.amdhsa_user_sgpr_count 6
		.amdhsa_user_sgpr_private_segment_buffer 1
		.amdhsa_user_sgpr_dispatch_ptr 0
		.amdhsa_user_sgpr_queue_ptr 0
		.amdhsa_user_sgpr_kernarg_segment_ptr 1
		.amdhsa_user_sgpr_dispatch_id 0
		.amdhsa_user_sgpr_flat_scratch_init 0
		.amdhsa_user_sgpr_private_segment_size 0
		.amdhsa_uses_dynamic_stack 0
		.amdhsa_system_sgpr_private_segment_wavefront_offset 0
		.amdhsa_system_sgpr_workgroup_id_x 1
		.amdhsa_system_sgpr_workgroup_id_y 0
		.amdhsa_system_sgpr_workgroup_id_z 0
		.amdhsa_system_sgpr_workgroup_info 0
		.amdhsa_system_vgpr_workitem_id 0
		.amdhsa_next_free_vgpr 1
		.amdhsa_next_free_sgpr 0
		.amdhsa_reserve_vcc 0
		.amdhsa_reserve_flat_scratch 0
		.amdhsa_float_round_mode_32 0
		.amdhsa_float_round_mode_16_64 0
		.amdhsa_float_denorm_mode_32 3
		.amdhsa_float_denorm_mode_16_64 3
		.amdhsa_dx10_clamp 1
		.amdhsa_ieee_mode 1
		.amdhsa_fp16_overflow 0
		.amdhsa_exception_fp_ieee_invalid_op 0
		.amdhsa_exception_fp_denorm_src 0
		.amdhsa_exception_fp_ieee_div_zero 0
		.amdhsa_exception_fp_ieee_overflow 0
		.amdhsa_exception_fp_ieee_underflow 0
		.amdhsa_exception_fp_ieee_inexact 0
		.amdhsa_exception_int_div_zero 0
	.end_amdhsa_kernel
	.section	.text._ZN7rocprim17ROCPRIM_400000_NS6detail17trampoline_kernelINS0_14default_configENS1_20scan_config_selectorIdEEZZNS1_9scan_implILNS1_25lookback_scan_determinismE0ELb0ELb0ES3_PKdPddZZZN2at6native31launch_logcumsumexp_cuda_kernelERKNSB_10TensorBaseESF_lENKUlvE_clEvENKUlvE_clEvEUlddE_dEEDaPvRmT3_T4_T5_mT6_P12ihipStream_tbENKUlT_T0_E_clISt17integral_constantIbLb0EESV_IbLb1EEEEDaSR_SS_EUlSR_E_NS1_11comp_targetILNS1_3genE0ELNS1_11target_archE4294967295ELNS1_3gpuE0ELNS1_3repE0EEENS1_30default_config_static_selectorELNS0_4arch9wavefront6targetE1EEEvT1_,"axG",@progbits,_ZN7rocprim17ROCPRIM_400000_NS6detail17trampoline_kernelINS0_14default_configENS1_20scan_config_selectorIdEEZZNS1_9scan_implILNS1_25lookback_scan_determinismE0ELb0ELb0ES3_PKdPddZZZN2at6native31launch_logcumsumexp_cuda_kernelERKNSB_10TensorBaseESF_lENKUlvE_clEvENKUlvE_clEvEUlddE_dEEDaPvRmT3_T4_T5_mT6_P12ihipStream_tbENKUlT_T0_E_clISt17integral_constantIbLb0EESV_IbLb1EEEEDaSR_SS_EUlSR_E_NS1_11comp_targetILNS1_3genE0ELNS1_11target_archE4294967295ELNS1_3gpuE0ELNS1_3repE0EEENS1_30default_config_static_selectorELNS0_4arch9wavefront6targetE1EEEvT1_,comdat
.Lfunc_end66:
	.size	_ZN7rocprim17ROCPRIM_400000_NS6detail17trampoline_kernelINS0_14default_configENS1_20scan_config_selectorIdEEZZNS1_9scan_implILNS1_25lookback_scan_determinismE0ELb0ELb0ES3_PKdPddZZZN2at6native31launch_logcumsumexp_cuda_kernelERKNSB_10TensorBaseESF_lENKUlvE_clEvENKUlvE_clEvEUlddE_dEEDaPvRmT3_T4_T5_mT6_P12ihipStream_tbENKUlT_T0_E_clISt17integral_constantIbLb0EESV_IbLb1EEEEDaSR_SS_EUlSR_E_NS1_11comp_targetILNS1_3genE0ELNS1_11target_archE4294967295ELNS1_3gpuE0ELNS1_3repE0EEENS1_30default_config_static_selectorELNS0_4arch9wavefront6targetE1EEEvT1_, .Lfunc_end66-_ZN7rocprim17ROCPRIM_400000_NS6detail17trampoline_kernelINS0_14default_configENS1_20scan_config_selectorIdEEZZNS1_9scan_implILNS1_25lookback_scan_determinismE0ELb0ELb0ES3_PKdPddZZZN2at6native31launch_logcumsumexp_cuda_kernelERKNSB_10TensorBaseESF_lENKUlvE_clEvENKUlvE_clEvEUlddE_dEEDaPvRmT3_T4_T5_mT6_P12ihipStream_tbENKUlT_T0_E_clISt17integral_constantIbLb0EESV_IbLb1EEEEDaSR_SS_EUlSR_E_NS1_11comp_targetILNS1_3genE0ELNS1_11target_archE4294967295ELNS1_3gpuE0ELNS1_3repE0EEENS1_30default_config_static_selectorELNS0_4arch9wavefront6targetE1EEEvT1_
                                        ; -- End function
	.set _ZN7rocprim17ROCPRIM_400000_NS6detail17trampoline_kernelINS0_14default_configENS1_20scan_config_selectorIdEEZZNS1_9scan_implILNS1_25lookback_scan_determinismE0ELb0ELb0ES3_PKdPddZZZN2at6native31launch_logcumsumexp_cuda_kernelERKNSB_10TensorBaseESF_lENKUlvE_clEvENKUlvE_clEvEUlddE_dEEDaPvRmT3_T4_T5_mT6_P12ihipStream_tbENKUlT_T0_E_clISt17integral_constantIbLb0EESV_IbLb1EEEEDaSR_SS_EUlSR_E_NS1_11comp_targetILNS1_3genE0ELNS1_11target_archE4294967295ELNS1_3gpuE0ELNS1_3repE0EEENS1_30default_config_static_selectorELNS0_4arch9wavefront6targetE1EEEvT1_.num_vgpr, 0
	.set _ZN7rocprim17ROCPRIM_400000_NS6detail17trampoline_kernelINS0_14default_configENS1_20scan_config_selectorIdEEZZNS1_9scan_implILNS1_25lookback_scan_determinismE0ELb0ELb0ES3_PKdPddZZZN2at6native31launch_logcumsumexp_cuda_kernelERKNSB_10TensorBaseESF_lENKUlvE_clEvENKUlvE_clEvEUlddE_dEEDaPvRmT3_T4_T5_mT6_P12ihipStream_tbENKUlT_T0_E_clISt17integral_constantIbLb0EESV_IbLb1EEEEDaSR_SS_EUlSR_E_NS1_11comp_targetILNS1_3genE0ELNS1_11target_archE4294967295ELNS1_3gpuE0ELNS1_3repE0EEENS1_30default_config_static_selectorELNS0_4arch9wavefront6targetE1EEEvT1_.num_agpr, 0
	.set _ZN7rocprim17ROCPRIM_400000_NS6detail17trampoline_kernelINS0_14default_configENS1_20scan_config_selectorIdEEZZNS1_9scan_implILNS1_25lookback_scan_determinismE0ELb0ELb0ES3_PKdPddZZZN2at6native31launch_logcumsumexp_cuda_kernelERKNSB_10TensorBaseESF_lENKUlvE_clEvENKUlvE_clEvEUlddE_dEEDaPvRmT3_T4_T5_mT6_P12ihipStream_tbENKUlT_T0_E_clISt17integral_constantIbLb0EESV_IbLb1EEEEDaSR_SS_EUlSR_E_NS1_11comp_targetILNS1_3genE0ELNS1_11target_archE4294967295ELNS1_3gpuE0ELNS1_3repE0EEENS1_30default_config_static_selectorELNS0_4arch9wavefront6targetE1EEEvT1_.numbered_sgpr, 0
	.set _ZN7rocprim17ROCPRIM_400000_NS6detail17trampoline_kernelINS0_14default_configENS1_20scan_config_selectorIdEEZZNS1_9scan_implILNS1_25lookback_scan_determinismE0ELb0ELb0ES3_PKdPddZZZN2at6native31launch_logcumsumexp_cuda_kernelERKNSB_10TensorBaseESF_lENKUlvE_clEvENKUlvE_clEvEUlddE_dEEDaPvRmT3_T4_T5_mT6_P12ihipStream_tbENKUlT_T0_E_clISt17integral_constantIbLb0EESV_IbLb1EEEEDaSR_SS_EUlSR_E_NS1_11comp_targetILNS1_3genE0ELNS1_11target_archE4294967295ELNS1_3gpuE0ELNS1_3repE0EEENS1_30default_config_static_selectorELNS0_4arch9wavefront6targetE1EEEvT1_.num_named_barrier, 0
	.set _ZN7rocprim17ROCPRIM_400000_NS6detail17trampoline_kernelINS0_14default_configENS1_20scan_config_selectorIdEEZZNS1_9scan_implILNS1_25lookback_scan_determinismE0ELb0ELb0ES3_PKdPddZZZN2at6native31launch_logcumsumexp_cuda_kernelERKNSB_10TensorBaseESF_lENKUlvE_clEvENKUlvE_clEvEUlddE_dEEDaPvRmT3_T4_T5_mT6_P12ihipStream_tbENKUlT_T0_E_clISt17integral_constantIbLb0EESV_IbLb1EEEEDaSR_SS_EUlSR_E_NS1_11comp_targetILNS1_3genE0ELNS1_11target_archE4294967295ELNS1_3gpuE0ELNS1_3repE0EEENS1_30default_config_static_selectorELNS0_4arch9wavefront6targetE1EEEvT1_.private_seg_size, 0
	.set _ZN7rocprim17ROCPRIM_400000_NS6detail17trampoline_kernelINS0_14default_configENS1_20scan_config_selectorIdEEZZNS1_9scan_implILNS1_25lookback_scan_determinismE0ELb0ELb0ES3_PKdPddZZZN2at6native31launch_logcumsumexp_cuda_kernelERKNSB_10TensorBaseESF_lENKUlvE_clEvENKUlvE_clEvEUlddE_dEEDaPvRmT3_T4_T5_mT6_P12ihipStream_tbENKUlT_T0_E_clISt17integral_constantIbLb0EESV_IbLb1EEEEDaSR_SS_EUlSR_E_NS1_11comp_targetILNS1_3genE0ELNS1_11target_archE4294967295ELNS1_3gpuE0ELNS1_3repE0EEENS1_30default_config_static_selectorELNS0_4arch9wavefront6targetE1EEEvT1_.uses_vcc, 0
	.set _ZN7rocprim17ROCPRIM_400000_NS6detail17trampoline_kernelINS0_14default_configENS1_20scan_config_selectorIdEEZZNS1_9scan_implILNS1_25lookback_scan_determinismE0ELb0ELb0ES3_PKdPddZZZN2at6native31launch_logcumsumexp_cuda_kernelERKNSB_10TensorBaseESF_lENKUlvE_clEvENKUlvE_clEvEUlddE_dEEDaPvRmT3_T4_T5_mT6_P12ihipStream_tbENKUlT_T0_E_clISt17integral_constantIbLb0EESV_IbLb1EEEEDaSR_SS_EUlSR_E_NS1_11comp_targetILNS1_3genE0ELNS1_11target_archE4294967295ELNS1_3gpuE0ELNS1_3repE0EEENS1_30default_config_static_selectorELNS0_4arch9wavefront6targetE1EEEvT1_.uses_flat_scratch, 0
	.set _ZN7rocprim17ROCPRIM_400000_NS6detail17trampoline_kernelINS0_14default_configENS1_20scan_config_selectorIdEEZZNS1_9scan_implILNS1_25lookback_scan_determinismE0ELb0ELb0ES3_PKdPddZZZN2at6native31launch_logcumsumexp_cuda_kernelERKNSB_10TensorBaseESF_lENKUlvE_clEvENKUlvE_clEvEUlddE_dEEDaPvRmT3_T4_T5_mT6_P12ihipStream_tbENKUlT_T0_E_clISt17integral_constantIbLb0EESV_IbLb1EEEEDaSR_SS_EUlSR_E_NS1_11comp_targetILNS1_3genE0ELNS1_11target_archE4294967295ELNS1_3gpuE0ELNS1_3repE0EEENS1_30default_config_static_selectorELNS0_4arch9wavefront6targetE1EEEvT1_.has_dyn_sized_stack, 0
	.set _ZN7rocprim17ROCPRIM_400000_NS6detail17trampoline_kernelINS0_14default_configENS1_20scan_config_selectorIdEEZZNS1_9scan_implILNS1_25lookback_scan_determinismE0ELb0ELb0ES3_PKdPddZZZN2at6native31launch_logcumsumexp_cuda_kernelERKNSB_10TensorBaseESF_lENKUlvE_clEvENKUlvE_clEvEUlddE_dEEDaPvRmT3_T4_T5_mT6_P12ihipStream_tbENKUlT_T0_E_clISt17integral_constantIbLb0EESV_IbLb1EEEEDaSR_SS_EUlSR_E_NS1_11comp_targetILNS1_3genE0ELNS1_11target_archE4294967295ELNS1_3gpuE0ELNS1_3repE0EEENS1_30default_config_static_selectorELNS0_4arch9wavefront6targetE1EEEvT1_.has_recursion, 0
	.set _ZN7rocprim17ROCPRIM_400000_NS6detail17trampoline_kernelINS0_14default_configENS1_20scan_config_selectorIdEEZZNS1_9scan_implILNS1_25lookback_scan_determinismE0ELb0ELb0ES3_PKdPddZZZN2at6native31launch_logcumsumexp_cuda_kernelERKNSB_10TensorBaseESF_lENKUlvE_clEvENKUlvE_clEvEUlddE_dEEDaPvRmT3_T4_T5_mT6_P12ihipStream_tbENKUlT_T0_E_clISt17integral_constantIbLb0EESV_IbLb1EEEEDaSR_SS_EUlSR_E_NS1_11comp_targetILNS1_3genE0ELNS1_11target_archE4294967295ELNS1_3gpuE0ELNS1_3repE0EEENS1_30default_config_static_selectorELNS0_4arch9wavefront6targetE1EEEvT1_.has_indirect_call, 0
	.section	.AMDGPU.csdata,"",@progbits
; Kernel info:
; codeLenInByte = 0
; TotalNumSgprs: 4
; NumVgprs: 0
; ScratchSize: 0
; MemoryBound: 0
; FloatMode: 240
; IeeeMode: 1
; LDSByteSize: 0 bytes/workgroup (compile time only)
; SGPRBlocks: 0
; VGPRBlocks: 0
; NumSGPRsForWavesPerEU: 4
; NumVGPRsForWavesPerEU: 1
; Occupancy: 10
; WaveLimiterHint : 0
; COMPUTE_PGM_RSRC2:SCRATCH_EN: 0
; COMPUTE_PGM_RSRC2:USER_SGPR: 6
; COMPUTE_PGM_RSRC2:TRAP_HANDLER: 0
; COMPUTE_PGM_RSRC2:TGID_X_EN: 1
; COMPUTE_PGM_RSRC2:TGID_Y_EN: 0
; COMPUTE_PGM_RSRC2:TGID_Z_EN: 0
; COMPUTE_PGM_RSRC2:TIDIG_COMP_CNT: 0
	.section	.text._ZN7rocprim17ROCPRIM_400000_NS6detail17trampoline_kernelINS0_14default_configENS1_20scan_config_selectorIdEEZZNS1_9scan_implILNS1_25lookback_scan_determinismE0ELb0ELb0ES3_PKdPddZZZN2at6native31launch_logcumsumexp_cuda_kernelERKNSB_10TensorBaseESF_lENKUlvE_clEvENKUlvE_clEvEUlddE_dEEDaPvRmT3_T4_T5_mT6_P12ihipStream_tbENKUlT_T0_E_clISt17integral_constantIbLb0EESV_IbLb1EEEEDaSR_SS_EUlSR_E_NS1_11comp_targetILNS1_3genE5ELNS1_11target_archE942ELNS1_3gpuE9ELNS1_3repE0EEENS1_30default_config_static_selectorELNS0_4arch9wavefront6targetE1EEEvT1_,"axG",@progbits,_ZN7rocprim17ROCPRIM_400000_NS6detail17trampoline_kernelINS0_14default_configENS1_20scan_config_selectorIdEEZZNS1_9scan_implILNS1_25lookback_scan_determinismE0ELb0ELb0ES3_PKdPddZZZN2at6native31launch_logcumsumexp_cuda_kernelERKNSB_10TensorBaseESF_lENKUlvE_clEvENKUlvE_clEvEUlddE_dEEDaPvRmT3_T4_T5_mT6_P12ihipStream_tbENKUlT_T0_E_clISt17integral_constantIbLb0EESV_IbLb1EEEEDaSR_SS_EUlSR_E_NS1_11comp_targetILNS1_3genE5ELNS1_11target_archE942ELNS1_3gpuE9ELNS1_3repE0EEENS1_30default_config_static_selectorELNS0_4arch9wavefront6targetE1EEEvT1_,comdat
	.globl	_ZN7rocprim17ROCPRIM_400000_NS6detail17trampoline_kernelINS0_14default_configENS1_20scan_config_selectorIdEEZZNS1_9scan_implILNS1_25lookback_scan_determinismE0ELb0ELb0ES3_PKdPddZZZN2at6native31launch_logcumsumexp_cuda_kernelERKNSB_10TensorBaseESF_lENKUlvE_clEvENKUlvE_clEvEUlddE_dEEDaPvRmT3_T4_T5_mT6_P12ihipStream_tbENKUlT_T0_E_clISt17integral_constantIbLb0EESV_IbLb1EEEEDaSR_SS_EUlSR_E_NS1_11comp_targetILNS1_3genE5ELNS1_11target_archE942ELNS1_3gpuE9ELNS1_3repE0EEENS1_30default_config_static_selectorELNS0_4arch9wavefront6targetE1EEEvT1_ ; -- Begin function _ZN7rocprim17ROCPRIM_400000_NS6detail17trampoline_kernelINS0_14default_configENS1_20scan_config_selectorIdEEZZNS1_9scan_implILNS1_25lookback_scan_determinismE0ELb0ELb0ES3_PKdPddZZZN2at6native31launch_logcumsumexp_cuda_kernelERKNSB_10TensorBaseESF_lENKUlvE_clEvENKUlvE_clEvEUlddE_dEEDaPvRmT3_T4_T5_mT6_P12ihipStream_tbENKUlT_T0_E_clISt17integral_constantIbLb0EESV_IbLb1EEEEDaSR_SS_EUlSR_E_NS1_11comp_targetILNS1_3genE5ELNS1_11target_archE942ELNS1_3gpuE9ELNS1_3repE0EEENS1_30default_config_static_selectorELNS0_4arch9wavefront6targetE1EEEvT1_
	.p2align	8
	.type	_ZN7rocprim17ROCPRIM_400000_NS6detail17trampoline_kernelINS0_14default_configENS1_20scan_config_selectorIdEEZZNS1_9scan_implILNS1_25lookback_scan_determinismE0ELb0ELb0ES3_PKdPddZZZN2at6native31launch_logcumsumexp_cuda_kernelERKNSB_10TensorBaseESF_lENKUlvE_clEvENKUlvE_clEvEUlddE_dEEDaPvRmT3_T4_T5_mT6_P12ihipStream_tbENKUlT_T0_E_clISt17integral_constantIbLb0EESV_IbLb1EEEEDaSR_SS_EUlSR_E_NS1_11comp_targetILNS1_3genE5ELNS1_11target_archE942ELNS1_3gpuE9ELNS1_3repE0EEENS1_30default_config_static_selectorELNS0_4arch9wavefront6targetE1EEEvT1_,@function
_ZN7rocprim17ROCPRIM_400000_NS6detail17trampoline_kernelINS0_14default_configENS1_20scan_config_selectorIdEEZZNS1_9scan_implILNS1_25lookback_scan_determinismE0ELb0ELb0ES3_PKdPddZZZN2at6native31launch_logcumsumexp_cuda_kernelERKNSB_10TensorBaseESF_lENKUlvE_clEvENKUlvE_clEvEUlddE_dEEDaPvRmT3_T4_T5_mT6_P12ihipStream_tbENKUlT_T0_E_clISt17integral_constantIbLb0EESV_IbLb1EEEEDaSR_SS_EUlSR_E_NS1_11comp_targetILNS1_3genE5ELNS1_11target_archE942ELNS1_3gpuE9ELNS1_3repE0EEENS1_30default_config_static_selectorELNS0_4arch9wavefront6targetE1EEEvT1_: ; @_ZN7rocprim17ROCPRIM_400000_NS6detail17trampoline_kernelINS0_14default_configENS1_20scan_config_selectorIdEEZZNS1_9scan_implILNS1_25lookback_scan_determinismE0ELb0ELb0ES3_PKdPddZZZN2at6native31launch_logcumsumexp_cuda_kernelERKNSB_10TensorBaseESF_lENKUlvE_clEvENKUlvE_clEvEUlddE_dEEDaPvRmT3_T4_T5_mT6_P12ihipStream_tbENKUlT_T0_E_clISt17integral_constantIbLb0EESV_IbLb1EEEEDaSR_SS_EUlSR_E_NS1_11comp_targetILNS1_3genE5ELNS1_11target_archE942ELNS1_3gpuE9ELNS1_3repE0EEENS1_30default_config_static_selectorELNS0_4arch9wavefront6targetE1EEEvT1_
; %bb.0:
	.section	.rodata,"a",@progbits
	.p2align	6, 0x0
	.amdhsa_kernel _ZN7rocprim17ROCPRIM_400000_NS6detail17trampoline_kernelINS0_14default_configENS1_20scan_config_selectorIdEEZZNS1_9scan_implILNS1_25lookback_scan_determinismE0ELb0ELb0ES3_PKdPddZZZN2at6native31launch_logcumsumexp_cuda_kernelERKNSB_10TensorBaseESF_lENKUlvE_clEvENKUlvE_clEvEUlddE_dEEDaPvRmT3_T4_T5_mT6_P12ihipStream_tbENKUlT_T0_E_clISt17integral_constantIbLb0EESV_IbLb1EEEEDaSR_SS_EUlSR_E_NS1_11comp_targetILNS1_3genE5ELNS1_11target_archE942ELNS1_3gpuE9ELNS1_3repE0EEENS1_30default_config_static_selectorELNS0_4arch9wavefront6targetE1EEEvT1_
		.amdhsa_group_segment_fixed_size 0
		.amdhsa_private_segment_fixed_size 0
		.amdhsa_kernarg_size 104
		.amdhsa_user_sgpr_count 6
		.amdhsa_user_sgpr_private_segment_buffer 1
		.amdhsa_user_sgpr_dispatch_ptr 0
		.amdhsa_user_sgpr_queue_ptr 0
		.amdhsa_user_sgpr_kernarg_segment_ptr 1
		.amdhsa_user_sgpr_dispatch_id 0
		.amdhsa_user_sgpr_flat_scratch_init 0
		.amdhsa_user_sgpr_private_segment_size 0
		.amdhsa_uses_dynamic_stack 0
		.amdhsa_system_sgpr_private_segment_wavefront_offset 0
		.amdhsa_system_sgpr_workgroup_id_x 1
		.amdhsa_system_sgpr_workgroup_id_y 0
		.amdhsa_system_sgpr_workgroup_id_z 0
		.amdhsa_system_sgpr_workgroup_info 0
		.amdhsa_system_vgpr_workitem_id 0
		.amdhsa_next_free_vgpr 1
		.amdhsa_next_free_sgpr 0
		.amdhsa_reserve_vcc 0
		.amdhsa_reserve_flat_scratch 0
		.amdhsa_float_round_mode_32 0
		.amdhsa_float_round_mode_16_64 0
		.amdhsa_float_denorm_mode_32 3
		.amdhsa_float_denorm_mode_16_64 3
		.amdhsa_dx10_clamp 1
		.amdhsa_ieee_mode 1
		.amdhsa_fp16_overflow 0
		.amdhsa_exception_fp_ieee_invalid_op 0
		.amdhsa_exception_fp_denorm_src 0
		.amdhsa_exception_fp_ieee_div_zero 0
		.amdhsa_exception_fp_ieee_overflow 0
		.amdhsa_exception_fp_ieee_underflow 0
		.amdhsa_exception_fp_ieee_inexact 0
		.amdhsa_exception_int_div_zero 0
	.end_amdhsa_kernel
	.section	.text._ZN7rocprim17ROCPRIM_400000_NS6detail17trampoline_kernelINS0_14default_configENS1_20scan_config_selectorIdEEZZNS1_9scan_implILNS1_25lookback_scan_determinismE0ELb0ELb0ES3_PKdPddZZZN2at6native31launch_logcumsumexp_cuda_kernelERKNSB_10TensorBaseESF_lENKUlvE_clEvENKUlvE_clEvEUlddE_dEEDaPvRmT3_T4_T5_mT6_P12ihipStream_tbENKUlT_T0_E_clISt17integral_constantIbLb0EESV_IbLb1EEEEDaSR_SS_EUlSR_E_NS1_11comp_targetILNS1_3genE5ELNS1_11target_archE942ELNS1_3gpuE9ELNS1_3repE0EEENS1_30default_config_static_selectorELNS0_4arch9wavefront6targetE1EEEvT1_,"axG",@progbits,_ZN7rocprim17ROCPRIM_400000_NS6detail17trampoline_kernelINS0_14default_configENS1_20scan_config_selectorIdEEZZNS1_9scan_implILNS1_25lookback_scan_determinismE0ELb0ELb0ES3_PKdPddZZZN2at6native31launch_logcumsumexp_cuda_kernelERKNSB_10TensorBaseESF_lENKUlvE_clEvENKUlvE_clEvEUlddE_dEEDaPvRmT3_T4_T5_mT6_P12ihipStream_tbENKUlT_T0_E_clISt17integral_constantIbLb0EESV_IbLb1EEEEDaSR_SS_EUlSR_E_NS1_11comp_targetILNS1_3genE5ELNS1_11target_archE942ELNS1_3gpuE9ELNS1_3repE0EEENS1_30default_config_static_selectorELNS0_4arch9wavefront6targetE1EEEvT1_,comdat
.Lfunc_end67:
	.size	_ZN7rocprim17ROCPRIM_400000_NS6detail17trampoline_kernelINS0_14default_configENS1_20scan_config_selectorIdEEZZNS1_9scan_implILNS1_25lookback_scan_determinismE0ELb0ELb0ES3_PKdPddZZZN2at6native31launch_logcumsumexp_cuda_kernelERKNSB_10TensorBaseESF_lENKUlvE_clEvENKUlvE_clEvEUlddE_dEEDaPvRmT3_T4_T5_mT6_P12ihipStream_tbENKUlT_T0_E_clISt17integral_constantIbLb0EESV_IbLb1EEEEDaSR_SS_EUlSR_E_NS1_11comp_targetILNS1_3genE5ELNS1_11target_archE942ELNS1_3gpuE9ELNS1_3repE0EEENS1_30default_config_static_selectorELNS0_4arch9wavefront6targetE1EEEvT1_, .Lfunc_end67-_ZN7rocprim17ROCPRIM_400000_NS6detail17trampoline_kernelINS0_14default_configENS1_20scan_config_selectorIdEEZZNS1_9scan_implILNS1_25lookback_scan_determinismE0ELb0ELb0ES3_PKdPddZZZN2at6native31launch_logcumsumexp_cuda_kernelERKNSB_10TensorBaseESF_lENKUlvE_clEvENKUlvE_clEvEUlddE_dEEDaPvRmT3_T4_T5_mT6_P12ihipStream_tbENKUlT_T0_E_clISt17integral_constantIbLb0EESV_IbLb1EEEEDaSR_SS_EUlSR_E_NS1_11comp_targetILNS1_3genE5ELNS1_11target_archE942ELNS1_3gpuE9ELNS1_3repE0EEENS1_30default_config_static_selectorELNS0_4arch9wavefront6targetE1EEEvT1_
                                        ; -- End function
	.set _ZN7rocprim17ROCPRIM_400000_NS6detail17trampoline_kernelINS0_14default_configENS1_20scan_config_selectorIdEEZZNS1_9scan_implILNS1_25lookback_scan_determinismE0ELb0ELb0ES3_PKdPddZZZN2at6native31launch_logcumsumexp_cuda_kernelERKNSB_10TensorBaseESF_lENKUlvE_clEvENKUlvE_clEvEUlddE_dEEDaPvRmT3_T4_T5_mT6_P12ihipStream_tbENKUlT_T0_E_clISt17integral_constantIbLb0EESV_IbLb1EEEEDaSR_SS_EUlSR_E_NS1_11comp_targetILNS1_3genE5ELNS1_11target_archE942ELNS1_3gpuE9ELNS1_3repE0EEENS1_30default_config_static_selectorELNS0_4arch9wavefront6targetE1EEEvT1_.num_vgpr, 0
	.set _ZN7rocprim17ROCPRIM_400000_NS6detail17trampoline_kernelINS0_14default_configENS1_20scan_config_selectorIdEEZZNS1_9scan_implILNS1_25lookback_scan_determinismE0ELb0ELb0ES3_PKdPddZZZN2at6native31launch_logcumsumexp_cuda_kernelERKNSB_10TensorBaseESF_lENKUlvE_clEvENKUlvE_clEvEUlddE_dEEDaPvRmT3_T4_T5_mT6_P12ihipStream_tbENKUlT_T0_E_clISt17integral_constantIbLb0EESV_IbLb1EEEEDaSR_SS_EUlSR_E_NS1_11comp_targetILNS1_3genE5ELNS1_11target_archE942ELNS1_3gpuE9ELNS1_3repE0EEENS1_30default_config_static_selectorELNS0_4arch9wavefront6targetE1EEEvT1_.num_agpr, 0
	.set _ZN7rocprim17ROCPRIM_400000_NS6detail17trampoline_kernelINS0_14default_configENS1_20scan_config_selectorIdEEZZNS1_9scan_implILNS1_25lookback_scan_determinismE0ELb0ELb0ES3_PKdPddZZZN2at6native31launch_logcumsumexp_cuda_kernelERKNSB_10TensorBaseESF_lENKUlvE_clEvENKUlvE_clEvEUlddE_dEEDaPvRmT3_T4_T5_mT6_P12ihipStream_tbENKUlT_T0_E_clISt17integral_constantIbLb0EESV_IbLb1EEEEDaSR_SS_EUlSR_E_NS1_11comp_targetILNS1_3genE5ELNS1_11target_archE942ELNS1_3gpuE9ELNS1_3repE0EEENS1_30default_config_static_selectorELNS0_4arch9wavefront6targetE1EEEvT1_.numbered_sgpr, 0
	.set _ZN7rocprim17ROCPRIM_400000_NS6detail17trampoline_kernelINS0_14default_configENS1_20scan_config_selectorIdEEZZNS1_9scan_implILNS1_25lookback_scan_determinismE0ELb0ELb0ES3_PKdPddZZZN2at6native31launch_logcumsumexp_cuda_kernelERKNSB_10TensorBaseESF_lENKUlvE_clEvENKUlvE_clEvEUlddE_dEEDaPvRmT3_T4_T5_mT6_P12ihipStream_tbENKUlT_T0_E_clISt17integral_constantIbLb0EESV_IbLb1EEEEDaSR_SS_EUlSR_E_NS1_11comp_targetILNS1_3genE5ELNS1_11target_archE942ELNS1_3gpuE9ELNS1_3repE0EEENS1_30default_config_static_selectorELNS0_4arch9wavefront6targetE1EEEvT1_.num_named_barrier, 0
	.set _ZN7rocprim17ROCPRIM_400000_NS6detail17trampoline_kernelINS0_14default_configENS1_20scan_config_selectorIdEEZZNS1_9scan_implILNS1_25lookback_scan_determinismE0ELb0ELb0ES3_PKdPddZZZN2at6native31launch_logcumsumexp_cuda_kernelERKNSB_10TensorBaseESF_lENKUlvE_clEvENKUlvE_clEvEUlddE_dEEDaPvRmT3_T4_T5_mT6_P12ihipStream_tbENKUlT_T0_E_clISt17integral_constantIbLb0EESV_IbLb1EEEEDaSR_SS_EUlSR_E_NS1_11comp_targetILNS1_3genE5ELNS1_11target_archE942ELNS1_3gpuE9ELNS1_3repE0EEENS1_30default_config_static_selectorELNS0_4arch9wavefront6targetE1EEEvT1_.private_seg_size, 0
	.set _ZN7rocprim17ROCPRIM_400000_NS6detail17trampoline_kernelINS0_14default_configENS1_20scan_config_selectorIdEEZZNS1_9scan_implILNS1_25lookback_scan_determinismE0ELb0ELb0ES3_PKdPddZZZN2at6native31launch_logcumsumexp_cuda_kernelERKNSB_10TensorBaseESF_lENKUlvE_clEvENKUlvE_clEvEUlddE_dEEDaPvRmT3_T4_T5_mT6_P12ihipStream_tbENKUlT_T0_E_clISt17integral_constantIbLb0EESV_IbLb1EEEEDaSR_SS_EUlSR_E_NS1_11comp_targetILNS1_3genE5ELNS1_11target_archE942ELNS1_3gpuE9ELNS1_3repE0EEENS1_30default_config_static_selectorELNS0_4arch9wavefront6targetE1EEEvT1_.uses_vcc, 0
	.set _ZN7rocprim17ROCPRIM_400000_NS6detail17trampoline_kernelINS0_14default_configENS1_20scan_config_selectorIdEEZZNS1_9scan_implILNS1_25lookback_scan_determinismE0ELb0ELb0ES3_PKdPddZZZN2at6native31launch_logcumsumexp_cuda_kernelERKNSB_10TensorBaseESF_lENKUlvE_clEvENKUlvE_clEvEUlddE_dEEDaPvRmT3_T4_T5_mT6_P12ihipStream_tbENKUlT_T0_E_clISt17integral_constantIbLb0EESV_IbLb1EEEEDaSR_SS_EUlSR_E_NS1_11comp_targetILNS1_3genE5ELNS1_11target_archE942ELNS1_3gpuE9ELNS1_3repE0EEENS1_30default_config_static_selectorELNS0_4arch9wavefront6targetE1EEEvT1_.uses_flat_scratch, 0
	.set _ZN7rocprim17ROCPRIM_400000_NS6detail17trampoline_kernelINS0_14default_configENS1_20scan_config_selectorIdEEZZNS1_9scan_implILNS1_25lookback_scan_determinismE0ELb0ELb0ES3_PKdPddZZZN2at6native31launch_logcumsumexp_cuda_kernelERKNSB_10TensorBaseESF_lENKUlvE_clEvENKUlvE_clEvEUlddE_dEEDaPvRmT3_T4_T5_mT6_P12ihipStream_tbENKUlT_T0_E_clISt17integral_constantIbLb0EESV_IbLb1EEEEDaSR_SS_EUlSR_E_NS1_11comp_targetILNS1_3genE5ELNS1_11target_archE942ELNS1_3gpuE9ELNS1_3repE0EEENS1_30default_config_static_selectorELNS0_4arch9wavefront6targetE1EEEvT1_.has_dyn_sized_stack, 0
	.set _ZN7rocprim17ROCPRIM_400000_NS6detail17trampoline_kernelINS0_14default_configENS1_20scan_config_selectorIdEEZZNS1_9scan_implILNS1_25lookback_scan_determinismE0ELb0ELb0ES3_PKdPddZZZN2at6native31launch_logcumsumexp_cuda_kernelERKNSB_10TensorBaseESF_lENKUlvE_clEvENKUlvE_clEvEUlddE_dEEDaPvRmT3_T4_T5_mT6_P12ihipStream_tbENKUlT_T0_E_clISt17integral_constantIbLb0EESV_IbLb1EEEEDaSR_SS_EUlSR_E_NS1_11comp_targetILNS1_3genE5ELNS1_11target_archE942ELNS1_3gpuE9ELNS1_3repE0EEENS1_30default_config_static_selectorELNS0_4arch9wavefront6targetE1EEEvT1_.has_recursion, 0
	.set _ZN7rocprim17ROCPRIM_400000_NS6detail17trampoline_kernelINS0_14default_configENS1_20scan_config_selectorIdEEZZNS1_9scan_implILNS1_25lookback_scan_determinismE0ELb0ELb0ES3_PKdPddZZZN2at6native31launch_logcumsumexp_cuda_kernelERKNSB_10TensorBaseESF_lENKUlvE_clEvENKUlvE_clEvEUlddE_dEEDaPvRmT3_T4_T5_mT6_P12ihipStream_tbENKUlT_T0_E_clISt17integral_constantIbLb0EESV_IbLb1EEEEDaSR_SS_EUlSR_E_NS1_11comp_targetILNS1_3genE5ELNS1_11target_archE942ELNS1_3gpuE9ELNS1_3repE0EEENS1_30default_config_static_selectorELNS0_4arch9wavefront6targetE1EEEvT1_.has_indirect_call, 0
	.section	.AMDGPU.csdata,"",@progbits
; Kernel info:
; codeLenInByte = 0
; TotalNumSgprs: 4
; NumVgprs: 0
; ScratchSize: 0
; MemoryBound: 0
; FloatMode: 240
; IeeeMode: 1
; LDSByteSize: 0 bytes/workgroup (compile time only)
; SGPRBlocks: 0
; VGPRBlocks: 0
; NumSGPRsForWavesPerEU: 4
; NumVGPRsForWavesPerEU: 1
; Occupancy: 10
; WaveLimiterHint : 0
; COMPUTE_PGM_RSRC2:SCRATCH_EN: 0
; COMPUTE_PGM_RSRC2:USER_SGPR: 6
; COMPUTE_PGM_RSRC2:TRAP_HANDLER: 0
; COMPUTE_PGM_RSRC2:TGID_X_EN: 1
; COMPUTE_PGM_RSRC2:TGID_Y_EN: 0
; COMPUTE_PGM_RSRC2:TGID_Z_EN: 0
; COMPUTE_PGM_RSRC2:TIDIG_COMP_CNT: 0
	.section	.text._ZN7rocprim17ROCPRIM_400000_NS6detail17trampoline_kernelINS0_14default_configENS1_20scan_config_selectorIdEEZZNS1_9scan_implILNS1_25lookback_scan_determinismE0ELb0ELb0ES3_PKdPddZZZN2at6native31launch_logcumsumexp_cuda_kernelERKNSB_10TensorBaseESF_lENKUlvE_clEvENKUlvE_clEvEUlddE_dEEDaPvRmT3_T4_T5_mT6_P12ihipStream_tbENKUlT_T0_E_clISt17integral_constantIbLb0EESV_IbLb1EEEEDaSR_SS_EUlSR_E_NS1_11comp_targetILNS1_3genE4ELNS1_11target_archE910ELNS1_3gpuE8ELNS1_3repE0EEENS1_30default_config_static_selectorELNS0_4arch9wavefront6targetE1EEEvT1_,"axG",@progbits,_ZN7rocprim17ROCPRIM_400000_NS6detail17trampoline_kernelINS0_14default_configENS1_20scan_config_selectorIdEEZZNS1_9scan_implILNS1_25lookback_scan_determinismE0ELb0ELb0ES3_PKdPddZZZN2at6native31launch_logcumsumexp_cuda_kernelERKNSB_10TensorBaseESF_lENKUlvE_clEvENKUlvE_clEvEUlddE_dEEDaPvRmT3_T4_T5_mT6_P12ihipStream_tbENKUlT_T0_E_clISt17integral_constantIbLb0EESV_IbLb1EEEEDaSR_SS_EUlSR_E_NS1_11comp_targetILNS1_3genE4ELNS1_11target_archE910ELNS1_3gpuE8ELNS1_3repE0EEENS1_30default_config_static_selectorELNS0_4arch9wavefront6targetE1EEEvT1_,comdat
	.globl	_ZN7rocprim17ROCPRIM_400000_NS6detail17trampoline_kernelINS0_14default_configENS1_20scan_config_selectorIdEEZZNS1_9scan_implILNS1_25lookback_scan_determinismE0ELb0ELb0ES3_PKdPddZZZN2at6native31launch_logcumsumexp_cuda_kernelERKNSB_10TensorBaseESF_lENKUlvE_clEvENKUlvE_clEvEUlddE_dEEDaPvRmT3_T4_T5_mT6_P12ihipStream_tbENKUlT_T0_E_clISt17integral_constantIbLb0EESV_IbLb1EEEEDaSR_SS_EUlSR_E_NS1_11comp_targetILNS1_3genE4ELNS1_11target_archE910ELNS1_3gpuE8ELNS1_3repE0EEENS1_30default_config_static_selectorELNS0_4arch9wavefront6targetE1EEEvT1_ ; -- Begin function _ZN7rocprim17ROCPRIM_400000_NS6detail17trampoline_kernelINS0_14default_configENS1_20scan_config_selectorIdEEZZNS1_9scan_implILNS1_25lookback_scan_determinismE0ELb0ELb0ES3_PKdPddZZZN2at6native31launch_logcumsumexp_cuda_kernelERKNSB_10TensorBaseESF_lENKUlvE_clEvENKUlvE_clEvEUlddE_dEEDaPvRmT3_T4_T5_mT6_P12ihipStream_tbENKUlT_T0_E_clISt17integral_constantIbLb0EESV_IbLb1EEEEDaSR_SS_EUlSR_E_NS1_11comp_targetILNS1_3genE4ELNS1_11target_archE910ELNS1_3gpuE8ELNS1_3repE0EEENS1_30default_config_static_selectorELNS0_4arch9wavefront6targetE1EEEvT1_
	.p2align	8
	.type	_ZN7rocprim17ROCPRIM_400000_NS6detail17trampoline_kernelINS0_14default_configENS1_20scan_config_selectorIdEEZZNS1_9scan_implILNS1_25lookback_scan_determinismE0ELb0ELb0ES3_PKdPddZZZN2at6native31launch_logcumsumexp_cuda_kernelERKNSB_10TensorBaseESF_lENKUlvE_clEvENKUlvE_clEvEUlddE_dEEDaPvRmT3_T4_T5_mT6_P12ihipStream_tbENKUlT_T0_E_clISt17integral_constantIbLb0EESV_IbLb1EEEEDaSR_SS_EUlSR_E_NS1_11comp_targetILNS1_3genE4ELNS1_11target_archE910ELNS1_3gpuE8ELNS1_3repE0EEENS1_30default_config_static_selectorELNS0_4arch9wavefront6targetE1EEEvT1_,@function
_ZN7rocprim17ROCPRIM_400000_NS6detail17trampoline_kernelINS0_14default_configENS1_20scan_config_selectorIdEEZZNS1_9scan_implILNS1_25lookback_scan_determinismE0ELb0ELb0ES3_PKdPddZZZN2at6native31launch_logcumsumexp_cuda_kernelERKNSB_10TensorBaseESF_lENKUlvE_clEvENKUlvE_clEvEUlddE_dEEDaPvRmT3_T4_T5_mT6_P12ihipStream_tbENKUlT_T0_E_clISt17integral_constantIbLb0EESV_IbLb1EEEEDaSR_SS_EUlSR_E_NS1_11comp_targetILNS1_3genE4ELNS1_11target_archE910ELNS1_3gpuE8ELNS1_3repE0EEENS1_30default_config_static_selectorELNS0_4arch9wavefront6targetE1EEEvT1_: ; @_ZN7rocprim17ROCPRIM_400000_NS6detail17trampoline_kernelINS0_14default_configENS1_20scan_config_selectorIdEEZZNS1_9scan_implILNS1_25lookback_scan_determinismE0ELb0ELb0ES3_PKdPddZZZN2at6native31launch_logcumsumexp_cuda_kernelERKNSB_10TensorBaseESF_lENKUlvE_clEvENKUlvE_clEvEUlddE_dEEDaPvRmT3_T4_T5_mT6_P12ihipStream_tbENKUlT_T0_E_clISt17integral_constantIbLb0EESV_IbLb1EEEEDaSR_SS_EUlSR_E_NS1_11comp_targetILNS1_3genE4ELNS1_11target_archE910ELNS1_3gpuE8ELNS1_3repE0EEENS1_30default_config_static_selectorELNS0_4arch9wavefront6targetE1EEEvT1_
; %bb.0:
	.section	.rodata,"a",@progbits
	.p2align	6, 0x0
	.amdhsa_kernel _ZN7rocprim17ROCPRIM_400000_NS6detail17trampoline_kernelINS0_14default_configENS1_20scan_config_selectorIdEEZZNS1_9scan_implILNS1_25lookback_scan_determinismE0ELb0ELb0ES3_PKdPddZZZN2at6native31launch_logcumsumexp_cuda_kernelERKNSB_10TensorBaseESF_lENKUlvE_clEvENKUlvE_clEvEUlddE_dEEDaPvRmT3_T4_T5_mT6_P12ihipStream_tbENKUlT_T0_E_clISt17integral_constantIbLb0EESV_IbLb1EEEEDaSR_SS_EUlSR_E_NS1_11comp_targetILNS1_3genE4ELNS1_11target_archE910ELNS1_3gpuE8ELNS1_3repE0EEENS1_30default_config_static_selectorELNS0_4arch9wavefront6targetE1EEEvT1_
		.amdhsa_group_segment_fixed_size 0
		.amdhsa_private_segment_fixed_size 0
		.amdhsa_kernarg_size 104
		.amdhsa_user_sgpr_count 6
		.amdhsa_user_sgpr_private_segment_buffer 1
		.amdhsa_user_sgpr_dispatch_ptr 0
		.amdhsa_user_sgpr_queue_ptr 0
		.amdhsa_user_sgpr_kernarg_segment_ptr 1
		.amdhsa_user_sgpr_dispatch_id 0
		.amdhsa_user_sgpr_flat_scratch_init 0
		.amdhsa_user_sgpr_private_segment_size 0
		.amdhsa_uses_dynamic_stack 0
		.amdhsa_system_sgpr_private_segment_wavefront_offset 0
		.amdhsa_system_sgpr_workgroup_id_x 1
		.amdhsa_system_sgpr_workgroup_id_y 0
		.amdhsa_system_sgpr_workgroup_id_z 0
		.amdhsa_system_sgpr_workgroup_info 0
		.amdhsa_system_vgpr_workitem_id 0
		.amdhsa_next_free_vgpr 1
		.amdhsa_next_free_sgpr 0
		.amdhsa_reserve_vcc 0
		.amdhsa_reserve_flat_scratch 0
		.amdhsa_float_round_mode_32 0
		.amdhsa_float_round_mode_16_64 0
		.amdhsa_float_denorm_mode_32 3
		.amdhsa_float_denorm_mode_16_64 3
		.amdhsa_dx10_clamp 1
		.amdhsa_ieee_mode 1
		.amdhsa_fp16_overflow 0
		.amdhsa_exception_fp_ieee_invalid_op 0
		.amdhsa_exception_fp_denorm_src 0
		.amdhsa_exception_fp_ieee_div_zero 0
		.amdhsa_exception_fp_ieee_overflow 0
		.amdhsa_exception_fp_ieee_underflow 0
		.amdhsa_exception_fp_ieee_inexact 0
		.amdhsa_exception_int_div_zero 0
	.end_amdhsa_kernel
	.section	.text._ZN7rocprim17ROCPRIM_400000_NS6detail17trampoline_kernelINS0_14default_configENS1_20scan_config_selectorIdEEZZNS1_9scan_implILNS1_25lookback_scan_determinismE0ELb0ELb0ES3_PKdPddZZZN2at6native31launch_logcumsumexp_cuda_kernelERKNSB_10TensorBaseESF_lENKUlvE_clEvENKUlvE_clEvEUlddE_dEEDaPvRmT3_T4_T5_mT6_P12ihipStream_tbENKUlT_T0_E_clISt17integral_constantIbLb0EESV_IbLb1EEEEDaSR_SS_EUlSR_E_NS1_11comp_targetILNS1_3genE4ELNS1_11target_archE910ELNS1_3gpuE8ELNS1_3repE0EEENS1_30default_config_static_selectorELNS0_4arch9wavefront6targetE1EEEvT1_,"axG",@progbits,_ZN7rocprim17ROCPRIM_400000_NS6detail17trampoline_kernelINS0_14default_configENS1_20scan_config_selectorIdEEZZNS1_9scan_implILNS1_25lookback_scan_determinismE0ELb0ELb0ES3_PKdPddZZZN2at6native31launch_logcumsumexp_cuda_kernelERKNSB_10TensorBaseESF_lENKUlvE_clEvENKUlvE_clEvEUlddE_dEEDaPvRmT3_T4_T5_mT6_P12ihipStream_tbENKUlT_T0_E_clISt17integral_constantIbLb0EESV_IbLb1EEEEDaSR_SS_EUlSR_E_NS1_11comp_targetILNS1_3genE4ELNS1_11target_archE910ELNS1_3gpuE8ELNS1_3repE0EEENS1_30default_config_static_selectorELNS0_4arch9wavefront6targetE1EEEvT1_,comdat
.Lfunc_end68:
	.size	_ZN7rocprim17ROCPRIM_400000_NS6detail17trampoline_kernelINS0_14default_configENS1_20scan_config_selectorIdEEZZNS1_9scan_implILNS1_25lookback_scan_determinismE0ELb0ELb0ES3_PKdPddZZZN2at6native31launch_logcumsumexp_cuda_kernelERKNSB_10TensorBaseESF_lENKUlvE_clEvENKUlvE_clEvEUlddE_dEEDaPvRmT3_T4_T5_mT6_P12ihipStream_tbENKUlT_T0_E_clISt17integral_constantIbLb0EESV_IbLb1EEEEDaSR_SS_EUlSR_E_NS1_11comp_targetILNS1_3genE4ELNS1_11target_archE910ELNS1_3gpuE8ELNS1_3repE0EEENS1_30default_config_static_selectorELNS0_4arch9wavefront6targetE1EEEvT1_, .Lfunc_end68-_ZN7rocprim17ROCPRIM_400000_NS6detail17trampoline_kernelINS0_14default_configENS1_20scan_config_selectorIdEEZZNS1_9scan_implILNS1_25lookback_scan_determinismE0ELb0ELb0ES3_PKdPddZZZN2at6native31launch_logcumsumexp_cuda_kernelERKNSB_10TensorBaseESF_lENKUlvE_clEvENKUlvE_clEvEUlddE_dEEDaPvRmT3_T4_T5_mT6_P12ihipStream_tbENKUlT_T0_E_clISt17integral_constantIbLb0EESV_IbLb1EEEEDaSR_SS_EUlSR_E_NS1_11comp_targetILNS1_3genE4ELNS1_11target_archE910ELNS1_3gpuE8ELNS1_3repE0EEENS1_30default_config_static_selectorELNS0_4arch9wavefront6targetE1EEEvT1_
                                        ; -- End function
	.set _ZN7rocprim17ROCPRIM_400000_NS6detail17trampoline_kernelINS0_14default_configENS1_20scan_config_selectorIdEEZZNS1_9scan_implILNS1_25lookback_scan_determinismE0ELb0ELb0ES3_PKdPddZZZN2at6native31launch_logcumsumexp_cuda_kernelERKNSB_10TensorBaseESF_lENKUlvE_clEvENKUlvE_clEvEUlddE_dEEDaPvRmT3_T4_T5_mT6_P12ihipStream_tbENKUlT_T0_E_clISt17integral_constantIbLb0EESV_IbLb1EEEEDaSR_SS_EUlSR_E_NS1_11comp_targetILNS1_3genE4ELNS1_11target_archE910ELNS1_3gpuE8ELNS1_3repE0EEENS1_30default_config_static_selectorELNS0_4arch9wavefront6targetE1EEEvT1_.num_vgpr, 0
	.set _ZN7rocprim17ROCPRIM_400000_NS6detail17trampoline_kernelINS0_14default_configENS1_20scan_config_selectorIdEEZZNS1_9scan_implILNS1_25lookback_scan_determinismE0ELb0ELb0ES3_PKdPddZZZN2at6native31launch_logcumsumexp_cuda_kernelERKNSB_10TensorBaseESF_lENKUlvE_clEvENKUlvE_clEvEUlddE_dEEDaPvRmT3_T4_T5_mT6_P12ihipStream_tbENKUlT_T0_E_clISt17integral_constantIbLb0EESV_IbLb1EEEEDaSR_SS_EUlSR_E_NS1_11comp_targetILNS1_3genE4ELNS1_11target_archE910ELNS1_3gpuE8ELNS1_3repE0EEENS1_30default_config_static_selectorELNS0_4arch9wavefront6targetE1EEEvT1_.num_agpr, 0
	.set _ZN7rocprim17ROCPRIM_400000_NS6detail17trampoline_kernelINS0_14default_configENS1_20scan_config_selectorIdEEZZNS1_9scan_implILNS1_25lookback_scan_determinismE0ELb0ELb0ES3_PKdPddZZZN2at6native31launch_logcumsumexp_cuda_kernelERKNSB_10TensorBaseESF_lENKUlvE_clEvENKUlvE_clEvEUlddE_dEEDaPvRmT3_T4_T5_mT6_P12ihipStream_tbENKUlT_T0_E_clISt17integral_constantIbLb0EESV_IbLb1EEEEDaSR_SS_EUlSR_E_NS1_11comp_targetILNS1_3genE4ELNS1_11target_archE910ELNS1_3gpuE8ELNS1_3repE0EEENS1_30default_config_static_selectorELNS0_4arch9wavefront6targetE1EEEvT1_.numbered_sgpr, 0
	.set _ZN7rocprim17ROCPRIM_400000_NS6detail17trampoline_kernelINS0_14default_configENS1_20scan_config_selectorIdEEZZNS1_9scan_implILNS1_25lookback_scan_determinismE0ELb0ELb0ES3_PKdPddZZZN2at6native31launch_logcumsumexp_cuda_kernelERKNSB_10TensorBaseESF_lENKUlvE_clEvENKUlvE_clEvEUlddE_dEEDaPvRmT3_T4_T5_mT6_P12ihipStream_tbENKUlT_T0_E_clISt17integral_constantIbLb0EESV_IbLb1EEEEDaSR_SS_EUlSR_E_NS1_11comp_targetILNS1_3genE4ELNS1_11target_archE910ELNS1_3gpuE8ELNS1_3repE0EEENS1_30default_config_static_selectorELNS0_4arch9wavefront6targetE1EEEvT1_.num_named_barrier, 0
	.set _ZN7rocprim17ROCPRIM_400000_NS6detail17trampoline_kernelINS0_14default_configENS1_20scan_config_selectorIdEEZZNS1_9scan_implILNS1_25lookback_scan_determinismE0ELb0ELb0ES3_PKdPddZZZN2at6native31launch_logcumsumexp_cuda_kernelERKNSB_10TensorBaseESF_lENKUlvE_clEvENKUlvE_clEvEUlddE_dEEDaPvRmT3_T4_T5_mT6_P12ihipStream_tbENKUlT_T0_E_clISt17integral_constantIbLb0EESV_IbLb1EEEEDaSR_SS_EUlSR_E_NS1_11comp_targetILNS1_3genE4ELNS1_11target_archE910ELNS1_3gpuE8ELNS1_3repE0EEENS1_30default_config_static_selectorELNS0_4arch9wavefront6targetE1EEEvT1_.private_seg_size, 0
	.set _ZN7rocprim17ROCPRIM_400000_NS6detail17trampoline_kernelINS0_14default_configENS1_20scan_config_selectorIdEEZZNS1_9scan_implILNS1_25lookback_scan_determinismE0ELb0ELb0ES3_PKdPddZZZN2at6native31launch_logcumsumexp_cuda_kernelERKNSB_10TensorBaseESF_lENKUlvE_clEvENKUlvE_clEvEUlddE_dEEDaPvRmT3_T4_T5_mT6_P12ihipStream_tbENKUlT_T0_E_clISt17integral_constantIbLb0EESV_IbLb1EEEEDaSR_SS_EUlSR_E_NS1_11comp_targetILNS1_3genE4ELNS1_11target_archE910ELNS1_3gpuE8ELNS1_3repE0EEENS1_30default_config_static_selectorELNS0_4arch9wavefront6targetE1EEEvT1_.uses_vcc, 0
	.set _ZN7rocprim17ROCPRIM_400000_NS6detail17trampoline_kernelINS0_14default_configENS1_20scan_config_selectorIdEEZZNS1_9scan_implILNS1_25lookback_scan_determinismE0ELb0ELb0ES3_PKdPddZZZN2at6native31launch_logcumsumexp_cuda_kernelERKNSB_10TensorBaseESF_lENKUlvE_clEvENKUlvE_clEvEUlddE_dEEDaPvRmT3_T4_T5_mT6_P12ihipStream_tbENKUlT_T0_E_clISt17integral_constantIbLb0EESV_IbLb1EEEEDaSR_SS_EUlSR_E_NS1_11comp_targetILNS1_3genE4ELNS1_11target_archE910ELNS1_3gpuE8ELNS1_3repE0EEENS1_30default_config_static_selectorELNS0_4arch9wavefront6targetE1EEEvT1_.uses_flat_scratch, 0
	.set _ZN7rocprim17ROCPRIM_400000_NS6detail17trampoline_kernelINS0_14default_configENS1_20scan_config_selectorIdEEZZNS1_9scan_implILNS1_25lookback_scan_determinismE0ELb0ELb0ES3_PKdPddZZZN2at6native31launch_logcumsumexp_cuda_kernelERKNSB_10TensorBaseESF_lENKUlvE_clEvENKUlvE_clEvEUlddE_dEEDaPvRmT3_T4_T5_mT6_P12ihipStream_tbENKUlT_T0_E_clISt17integral_constantIbLb0EESV_IbLb1EEEEDaSR_SS_EUlSR_E_NS1_11comp_targetILNS1_3genE4ELNS1_11target_archE910ELNS1_3gpuE8ELNS1_3repE0EEENS1_30default_config_static_selectorELNS0_4arch9wavefront6targetE1EEEvT1_.has_dyn_sized_stack, 0
	.set _ZN7rocprim17ROCPRIM_400000_NS6detail17trampoline_kernelINS0_14default_configENS1_20scan_config_selectorIdEEZZNS1_9scan_implILNS1_25lookback_scan_determinismE0ELb0ELb0ES3_PKdPddZZZN2at6native31launch_logcumsumexp_cuda_kernelERKNSB_10TensorBaseESF_lENKUlvE_clEvENKUlvE_clEvEUlddE_dEEDaPvRmT3_T4_T5_mT6_P12ihipStream_tbENKUlT_T0_E_clISt17integral_constantIbLb0EESV_IbLb1EEEEDaSR_SS_EUlSR_E_NS1_11comp_targetILNS1_3genE4ELNS1_11target_archE910ELNS1_3gpuE8ELNS1_3repE0EEENS1_30default_config_static_selectorELNS0_4arch9wavefront6targetE1EEEvT1_.has_recursion, 0
	.set _ZN7rocprim17ROCPRIM_400000_NS6detail17trampoline_kernelINS0_14default_configENS1_20scan_config_selectorIdEEZZNS1_9scan_implILNS1_25lookback_scan_determinismE0ELb0ELb0ES3_PKdPddZZZN2at6native31launch_logcumsumexp_cuda_kernelERKNSB_10TensorBaseESF_lENKUlvE_clEvENKUlvE_clEvEUlddE_dEEDaPvRmT3_T4_T5_mT6_P12ihipStream_tbENKUlT_T0_E_clISt17integral_constantIbLb0EESV_IbLb1EEEEDaSR_SS_EUlSR_E_NS1_11comp_targetILNS1_3genE4ELNS1_11target_archE910ELNS1_3gpuE8ELNS1_3repE0EEENS1_30default_config_static_selectorELNS0_4arch9wavefront6targetE1EEEvT1_.has_indirect_call, 0
	.section	.AMDGPU.csdata,"",@progbits
; Kernel info:
; codeLenInByte = 0
; TotalNumSgprs: 4
; NumVgprs: 0
; ScratchSize: 0
; MemoryBound: 0
; FloatMode: 240
; IeeeMode: 1
; LDSByteSize: 0 bytes/workgroup (compile time only)
; SGPRBlocks: 0
; VGPRBlocks: 0
; NumSGPRsForWavesPerEU: 4
; NumVGPRsForWavesPerEU: 1
; Occupancy: 10
; WaveLimiterHint : 0
; COMPUTE_PGM_RSRC2:SCRATCH_EN: 0
; COMPUTE_PGM_RSRC2:USER_SGPR: 6
; COMPUTE_PGM_RSRC2:TRAP_HANDLER: 0
; COMPUTE_PGM_RSRC2:TGID_X_EN: 1
; COMPUTE_PGM_RSRC2:TGID_Y_EN: 0
; COMPUTE_PGM_RSRC2:TGID_Z_EN: 0
; COMPUTE_PGM_RSRC2:TIDIG_COMP_CNT: 0
	.section	.text._ZN7rocprim17ROCPRIM_400000_NS6detail17trampoline_kernelINS0_14default_configENS1_20scan_config_selectorIdEEZZNS1_9scan_implILNS1_25lookback_scan_determinismE0ELb0ELb0ES3_PKdPddZZZN2at6native31launch_logcumsumexp_cuda_kernelERKNSB_10TensorBaseESF_lENKUlvE_clEvENKUlvE_clEvEUlddE_dEEDaPvRmT3_T4_T5_mT6_P12ihipStream_tbENKUlT_T0_E_clISt17integral_constantIbLb0EESV_IbLb1EEEEDaSR_SS_EUlSR_E_NS1_11comp_targetILNS1_3genE3ELNS1_11target_archE908ELNS1_3gpuE7ELNS1_3repE0EEENS1_30default_config_static_selectorELNS0_4arch9wavefront6targetE1EEEvT1_,"axG",@progbits,_ZN7rocprim17ROCPRIM_400000_NS6detail17trampoline_kernelINS0_14default_configENS1_20scan_config_selectorIdEEZZNS1_9scan_implILNS1_25lookback_scan_determinismE0ELb0ELb0ES3_PKdPddZZZN2at6native31launch_logcumsumexp_cuda_kernelERKNSB_10TensorBaseESF_lENKUlvE_clEvENKUlvE_clEvEUlddE_dEEDaPvRmT3_T4_T5_mT6_P12ihipStream_tbENKUlT_T0_E_clISt17integral_constantIbLb0EESV_IbLb1EEEEDaSR_SS_EUlSR_E_NS1_11comp_targetILNS1_3genE3ELNS1_11target_archE908ELNS1_3gpuE7ELNS1_3repE0EEENS1_30default_config_static_selectorELNS0_4arch9wavefront6targetE1EEEvT1_,comdat
	.globl	_ZN7rocprim17ROCPRIM_400000_NS6detail17trampoline_kernelINS0_14default_configENS1_20scan_config_selectorIdEEZZNS1_9scan_implILNS1_25lookback_scan_determinismE0ELb0ELb0ES3_PKdPddZZZN2at6native31launch_logcumsumexp_cuda_kernelERKNSB_10TensorBaseESF_lENKUlvE_clEvENKUlvE_clEvEUlddE_dEEDaPvRmT3_T4_T5_mT6_P12ihipStream_tbENKUlT_T0_E_clISt17integral_constantIbLb0EESV_IbLb1EEEEDaSR_SS_EUlSR_E_NS1_11comp_targetILNS1_3genE3ELNS1_11target_archE908ELNS1_3gpuE7ELNS1_3repE0EEENS1_30default_config_static_selectorELNS0_4arch9wavefront6targetE1EEEvT1_ ; -- Begin function _ZN7rocprim17ROCPRIM_400000_NS6detail17trampoline_kernelINS0_14default_configENS1_20scan_config_selectorIdEEZZNS1_9scan_implILNS1_25lookback_scan_determinismE0ELb0ELb0ES3_PKdPddZZZN2at6native31launch_logcumsumexp_cuda_kernelERKNSB_10TensorBaseESF_lENKUlvE_clEvENKUlvE_clEvEUlddE_dEEDaPvRmT3_T4_T5_mT6_P12ihipStream_tbENKUlT_T0_E_clISt17integral_constantIbLb0EESV_IbLb1EEEEDaSR_SS_EUlSR_E_NS1_11comp_targetILNS1_3genE3ELNS1_11target_archE908ELNS1_3gpuE7ELNS1_3repE0EEENS1_30default_config_static_selectorELNS0_4arch9wavefront6targetE1EEEvT1_
	.p2align	8
	.type	_ZN7rocprim17ROCPRIM_400000_NS6detail17trampoline_kernelINS0_14default_configENS1_20scan_config_selectorIdEEZZNS1_9scan_implILNS1_25lookback_scan_determinismE0ELb0ELb0ES3_PKdPddZZZN2at6native31launch_logcumsumexp_cuda_kernelERKNSB_10TensorBaseESF_lENKUlvE_clEvENKUlvE_clEvEUlddE_dEEDaPvRmT3_T4_T5_mT6_P12ihipStream_tbENKUlT_T0_E_clISt17integral_constantIbLb0EESV_IbLb1EEEEDaSR_SS_EUlSR_E_NS1_11comp_targetILNS1_3genE3ELNS1_11target_archE908ELNS1_3gpuE7ELNS1_3repE0EEENS1_30default_config_static_selectorELNS0_4arch9wavefront6targetE1EEEvT1_,@function
_ZN7rocprim17ROCPRIM_400000_NS6detail17trampoline_kernelINS0_14default_configENS1_20scan_config_selectorIdEEZZNS1_9scan_implILNS1_25lookback_scan_determinismE0ELb0ELb0ES3_PKdPddZZZN2at6native31launch_logcumsumexp_cuda_kernelERKNSB_10TensorBaseESF_lENKUlvE_clEvENKUlvE_clEvEUlddE_dEEDaPvRmT3_T4_T5_mT6_P12ihipStream_tbENKUlT_T0_E_clISt17integral_constantIbLb0EESV_IbLb1EEEEDaSR_SS_EUlSR_E_NS1_11comp_targetILNS1_3genE3ELNS1_11target_archE908ELNS1_3gpuE7ELNS1_3repE0EEENS1_30default_config_static_selectorELNS0_4arch9wavefront6targetE1EEEvT1_: ; @_ZN7rocprim17ROCPRIM_400000_NS6detail17trampoline_kernelINS0_14default_configENS1_20scan_config_selectorIdEEZZNS1_9scan_implILNS1_25lookback_scan_determinismE0ELb0ELb0ES3_PKdPddZZZN2at6native31launch_logcumsumexp_cuda_kernelERKNSB_10TensorBaseESF_lENKUlvE_clEvENKUlvE_clEvEUlddE_dEEDaPvRmT3_T4_T5_mT6_P12ihipStream_tbENKUlT_T0_E_clISt17integral_constantIbLb0EESV_IbLb1EEEEDaSR_SS_EUlSR_E_NS1_11comp_targetILNS1_3genE3ELNS1_11target_archE908ELNS1_3gpuE7ELNS1_3repE0EEENS1_30default_config_static_selectorELNS0_4arch9wavefront6targetE1EEEvT1_
; %bb.0:
	.section	.rodata,"a",@progbits
	.p2align	6, 0x0
	.amdhsa_kernel _ZN7rocprim17ROCPRIM_400000_NS6detail17trampoline_kernelINS0_14default_configENS1_20scan_config_selectorIdEEZZNS1_9scan_implILNS1_25lookback_scan_determinismE0ELb0ELb0ES3_PKdPddZZZN2at6native31launch_logcumsumexp_cuda_kernelERKNSB_10TensorBaseESF_lENKUlvE_clEvENKUlvE_clEvEUlddE_dEEDaPvRmT3_T4_T5_mT6_P12ihipStream_tbENKUlT_T0_E_clISt17integral_constantIbLb0EESV_IbLb1EEEEDaSR_SS_EUlSR_E_NS1_11comp_targetILNS1_3genE3ELNS1_11target_archE908ELNS1_3gpuE7ELNS1_3repE0EEENS1_30default_config_static_selectorELNS0_4arch9wavefront6targetE1EEEvT1_
		.amdhsa_group_segment_fixed_size 0
		.amdhsa_private_segment_fixed_size 0
		.amdhsa_kernarg_size 104
		.amdhsa_user_sgpr_count 6
		.amdhsa_user_sgpr_private_segment_buffer 1
		.amdhsa_user_sgpr_dispatch_ptr 0
		.amdhsa_user_sgpr_queue_ptr 0
		.amdhsa_user_sgpr_kernarg_segment_ptr 1
		.amdhsa_user_sgpr_dispatch_id 0
		.amdhsa_user_sgpr_flat_scratch_init 0
		.amdhsa_user_sgpr_private_segment_size 0
		.amdhsa_uses_dynamic_stack 0
		.amdhsa_system_sgpr_private_segment_wavefront_offset 0
		.amdhsa_system_sgpr_workgroup_id_x 1
		.amdhsa_system_sgpr_workgroup_id_y 0
		.amdhsa_system_sgpr_workgroup_id_z 0
		.amdhsa_system_sgpr_workgroup_info 0
		.amdhsa_system_vgpr_workitem_id 0
		.amdhsa_next_free_vgpr 1
		.amdhsa_next_free_sgpr 0
		.amdhsa_reserve_vcc 0
		.amdhsa_reserve_flat_scratch 0
		.amdhsa_float_round_mode_32 0
		.amdhsa_float_round_mode_16_64 0
		.amdhsa_float_denorm_mode_32 3
		.amdhsa_float_denorm_mode_16_64 3
		.amdhsa_dx10_clamp 1
		.amdhsa_ieee_mode 1
		.amdhsa_fp16_overflow 0
		.amdhsa_exception_fp_ieee_invalid_op 0
		.amdhsa_exception_fp_denorm_src 0
		.amdhsa_exception_fp_ieee_div_zero 0
		.amdhsa_exception_fp_ieee_overflow 0
		.amdhsa_exception_fp_ieee_underflow 0
		.amdhsa_exception_fp_ieee_inexact 0
		.amdhsa_exception_int_div_zero 0
	.end_amdhsa_kernel
	.section	.text._ZN7rocprim17ROCPRIM_400000_NS6detail17trampoline_kernelINS0_14default_configENS1_20scan_config_selectorIdEEZZNS1_9scan_implILNS1_25lookback_scan_determinismE0ELb0ELb0ES3_PKdPddZZZN2at6native31launch_logcumsumexp_cuda_kernelERKNSB_10TensorBaseESF_lENKUlvE_clEvENKUlvE_clEvEUlddE_dEEDaPvRmT3_T4_T5_mT6_P12ihipStream_tbENKUlT_T0_E_clISt17integral_constantIbLb0EESV_IbLb1EEEEDaSR_SS_EUlSR_E_NS1_11comp_targetILNS1_3genE3ELNS1_11target_archE908ELNS1_3gpuE7ELNS1_3repE0EEENS1_30default_config_static_selectorELNS0_4arch9wavefront6targetE1EEEvT1_,"axG",@progbits,_ZN7rocprim17ROCPRIM_400000_NS6detail17trampoline_kernelINS0_14default_configENS1_20scan_config_selectorIdEEZZNS1_9scan_implILNS1_25lookback_scan_determinismE0ELb0ELb0ES3_PKdPddZZZN2at6native31launch_logcumsumexp_cuda_kernelERKNSB_10TensorBaseESF_lENKUlvE_clEvENKUlvE_clEvEUlddE_dEEDaPvRmT3_T4_T5_mT6_P12ihipStream_tbENKUlT_T0_E_clISt17integral_constantIbLb0EESV_IbLb1EEEEDaSR_SS_EUlSR_E_NS1_11comp_targetILNS1_3genE3ELNS1_11target_archE908ELNS1_3gpuE7ELNS1_3repE0EEENS1_30default_config_static_selectorELNS0_4arch9wavefront6targetE1EEEvT1_,comdat
.Lfunc_end69:
	.size	_ZN7rocprim17ROCPRIM_400000_NS6detail17trampoline_kernelINS0_14default_configENS1_20scan_config_selectorIdEEZZNS1_9scan_implILNS1_25lookback_scan_determinismE0ELb0ELb0ES3_PKdPddZZZN2at6native31launch_logcumsumexp_cuda_kernelERKNSB_10TensorBaseESF_lENKUlvE_clEvENKUlvE_clEvEUlddE_dEEDaPvRmT3_T4_T5_mT6_P12ihipStream_tbENKUlT_T0_E_clISt17integral_constantIbLb0EESV_IbLb1EEEEDaSR_SS_EUlSR_E_NS1_11comp_targetILNS1_3genE3ELNS1_11target_archE908ELNS1_3gpuE7ELNS1_3repE0EEENS1_30default_config_static_selectorELNS0_4arch9wavefront6targetE1EEEvT1_, .Lfunc_end69-_ZN7rocprim17ROCPRIM_400000_NS6detail17trampoline_kernelINS0_14default_configENS1_20scan_config_selectorIdEEZZNS1_9scan_implILNS1_25lookback_scan_determinismE0ELb0ELb0ES3_PKdPddZZZN2at6native31launch_logcumsumexp_cuda_kernelERKNSB_10TensorBaseESF_lENKUlvE_clEvENKUlvE_clEvEUlddE_dEEDaPvRmT3_T4_T5_mT6_P12ihipStream_tbENKUlT_T0_E_clISt17integral_constantIbLb0EESV_IbLb1EEEEDaSR_SS_EUlSR_E_NS1_11comp_targetILNS1_3genE3ELNS1_11target_archE908ELNS1_3gpuE7ELNS1_3repE0EEENS1_30default_config_static_selectorELNS0_4arch9wavefront6targetE1EEEvT1_
                                        ; -- End function
	.set _ZN7rocprim17ROCPRIM_400000_NS6detail17trampoline_kernelINS0_14default_configENS1_20scan_config_selectorIdEEZZNS1_9scan_implILNS1_25lookback_scan_determinismE0ELb0ELb0ES3_PKdPddZZZN2at6native31launch_logcumsumexp_cuda_kernelERKNSB_10TensorBaseESF_lENKUlvE_clEvENKUlvE_clEvEUlddE_dEEDaPvRmT3_T4_T5_mT6_P12ihipStream_tbENKUlT_T0_E_clISt17integral_constantIbLb0EESV_IbLb1EEEEDaSR_SS_EUlSR_E_NS1_11comp_targetILNS1_3genE3ELNS1_11target_archE908ELNS1_3gpuE7ELNS1_3repE0EEENS1_30default_config_static_selectorELNS0_4arch9wavefront6targetE1EEEvT1_.num_vgpr, 0
	.set _ZN7rocprim17ROCPRIM_400000_NS6detail17trampoline_kernelINS0_14default_configENS1_20scan_config_selectorIdEEZZNS1_9scan_implILNS1_25lookback_scan_determinismE0ELb0ELb0ES3_PKdPddZZZN2at6native31launch_logcumsumexp_cuda_kernelERKNSB_10TensorBaseESF_lENKUlvE_clEvENKUlvE_clEvEUlddE_dEEDaPvRmT3_T4_T5_mT6_P12ihipStream_tbENKUlT_T0_E_clISt17integral_constantIbLb0EESV_IbLb1EEEEDaSR_SS_EUlSR_E_NS1_11comp_targetILNS1_3genE3ELNS1_11target_archE908ELNS1_3gpuE7ELNS1_3repE0EEENS1_30default_config_static_selectorELNS0_4arch9wavefront6targetE1EEEvT1_.num_agpr, 0
	.set _ZN7rocprim17ROCPRIM_400000_NS6detail17trampoline_kernelINS0_14default_configENS1_20scan_config_selectorIdEEZZNS1_9scan_implILNS1_25lookback_scan_determinismE0ELb0ELb0ES3_PKdPddZZZN2at6native31launch_logcumsumexp_cuda_kernelERKNSB_10TensorBaseESF_lENKUlvE_clEvENKUlvE_clEvEUlddE_dEEDaPvRmT3_T4_T5_mT6_P12ihipStream_tbENKUlT_T0_E_clISt17integral_constantIbLb0EESV_IbLb1EEEEDaSR_SS_EUlSR_E_NS1_11comp_targetILNS1_3genE3ELNS1_11target_archE908ELNS1_3gpuE7ELNS1_3repE0EEENS1_30default_config_static_selectorELNS0_4arch9wavefront6targetE1EEEvT1_.numbered_sgpr, 0
	.set _ZN7rocprim17ROCPRIM_400000_NS6detail17trampoline_kernelINS0_14default_configENS1_20scan_config_selectorIdEEZZNS1_9scan_implILNS1_25lookback_scan_determinismE0ELb0ELb0ES3_PKdPddZZZN2at6native31launch_logcumsumexp_cuda_kernelERKNSB_10TensorBaseESF_lENKUlvE_clEvENKUlvE_clEvEUlddE_dEEDaPvRmT3_T4_T5_mT6_P12ihipStream_tbENKUlT_T0_E_clISt17integral_constantIbLb0EESV_IbLb1EEEEDaSR_SS_EUlSR_E_NS1_11comp_targetILNS1_3genE3ELNS1_11target_archE908ELNS1_3gpuE7ELNS1_3repE0EEENS1_30default_config_static_selectorELNS0_4arch9wavefront6targetE1EEEvT1_.num_named_barrier, 0
	.set _ZN7rocprim17ROCPRIM_400000_NS6detail17trampoline_kernelINS0_14default_configENS1_20scan_config_selectorIdEEZZNS1_9scan_implILNS1_25lookback_scan_determinismE0ELb0ELb0ES3_PKdPddZZZN2at6native31launch_logcumsumexp_cuda_kernelERKNSB_10TensorBaseESF_lENKUlvE_clEvENKUlvE_clEvEUlddE_dEEDaPvRmT3_T4_T5_mT6_P12ihipStream_tbENKUlT_T0_E_clISt17integral_constantIbLb0EESV_IbLb1EEEEDaSR_SS_EUlSR_E_NS1_11comp_targetILNS1_3genE3ELNS1_11target_archE908ELNS1_3gpuE7ELNS1_3repE0EEENS1_30default_config_static_selectorELNS0_4arch9wavefront6targetE1EEEvT1_.private_seg_size, 0
	.set _ZN7rocprim17ROCPRIM_400000_NS6detail17trampoline_kernelINS0_14default_configENS1_20scan_config_selectorIdEEZZNS1_9scan_implILNS1_25lookback_scan_determinismE0ELb0ELb0ES3_PKdPddZZZN2at6native31launch_logcumsumexp_cuda_kernelERKNSB_10TensorBaseESF_lENKUlvE_clEvENKUlvE_clEvEUlddE_dEEDaPvRmT3_T4_T5_mT6_P12ihipStream_tbENKUlT_T0_E_clISt17integral_constantIbLb0EESV_IbLb1EEEEDaSR_SS_EUlSR_E_NS1_11comp_targetILNS1_3genE3ELNS1_11target_archE908ELNS1_3gpuE7ELNS1_3repE0EEENS1_30default_config_static_selectorELNS0_4arch9wavefront6targetE1EEEvT1_.uses_vcc, 0
	.set _ZN7rocprim17ROCPRIM_400000_NS6detail17trampoline_kernelINS0_14default_configENS1_20scan_config_selectorIdEEZZNS1_9scan_implILNS1_25lookback_scan_determinismE0ELb0ELb0ES3_PKdPddZZZN2at6native31launch_logcumsumexp_cuda_kernelERKNSB_10TensorBaseESF_lENKUlvE_clEvENKUlvE_clEvEUlddE_dEEDaPvRmT3_T4_T5_mT6_P12ihipStream_tbENKUlT_T0_E_clISt17integral_constantIbLb0EESV_IbLb1EEEEDaSR_SS_EUlSR_E_NS1_11comp_targetILNS1_3genE3ELNS1_11target_archE908ELNS1_3gpuE7ELNS1_3repE0EEENS1_30default_config_static_selectorELNS0_4arch9wavefront6targetE1EEEvT1_.uses_flat_scratch, 0
	.set _ZN7rocprim17ROCPRIM_400000_NS6detail17trampoline_kernelINS0_14default_configENS1_20scan_config_selectorIdEEZZNS1_9scan_implILNS1_25lookback_scan_determinismE0ELb0ELb0ES3_PKdPddZZZN2at6native31launch_logcumsumexp_cuda_kernelERKNSB_10TensorBaseESF_lENKUlvE_clEvENKUlvE_clEvEUlddE_dEEDaPvRmT3_T4_T5_mT6_P12ihipStream_tbENKUlT_T0_E_clISt17integral_constantIbLb0EESV_IbLb1EEEEDaSR_SS_EUlSR_E_NS1_11comp_targetILNS1_3genE3ELNS1_11target_archE908ELNS1_3gpuE7ELNS1_3repE0EEENS1_30default_config_static_selectorELNS0_4arch9wavefront6targetE1EEEvT1_.has_dyn_sized_stack, 0
	.set _ZN7rocprim17ROCPRIM_400000_NS6detail17trampoline_kernelINS0_14default_configENS1_20scan_config_selectorIdEEZZNS1_9scan_implILNS1_25lookback_scan_determinismE0ELb0ELb0ES3_PKdPddZZZN2at6native31launch_logcumsumexp_cuda_kernelERKNSB_10TensorBaseESF_lENKUlvE_clEvENKUlvE_clEvEUlddE_dEEDaPvRmT3_T4_T5_mT6_P12ihipStream_tbENKUlT_T0_E_clISt17integral_constantIbLb0EESV_IbLb1EEEEDaSR_SS_EUlSR_E_NS1_11comp_targetILNS1_3genE3ELNS1_11target_archE908ELNS1_3gpuE7ELNS1_3repE0EEENS1_30default_config_static_selectorELNS0_4arch9wavefront6targetE1EEEvT1_.has_recursion, 0
	.set _ZN7rocprim17ROCPRIM_400000_NS6detail17trampoline_kernelINS0_14default_configENS1_20scan_config_selectorIdEEZZNS1_9scan_implILNS1_25lookback_scan_determinismE0ELb0ELb0ES3_PKdPddZZZN2at6native31launch_logcumsumexp_cuda_kernelERKNSB_10TensorBaseESF_lENKUlvE_clEvENKUlvE_clEvEUlddE_dEEDaPvRmT3_T4_T5_mT6_P12ihipStream_tbENKUlT_T0_E_clISt17integral_constantIbLb0EESV_IbLb1EEEEDaSR_SS_EUlSR_E_NS1_11comp_targetILNS1_3genE3ELNS1_11target_archE908ELNS1_3gpuE7ELNS1_3repE0EEENS1_30default_config_static_selectorELNS0_4arch9wavefront6targetE1EEEvT1_.has_indirect_call, 0
	.section	.AMDGPU.csdata,"",@progbits
; Kernel info:
; codeLenInByte = 0
; TotalNumSgprs: 4
; NumVgprs: 0
; ScratchSize: 0
; MemoryBound: 0
; FloatMode: 240
; IeeeMode: 1
; LDSByteSize: 0 bytes/workgroup (compile time only)
; SGPRBlocks: 0
; VGPRBlocks: 0
; NumSGPRsForWavesPerEU: 4
; NumVGPRsForWavesPerEU: 1
; Occupancy: 10
; WaveLimiterHint : 0
; COMPUTE_PGM_RSRC2:SCRATCH_EN: 0
; COMPUTE_PGM_RSRC2:USER_SGPR: 6
; COMPUTE_PGM_RSRC2:TRAP_HANDLER: 0
; COMPUTE_PGM_RSRC2:TGID_X_EN: 1
; COMPUTE_PGM_RSRC2:TGID_Y_EN: 0
; COMPUTE_PGM_RSRC2:TGID_Z_EN: 0
; COMPUTE_PGM_RSRC2:TIDIG_COMP_CNT: 0
	.section	.text._ZN7rocprim17ROCPRIM_400000_NS6detail17trampoline_kernelINS0_14default_configENS1_20scan_config_selectorIdEEZZNS1_9scan_implILNS1_25lookback_scan_determinismE0ELb0ELb0ES3_PKdPddZZZN2at6native31launch_logcumsumexp_cuda_kernelERKNSB_10TensorBaseESF_lENKUlvE_clEvENKUlvE_clEvEUlddE_dEEDaPvRmT3_T4_T5_mT6_P12ihipStream_tbENKUlT_T0_E_clISt17integral_constantIbLb0EESV_IbLb1EEEEDaSR_SS_EUlSR_E_NS1_11comp_targetILNS1_3genE2ELNS1_11target_archE906ELNS1_3gpuE6ELNS1_3repE0EEENS1_30default_config_static_selectorELNS0_4arch9wavefront6targetE1EEEvT1_,"axG",@progbits,_ZN7rocprim17ROCPRIM_400000_NS6detail17trampoline_kernelINS0_14default_configENS1_20scan_config_selectorIdEEZZNS1_9scan_implILNS1_25lookback_scan_determinismE0ELb0ELb0ES3_PKdPddZZZN2at6native31launch_logcumsumexp_cuda_kernelERKNSB_10TensorBaseESF_lENKUlvE_clEvENKUlvE_clEvEUlddE_dEEDaPvRmT3_T4_T5_mT6_P12ihipStream_tbENKUlT_T0_E_clISt17integral_constantIbLb0EESV_IbLb1EEEEDaSR_SS_EUlSR_E_NS1_11comp_targetILNS1_3genE2ELNS1_11target_archE906ELNS1_3gpuE6ELNS1_3repE0EEENS1_30default_config_static_selectorELNS0_4arch9wavefront6targetE1EEEvT1_,comdat
	.globl	_ZN7rocprim17ROCPRIM_400000_NS6detail17trampoline_kernelINS0_14default_configENS1_20scan_config_selectorIdEEZZNS1_9scan_implILNS1_25lookback_scan_determinismE0ELb0ELb0ES3_PKdPddZZZN2at6native31launch_logcumsumexp_cuda_kernelERKNSB_10TensorBaseESF_lENKUlvE_clEvENKUlvE_clEvEUlddE_dEEDaPvRmT3_T4_T5_mT6_P12ihipStream_tbENKUlT_T0_E_clISt17integral_constantIbLb0EESV_IbLb1EEEEDaSR_SS_EUlSR_E_NS1_11comp_targetILNS1_3genE2ELNS1_11target_archE906ELNS1_3gpuE6ELNS1_3repE0EEENS1_30default_config_static_selectorELNS0_4arch9wavefront6targetE1EEEvT1_ ; -- Begin function _ZN7rocprim17ROCPRIM_400000_NS6detail17trampoline_kernelINS0_14default_configENS1_20scan_config_selectorIdEEZZNS1_9scan_implILNS1_25lookback_scan_determinismE0ELb0ELb0ES3_PKdPddZZZN2at6native31launch_logcumsumexp_cuda_kernelERKNSB_10TensorBaseESF_lENKUlvE_clEvENKUlvE_clEvEUlddE_dEEDaPvRmT3_T4_T5_mT6_P12ihipStream_tbENKUlT_T0_E_clISt17integral_constantIbLb0EESV_IbLb1EEEEDaSR_SS_EUlSR_E_NS1_11comp_targetILNS1_3genE2ELNS1_11target_archE906ELNS1_3gpuE6ELNS1_3repE0EEENS1_30default_config_static_selectorELNS0_4arch9wavefront6targetE1EEEvT1_
	.p2align	8
	.type	_ZN7rocprim17ROCPRIM_400000_NS6detail17trampoline_kernelINS0_14default_configENS1_20scan_config_selectorIdEEZZNS1_9scan_implILNS1_25lookback_scan_determinismE0ELb0ELb0ES3_PKdPddZZZN2at6native31launch_logcumsumexp_cuda_kernelERKNSB_10TensorBaseESF_lENKUlvE_clEvENKUlvE_clEvEUlddE_dEEDaPvRmT3_T4_T5_mT6_P12ihipStream_tbENKUlT_T0_E_clISt17integral_constantIbLb0EESV_IbLb1EEEEDaSR_SS_EUlSR_E_NS1_11comp_targetILNS1_3genE2ELNS1_11target_archE906ELNS1_3gpuE6ELNS1_3repE0EEENS1_30default_config_static_selectorELNS0_4arch9wavefront6targetE1EEEvT1_,@function
_ZN7rocprim17ROCPRIM_400000_NS6detail17trampoline_kernelINS0_14default_configENS1_20scan_config_selectorIdEEZZNS1_9scan_implILNS1_25lookback_scan_determinismE0ELb0ELb0ES3_PKdPddZZZN2at6native31launch_logcumsumexp_cuda_kernelERKNSB_10TensorBaseESF_lENKUlvE_clEvENKUlvE_clEvEUlddE_dEEDaPvRmT3_T4_T5_mT6_P12ihipStream_tbENKUlT_T0_E_clISt17integral_constantIbLb0EESV_IbLb1EEEEDaSR_SS_EUlSR_E_NS1_11comp_targetILNS1_3genE2ELNS1_11target_archE906ELNS1_3gpuE6ELNS1_3repE0EEENS1_30default_config_static_selectorELNS0_4arch9wavefront6targetE1EEEvT1_: ; @_ZN7rocprim17ROCPRIM_400000_NS6detail17trampoline_kernelINS0_14default_configENS1_20scan_config_selectorIdEEZZNS1_9scan_implILNS1_25lookback_scan_determinismE0ELb0ELb0ES3_PKdPddZZZN2at6native31launch_logcumsumexp_cuda_kernelERKNSB_10TensorBaseESF_lENKUlvE_clEvENKUlvE_clEvEUlddE_dEEDaPvRmT3_T4_T5_mT6_P12ihipStream_tbENKUlT_T0_E_clISt17integral_constantIbLb0EESV_IbLb1EEEEDaSR_SS_EUlSR_E_NS1_11comp_targetILNS1_3genE2ELNS1_11target_archE906ELNS1_3gpuE6ELNS1_3repE0EEENS1_30default_config_static_selectorELNS0_4arch9wavefront6targetE1EEEvT1_
; %bb.0:
	s_load_dwordx2 s[52:53], s[4:5], 0x30
	v_cmp_ne_u32_e64 s[2:3], 0, v0
	v_cmp_eq_u32_e64 s[28:29], 0, v0
	s_and_saveexec_b64 s[0:1], s[28:29]
	s_cbranch_execz .LBB70_4
; %bb.1:
	s_mov_b64 s[8:9], exec
	v_mbcnt_lo_u32_b32 v1, s8, 0
	v_mbcnt_hi_u32_b32 v1, s9, v1
	v_cmp_eq_u32_e32 vcc, 0, v1
                                        ; implicit-def: $vgpr2
	s_and_saveexec_b64 s[6:7], vcc
	s_cbranch_execz .LBB70_3
; %bb.2:
	s_load_dwordx2 s[10:11], s[4:5], 0x60
	s_bcnt1_i32_b64 s8, s[8:9]
	v_mov_b32_e32 v2, 0
	v_mov_b32_e32 v3, s8
	s_waitcnt lgkmcnt(0)
	global_atomic_add v2, v2, v3, s[10:11] glc
.LBB70_3:
	s_or_b64 exec, exec, s[6:7]
	s_waitcnt vmcnt(0)
	v_readfirstlane_b32 s6, v2
	v_add_u32_e32 v1, s6, v1
	v_mov_b32_e32 v2, 0
	ds_write_b32 v2, v1
.LBB70_4:
	s_or_b64 exec, exec, s[0:1]
	s_load_dwordx8 s[44:51], s[4:5], 0x0
	s_load_dword s1, s[4:5], 0x38
	s_load_dwordx8 s[8:15], s[4:5], 0x40
                                        ; implicit-def: $vgpr102 : SGPR spill to VGPR lane
	v_mov_b32_e32 v1, 0
	s_waitcnt lgkmcnt(0)
	s_barrier
	v_writelane_b32 v102, s8, 0
	v_writelane_b32 v102, s9, 1
	;; [unrolled: 1-line block ×3, first 2 shown]
	ds_read_b32 v1, v1
	v_writelane_b32 v102, s11, 3
	v_writelane_b32 v102, s12, 4
	s_lshl_b64 s[46:47], s[46:47], 3
	v_writelane_b32 v102, s13, 5
	s_add_u32 s6, s44, s46
	v_writelane_b32 v102, s14, 6
	s_addc_u32 s7, s45, s47
	s_add_i32 s1, s1, -1
	v_writelane_b32 v102, s15, 7
	s_waitcnt lgkmcnt(0)
	v_readfirstlane_b32 s0, v1
	s_mul_i32 s8, s1, 0x500
                                        ; kill: killed $sgpr4_sgpr5
	s_mul_i32 s4, s0, 0x500
	s_mov_b32 s5, 0
	s_sub_u32 s33, s50, s8
	s_subb_u32 s42, s51, 0
	s_lshl_b64 s[44:45], s[4:5], 3
	v_cmp_ne_u32_e64 s[8:9], s1, v1
	s_add_u32 s6, s6, s44
	s_addc_u32 s7, s7, s45
	s_mov_b64 s[4:5], -1
	v_writelane_b32 v102, s8, 8
	s_and_b64 vcc, exec, s[8:9]
	v_lshlrev_b32_e32 v65, 3, v0
	s_barrier
	v_writelane_b32 v102, s9, 9
	s_cbranch_vccz .LBB70_6
; %bb.5:
	v_mov_b32_e32 v1, s7
	v_add_co_u32_e32 v19, vcc, s6, v65
	v_addc_co_u32_e32 v20, vcc, 0, v1, vcc
	v_add_co_u32_e32 v9, vcc, 0x1000, v19
	v_addc_co_u32_e32 v10, vcc, 0, v20, vcc
	global_load_dwordx2 v[1:2], v65, s[6:7]
	global_load_dwordx2 v[3:4], v65, s[6:7] offset:1024
	global_load_dwordx2 v[5:6], v65, s[6:7] offset:2048
	;; [unrolled: 1-line block ×3, first 2 shown]
	global_load_dwordx2 v[11:12], v[9:10], off
	global_load_dwordx2 v[13:14], v[9:10], off offset:1024
	global_load_dwordx2 v[15:16], v[9:10], off offset:2048
	global_load_dwordx2 v[17:18], v[9:10], off offset:3072
	v_add_co_u32_e32 v9, vcc, 0x2000, v19
	v_addc_co_u32_e32 v10, vcc, 0, v20, vcc
	global_load_dwordx2 v[19:20], v[9:10], off
	global_load_dwordx2 v[21:22], v[9:10], off offset:1024
	s_mov_b64 s[4:5], 0
	s_waitcnt vmcnt(8)
	ds_write2st64_b64 v65, v[1:2], v[3:4] offset1:2
	s_waitcnt vmcnt(6)
	ds_write2st64_b64 v65, v[5:6], v[7:8] offset0:4 offset1:6
	s_waitcnt vmcnt(4)
	ds_write2st64_b64 v65, v[11:12], v[13:14] offset0:8 offset1:10
	;; [unrolled: 2-line block ×4, first 2 shown]
	s_waitcnt lgkmcnt(0)
	s_barrier
.LBB70_6:
	s_andn2_b64 vcc, exec, s[4:5]
	v_cmp_gt_u32_e64 s[4:5], s33, v0
	s_cbranch_vccnz .LBB70_28
; %bb.7:
	v_mov_b32_e32 v1, 0
	global_load_dwordx2 v[1:2], v1, s[6:7]
	s_waitcnt vmcnt(0)
	v_mov_b32_e32 v4, v2
	v_mov_b32_e32 v3, v1
	s_and_saveexec_b64 s[8:9], s[4:5]
	s_cbranch_execz .LBB70_9
; %bb.8:
	global_load_dwordx2 v[3:4], v65, s[6:7]
.LBB70_9:
	s_or_b64 exec, exec, s[8:9]
	v_or_b32_e32 v5, 0x80, v0
	v_cmp_gt_u32_e32 vcc, s33, v5
	v_mov_b32_e32 v6, v2
	v_mov_b32_e32 v5, v1
	s_and_saveexec_b64 s[4:5], vcc
	s_cbranch_execz .LBB70_11
; %bb.10:
	global_load_dwordx2 v[5:6], v65, s[6:7] offset:1024
.LBB70_11:
	s_or_b64 exec, exec, s[4:5]
	v_or_b32_e32 v7, 0x100, v0
	v_cmp_gt_u32_e32 vcc, s33, v7
	v_mov_b32_e32 v8, v2
	v_mov_b32_e32 v7, v1
	s_and_saveexec_b64 s[4:5], vcc
	s_cbranch_execz .LBB70_13
; %bb.12:
	global_load_dwordx2 v[7:8], v65, s[6:7] offset:2048
.LBB70_13:
	;; [unrolled: 10-line block ×3, first 2 shown]
	s_or_b64 exec, exec, s[4:5]
	v_or_b32_e32 v13, 0x200, v0
	v_mov_b32_e32 v12, v2
	v_cmp_gt_u32_e32 vcc, s33, v13
	v_mov_b32_e32 v11, v1
	s_and_saveexec_b64 s[4:5], vcc
	s_cbranch_execz .LBB70_17
; %bb.16:
	v_lshlrev_b32_e32 v11, 3, v13
	global_load_dwordx2 v[11:12], v11, s[6:7]
.LBB70_17:
	s_or_b64 exec, exec, s[4:5]
	v_or_b32_e32 v15, 0x280, v0
	v_mov_b32_e32 v14, v2
	v_cmp_gt_u32_e32 vcc, s33, v15
	v_mov_b32_e32 v13, v1
	s_and_saveexec_b64 s[4:5], vcc
	s_cbranch_execz .LBB70_19
; %bb.18:
	v_lshlrev_b32_e32 v13, 3, v15
	global_load_dwordx2 v[13:14], v13, s[6:7]
.LBB70_19:
	;; [unrolled: 11-line block ×5, first 2 shown]
	s_or_b64 exec, exec, s[4:5]
	v_or_b32_e32 v21, 0x480, v0
	v_cmp_gt_u32_e32 vcc, s33, v21
	s_and_saveexec_b64 s[4:5], vcc
	s_cbranch_execz .LBB70_27
; %bb.26:
	v_lshlrev_b32_e32 v1, 3, v21
	global_load_dwordx2 v[1:2], v1, s[6:7]
.LBB70_27:
	s_or_b64 exec, exec, s[4:5]
	s_waitcnt vmcnt(0)
	ds_write2st64_b64 v65, v[3:4], v[5:6] offset1:2
	ds_write2st64_b64 v65, v[7:8], v[9:10] offset0:4 offset1:6
	ds_write2st64_b64 v65, v[11:12], v[13:14] offset0:8 offset1:10
	;; [unrolled: 1-line block ×4, first 2 shown]
	s_waitcnt lgkmcnt(0)
	s_barrier
.LBB70_28:
	v_mul_u32_u24_e32 v66, 0x50, v0
	ds_read_b128 v[1:4], v66
	ds_read_b128 v[17:20], v66 offset:16
	ds_read_b128 v[13:16], v66 offset:32
	;; [unrolled: 1-line block ×4, first 2 shown]
	s_cmp_lg_u32 s0, 0
	s_waitcnt lgkmcnt(0)
	v_cmp_u_f64_e64 s[6:7], v[3:4], v[3:4]
	v_max_f64 v[41:42], v[3:4], v[3:4]
	s_barrier
	s_cbranch_scc0 .LBB70_146
; %bb.29:
	v_max_f64 v[47:48], v[1:2], v[1:2]
	v_cmp_u_f64_e64 s[24:25], v[1:2], v[1:2]
	s_movk_i32 s1, 0x1f8
	v_mov_b32_e32 v50, v2
	v_mov_b32_e32 v49, v1
	v_min_f64 v[21:22], v[47:48], v[41:42]
	v_max_f64 v[23:24], v[47:48], v[41:42]
	v_cndmask_b32_e64 v21, v21, v1, s[24:25]
	v_cndmask_b32_e64 v22, v22, v2, s[24:25]
	;; [unrolled: 1-line block ×8, first 2 shown]
	v_cmp_neq_f64_e32 vcc, v[23:24], v[21:22]
	v_cmp_class_f64_e64 s[4:5], v[23:24], s1
	s_or_b64 s[4:5], vcc, s[4:5]
	s_and_saveexec_b64 s[8:9], s[4:5]
	s_cbranch_execz .LBB70_31
; %bb.30:
	v_add_f64 v[23:24], v[23:24], -v[21:22]
	s_mov_b32 s4, 0x652b82fe
	s_mov_b32 s5, 0x3ff71547
	;; [unrolled: 1-line block ×6, first 2 shown]
	v_mov_b32_e32 v29, 0xfca7ab0c
	v_mul_f64 v[25:26], v[23:24], s[4:5]
	s_mov_b32 s4, 0x6a5dcb37
	v_mov_b32_e32 v30, 0x3e928af3
	s_mov_b32 s5, 0x3e5ade15
	s_mov_b32 s14, 0
	;; [unrolled: 1-line block ×3, first 2 shown]
	v_mov_b32_e32 v51, 0x7ff00000
	v_rndne_f64_e32 v[25:26], v[25:26]
	v_fma_f64 v[27:28], v[25:26], s[10:11], v[23:24]
	s_mov_b32 s11, 0x3fe62e42
	v_fma_f64 v[27:28], v[25:26], s[12:13], v[27:28]
	v_cvt_i32_f64_e32 v25, v[25:26]
	s_mov_b32 s13, 0x3c7abc9e
	v_fma_f64 v[29:30], v[27:28], s[4:5], v[29:30]
	s_mov_b32 s4, 0x623fde64
	s_mov_b32 s5, 0x3ec71dee
	v_fma_f64 v[29:30], v[27:28], v[29:30], s[4:5]
	s_mov_b32 s4, 0x7c89e6b0
	;; [unrolled: 3-line block ×9, first 2 shown]
	s_mov_b32 s5, 0x40900000
	v_cmp_nlt_f64_e32 vcc, s[4:5], v[23:24]
	v_cmp_ngt_f64_e64 s[4:5], s[14:15], v[23:24]
	s_mov_b32 s14, 0xbf559e2b
	s_mov_b32 s15, 0x3fc3ab76
	v_fma_f64 v[29:30], v[27:28], v[29:30], 1.0
	v_fma_f64 v[27:28], v[27:28], v[29:30], 1.0
	v_ldexp_f64 v[25:26], v[27:28], v25
	v_cndmask_b32_e32 v26, v51, v26, vcc
	s_and_b64 vcc, s[4:5], vcc
	v_cndmask_b32_e64 v24, 0, v26, s[4:5]
	v_cndmask_b32_e32 v23, 0, v25, vcc
	v_add_f64 v[25:26], v[23:24], 1.0
	s_mov_b32 s5, 0x3fe55555
	s_mov_b32 s4, 0x55555555
	v_frexp_mant_f64_e32 v[29:30], v[25:26]
	v_frexp_exp_i32_f64_e32 v33, v[25:26]
	v_add_f64 v[27:28], v[25:26], -1.0
	v_cmp_gt_f64_e32 vcc, s[4:5], v[29:30]
	s_mov_b32 s4, 0x55555780
	v_add_f64 v[31:32], v[27:28], -v[25:26]
	v_add_f64 v[27:28], v[23:24], -v[27:28]
	v_subbrev_co_u32_e32 v52, vcc, 0, v33, vcc
	v_sub_u32_e32 v33, 0, v52
	v_ldexp_f64 v[25:26], v[25:26], v33
	v_add_f64 v[29:30], v[31:32], 1.0
	v_cmp_nge_f64_e32 vcc, -1.0, v[23:24]
	v_add_f64 v[31:32], v[25:26], 1.0
	v_add_f64 v[27:28], v[27:28], v[29:30]
	v_add_f64 v[37:38], v[25:26], -1.0
	v_add_f64 v[29:30], v[31:32], -1.0
	v_ldexp_f64 v[27:28], v[27:28], v33
	v_add_f64 v[39:40], v[37:38], 1.0
	v_add_f64 v[29:30], v[25:26], -v[29:30]
	v_add_f64 v[25:26], v[25:26], -v[39:40]
	v_add_f64 v[29:30], v[27:28], v[29:30]
	v_add_f64 v[25:26], v[27:28], v[25:26]
	;; [unrolled: 1-line block ×4, first 2 shown]
	v_rcp_f64_e32 v[35:36], v[33:34]
	v_add_f64 v[31:32], v[33:34], -v[31:32]
	v_add_f64 v[37:38], v[39:40], -v[37:38]
	;; [unrolled: 1-line block ×4, first 2 shown]
	v_fma_f64 v[43:44], -v[33:34], v[35:36], 1.0
	v_fma_f64 v[35:36], v[43:44], v[35:36], v[35:36]
	v_fma_f64 v[27:28], -v[33:34], v[35:36], 1.0
	v_fma_f64 v[27:28], v[27:28], v[35:36], v[35:36]
	v_mul_f64 v[35:36], v[39:40], v[27:28]
	v_mul_f64 v[43:44], v[33:34], v[35:36]
	v_fma_f64 v[31:32], v[35:36], v[33:34], -v[43:44]
	v_fma_f64 v[31:32], v[35:36], v[29:30], v[31:32]
	v_add_f64 v[45:46], v[43:44], v[31:32]
	v_add_f64 v[49:50], v[39:40], -v[45:46]
	v_add_f64 v[37:38], v[45:46], -v[43:44]
	;; [unrolled: 1-line block ×5, first 2 shown]
	v_add_f64 v[25:26], v[25:26], v[39:40]
	v_add_f64 v[25:26], v[31:32], v[25:26]
	;; [unrolled: 1-line block ×3, first 2 shown]
	v_mul_f64 v[37:38], v[27:28], v[31:32]
	v_add_f64 v[45:46], v[49:50], -v[31:32]
	v_mul_f64 v[39:40], v[33:34], v[37:38]
	v_add_f64 v[25:26], v[25:26], v[45:46]
	v_fma_f64 v[33:34], v[37:38], v[33:34], -v[39:40]
	v_fma_f64 v[29:30], v[37:38], v[29:30], v[33:34]
	v_add_f64 v[33:34], v[39:40], v[29:30]
	v_add_f64 v[43:44], v[31:32], -v[33:34]
	v_add_f64 v[39:40], v[33:34], -v[39:40]
	;; [unrolled: 1-line block ×5, first 2 shown]
	v_mov_b32_e32 v33, 0x6b47b09a
	v_mov_b32_e32 v34, 0x3fc38538
	v_add_f64 v[25:26], v[25:26], v[31:32]
	v_add_f64 v[31:32], v[35:36], v[37:38]
	;; [unrolled: 1-line block ×3, first 2 shown]
	v_add_f64 v[29:30], v[31:32], -v[35:36]
	v_add_f64 v[25:26], v[43:44], v[25:26]
	v_add_f64 v[29:30], v[37:38], -v[29:30]
	v_mul_f64 v[25:26], v[27:28], v[25:26]
	v_add_f64 v[25:26], v[29:30], v[25:26]
	v_add_f64 v[27:28], v[31:32], v[25:26]
	v_mul_f64 v[29:30], v[27:28], v[27:28]
	v_fma_f64 v[33:34], v[29:30], s[14:15], v[33:34]
	s_mov_b32 s14, 0xd7f4df2e
	s_mov_b32 s15, 0x3fc7474d
	v_mul_f64 v[35:36], v[27:28], v[29:30]
	v_fma_f64 v[33:34], v[29:30], v[33:34], s[14:15]
	s_mov_b32 s14, 0x16291751
	s_mov_b32 s15, 0x3fcc71c0
	v_fma_f64 v[33:34], v[29:30], v[33:34], s[14:15]
	s_mov_b32 s14, 0x9b27acf1
	s_mov_b32 s15, 0x3fd24924
	;; [unrolled: 3-line block ×3, first 2 shown]
	v_fma_f64 v[33:34], v[29:30], v[33:34], s[14:15]
	v_fma_f64 v[29:30], v[29:30], v[33:34], s[4:5]
	v_ldexp_f64 v[33:34], v[27:28], 1
	v_add_f64 v[27:28], v[27:28], -v[31:32]
	s_mov_b32 s4, 0
	s_mov_b32 s5, 0x7ff00000
	v_cmp_neq_f64_e64 s[4:5], s[4:5], v[23:24]
	v_mul_f64 v[29:30], v[35:36], v[29:30]
	v_cvt_f64_i32_e32 v[35:36], v52
	v_add_f64 v[25:26], v[25:26], -v[27:28]
	v_mul_f64 v[37:38], v[35:36], s[10:11]
	s_and_b64 vcc, vcc, s[4:5]
	v_add_f64 v[31:32], v[33:34], v[29:30]
	v_ldexp_f64 v[25:26], v[25:26], 1
	v_add_f64 v[27:28], v[31:32], -v[33:34]
	v_fma_f64 v[33:34], v[35:36], s[10:11], -v[37:38]
	v_add_f64 v[27:28], v[29:30], -v[27:28]
	v_fma_f64 v[29:30], v[35:36], s[12:13], v[33:34]
	v_add_f64 v[25:26], v[25:26], v[27:28]
	v_add_f64 v[27:28], v[37:38], v[29:30]
	;; [unrolled: 1-line block ×3, first 2 shown]
	v_add_f64 v[37:38], v[27:28], -v[37:38]
	v_add_f64 v[35:36], v[27:28], v[33:34]
	v_add_f64 v[31:32], v[33:34], -v[31:32]
	v_add_f64 v[29:30], v[29:30], -v[37:38]
	v_add_f64 v[39:40], v[35:36], -v[27:28]
	v_add_f64 v[25:26], v[25:26], -v[31:32]
	v_add_f64 v[43:44], v[35:36], -v[39:40]
	v_add_f64 v[31:32], v[33:34], -v[39:40]
	v_add_f64 v[33:34], v[29:30], v[25:26]
	v_add_f64 v[27:28], v[27:28], -v[43:44]
	v_add_f64 v[27:28], v[31:32], v[27:28]
	v_add_f64 v[31:32], v[33:34], -v[29:30]
	;; [unrolled: 2-line block ×3, first 2 shown]
	v_add_f64 v[25:26], v[25:26], -v[31:32]
	v_add_f64 v[37:38], v[35:36], v[27:28]
	v_add_f64 v[29:30], v[29:30], -v[33:34]
	v_add_f64 v[31:32], v[37:38], -v[35:36]
	v_add_f64 v[25:26], v[25:26], v[29:30]
	v_add_f64 v[27:28], v[27:28], -v[31:32]
	v_add_f64 v[25:26], v[25:26], v[27:28]
	v_mov_b32_e32 v27, 0x7ff80000
	v_mov_b32_e32 v28, 0xfff00000
	v_add_f64 v[25:26], v[37:38], v[25:26]
	v_cndmask_b32_e32 v25, 0, v25, vcc
	v_cmp_ngt_f64_e32 vcc, -1.0, v[23:24]
	v_cndmask_b32_e64 v26, v51, v26, s[4:5]
	v_cndmask_b32_e32 v26, v27, v26, vcc
	v_cmp_neq_f64_e32 vcc, -1.0, v[23:24]
	v_cndmask_b32_e32 v26, v28, v26, vcc
	v_add_f64 v[49:50], v[21:22], v[25:26]
.LBB70_31:
	s_or_b64 exec, exec, s[8:9]
	v_max_f64 v[31:32], v[17:18], v[17:18]
	v_max_f64 v[21:22], v[49:50], v[49:50]
	v_cmp_u_f64_e32 vcc, v[49:50], v[49:50]
	v_cmp_u_f64_e64 s[8:9], v[17:18], v[17:18]
	v_min_f64 v[23:24], v[21:22], v[31:32]
	v_max_f64 v[21:22], v[21:22], v[31:32]
	v_cndmask_b32_e32 v23, v23, v49, vcc
	v_cndmask_b32_e32 v24, v24, v50, vcc
	;; [unrolled: 1-line block ×4, first 2 shown]
	v_cndmask_b32_e64 v24, v24, v18, s[8:9]
	v_cndmask_b32_e64 v23, v23, v17, s[8:9]
	v_cndmask_b32_e64 v22, v22, v18, s[8:9]
	v_cndmask_b32_e64 v21, v21, v17, s[8:9]
	v_cmp_neq_f64_e32 vcc, v[23:24], v[21:22]
	v_cmp_class_f64_e64 s[4:5], v[23:24], s1
	s_or_b64 s[4:5], vcc, s[4:5]
	s_and_saveexec_b64 s[10:11], s[4:5]
	s_cbranch_execz .LBB70_33
; %bb.32:
	v_add_f64 v[23:24], v[23:24], -v[21:22]
	s_mov_b32 s4, 0x652b82fe
	s_mov_b32 s5, 0x3ff71547
	;; [unrolled: 1-line block ×6, first 2 shown]
	v_mov_b32_e32 v29, 0xfca7ab0c
	v_mul_f64 v[25:26], v[23:24], s[4:5]
	s_mov_b32 s4, 0x6a5dcb37
	v_mov_b32_e32 v30, 0x3e928af3
	s_mov_b32 s5, 0x3e5ade15
	s_mov_b32 s16, 0
	;; [unrolled: 1-line block ×3, first 2 shown]
	v_mov_b32_e32 v53, 0x7ff00000
	v_rndne_f64_e32 v[25:26], v[25:26]
	v_fma_f64 v[27:28], v[25:26], s[12:13], v[23:24]
	s_mov_b32 s13, 0x3fe62e42
	v_fma_f64 v[27:28], v[25:26], s[14:15], v[27:28]
	v_cvt_i32_f64_e32 v25, v[25:26]
	s_mov_b32 s15, 0x3c7abc9e
	v_fma_f64 v[29:30], v[27:28], s[4:5], v[29:30]
	s_mov_b32 s4, 0x623fde64
	s_mov_b32 s5, 0x3ec71dee
	v_fma_f64 v[29:30], v[27:28], v[29:30], s[4:5]
	s_mov_b32 s4, 0x7c89e6b0
	;; [unrolled: 3-line block ×9, first 2 shown]
	s_mov_b32 s5, 0x40900000
	v_cmp_nlt_f64_e32 vcc, s[4:5], v[23:24]
	v_cmp_ngt_f64_e64 s[4:5], s[16:17], v[23:24]
	s_mov_b32 s16, 0xbf559e2b
	s_mov_b32 s17, 0x3fc3ab76
	v_fma_f64 v[29:30], v[27:28], v[29:30], 1.0
	v_fma_f64 v[27:28], v[27:28], v[29:30], 1.0
	v_ldexp_f64 v[25:26], v[27:28], v25
	v_cndmask_b32_e32 v26, v53, v26, vcc
	s_and_b64 vcc, s[4:5], vcc
	v_cndmask_b32_e64 v24, 0, v26, s[4:5]
	v_cndmask_b32_e32 v23, 0, v25, vcc
	v_add_f64 v[25:26], v[23:24], 1.0
	s_mov_b32 s5, 0x3fe55555
	s_mov_b32 s4, 0x55555555
	v_frexp_mant_f64_e32 v[29:30], v[25:26]
	v_frexp_exp_i32_f64_e32 v35, v[25:26]
	v_add_f64 v[27:28], v[25:26], -1.0
	v_cmp_gt_f64_e32 vcc, s[4:5], v[29:30]
	s_mov_b32 s4, 0x55555780
	v_add_f64 v[33:34], v[27:28], -v[25:26]
	v_add_f64 v[27:28], v[23:24], -v[27:28]
	v_subbrev_co_u32_e32 v54, vcc, 0, v35, vcc
	v_sub_u32_e32 v35, 0, v54
	v_ldexp_f64 v[25:26], v[25:26], v35
	v_add_f64 v[29:30], v[33:34], 1.0
	v_cmp_nge_f64_e32 vcc, -1.0, v[23:24]
	v_add_f64 v[33:34], v[25:26], 1.0
	v_add_f64 v[27:28], v[27:28], v[29:30]
	v_add_f64 v[39:40], v[25:26], -1.0
	v_add_f64 v[29:30], v[33:34], -1.0
	v_ldexp_f64 v[27:28], v[27:28], v35
	v_add_f64 v[43:44], v[39:40], 1.0
	v_add_f64 v[29:30], v[25:26], -v[29:30]
	v_add_f64 v[25:26], v[25:26], -v[43:44]
	v_add_f64 v[29:30], v[27:28], v[29:30]
	v_add_f64 v[25:26], v[27:28], v[25:26]
	;; [unrolled: 1-line block ×4, first 2 shown]
	v_rcp_f64_e32 v[37:38], v[35:36]
	v_add_f64 v[33:34], v[35:36], -v[33:34]
	v_add_f64 v[39:40], v[43:44], -v[39:40]
	;; [unrolled: 1-line block ×4, first 2 shown]
	v_fma_f64 v[45:46], -v[35:36], v[37:38], 1.0
	v_fma_f64 v[37:38], v[45:46], v[37:38], v[37:38]
	v_fma_f64 v[27:28], -v[35:36], v[37:38], 1.0
	v_fma_f64 v[27:28], v[27:28], v[37:38], v[37:38]
	v_mul_f64 v[37:38], v[43:44], v[27:28]
	v_mul_f64 v[45:46], v[35:36], v[37:38]
	v_fma_f64 v[33:34], v[37:38], v[35:36], -v[45:46]
	v_fma_f64 v[33:34], v[37:38], v[29:30], v[33:34]
	v_add_f64 v[49:50], v[45:46], v[33:34]
	v_add_f64 v[51:52], v[43:44], -v[49:50]
	v_add_f64 v[39:40], v[49:50], -v[45:46]
	;; [unrolled: 1-line block ×5, first 2 shown]
	v_add_f64 v[25:26], v[25:26], v[43:44]
	v_add_f64 v[25:26], v[33:34], v[25:26]
	;; [unrolled: 1-line block ×3, first 2 shown]
	v_mul_f64 v[39:40], v[27:28], v[33:34]
	v_add_f64 v[49:50], v[51:52], -v[33:34]
	v_mul_f64 v[43:44], v[35:36], v[39:40]
	v_add_f64 v[25:26], v[25:26], v[49:50]
	v_fma_f64 v[35:36], v[39:40], v[35:36], -v[43:44]
	v_fma_f64 v[29:30], v[39:40], v[29:30], v[35:36]
	v_add_f64 v[35:36], v[43:44], v[29:30]
	v_add_f64 v[45:46], v[33:34], -v[35:36]
	v_add_f64 v[43:44], v[35:36], -v[43:44]
	;; [unrolled: 1-line block ×5, first 2 shown]
	v_mov_b32_e32 v35, 0x6b47b09a
	v_mov_b32_e32 v36, 0x3fc38538
	v_add_f64 v[25:26], v[25:26], v[33:34]
	v_add_f64 v[33:34], v[37:38], v[39:40]
	;; [unrolled: 1-line block ×3, first 2 shown]
	v_add_f64 v[29:30], v[33:34], -v[37:38]
	v_add_f64 v[25:26], v[45:46], v[25:26]
	v_add_f64 v[29:30], v[39:40], -v[29:30]
	v_mul_f64 v[25:26], v[27:28], v[25:26]
	v_add_f64 v[25:26], v[29:30], v[25:26]
	v_add_f64 v[27:28], v[33:34], v[25:26]
	v_mul_f64 v[29:30], v[27:28], v[27:28]
	v_fma_f64 v[35:36], v[29:30], s[16:17], v[35:36]
	s_mov_b32 s16, 0xd7f4df2e
	s_mov_b32 s17, 0x3fc7474d
	v_mul_f64 v[37:38], v[27:28], v[29:30]
	v_fma_f64 v[35:36], v[29:30], v[35:36], s[16:17]
	s_mov_b32 s16, 0x16291751
	s_mov_b32 s17, 0x3fcc71c0
	v_fma_f64 v[35:36], v[29:30], v[35:36], s[16:17]
	s_mov_b32 s16, 0x9b27acf1
	s_mov_b32 s17, 0x3fd24924
	;; [unrolled: 3-line block ×3, first 2 shown]
	v_fma_f64 v[35:36], v[29:30], v[35:36], s[16:17]
	v_fma_f64 v[29:30], v[29:30], v[35:36], s[4:5]
	v_ldexp_f64 v[35:36], v[27:28], 1
	v_add_f64 v[27:28], v[27:28], -v[33:34]
	s_mov_b32 s4, 0
	s_mov_b32 s5, 0x7ff00000
	v_cmp_neq_f64_e64 s[4:5], s[4:5], v[23:24]
	v_mul_f64 v[29:30], v[37:38], v[29:30]
	v_cvt_f64_i32_e32 v[37:38], v54
	v_add_f64 v[25:26], v[25:26], -v[27:28]
	v_mul_f64 v[39:40], v[37:38], s[12:13]
	s_and_b64 vcc, vcc, s[4:5]
	v_add_f64 v[33:34], v[35:36], v[29:30]
	v_ldexp_f64 v[25:26], v[25:26], 1
	v_add_f64 v[27:28], v[33:34], -v[35:36]
	v_fma_f64 v[35:36], v[37:38], s[12:13], -v[39:40]
	v_add_f64 v[27:28], v[29:30], -v[27:28]
	v_fma_f64 v[29:30], v[37:38], s[14:15], v[35:36]
	v_add_f64 v[25:26], v[25:26], v[27:28]
	v_add_f64 v[27:28], v[39:40], v[29:30]
	;; [unrolled: 1-line block ×3, first 2 shown]
	v_add_f64 v[39:40], v[27:28], -v[39:40]
	v_add_f64 v[37:38], v[27:28], v[35:36]
	v_add_f64 v[33:34], v[35:36], -v[33:34]
	v_add_f64 v[29:30], v[29:30], -v[39:40]
	;; [unrolled: 1-line block ×6, first 2 shown]
	v_add_f64 v[35:36], v[29:30], v[25:26]
	v_add_f64 v[27:28], v[27:28], -v[45:46]
	v_add_f64 v[27:28], v[33:34], v[27:28]
	v_add_f64 v[33:34], v[35:36], -v[29:30]
	;; [unrolled: 2-line block ×3, first 2 shown]
	v_add_f64 v[25:26], v[25:26], -v[33:34]
	v_add_f64 v[39:40], v[37:38], v[27:28]
	v_add_f64 v[29:30], v[29:30], -v[35:36]
	v_add_f64 v[33:34], v[39:40], -v[37:38]
	v_add_f64 v[25:26], v[25:26], v[29:30]
	v_add_f64 v[27:28], v[27:28], -v[33:34]
	v_add_f64 v[25:26], v[25:26], v[27:28]
	v_mov_b32_e32 v27, 0x7ff80000
	v_mov_b32_e32 v28, 0xfff00000
	v_add_f64 v[25:26], v[39:40], v[25:26]
	v_cndmask_b32_e32 v25, 0, v25, vcc
	v_cmp_ngt_f64_e32 vcc, -1.0, v[23:24]
	v_cndmask_b32_e64 v26, v53, v26, s[4:5]
	v_cndmask_b32_e32 v26, v27, v26, vcc
	v_cmp_neq_f64_e32 vcc, -1.0, v[23:24]
	v_cndmask_b32_e32 v26, v28, v26, vcc
	v_add_f64 v[49:50], v[21:22], v[25:26]
.LBB70_33:
	s_or_b64 exec, exec, s[10:11]
	v_max_f64 v[29:30], v[19:20], v[19:20]
	v_max_f64 v[21:22], v[49:50], v[49:50]
	v_cmp_u_f64_e32 vcc, v[49:50], v[49:50]
	v_cmp_u_f64_e64 s[10:11], v[19:20], v[19:20]
	v_min_f64 v[23:24], v[21:22], v[29:30]
	v_max_f64 v[21:22], v[21:22], v[29:30]
	v_cndmask_b32_e32 v23, v23, v49, vcc
	v_cndmask_b32_e32 v24, v24, v50, vcc
	;; [unrolled: 1-line block ×4, first 2 shown]
	v_cndmask_b32_e64 v24, v24, v20, s[10:11]
	v_cndmask_b32_e64 v23, v23, v19, s[10:11]
	;; [unrolled: 1-line block ×4, first 2 shown]
	v_cmp_neq_f64_e32 vcc, v[23:24], v[21:22]
	v_cmp_class_f64_e64 s[4:5], v[23:24], s1
	s_or_b64 s[4:5], vcc, s[4:5]
	s_and_saveexec_b64 s[12:13], s[4:5]
	s_cbranch_execz .LBB70_35
; %bb.34:
	v_add_f64 v[23:24], v[23:24], -v[21:22]
	s_mov_b32 s4, 0x652b82fe
	s_mov_b32 s5, 0x3ff71547
	;; [unrolled: 1-line block ×6, first 2 shown]
	v_mov_b32_e32 v33, 0xfca7ab0c
	v_mul_f64 v[25:26], v[23:24], s[4:5]
	s_mov_b32 s4, 0x6a5dcb37
	v_mov_b32_e32 v34, 0x3e928af3
	s_mov_b32 s5, 0x3e5ade15
	s_mov_b32 s18, 0
	;; [unrolled: 1-line block ×3, first 2 shown]
	v_mov_b32_e32 v55, 0x7ff00000
	v_rndne_f64_e32 v[25:26], v[25:26]
	v_fma_f64 v[27:28], v[25:26], s[14:15], v[23:24]
	s_mov_b32 s15, 0x3fe62e42
	v_fma_f64 v[27:28], v[25:26], s[16:17], v[27:28]
	v_cvt_i32_f64_e32 v25, v[25:26]
	s_mov_b32 s17, 0x3c7abc9e
	v_fma_f64 v[33:34], v[27:28], s[4:5], v[33:34]
	s_mov_b32 s4, 0x623fde64
	s_mov_b32 s5, 0x3ec71dee
	v_fma_f64 v[33:34], v[27:28], v[33:34], s[4:5]
	s_mov_b32 s4, 0x7c89e6b0
	;; [unrolled: 3-line block ×9, first 2 shown]
	s_mov_b32 s5, 0x40900000
	v_cmp_nlt_f64_e32 vcc, s[4:5], v[23:24]
	v_cmp_ngt_f64_e64 s[4:5], s[18:19], v[23:24]
	s_mov_b32 s18, 0xbf559e2b
	s_mov_b32 s19, 0x3fc3ab76
	v_fma_f64 v[33:34], v[27:28], v[33:34], 1.0
	v_fma_f64 v[27:28], v[27:28], v[33:34], 1.0
	v_ldexp_f64 v[25:26], v[27:28], v25
	v_cndmask_b32_e32 v26, v55, v26, vcc
	s_and_b64 vcc, s[4:5], vcc
	v_cndmask_b32_e64 v24, 0, v26, s[4:5]
	v_cndmask_b32_e32 v23, 0, v25, vcc
	v_add_f64 v[25:26], v[23:24], 1.0
	s_mov_b32 s5, 0x3fe55555
	s_mov_b32 s4, 0x55555555
	v_frexp_mant_f64_e32 v[33:34], v[25:26]
	v_frexp_exp_i32_f64_e32 v37, v[25:26]
	v_add_f64 v[27:28], v[25:26], -1.0
	v_cmp_gt_f64_e32 vcc, s[4:5], v[33:34]
	s_mov_b32 s4, 0x55555780
	v_add_f64 v[35:36], v[27:28], -v[25:26]
	v_add_f64 v[27:28], v[23:24], -v[27:28]
	v_subbrev_co_u32_e32 v56, vcc, 0, v37, vcc
	v_sub_u32_e32 v37, 0, v56
	v_ldexp_f64 v[25:26], v[25:26], v37
	v_add_f64 v[33:34], v[35:36], 1.0
	v_cmp_nge_f64_e32 vcc, -1.0, v[23:24]
	v_add_f64 v[35:36], v[25:26], 1.0
	v_add_f64 v[27:28], v[27:28], v[33:34]
	v_add_f64 v[43:44], v[25:26], -1.0
	v_add_f64 v[33:34], v[35:36], -1.0
	v_ldexp_f64 v[27:28], v[27:28], v37
	v_add_f64 v[45:46], v[43:44], 1.0
	v_add_f64 v[33:34], v[25:26], -v[33:34]
	v_add_f64 v[25:26], v[25:26], -v[45:46]
	v_add_f64 v[33:34], v[27:28], v[33:34]
	v_add_f64 v[25:26], v[27:28], v[25:26]
	;; [unrolled: 1-line block ×4, first 2 shown]
	v_rcp_f64_e32 v[39:40], v[37:38]
	v_add_f64 v[35:36], v[37:38], -v[35:36]
	v_add_f64 v[43:44], v[45:46], -v[43:44]
	;; [unrolled: 1-line block ×4, first 2 shown]
	v_fma_f64 v[49:50], -v[37:38], v[39:40], 1.0
	v_fma_f64 v[39:40], v[49:50], v[39:40], v[39:40]
	v_fma_f64 v[27:28], -v[37:38], v[39:40], 1.0
	v_fma_f64 v[27:28], v[27:28], v[39:40], v[39:40]
	v_mul_f64 v[39:40], v[45:46], v[27:28]
	v_mul_f64 v[49:50], v[37:38], v[39:40]
	v_fma_f64 v[35:36], v[39:40], v[37:38], -v[49:50]
	v_fma_f64 v[35:36], v[39:40], v[33:34], v[35:36]
	v_add_f64 v[51:52], v[49:50], v[35:36]
	v_add_f64 v[53:54], v[45:46], -v[51:52]
	v_add_f64 v[43:44], v[51:52], -v[49:50]
	v_add_f64 v[45:46], v[45:46], -v[53:54]
	v_add_f64 v[35:36], v[43:44], -v[35:36]
	v_add_f64 v[45:46], v[45:46], -v[51:52]
	v_add_f64 v[25:26], v[25:26], v[45:46]
	v_add_f64 v[25:26], v[35:36], v[25:26]
	;; [unrolled: 1-line block ×3, first 2 shown]
	v_mul_f64 v[43:44], v[27:28], v[35:36]
	v_add_f64 v[51:52], v[53:54], -v[35:36]
	v_mul_f64 v[45:46], v[37:38], v[43:44]
	v_add_f64 v[25:26], v[25:26], v[51:52]
	v_fma_f64 v[37:38], v[43:44], v[37:38], -v[45:46]
	v_fma_f64 v[33:34], v[43:44], v[33:34], v[37:38]
	v_add_f64 v[37:38], v[45:46], v[33:34]
	v_add_f64 v[49:50], v[35:36], -v[37:38]
	v_add_f64 v[45:46], v[37:38], -v[45:46]
	;; [unrolled: 1-line block ×5, first 2 shown]
	v_mov_b32_e32 v37, 0x6b47b09a
	v_mov_b32_e32 v38, 0x3fc38538
	v_add_f64 v[25:26], v[25:26], v[35:36]
	v_add_f64 v[35:36], v[39:40], v[43:44]
	;; [unrolled: 1-line block ×3, first 2 shown]
	v_add_f64 v[33:34], v[35:36], -v[39:40]
	v_add_f64 v[25:26], v[49:50], v[25:26]
	v_add_f64 v[33:34], v[43:44], -v[33:34]
	v_mul_f64 v[25:26], v[27:28], v[25:26]
	v_add_f64 v[25:26], v[33:34], v[25:26]
	v_add_f64 v[27:28], v[35:36], v[25:26]
	v_mul_f64 v[33:34], v[27:28], v[27:28]
	v_fma_f64 v[37:38], v[33:34], s[18:19], v[37:38]
	s_mov_b32 s18, 0xd7f4df2e
	s_mov_b32 s19, 0x3fc7474d
	v_mul_f64 v[39:40], v[27:28], v[33:34]
	v_fma_f64 v[37:38], v[33:34], v[37:38], s[18:19]
	s_mov_b32 s18, 0x16291751
	s_mov_b32 s19, 0x3fcc71c0
	v_fma_f64 v[37:38], v[33:34], v[37:38], s[18:19]
	s_mov_b32 s18, 0x9b27acf1
	s_mov_b32 s19, 0x3fd24924
	;; [unrolled: 3-line block ×3, first 2 shown]
	v_fma_f64 v[37:38], v[33:34], v[37:38], s[18:19]
	v_fma_f64 v[33:34], v[33:34], v[37:38], s[4:5]
	v_ldexp_f64 v[37:38], v[27:28], 1
	v_add_f64 v[27:28], v[27:28], -v[35:36]
	s_mov_b32 s4, 0
	s_mov_b32 s5, 0x7ff00000
	v_cmp_neq_f64_e64 s[4:5], s[4:5], v[23:24]
	v_mul_f64 v[33:34], v[39:40], v[33:34]
	v_cvt_f64_i32_e32 v[39:40], v56
	v_add_f64 v[25:26], v[25:26], -v[27:28]
	v_mul_f64 v[43:44], v[39:40], s[14:15]
	s_and_b64 vcc, vcc, s[4:5]
	v_add_f64 v[35:36], v[37:38], v[33:34]
	v_ldexp_f64 v[25:26], v[25:26], 1
	v_add_f64 v[27:28], v[35:36], -v[37:38]
	v_fma_f64 v[37:38], v[39:40], s[14:15], -v[43:44]
	v_add_f64 v[27:28], v[33:34], -v[27:28]
	v_fma_f64 v[33:34], v[39:40], s[16:17], v[37:38]
	v_add_f64 v[25:26], v[25:26], v[27:28]
	v_add_f64 v[27:28], v[43:44], v[33:34]
	;; [unrolled: 1-line block ×3, first 2 shown]
	v_add_f64 v[43:44], v[27:28], -v[43:44]
	v_add_f64 v[39:40], v[27:28], v[37:38]
	v_add_f64 v[35:36], v[37:38], -v[35:36]
	v_add_f64 v[33:34], v[33:34], -v[43:44]
	v_add_f64 v[45:46], v[39:40], -v[27:28]
	v_add_f64 v[25:26], v[25:26], -v[35:36]
	v_add_f64 v[49:50], v[39:40], -v[45:46]
	v_add_f64 v[35:36], v[37:38], -v[45:46]
	v_add_f64 v[37:38], v[33:34], v[25:26]
	v_add_f64 v[27:28], v[27:28], -v[49:50]
	v_add_f64 v[27:28], v[35:36], v[27:28]
	v_add_f64 v[35:36], v[37:38], -v[33:34]
	;; [unrolled: 2-line block ×3, first 2 shown]
	v_add_f64 v[25:26], v[25:26], -v[35:36]
	v_add_f64 v[43:44], v[39:40], v[27:28]
	v_add_f64 v[33:34], v[33:34], -v[37:38]
	v_add_f64 v[35:36], v[43:44], -v[39:40]
	v_add_f64 v[25:26], v[25:26], v[33:34]
	v_add_f64 v[27:28], v[27:28], -v[35:36]
	v_add_f64 v[25:26], v[25:26], v[27:28]
	v_mov_b32_e32 v27, 0x7ff80000
	v_mov_b32_e32 v28, 0xfff00000
	v_add_f64 v[25:26], v[43:44], v[25:26]
	v_cndmask_b32_e32 v25, 0, v25, vcc
	v_cmp_ngt_f64_e32 vcc, -1.0, v[23:24]
	v_cndmask_b32_e64 v26, v55, v26, s[4:5]
	v_cndmask_b32_e32 v26, v27, v26, vcc
	v_cmp_neq_f64_e32 vcc, -1.0, v[23:24]
	v_cndmask_b32_e32 v26, v28, v26, vcc
	v_add_f64 v[49:50], v[21:22], v[25:26]
.LBB70_35:
	s_or_b64 exec, exec, s[12:13]
	v_max_f64 v[35:36], v[13:14], v[13:14]
	v_max_f64 v[21:22], v[49:50], v[49:50]
	v_cmp_u_f64_e32 vcc, v[49:50], v[49:50]
	v_cmp_u_f64_e64 s[12:13], v[13:14], v[13:14]
	v_min_f64 v[23:24], v[21:22], v[35:36]
	v_max_f64 v[21:22], v[21:22], v[35:36]
	v_cndmask_b32_e32 v23, v23, v49, vcc
	v_cndmask_b32_e32 v24, v24, v50, vcc
	;; [unrolled: 1-line block ×4, first 2 shown]
	v_cndmask_b32_e64 v24, v24, v14, s[12:13]
	v_cndmask_b32_e64 v23, v23, v13, s[12:13]
	;; [unrolled: 1-line block ×4, first 2 shown]
	v_cmp_neq_f64_e32 vcc, v[23:24], v[21:22]
	v_cmp_class_f64_e64 s[4:5], v[23:24], s1
	s_or_b64 s[4:5], vcc, s[4:5]
	s_and_saveexec_b64 s[14:15], s[4:5]
	s_cbranch_execz .LBB70_37
; %bb.36:
	v_add_f64 v[23:24], v[23:24], -v[21:22]
	s_mov_b32 s4, 0x652b82fe
	s_mov_b32 s5, 0x3ff71547
	;; [unrolled: 1-line block ×6, first 2 shown]
	v_mov_b32_e32 v33, 0xfca7ab0c
	v_mul_f64 v[25:26], v[23:24], s[4:5]
	s_mov_b32 s4, 0x6a5dcb37
	v_mov_b32_e32 v34, 0x3e928af3
	s_mov_b32 s5, 0x3e5ade15
	s_mov_b32 s20, 0
	;; [unrolled: 1-line block ×3, first 2 shown]
	v_mov_b32_e32 v57, 0x7ff00000
	v_rndne_f64_e32 v[25:26], v[25:26]
	v_fma_f64 v[27:28], v[25:26], s[16:17], v[23:24]
	s_mov_b32 s17, 0x3fe62e42
	v_fma_f64 v[27:28], v[25:26], s[18:19], v[27:28]
	v_cvt_i32_f64_e32 v25, v[25:26]
	s_mov_b32 s19, 0x3c7abc9e
	v_fma_f64 v[33:34], v[27:28], s[4:5], v[33:34]
	s_mov_b32 s4, 0x623fde64
	s_mov_b32 s5, 0x3ec71dee
	v_fma_f64 v[33:34], v[27:28], v[33:34], s[4:5]
	s_mov_b32 s4, 0x7c89e6b0
	;; [unrolled: 3-line block ×9, first 2 shown]
	s_mov_b32 s5, 0x40900000
	v_cmp_nlt_f64_e32 vcc, s[4:5], v[23:24]
	v_cmp_ngt_f64_e64 s[4:5], s[20:21], v[23:24]
	s_mov_b32 s20, 0xbf559e2b
	s_mov_b32 s21, 0x3fc3ab76
	v_fma_f64 v[33:34], v[27:28], v[33:34], 1.0
	v_fma_f64 v[27:28], v[27:28], v[33:34], 1.0
	v_ldexp_f64 v[25:26], v[27:28], v25
	v_cndmask_b32_e32 v26, v57, v26, vcc
	s_and_b64 vcc, s[4:5], vcc
	v_cndmask_b32_e64 v24, 0, v26, s[4:5]
	v_cndmask_b32_e32 v23, 0, v25, vcc
	v_add_f64 v[25:26], v[23:24], 1.0
	s_mov_b32 s5, 0x3fe55555
	s_mov_b32 s4, 0x55555555
	v_frexp_mant_f64_e32 v[33:34], v[25:26]
	v_frexp_exp_i32_f64_e32 v39, v[25:26]
	v_add_f64 v[27:28], v[25:26], -1.0
	v_cmp_gt_f64_e32 vcc, s[4:5], v[33:34]
	s_mov_b32 s4, 0x55555780
	v_add_f64 v[37:38], v[27:28], -v[25:26]
	v_add_f64 v[27:28], v[23:24], -v[27:28]
	v_subbrev_co_u32_e32 v58, vcc, 0, v39, vcc
	v_sub_u32_e32 v39, 0, v58
	v_ldexp_f64 v[25:26], v[25:26], v39
	v_add_f64 v[33:34], v[37:38], 1.0
	v_cmp_nge_f64_e32 vcc, -1.0, v[23:24]
	v_add_f64 v[37:38], v[25:26], 1.0
	v_add_f64 v[27:28], v[27:28], v[33:34]
	v_add_f64 v[45:46], v[25:26], -1.0
	v_add_f64 v[33:34], v[37:38], -1.0
	v_ldexp_f64 v[27:28], v[27:28], v39
	v_add_f64 v[49:50], v[45:46], 1.0
	v_add_f64 v[33:34], v[25:26], -v[33:34]
	v_add_f64 v[25:26], v[25:26], -v[49:50]
	v_add_f64 v[33:34], v[27:28], v[33:34]
	v_add_f64 v[25:26], v[27:28], v[25:26]
	;; [unrolled: 1-line block ×4, first 2 shown]
	v_rcp_f64_e32 v[43:44], v[39:40]
	v_add_f64 v[37:38], v[39:40], -v[37:38]
	v_add_f64 v[45:46], v[49:50], -v[45:46]
	;; [unrolled: 1-line block ×4, first 2 shown]
	v_fma_f64 v[51:52], -v[39:40], v[43:44], 1.0
	v_fma_f64 v[43:44], v[51:52], v[43:44], v[43:44]
	v_fma_f64 v[27:28], -v[39:40], v[43:44], 1.0
	v_fma_f64 v[27:28], v[27:28], v[43:44], v[43:44]
	v_mul_f64 v[43:44], v[49:50], v[27:28]
	v_mul_f64 v[51:52], v[39:40], v[43:44]
	v_fma_f64 v[37:38], v[43:44], v[39:40], -v[51:52]
	v_fma_f64 v[37:38], v[43:44], v[33:34], v[37:38]
	v_add_f64 v[53:54], v[51:52], v[37:38]
	v_add_f64 v[55:56], v[49:50], -v[53:54]
	v_add_f64 v[45:46], v[53:54], -v[51:52]
	;; [unrolled: 1-line block ×5, first 2 shown]
	v_add_f64 v[25:26], v[25:26], v[49:50]
	v_add_f64 v[25:26], v[37:38], v[25:26]
	;; [unrolled: 1-line block ×3, first 2 shown]
	v_mul_f64 v[45:46], v[27:28], v[37:38]
	v_add_f64 v[53:54], v[55:56], -v[37:38]
	v_mul_f64 v[49:50], v[39:40], v[45:46]
	v_add_f64 v[25:26], v[25:26], v[53:54]
	v_fma_f64 v[39:40], v[45:46], v[39:40], -v[49:50]
	v_fma_f64 v[33:34], v[45:46], v[33:34], v[39:40]
	v_add_f64 v[39:40], v[49:50], v[33:34]
	v_add_f64 v[51:52], v[37:38], -v[39:40]
	v_add_f64 v[49:50], v[39:40], -v[49:50]
	;; [unrolled: 1-line block ×5, first 2 shown]
	v_mov_b32_e32 v39, 0x6b47b09a
	v_mov_b32_e32 v40, 0x3fc38538
	v_add_f64 v[25:26], v[25:26], v[37:38]
	v_add_f64 v[37:38], v[43:44], v[45:46]
	;; [unrolled: 1-line block ×3, first 2 shown]
	v_add_f64 v[33:34], v[37:38], -v[43:44]
	v_add_f64 v[25:26], v[51:52], v[25:26]
	v_add_f64 v[33:34], v[45:46], -v[33:34]
	v_mul_f64 v[25:26], v[27:28], v[25:26]
	v_add_f64 v[25:26], v[33:34], v[25:26]
	v_add_f64 v[27:28], v[37:38], v[25:26]
	v_mul_f64 v[33:34], v[27:28], v[27:28]
	v_fma_f64 v[39:40], v[33:34], s[20:21], v[39:40]
	s_mov_b32 s20, 0xd7f4df2e
	s_mov_b32 s21, 0x3fc7474d
	v_mul_f64 v[43:44], v[27:28], v[33:34]
	v_fma_f64 v[39:40], v[33:34], v[39:40], s[20:21]
	s_mov_b32 s20, 0x16291751
	s_mov_b32 s21, 0x3fcc71c0
	v_fma_f64 v[39:40], v[33:34], v[39:40], s[20:21]
	s_mov_b32 s20, 0x9b27acf1
	s_mov_b32 s21, 0x3fd24924
	;; [unrolled: 3-line block ×3, first 2 shown]
	v_fma_f64 v[39:40], v[33:34], v[39:40], s[20:21]
	v_fma_f64 v[33:34], v[33:34], v[39:40], s[4:5]
	v_ldexp_f64 v[39:40], v[27:28], 1
	v_add_f64 v[27:28], v[27:28], -v[37:38]
	s_mov_b32 s4, 0
	s_mov_b32 s5, 0x7ff00000
	v_cmp_neq_f64_e64 s[4:5], s[4:5], v[23:24]
	v_mul_f64 v[33:34], v[43:44], v[33:34]
	v_cvt_f64_i32_e32 v[43:44], v58
	v_add_f64 v[25:26], v[25:26], -v[27:28]
	v_mul_f64 v[45:46], v[43:44], s[16:17]
	s_and_b64 vcc, vcc, s[4:5]
	v_add_f64 v[37:38], v[39:40], v[33:34]
	v_ldexp_f64 v[25:26], v[25:26], 1
	v_add_f64 v[27:28], v[37:38], -v[39:40]
	v_fma_f64 v[39:40], v[43:44], s[16:17], -v[45:46]
	v_add_f64 v[27:28], v[33:34], -v[27:28]
	v_fma_f64 v[33:34], v[43:44], s[18:19], v[39:40]
	v_add_f64 v[25:26], v[25:26], v[27:28]
	v_add_f64 v[27:28], v[45:46], v[33:34]
	;; [unrolled: 1-line block ×3, first 2 shown]
	v_add_f64 v[45:46], v[27:28], -v[45:46]
	v_add_f64 v[43:44], v[27:28], v[39:40]
	v_add_f64 v[37:38], v[39:40], -v[37:38]
	v_add_f64 v[33:34], v[33:34], -v[45:46]
	;; [unrolled: 1-line block ×6, first 2 shown]
	v_add_f64 v[39:40], v[33:34], v[25:26]
	v_add_f64 v[27:28], v[27:28], -v[51:52]
	v_add_f64 v[27:28], v[37:38], v[27:28]
	v_add_f64 v[37:38], v[39:40], -v[33:34]
	;; [unrolled: 2-line block ×3, first 2 shown]
	v_add_f64 v[25:26], v[25:26], -v[37:38]
	v_add_f64 v[45:46], v[43:44], v[27:28]
	v_add_f64 v[33:34], v[33:34], -v[39:40]
	v_add_f64 v[37:38], v[45:46], -v[43:44]
	v_add_f64 v[25:26], v[25:26], v[33:34]
	v_add_f64 v[27:28], v[27:28], -v[37:38]
	v_add_f64 v[25:26], v[25:26], v[27:28]
	v_mov_b32_e32 v27, 0x7ff80000
	v_mov_b32_e32 v28, 0xfff00000
	v_add_f64 v[25:26], v[45:46], v[25:26]
	v_cndmask_b32_e32 v25, 0, v25, vcc
	v_cmp_ngt_f64_e32 vcc, -1.0, v[23:24]
	v_cndmask_b32_e64 v26, v57, v26, s[4:5]
	v_cndmask_b32_e32 v26, v27, v26, vcc
	v_cmp_neq_f64_e32 vcc, -1.0, v[23:24]
	v_cndmask_b32_e32 v26, v28, v26, vcc
	v_add_f64 v[49:50], v[21:22], v[25:26]
.LBB70_37:
	s_or_b64 exec, exec, s[14:15]
	v_max_f64 v[33:34], v[15:16], v[15:16]
	v_max_f64 v[21:22], v[49:50], v[49:50]
	v_cmp_u_f64_e32 vcc, v[49:50], v[49:50]
	v_cmp_u_f64_e64 s[14:15], v[15:16], v[15:16]
	v_min_f64 v[23:24], v[21:22], v[33:34]
	v_max_f64 v[21:22], v[21:22], v[33:34]
	v_cndmask_b32_e32 v23, v23, v49, vcc
	v_cndmask_b32_e32 v24, v24, v50, vcc
	;; [unrolled: 1-line block ×4, first 2 shown]
	v_cndmask_b32_e64 v24, v24, v16, s[14:15]
	v_cndmask_b32_e64 v23, v23, v15, s[14:15]
	;; [unrolled: 1-line block ×4, first 2 shown]
	v_cmp_neq_f64_e32 vcc, v[23:24], v[21:22]
	v_cmp_class_f64_e64 s[4:5], v[23:24], s1
	s_or_b64 s[4:5], vcc, s[4:5]
	s_and_saveexec_b64 s[16:17], s[4:5]
	s_cbranch_execz .LBB70_39
; %bb.38:
	v_add_f64 v[23:24], v[23:24], -v[21:22]
	s_mov_b32 s4, 0x652b82fe
	s_mov_b32 s5, 0x3ff71547
	;; [unrolled: 1-line block ×6, first 2 shown]
	v_mov_b32_e32 v37, 0xfca7ab0c
	v_mul_f64 v[25:26], v[23:24], s[4:5]
	s_mov_b32 s4, 0x6a5dcb37
	v_mov_b32_e32 v38, 0x3e928af3
	s_mov_b32 s5, 0x3e5ade15
	s_mov_b32 s22, 0
	;; [unrolled: 1-line block ×3, first 2 shown]
	v_mov_b32_e32 v59, 0x7ff00000
	v_rndne_f64_e32 v[25:26], v[25:26]
	v_fma_f64 v[27:28], v[25:26], s[18:19], v[23:24]
	s_mov_b32 s19, 0x3fe62e42
	v_fma_f64 v[27:28], v[25:26], s[20:21], v[27:28]
	v_cvt_i32_f64_e32 v25, v[25:26]
	s_mov_b32 s21, 0x3c7abc9e
	v_fma_f64 v[37:38], v[27:28], s[4:5], v[37:38]
	s_mov_b32 s4, 0x623fde64
	s_mov_b32 s5, 0x3ec71dee
	v_fma_f64 v[37:38], v[27:28], v[37:38], s[4:5]
	s_mov_b32 s4, 0x7c89e6b0
	;; [unrolled: 3-line block ×9, first 2 shown]
	s_mov_b32 s5, 0x40900000
	v_cmp_nlt_f64_e32 vcc, s[4:5], v[23:24]
	v_cmp_ngt_f64_e64 s[4:5], s[22:23], v[23:24]
	s_mov_b32 s22, 0xbf559e2b
	s_mov_b32 s23, 0x3fc3ab76
	v_fma_f64 v[37:38], v[27:28], v[37:38], 1.0
	v_fma_f64 v[27:28], v[27:28], v[37:38], 1.0
	v_ldexp_f64 v[25:26], v[27:28], v25
	v_cndmask_b32_e32 v26, v59, v26, vcc
	s_and_b64 vcc, s[4:5], vcc
	v_cndmask_b32_e64 v24, 0, v26, s[4:5]
	v_cndmask_b32_e32 v23, 0, v25, vcc
	v_add_f64 v[25:26], v[23:24], 1.0
	s_mov_b32 s5, 0x3fe55555
	s_mov_b32 s4, 0x55555555
	v_frexp_mant_f64_e32 v[37:38], v[25:26]
	v_frexp_exp_i32_f64_e32 v43, v[25:26]
	v_add_f64 v[27:28], v[25:26], -1.0
	v_cmp_gt_f64_e32 vcc, s[4:5], v[37:38]
	s_mov_b32 s4, 0x55555780
	v_add_f64 v[39:40], v[27:28], -v[25:26]
	v_add_f64 v[27:28], v[23:24], -v[27:28]
	v_subbrev_co_u32_e32 v60, vcc, 0, v43, vcc
	v_sub_u32_e32 v43, 0, v60
	v_ldexp_f64 v[25:26], v[25:26], v43
	v_add_f64 v[37:38], v[39:40], 1.0
	v_cmp_nge_f64_e32 vcc, -1.0, v[23:24]
	v_add_f64 v[39:40], v[25:26], 1.0
	v_add_f64 v[27:28], v[27:28], v[37:38]
	v_add_f64 v[49:50], v[25:26], -1.0
	v_add_f64 v[37:38], v[39:40], -1.0
	v_ldexp_f64 v[27:28], v[27:28], v43
	v_add_f64 v[51:52], v[49:50], 1.0
	v_add_f64 v[37:38], v[25:26], -v[37:38]
	v_add_f64 v[25:26], v[25:26], -v[51:52]
	v_add_f64 v[37:38], v[27:28], v[37:38]
	v_add_f64 v[25:26], v[27:28], v[25:26]
	;; [unrolled: 1-line block ×4, first 2 shown]
	v_rcp_f64_e32 v[45:46], v[43:44]
	v_add_f64 v[39:40], v[43:44], -v[39:40]
	v_add_f64 v[49:50], v[51:52], -v[49:50]
	;; [unrolled: 1-line block ×4, first 2 shown]
	v_fma_f64 v[53:54], -v[43:44], v[45:46], 1.0
	v_fma_f64 v[45:46], v[53:54], v[45:46], v[45:46]
	v_fma_f64 v[27:28], -v[43:44], v[45:46], 1.0
	v_fma_f64 v[27:28], v[27:28], v[45:46], v[45:46]
	v_mul_f64 v[45:46], v[51:52], v[27:28]
	v_mul_f64 v[53:54], v[43:44], v[45:46]
	v_fma_f64 v[39:40], v[45:46], v[43:44], -v[53:54]
	v_fma_f64 v[39:40], v[45:46], v[37:38], v[39:40]
	v_add_f64 v[55:56], v[53:54], v[39:40]
	v_add_f64 v[57:58], v[51:52], -v[55:56]
	v_add_f64 v[49:50], v[55:56], -v[53:54]
	;; [unrolled: 1-line block ×5, first 2 shown]
	v_add_f64 v[25:26], v[25:26], v[51:52]
	v_add_f64 v[25:26], v[39:40], v[25:26]
	;; [unrolled: 1-line block ×3, first 2 shown]
	v_mul_f64 v[49:50], v[27:28], v[39:40]
	v_add_f64 v[55:56], v[57:58], -v[39:40]
	v_mul_f64 v[51:52], v[43:44], v[49:50]
	v_add_f64 v[25:26], v[25:26], v[55:56]
	v_fma_f64 v[43:44], v[49:50], v[43:44], -v[51:52]
	v_fma_f64 v[37:38], v[49:50], v[37:38], v[43:44]
	v_add_f64 v[43:44], v[51:52], v[37:38]
	v_add_f64 v[53:54], v[39:40], -v[43:44]
	v_add_f64 v[51:52], v[43:44], -v[51:52]
	;; [unrolled: 1-line block ×5, first 2 shown]
	v_mov_b32_e32 v43, 0x6b47b09a
	v_mov_b32_e32 v44, 0x3fc38538
	v_add_f64 v[25:26], v[25:26], v[39:40]
	v_add_f64 v[39:40], v[45:46], v[49:50]
	v_add_f64 v[25:26], v[37:38], v[25:26]
	v_add_f64 v[37:38], v[39:40], -v[45:46]
	v_add_f64 v[25:26], v[53:54], v[25:26]
	v_add_f64 v[37:38], v[49:50], -v[37:38]
	v_mul_f64 v[25:26], v[27:28], v[25:26]
	v_add_f64 v[25:26], v[37:38], v[25:26]
	v_add_f64 v[27:28], v[39:40], v[25:26]
	v_mul_f64 v[37:38], v[27:28], v[27:28]
	v_fma_f64 v[43:44], v[37:38], s[22:23], v[43:44]
	s_mov_b32 s22, 0xd7f4df2e
	s_mov_b32 s23, 0x3fc7474d
	v_mul_f64 v[45:46], v[27:28], v[37:38]
	v_fma_f64 v[43:44], v[37:38], v[43:44], s[22:23]
	s_mov_b32 s22, 0x16291751
	s_mov_b32 s23, 0x3fcc71c0
	v_fma_f64 v[43:44], v[37:38], v[43:44], s[22:23]
	s_mov_b32 s22, 0x9b27acf1
	s_mov_b32 s23, 0x3fd24924
	;; [unrolled: 3-line block ×3, first 2 shown]
	v_fma_f64 v[43:44], v[37:38], v[43:44], s[22:23]
	v_fma_f64 v[37:38], v[37:38], v[43:44], s[4:5]
	v_ldexp_f64 v[43:44], v[27:28], 1
	v_add_f64 v[27:28], v[27:28], -v[39:40]
	s_mov_b32 s4, 0
	s_mov_b32 s5, 0x7ff00000
	v_cmp_neq_f64_e64 s[4:5], s[4:5], v[23:24]
	v_mul_f64 v[37:38], v[45:46], v[37:38]
	v_cvt_f64_i32_e32 v[45:46], v60
	v_add_f64 v[25:26], v[25:26], -v[27:28]
	v_mul_f64 v[49:50], v[45:46], s[18:19]
	s_and_b64 vcc, vcc, s[4:5]
	v_add_f64 v[39:40], v[43:44], v[37:38]
	v_ldexp_f64 v[25:26], v[25:26], 1
	v_add_f64 v[27:28], v[39:40], -v[43:44]
	v_fma_f64 v[43:44], v[45:46], s[18:19], -v[49:50]
	v_add_f64 v[27:28], v[37:38], -v[27:28]
	v_fma_f64 v[37:38], v[45:46], s[20:21], v[43:44]
	v_add_f64 v[25:26], v[25:26], v[27:28]
	v_add_f64 v[27:28], v[49:50], v[37:38]
	;; [unrolled: 1-line block ×3, first 2 shown]
	v_add_f64 v[49:50], v[27:28], -v[49:50]
	v_add_f64 v[45:46], v[27:28], v[43:44]
	v_add_f64 v[39:40], v[43:44], -v[39:40]
	v_add_f64 v[37:38], v[37:38], -v[49:50]
	;; [unrolled: 1-line block ×6, first 2 shown]
	v_add_f64 v[43:44], v[37:38], v[25:26]
	v_add_f64 v[27:28], v[27:28], -v[53:54]
	v_add_f64 v[27:28], v[39:40], v[27:28]
	v_add_f64 v[39:40], v[43:44], -v[37:38]
	;; [unrolled: 2-line block ×3, first 2 shown]
	v_add_f64 v[25:26], v[25:26], -v[39:40]
	v_add_f64 v[49:50], v[45:46], v[27:28]
	v_add_f64 v[37:38], v[37:38], -v[43:44]
	v_add_f64 v[39:40], v[49:50], -v[45:46]
	v_add_f64 v[25:26], v[25:26], v[37:38]
	v_add_f64 v[27:28], v[27:28], -v[39:40]
	v_add_f64 v[25:26], v[25:26], v[27:28]
	v_mov_b32_e32 v27, 0x7ff80000
	v_mov_b32_e32 v28, 0xfff00000
	v_add_f64 v[25:26], v[49:50], v[25:26]
	v_cndmask_b32_e32 v25, 0, v25, vcc
	v_cmp_ngt_f64_e32 vcc, -1.0, v[23:24]
	v_cndmask_b32_e64 v26, v59, v26, s[4:5]
	v_cndmask_b32_e32 v26, v27, v26, vcc
	v_cmp_neq_f64_e32 vcc, -1.0, v[23:24]
	v_cndmask_b32_e32 v26, v28, v26, vcc
	v_add_f64 v[49:50], v[21:22], v[25:26]
.LBB70_39:
	s_or_b64 exec, exec, s[16:17]
	v_max_f64 v[39:40], v[9:10], v[9:10]
	v_max_f64 v[21:22], v[49:50], v[49:50]
	v_cmp_u_f64_e32 vcc, v[49:50], v[49:50]
	v_cmp_u_f64_e64 s[16:17], v[9:10], v[9:10]
	v_min_f64 v[23:24], v[21:22], v[39:40]
	v_max_f64 v[21:22], v[21:22], v[39:40]
	v_cndmask_b32_e32 v23, v23, v49, vcc
	v_cndmask_b32_e32 v24, v24, v50, vcc
	;; [unrolled: 1-line block ×4, first 2 shown]
	v_cndmask_b32_e64 v24, v24, v10, s[16:17]
	v_cndmask_b32_e64 v23, v23, v9, s[16:17]
	;; [unrolled: 1-line block ×4, first 2 shown]
	v_cmp_neq_f64_e32 vcc, v[23:24], v[21:22]
	v_cmp_class_f64_e64 s[4:5], v[23:24], s1
	s_or_b64 s[4:5], vcc, s[4:5]
	s_and_saveexec_b64 s[18:19], s[4:5]
	s_cbranch_execz .LBB70_41
; %bb.40:
	v_add_f64 v[23:24], v[23:24], -v[21:22]
	s_mov_b32 s4, 0x652b82fe
	s_mov_b32 s5, 0x3ff71547
	;; [unrolled: 1-line block ×6, first 2 shown]
	v_mov_b32_e32 v37, 0xfca7ab0c
	v_mul_f64 v[25:26], v[23:24], s[4:5]
	s_mov_b32 s4, 0x6a5dcb37
	v_mov_b32_e32 v38, 0x3e928af3
	s_mov_b32 s5, 0x3e5ade15
	s_mov_b32 s26, 0
	;; [unrolled: 1-line block ×3, first 2 shown]
	v_mov_b32_e32 v61, 0x7ff00000
	v_rndne_f64_e32 v[25:26], v[25:26]
	v_fma_f64 v[27:28], v[25:26], s[20:21], v[23:24]
	s_mov_b32 s21, 0x3fe62e42
	v_fma_f64 v[27:28], v[25:26], s[22:23], v[27:28]
	v_cvt_i32_f64_e32 v25, v[25:26]
	s_mov_b32 s23, 0x3c7abc9e
	v_fma_f64 v[37:38], v[27:28], s[4:5], v[37:38]
	s_mov_b32 s4, 0x623fde64
	s_mov_b32 s5, 0x3ec71dee
	v_fma_f64 v[37:38], v[27:28], v[37:38], s[4:5]
	s_mov_b32 s4, 0x7c89e6b0
	;; [unrolled: 3-line block ×9, first 2 shown]
	s_mov_b32 s5, 0x40900000
	v_cmp_nlt_f64_e32 vcc, s[4:5], v[23:24]
	v_cmp_ngt_f64_e64 s[4:5], s[26:27], v[23:24]
	s_mov_b32 s26, 0xbf559e2b
	s_mov_b32 s27, 0x3fc3ab76
	v_fma_f64 v[37:38], v[27:28], v[37:38], 1.0
	v_fma_f64 v[27:28], v[27:28], v[37:38], 1.0
	v_ldexp_f64 v[25:26], v[27:28], v25
	v_cndmask_b32_e32 v26, v61, v26, vcc
	s_and_b64 vcc, s[4:5], vcc
	v_cndmask_b32_e64 v24, 0, v26, s[4:5]
	v_cndmask_b32_e32 v23, 0, v25, vcc
	v_add_f64 v[25:26], v[23:24], 1.0
	s_mov_b32 s5, 0x3fe55555
	s_mov_b32 s4, 0x55555555
	v_frexp_mant_f64_e32 v[37:38], v[25:26]
	v_frexp_exp_i32_f64_e32 v45, v[25:26]
	v_add_f64 v[27:28], v[25:26], -1.0
	v_cmp_gt_f64_e32 vcc, s[4:5], v[37:38]
	s_mov_b32 s4, 0x55555780
	v_add_f64 v[43:44], v[27:28], -v[25:26]
	v_add_f64 v[27:28], v[23:24], -v[27:28]
	v_subbrev_co_u32_e32 v62, vcc, 0, v45, vcc
	v_sub_u32_e32 v45, 0, v62
	v_ldexp_f64 v[25:26], v[25:26], v45
	v_add_f64 v[37:38], v[43:44], 1.0
	v_cmp_nge_f64_e32 vcc, -1.0, v[23:24]
	v_add_f64 v[43:44], v[25:26], 1.0
	v_add_f64 v[27:28], v[27:28], v[37:38]
	v_add_f64 v[51:52], v[25:26], -1.0
	v_add_f64 v[37:38], v[43:44], -1.0
	v_ldexp_f64 v[27:28], v[27:28], v45
	v_add_f64 v[53:54], v[51:52], 1.0
	v_add_f64 v[37:38], v[25:26], -v[37:38]
	v_add_f64 v[25:26], v[25:26], -v[53:54]
	v_add_f64 v[37:38], v[27:28], v[37:38]
	v_add_f64 v[25:26], v[27:28], v[25:26]
	;; [unrolled: 1-line block ×4, first 2 shown]
	v_rcp_f64_e32 v[49:50], v[45:46]
	v_add_f64 v[43:44], v[45:46], -v[43:44]
	v_add_f64 v[51:52], v[53:54], -v[51:52]
	;; [unrolled: 1-line block ×4, first 2 shown]
	v_fma_f64 v[55:56], -v[45:46], v[49:50], 1.0
	v_fma_f64 v[49:50], v[55:56], v[49:50], v[49:50]
	v_fma_f64 v[27:28], -v[45:46], v[49:50], 1.0
	v_fma_f64 v[27:28], v[27:28], v[49:50], v[49:50]
	v_mul_f64 v[49:50], v[53:54], v[27:28]
	v_mul_f64 v[55:56], v[45:46], v[49:50]
	v_fma_f64 v[43:44], v[49:50], v[45:46], -v[55:56]
	v_fma_f64 v[43:44], v[49:50], v[37:38], v[43:44]
	v_add_f64 v[57:58], v[55:56], v[43:44]
	v_add_f64 v[59:60], v[53:54], -v[57:58]
	v_add_f64 v[51:52], v[57:58], -v[55:56]
	;; [unrolled: 1-line block ×5, first 2 shown]
	v_add_f64 v[25:26], v[25:26], v[53:54]
	v_add_f64 v[25:26], v[43:44], v[25:26]
	;; [unrolled: 1-line block ×3, first 2 shown]
	v_mul_f64 v[51:52], v[27:28], v[43:44]
	v_add_f64 v[57:58], v[59:60], -v[43:44]
	v_mul_f64 v[53:54], v[45:46], v[51:52]
	v_add_f64 v[25:26], v[25:26], v[57:58]
	v_fma_f64 v[45:46], v[51:52], v[45:46], -v[53:54]
	v_fma_f64 v[37:38], v[51:52], v[37:38], v[45:46]
	v_add_f64 v[45:46], v[53:54], v[37:38]
	v_add_f64 v[55:56], v[43:44], -v[45:46]
	v_add_f64 v[53:54], v[45:46], -v[53:54]
	;; [unrolled: 1-line block ×5, first 2 shown]
	v_mov_b32_e32 v45, 0x6b47b09a
	v_mov_b32_e32 v46, 0x3fc38538
	v_add_f64 v[25:26], v[25:26], v[43:44]
	v_add_f64 v[43:44], v[49:50], v[51:52]
	;; [unrolled: 1-line block ×3, first 2 shown]
	v_add_f64 v[37:38], v[43:44], -v[49:50]
	v_add_f64 v[25:26], v[55:56], v[25:26]
	v_add_f64 v[37:38], v[51:52], -v[37:38]
	v_mul_f64 v[25:26], v[27:28], v[25:26]
	v_add_f64 v[25:26], v[37:38], v[25:26]
	v_add_f64 v[27:28], v[43:44], v[25:26]
	v_mul_f64 v[37:38], v[27:28], v[27:28]
	v_fma_f64 v[45:46], v[37:38], s[26:27], v[45:46]
	s_mov_b32 s26, 0xd7f4df2e
	s_mov_b32 s27, 0x3fc7474d
	v_mul_f64 v[49:50], v[27:28], v[37:38]
	v_fma_f64 v[45:46], v[37:38], v[45:46], s[26:27]
	s_mov_b32 s26, 0x16291751
	s_mov_b32 s27, 0x3fcc71c0
	v_fma_f64 v[45:46], v[37:38], v[45:46], s[26:27]
	s_mov_b32 s26, 0x9b27acf1
	s_mov_b32 s27, 0x3fd24924
	;; [unrolled: 3-line block ×3, first 2 shown]
	v_fma_f64 v[45:46], v[37:38], v[45:46], s[26:27]
	v_fma_f64 v[37:38], v[37:38], v[45:46], s[4:5]
	v_ldexp_f64 v[45:46], v[27:28], 1
	v_add_f64 v[27:28], v[27:28], -v[43:44]
	s_mov_b32 s4, 0
	s_mov_b32 s5, 0x7ff00000
	v_cmp_neq_f64_e64 s[4:5], s[4:5], v[23:24]
	v_mul_f64 v[37:38], v[49:50], v[37:38]
	v_cvt_f64_i32_e32 v[49:50], v62
	v_add_f64 v[25:26], v[25:26], -v[27:28]
	v_mul_f64 v[51:52], v[49:50], s[20:21]
	s_and_b64 vcc, vcc, s[4:5]
	v_add_f64 v[43:44], v[45:46], v[37:38]
	v_ldexp_f64 v[25:26], v[25:26], 1
	v_add_f64 v[27:28], v[43:44], -v[45:46]
	v_fma_f64 v[45:46], v[49:50], s[20:21], -v[51:52]
	v_add_f64 v[27:28], v[37:38], -v[27:28]
	v_fma_f64 v[37:38], v[49:50], s[22:23], v[45:46]
	v_add_f64 v[25:26], v[25:26], v[27:28]
	v_add_f64 v[27:28], v[51:52], v[37:38]
	;; [unrolled: 1-line block ×3, first 2 shown]
	v_add_f64 v[51:52], v[27:28], -v[51:52]
	v_add_f64 v[49:50], v[27:28], v[45:46]
	v_add_f64 v[43:44], v[45:46], -v[43:44]
	v_add_f64 v[37:38], v[37:38], -v[51:52]
	;; [unrolled: 1-line block ×6, first 2 shown]
	v_add_f64 v[45:46], v[37:38], v[25:26]
	v_add_f64 v[27:28], v[27:28], -v[55:56]
	v_add_f64 v[27:28], v[43:44], v[27:28]
	v_add_f64 v[43:44], v[45:46], -v[37:38]
	;; [unrolled: 2-line block ×3, first 2 shown]
	v_add_f64 v[25:26], v[25:26], -v[43:44]
	v_add_f64 v[51:52], v[49:50], v[27:28]
	v_add_f64 v[37:38], v[37:38], -v[45:46]
	v_add_f64 v[43:44], v[51:52], -v[49:50]
	v_add_f64 v[25:26], v[25:26], v[37:38]
	v_add_f64 v[27:28], v[27:28], -v[43:44]
	v_add_f64 v[25:26], v[25:26], v[27:28]
	v_mov_b32_e32 v27, 0x7ff80000
	v_mov_b32_e32 v28, 0xfff00000
	v_add_f64 v[25:26], v[51:52], v[25:26]
	v_cndmask_b32_e32 v25, 0, v25, vcc
	v_cmp_ngt_f64_e32 vcc, -1.0, v[23:24]
	v_cndmask_b32_e64 v26, v61, v26, s[4:5]
	v_cndmask_b32_e32 v26, v27, v26, vcc
	v_cmp_neq_f64_e32 vcc, -1.0, v[23:24]
	v_cndmask_b32_e32 v26, v28, v26, vcc
	v_add_f64 v[49:50], v[21:22], v[25:26]
.LBB70_41:
	s_or_b64 exec, exec, s[18:19]
	v_max_f64 v[37:38], v[11:12], v[11:12]
	v_max_f64 v[21:22], v[49:50], v[49:50]
	v_cmp_u_f64_e32 vcc, v[49:50], v[49:50]
	v_cmp_u_f64_e64 s[18:19], v[11:12], v[11:12]
	v_min_f64 v[23:24], v[21:22], v[37:38]
	v_max_f64 v[21:22], v[21:22], v[37:38]
	v_cndmask_b32_e32 v23, v23, v49, vcc
	v_cndmask_b32_e32 v24, v24, v50, vcc
	;; [unrolled: 1-line block ×4, first 2 shown]
	v_cndmask_b32_e64 v24, v24, v12, s[18:19]
	v_cndmask_b32_e64 v23, v23, v11, s[18:19]
	;; [unrolled: 1-line block ×4, first 2 shown]
	v_cmp_neq_f64_e32 vcc, v[23:24], v[21:22]
	v_cmp_class_f64_e64 s[4:5], v[23:24], s1
	s_or_b64 s[4:5], vcc, s[4:5]
	s_and_saveexec_b64 s[20:21], s[4:5]
	s_cbranch_execz .LBB70_43
; %bb.42:
	v_add_f64 v[23:24], v[23:24], -v[21:22]
	s_mov_b32 s4, 0x652b82fe
	s_mov_b32 s5, 0x3ff71547
	;; [unrolled: 1-line block ×6, first 2 shown]
	v_mov_b32_e32 v43, 0xfca7ab0c
	v_mul_f64 v[25:26], v[23:24], s[4:5]
	s_mov_b32 s4, 0x6a5dcb37
	v_mov_b32_e32 v44, 0x3e928af3
	s_mov_b32 s5, 0x3e5ade15
	s_mov_b32 s30, 0
	;; [unrolled: 1-line block ×3, first 2 shown]
	v_mov_b32_e32 v63, 0x7ff00000
	v_rndne_f64_e32 v[25:26], v[25:26]
	v_fma_f64 v[27:28], v[25:26], s[22:23], v[23:24]
	s_mov_b32 s23, 0x3fe62e42
	v_fma_f64 v[27:28], v[25:26], s[26:27], v[27:28]
	v_cvt_i32_f64_e32 v25, v[25:26]
	s_mov_b32 s27, 0x3c7abc9e
	v_fma_f64 v[43:44], v[27:28], s[4:5], v[43:44]
	s_mov_b32 s4, 0x623fde64
	s_mov_b32 s5, 0x3ec71dee
	v_fma_f64 v[43:44], v[27:28], v[43:44], s[4:5]
	s_mov_b32 s4, 0x7c89e6b0
	;; [unrolled: 3-line block ×9, first 2 shown]
	s_mov_b32 s5, 0x40900000
	v_cmp_nlt_f64_e32 vcc, s[4:5], v[23:24]
	v_cmp_ngt_f64_e64 s[4:5], s[30:31], v[23:24]
	s_mov_b32 s30, 0xbf559e2b
	s_mov_b32 s31, 0x3fc3ab76
	v_fma_f64 v[43:44], v[27:28], v[43:44], 1.0
	v_fma_f64 v[27:28], v[27:28], v[43:44], 1.0
	v_ldexp_f64 v[25:26], v[27:28], v25
	v_cndmask_b32_e32 v26, v63, v26, vcc
	s_and_b64 vcc, s[4:5], vcc
	v_cndmask_b32_e64 v24, 0, v26, s[4:5]
	v_cndmask_b32_e32 v23, 0, v25, vcc
	v_add_f64 v[25:26], v[23:24], 1.0
	s_mov_b32 s5, 0x3fe55555
	s_mov_b32 s4, 0x55555555
	v_frexp_mant_f64_e32 v[43:44], v[25:26]
	v_frexp_exp_i32_f64_e32 v49, v[25:26]
	v_add_f64 v[27:28], v[25:26], -1.0
	v_cmp_gt_f64_e32 vcc, s[4:5], v[43:44]
	s_mov_b32 s4, 0x55555780
	v_add_f64 v[45:46], v[27:28], -v[25:26]
	v_add_f64 v[27:28], v[23:24], -v[27:28]
	v_subbrev_co_u32_e32 v64, vcc, 0, v49, vcc
	v_sub_u32_e32 v49, 0, v64
	v_ldexp_f64 v[25:26], v[25:26], v49
	v_add_f64 v[43:44], v[45:46], 1.0
	v_cmp_nge_f64_e32 vcc, -1.0, v[23:24]
	v_add_f64 v[45:46], v[25:26], 1.0
	v_add_f64 v[27:28], v[27:28], v[43:44]
	v_add_f64 v[53:54], v[25:26], -1.0
	v_add_f64 v[43:44], v[45:46], -1.0
	v_ldexp_f64 v[27:28], v[27:28], v49
	v_add_f64 v[55:56], v[53:54], 1.0
	v_add_f64 v[43:44], v[25:26], -v[43:44]
	v_add_f64 v[25:26], v[25:26], -v[55:56]
	v_add_f64 v[43:44], v[27:28], v[43:44]
	v_add_f64 v[25:26], v[27:28], v[25:26]
	;; [unrolled: 1-line block ×4, first 2 shown]
	v_rcp_f64_e32 v[51:52], v[49:50]
	v_add_f64 v[45:46], v[49:50], -v[45:46]
	v_add_f64 v[53:54], v[55:56], -v[53:54]
	;; [unrolled: 1-line block ×4, first 2 shown]
	v_fma_f64 v[57:58], -v[49:50], v[51:52], 1.0
	v_fma_f64 v[51:52], v[57:58], v[51:52], v[51:52]
	v_fma_f64 v[27:28], -v[49:50], v[51:52], 1.0
	v_fma_f64 v[27:28], v[27:28], v[51:52], v[51:52]
	v_mul_f64 v[51:52], v[55:56], v[27:28]
	v_mul_f64 v[57:58], v[49:50], v[51:52]
	v_fma_f64 v[45:46], v[51:52], v[49:50], -v[57:58]
	v_fma_f64 v[45:46], v[51:52], v[43:44], v[45:46]
	v_add_f64 v[59:60], v[57:58], v[45:46]
	v_add_f64 v[61:62], v[55:56], -v[59:60]
	v_add_f64 v[53:54], v[59:60], -v[57:58]
	;; [unrolled: 1-line block ×5, first 2 shown]
	v_add_f64 v[25:26], v[25:26], v[55:56]
	v_add_f64 v[25:26], v[45:46], v[25:26]
	;; [unrolled: 1-line block ×3, first 2 shown]
	v_mul_f64 v[53:54], v[27:28], v[45:46]
	v_add_f64 v[59:60], v[61:62], -v[45:46]
	v_mul_f64 v[55:56], v[49:50], v[53:54]
	v_add_f64 v[25:26], v[25:26], v[59:60]
	v_fma_f64 v[49:50], v[53:54], v[49:50], -v[55:56]
	v_fma_f64 v[43:44], v[53:54], v[43:44], v[49:50]
	v_add_f64 v[49:50], v[55:56], v[43:44]
	v_add_f64 v[57:58], v[45:46], -v[49:50]
	v_add_f64 v[55:56], v[49:50], -v[55:56]
	;; [unrolled: 1-line block ×5, first 2 shown]
	v_mov_b32_e32 v49, 0x6b47b09a
	v_mov_b32_e32 v50, 0x3fc38538
	v_add_f64 v[25:26], v[25:26], v[45:46]
	v_add_f64 v[45:46], v[51:52], v[53:54]
	;; [unrolled: 1-line block ×3, first 2 shown]
	v_add_f64 v[43:44], v[45:46], -v[51:52]
	v_add_f64 v[25:26], v[57:58], v[25:26]
	v_add_f64 v[43:44], v[53:54], -v[43:44]
	v_mul_f64 v[25:26], v[27:28], v[25:26]
	v_add_f64 v[25:26], v[43:44], v[25:26]
	v_add_f64 v[27:28], v[45:46], v[25:26]
	v_mul_f64 v[43:44], v[27:28], v[27:28]
	v_fma_f64 v[49:50], v[43:44], s[30:31], v[49:50]
	s_mov_b32 s30, 0xd7f4df2e
	s_mov_b32 s31, 0x3fc7474d
	v_mul_f64 v[51:52], v[27:28], v[43:44]
	v_fma_f64 v[49:50], v[43:44], v[49:50], s[30:31]
	s_mov_b32 s30, 0x16291751
	s_mov_b32 s31, 0x3fcc71c0
	v_fma_f64 v[49:50], v[43:44], v[49:50], s[30:31]
	s_mov_b32 s30, 0x9b27acf1
	s_mov_b32 s31, 0x3fd24924
	v_fma_f64 v[49:50], v[43:44], v[49:50], s[30:31]
	s_mov_b32 s30, 0x998ef7b6
	s_mov_b32 s31, 0x3fd99999
	v_fma_f64 v[49:50], v[43:44], v[49:50], s[30:31]
	v_fma_f64 v[43:44], v[43:44], v[49:50], s[4:5]
	v_ldexp_f64 v[49:50], v[27:28], 1
	v_add_f64 v[27:28], v[27:28], -v[45:46]
	s_mov_b32 s4, 0
	s_mov_b32 s5, 0x7ff00000
	v_cmp_neq_f64_e64 s[4:5], s[4:5], v[23:24]
	v_mul_f64 v[43:44], v[51:52], v[43:44]
	v_cvt_f64_i32_e32 v[51:52], v64
	v_add_f64 v[25:26], v[25:26], -v[27:28]
	v_mul_f64 v[53:54], v[51:52], s[22:23]
	s_and_b64 vcc, vcc, s[4:5]
	v_add_f64 v[45:46], v[49:50], v[43:44]
	v_ldexp_f64 v[25:26], v[25:26], 1
	v_add_f64 v[27:28], v[45:46], -v[49:50]
	v_fma_f64 v[49:50], v[51:52], s[22:23], -v[53:54]
	v_add_f64 v[27:28], v[43:44], -v[27:28]
	v_fma_f64 v[43:44], v[51:52], s[26:27], v[49:50]
	v_add_f64 v[25:26], v[25:26], v[27:28]
	v_add_f64 v[27:28], v[53:54], v[43:44]
	;; [unrolled: 1-line block ×3, first 2 shown]
	v_add_f64 v[53:54], v[27:28], -v[53:54]
	v_add_f64 v[51:52], v[27:28], v[49:50]
	v_add_f64 v[45:46], v[49:50], -v[45:46]
	v_add_f64 v[43:44], v[43:44], -v[53:54]
	;; [unrolled: 1-line block ×6, first 2 shown]
	v_add_f64 v[49:50], v[43:44], v[25:26]
	v_add_f64 v[27:28], v[27:28], -v[57:58]
	v_add_f64 v[27:28], v[45:46], v[27:28]
	v_add_f64 v[45:46], v[49:50], -v[43:44]
	;; [unrolled: 2-line block ×3, first 2 shown]
	v_add_f64 v[25:26], v[25:26], -v[45:46]
	v_add_f64 v[53:54], v[51:52], v[27:28]
	v_add_f64 v[43:44], v[43:44], -v[49:50]
	v_add_f64 v[45:46], v[53:54], -v[51:52]
	v_add_f64 v[25:26], v[25:26], v[43:44]
	v_add_f64 v[27:28], v[27:28], -v[45:46]
	v_add_f64 v[25:26], v[25:26], v[27:28]
	v_mov_b32_e32 v27, 0x7ff80000
	v_mov_b32_e32 v28, 0xfff00000
	v_add_f64 v[25:26], v[53:54], v[25:26]
	v_cndmask_b32_e32 v25, 0, v25, vcc
	v_cmp_ngt_f64_e32 vcc, -1.0, v[23:24]
	v_cndmask_b32_e64 v26, v63, v26, s[4:5]
	v_cndmask_b32_e32 v26, v27, v26, vcc
	v_cmp_neq_f64_e32 vcc, -1.0, v[23:24]
	v_cndmask_b32_e32 v26, v28, v26, vcc
	v_add_f64 v[49:50], v[21:22], v[25:26]
.LBB70_43:
	s_or_b64 exec, exec, s[20:21]
	v_max_f64 v[45:46], v[5:6], v[5:6]
	v_max_f64 v[21:22], v[49:50], v[49:50]
	v_cmp_u_f64_e32 vcc, v[49:50], v[49:50]
	v_cmp_u_f64_e64 s[20:21], v[5:6], v[5:6]
	v_min_f64 v[23:24], v[21:22], v[45:46]
	v_max_f64 v[21:22], v[21:22], v[45:46]
	v_cndmask_b32_e32 v23, v23, v49, vcc
	v_cndmask_b32_e32 v24, v24, v50, vcc
	;; [unrolled: 1-line block ×4, first 2 shown]
	v_cndmask_b32_e64 v24, v24, v6, s[20:21]
	v_cndmask_b32_e64 v23, v23, v5, s[20:21]
	;; [unrolled: 1-line block ×4, first 2 shown]
	v_cmp_neq_f64_e32 vcc, v[23:24], v[21:22]
	v_cmp_class_f64_e64 s[4:5], v[23:24], s1
	s_or_b64 s[4:5], vcc, s[4:5]
	s_and_saveexec_b64 s[22:23], s[4:5]
	s_cbranch_execz .LBB70_45
; %bb.44:
	v_add_f64 v[23:24], v[23:24], -v[21:22]
	s_mov_b32 s4, 0x652b82fe
	s_mov_b32 s5, 0x3ff71547
	;; [unrolled: 1-line block ×6, first 2 shown]
	v_mov_b32_e32 v43, 0xfca7ab0c
	v_mul_f64 v[25:26], v[23:24], s[4:5]
	s_mov_b32 s4, 0x6a5dcb37
	v_mov_b32_e32 v44, 0x3e928af3
	s_mov_b32 s5, 0x3e5ade15
	s_mov_b32 s34, 0
	;; [unrolled: 1-line block ×3, first 2 shown]
	v_mov_b32_e32 v67, 0x7ff00000
	v_rndne_f64_e32 v[25:26], v[25:26]
	v_fma_f64 v[27:28], v[25:26], s[26:27], v[23:24]
	s_mov_b32 s27, 0x3fe62e42
	v_fma_f64 v[27:28], v[25:26], s[30:31], v[27:28]
	v_cvt_i32_f64_e32 v25, v[25:26]
	s_mov_b32 s31, 0x3c7abc9e
	v_fma_f64 v[43:44], v[27:28], s[4:5], v[43:44]
	s_mov_b32 s4, 0x623fde64
	s_mov_b32 s5, 0x3ec71dee
	v_fma_f64 v[43:44], v[27:28], v[43:44], s[4:5]
	s_mov_b32 s4, 0x7c89e6b0
	;; [unrolled: 3-line block ×9, first 2 shown]
	s_mov_b32 s5, 0x40900000
	v_cmp_nlt_f64_e32 vcc, s[4:5], v[23:24]
	v_cmp_ngt_f64_e64 s[4:5], s[34:35], v[23:24]
	s_mov_b32 s34, 0xbf559e2b
	s_mov_b32 s35, 0x3fc3ab76
	v_fma_f64 v[43:44], v[27:28], v[43:44], 1.0
	v_fma_f64 v[27:28], v[27:28], v[43:44], 1.0
	v_ldexp_f64 v[25:26], v[27:28], v25
	v_cndmask_b32_e32 v26, v67, v26, vcc
	s_and_b64 vcc, s[4:5], vcc
	v_cndmask_b32_e64 v24, 0, v26, s[4:5]
	v_cndmask_b32_e32 v23, 0, v25, vcc
	v_add_f64 v[25:26], v[23:24], 1.0
	s_mov_b32 s5, 0x3fe55555
	s_mov_b32 s4, 0x55555555
	v_frexp_mant_f64_e32 v[43:44], v[25:26]
	v_frexp_exp_i32_f64_e32 v51, v[25:26]
	v_add_f64 v[27:28], v[25:26], -1.0
	v_cmp_gt_f64_e32 vcc, s[4:5], v[43:44]
	s_mov_b32 s4, 0x55555780
	v_add_f64 v[49:50], v[27:28], -v[25:26]
	v_add_f64 v[27:28], v[23:24], -v[27:28]
	v_subbrev_co_u32_e32 v68, vcc, 0, v51, vcc
	v_sub_u32_e32 v51, 0, v68
	v_ldexp_f64 v[25:26], v[25:26], v51
	v_add_f64 v[43:44], v[49:50], 1.0
	v_cmp_nge_f64_e32 vcc, -1.0, v[23:24]
	v_add_f64 v[49:50], v[25:26], 1.0
	v_add_f64 v[27:28], v[27:28], v[43:44]
	v_add_f64 v[55:56], v[25:26], -1.0
	v_add_f64 v[43:44], v[49:50], -1.0
	v_ldexp_f64 v[27:28], v[27:28], v51
	v_add_f64 v[57:58], v[55:56], 1.0
	v_add_f64 v[43:44], v[25:26], -v[43:44]
	v_add_f64 v[25:26], v[25:26], -v[57:58]
	v_add_f64 v[43:44], v[27:28], v[43:44]
	v_add_f64 v[25:26], v[27:28], v[25:26]
	;; [unrolled: 1-line block ×4, first 2 shown]
	v_rcp_f64_e32 v[53:54], v[51:52]
	v_add_f64 v[49:50], v[51:52], -v[49:50]
	v_add_f64 v[55:56], v[57:58], -v[55:56]
	;; [unrolled: 1-line block ×4, first 2 shown]
	v_fma_f64 v[59:60], -v[51:52], v[53:54], 1.0
	v_fma_f64 v[53:54], v[59:60], v[53:54], v[53:54]
	v_fma_f64 v[27:28], -v[51:52], v[53:54], 1.0
	v_fma_f64 v[27:28], v[27:28], v[53:54], v[53:54]
	v_mul_f64 v[53:54], v[57:58], v[27:28]
	v_mul_f64 v[59:60], v[51:52], v[53:54]
	v_fma_f64 v[49:50], v[53:54], v[51:52], -v[59:60]
	v_fma_f64 v[49:50], v[53:54], v[43:44], v[49:50]
	v_add_f64 v[61:62], v[59:60], v[49:50]
	v_add_f64 v[63:64], v[57:58], -v[61:62]
	v_add_f64 v[55:56], v[61:62], -v[59:60]
	;; [unrolled: 1-line block ×5, first 2 shown]
	v_add_f64 v[25:26], v[25:26], v[57:58]
	v_add_f64 v[25:26], v[49:50], v[25:26]
	;; [unrolled: 1-line block ×3, first 2 shown]
	v_mul_f64 v[55:56], v[27:28], v[49:50]
	v_add_f64 v[61:62], v[63:64], -v[49:50]
	v_mul_f64 v[57:58], v[51:52], v[55:56]
	v_add_f64 v[25:26], v[25:26], v[61:62]
	v_fma_f64 v[51:52], v[55:56], v[51:52], -v[57:58]
	v_fma_f64 v[43:44], v[55:56], v[43:44], v[51:52]
	v_add_f64 v[51:52], v[57:58], v[43:44]
	v_add_f64 v[59:60], v[49:50], -v[51:52]
	v_add_f64 v[57:58], v[51:52], -v[57:58]
	;; [unrolled: 1-line block ×5, first 2 shown]
	v_mov_b32_e32 v51, 0x6b47b09a
	v_mov_b32_e32 v52, 0x3fc38538
	v_add_f64 v[25:26], v[25:26], v[49:50]
	v_add_f64 v[49:50], v[53:54], v[55:56]
	;; [unrolled: 1-line block ×3, first 2 shown]
	v_add_f64 v[43:44], v[49:50], -v[53:54]
	v_add_f64 v[25:26], v[59:60], v[25:26]
	v_add_f64 v[43:44], v[55:56], -v[43:44]
	v_mul_f64 v[25:26], v[27:28], v[25:26]
	v_add_f64 v[25:26], v[43:44], v[25:26]
	v_add_f64 v[27:28], v[49:50], v[25:26]
	v_mul_f64 v[43:44], v[27:28], v[27:28]
	v_fma_f64 v[51:52], v[43:44], s[34:35], v[51:52]
	s_mov_b32 s34, 0xd7f4df2e
	s_mov_b32 s35, 0x3fc7474d
	v_mul_f64 v[53:54], v[27:28], v[43:44]
	v_fma_f64 v[51:52], v[43:44], v[51:52], s[34:35]
	s_mov_b32 s34, 0x16291751
	s_mov_b32 s35, 0x3fcc71c0
	v_fma_f64 v[51:52], v[43:44], v[51:52], s[34:35]
	s_mov_b32 s34, 0x9b27acf1
	s_mov_b32 s35, 0x3fd24924
	;; [unrolled: 3-line block ×3, first 2 shown]
	v_fma_f64 v[51:52], v[43:44], v[51:52], s[34:35]
	v_fma_f64 v[43:44], v[43:44], v[51:52], s[4:5]
	v_ldexp_f64 v[51:52], v[27:28], 1
	v_add_f64 v[27:28], v[27:28], -v[49:50]
	s_mov_b32 s4, 0
	s_mov_b32 s5, 0x7ff00000
	v_cmp_neq_f64_e64 s[4:5], s[4:5], v[23:24]
	v_mul_f64 v[43:44], v[53:54], v[43:44]
	v_cvt_f64_i32_e32 v[53:54], v68
	v_add_f64 v[25:26], v[25:26], -v[27:28]
	v_mul_f64 v[55:56], v[53:54], s[26:27]
	s_and_b64 vcc, vcc, s[4:5]
	v_add_f64 v[49:50], v[51:52], v[43:44]
	v_ldexp_f64 v[25:26], v[25:26], 1
	v_add_f64 v[27:28], v[49:50], -v[51:52]
	v_fma_f64 v[51:52], v[53:54], s[26:27], -v[55:56]
	v_add_f64 v[27:28], v[43:44], -v[27:28]
	v_fma_f64 v[43:44], v[53:54], s[30:31], v[51:52]
	v_add_f64 v[25:26], v[25:26], v[27:28]
	v_add_f64 v[27:28], v[55:56], v[43:44]
	;; [unrolled: 1-line block ×3, first 2 shown]
	v_add_f64 v[55:56], v[27:28], -v[55:56]
	v_add_f64 v[53:54], v[27:28], v[51:52]
	v_add_f64 v[49:50], v[51:52], -v[49:50]
	v_add_f64 v[43:44], v[43:44], -v[55:56]
	;; [unrolled: 1-line block ×6, first 2 shown]
	v_add_f64 v[51:52], v[43:44], v[25:26]
	v_add_f64 v[27:28], v[27:28], -v[59:60]
	v_add_f64 v[27:28], v[49:50], v[27:28]
	v_add_f64 v[49:50], v[51:52], -v[43:44]
	v_add_f64 v[27:28], v[51:52], v[27:28]
	v_add_f64 v[51:52], v[51:52], -v[49:50]
	v_add_f64 v[25:26], v[25:26], -v[49:50]
	v_add_f64 v[55:56], v[53:54], v[27:28]
	v_add_f64 v[43:44], v[43:44], -v[51:52]
	v_add_f64 v[49:50], v[55:56], -v[53:54]
	v_add_f64 v[25:26], v[25:26], v[43:44]
	v_add_f64 v[27:28], v[27:28], -v[49:50]
	v_add_f64 v[25:26], v[25:26], v[27:28]
	v_mov_b32_e32 v27, 0x7ff80000
	v_mov_b32_e32 v28, 0xfff00000
	v_add_f64 v[25:26], v[55:56], v[25:26]
	v_cndmask_b32_e32 v25, 0, v25, vcc
	v_cmp_ngt_f64_e32 vcc, -1.0, v[23:24]
	v_cndmask_b32_e64 v26, v67, v26, s[4:5]
	v_cndmask_b32_e32 v26, v27, v26, vcc
	v_cmp_neq_f64_e32 vcc, -1.0, v[23:24]
	v_cndmask_b32_e32 v26, v28, v26, vcc
	v_add_f64 v[49:50], v[21:22], v[25:26]
.LBB70_45:
	s_or_b64 exec, exec, s[22:23]
	v_max_f64 v[43:44], v[7:8], v[7:8]
	v_max_f64 v[21:22], v[49:50], v[49:50]
	v_cmp_u_f64_e32 vcc, v[49:50], v[49:50]
	v_cmp_u_f64_e64 s[22:23], v[7:8], v[7:8]
	v_min_f64 v[23:24], v[21:22], v[43:44]
	v_max_f64 v[21:22], v[21:22], v[43:44]
	v_cndmask_b32_e32 v23, v23, v49, vcc
	v_cndmask_b32_e32 v24, v24, v50, vcc
	v_cndmask_b32_e32 v21, v21, v49, vcc
	v_cndmask_b32_e32 v22, v22, v50, vcc
	v_cndmask_b32_e64 v24, v24, v8, s[22:23]
	v_cndmask_b32_e64 v23, v23, v7, s[22:23]
	;; [unrolled: 1-line block ×4, first 2 shown]
	v_cmp_neq_f64_e32 vcc, v[23:24], v[21:22]
	v_cmp_class_f64_e64 s[4:5], v[23:24], s1
	s_or_b64 s[4:5], vcc, s[4:5]
	s_and_saveexec_b64 s[26:27], s[4:5]
	s_cbranch_execz .LBB70_47
; %bb.46:
	v_add_f64 v[23:24], v[23:24], -v[21:22]
	s_mov_b32 s4, 0x652b82fe
	s_mov_b32 s5, 0x3ff71547
	;; [unrolled: 1-line block ×6, first 2 shown]
	v_mov_b32_e32 v49, 0xfca7ab0c
	v_mul_f64 v[25:26], v[23:24], s[4:5]
	s_mov_b32 s4, 0x6a5dcb37
	v_mov_b32_e32 v50, 0x3e928af3
	s_mov_b32 s5, 0x3e5ade15
	s_mov_b32 s36, 0
	;; [unrolled: 1-line block ×3, first 2 shown]
	v_mov_b32_e32 v69, 0x7ff00000
	v_rndne_f64_e32 v[25:26], v[25:26]
	v_fma_f64 v[27:28], v[25:26], s[30:31], v[23:24]
	s_mov_b32 s31, 0x3fe62e42
	v_fma_f64 v[27:28], v[25:26], s[34:35], v[27:28]
	v_cvt_i32_f64_e32 v25, v[25:26]
	s_mov_b32 s35, 0x3c7abc9e
	v_fma_f64 v[49:50], v[27:28], s[4:5], v[49:50]
	s_mov_b32 s4, 0x623fde64
	s_mov_b32 s5, 0x3ec71dee
	v_fma_f64 v[49:50], v[27:28], v[49:50], s[4:5]
	s_mov_b32 s4, 0x7c89e6b0
	;; [unrolled: 3-line block ×9, first 2 shown]
	s_mov_b32 s5, 0x40900000
	v_cmp_nlt_f64_e32 vcc, s[4:5], v[23:24]
	v_cmp_ngt_f64_e64 s[4:5], s[36:37], v[23:24]
	s_mov_b32 s36, 0xbf559e2b
	s_mov_b32 s37, 0x3fc3ab76
	v_fma_f64 v[49:50], v[27:28], v[49:50], 1.0
	v_fma_f64 v[27:28], v[27:28], v[49:50], 1.0
	v_ldexp_f64 v[25:26], v[27:28], v25
	v_cndmask_b32_e32 v26, v69, v26, vcc
	s_and_b64 vcc, s[4:5], vcc
	v_cndmask_b32_e64 v24, 0, v26, s[4:5]
	v_cndmask_b32_e32 v23, 0, v25, vcc
	v_add_f64 v[25:26], v[23:24], 1.0
	s_mov_b32 s5, 0x3fe55555
	s_mov_b32 s4, 0x55555555
	v_frexp_mant_f64_e32 v[49:50], v[25:26]
	v_frexp_exp_i32_f64_e32 v53, v[25:26]
	v_add_f64 v[27:28], v[25:26], -1.0
	v_cmp_gt_f64_e32 vcc, s[4:5], v[49:50]
	s_mov_b32 s4, 0x55555780
	v_add_f64 v[51:52], v[27:28], -v[25:26]
	v_add_f64 v[27:28], v[23:24], -v[27:28]
	v_subbrev_co_u32_e32 v70, vcc, 0, v53, vcc
	v_sub_u32_e32 v53, 0, v70
	v_ldexp_f64 v[25:26], v[25:26], v53
	v_add_f64 v[49:50], v[51:52], 1.0
	v_cmp_nge_f64_e32 vcc, -1.0, v[23:24]
	v_add_f64 v[51:52], v[25:26], 1.0
	v_add_f64 v[27:28], v[27:28], v[49:50]
	v_add_f64 v[57:58], v[25:26], -1.0
	v_add_f64 v[49:50], v[51:52], -1.0
	v_ldexp_f64 v[27:28], v[27:28], v53
	v_add_f64 v[59:60], v[57:58], 1.0
	v_add_f64 v[49:50], v[25:26], -v[49:50]
	v_add_f64 v[25:26], v[25:26], -v[59:60]
	v_add_f64 v[49:50], v[27:28], v[49:50]
	v_add_f64 v[25:26], v[27:28], v[25:26]
	;; [unrolled: 1-line block ×4, first 2 shown]
	v_rcp_f64_e32 v[55:56], v[53:54]
	v_add_f64 v[51:52], v[53:54], -v[51:52]
	v_add_f64 v[57:58], v[59:60], -v[57:58]
	;; [unrolled: 1-line block ×4, first 2 shown]
	v_fma_f64 v[61:62], -v[53:54], v[55:56], 1.0
	v_fma_f64 v[55:56], v[61:62], v[55:56], v[55:56]
	v_fma_f64 v[27:28], -v[53:54], v[55:56], 1.0
	v_fma_f64 v[27:28], v[27:28], v[55:56], v[55:56]
	v_mul_f64 v[55:56], v[59:60], v[27:28]
	v_mul_f64 v[61:62], v[53:54], v[55:56]
	v_fma_f64 v[51:52], v[55:56], v[53:54], -v[61:62]
	v_fma_f64 v[51:52], v[55:56], v[49:50], v[51:52]
	v_add_f64 v[63:64], v[61:62], v[51:52]
	v_add_f64 v[67:68], v[59:60], -v[63:64]
	v_add_f64 v[57:58], v[63:64], -v[61:62]
	;; [unrolled: 1-line block ×5, first 2 shown]
	v_add_f64 v[25:26], v[25:26], v[59:60]
	v_add_f64 v[25:26], v[51:52], v[25:26]
	v_add_f64 v[51:52], v[67:68], v[25:26]
	v_mul_f64 v[57:58], v[27:28], v[51:52]
	v_add_f64 v[63:64], v[67:68], -v[51:52]
	v_mul_f64 v[59:60], v[53:54], v[57:58]
	v_add_f64 v[25:26], v[25:26], v[63:64]
	v_fma_f64 v[53:54], v[57:58], v[53:54], -v[59:60]
	v_fma_f64 v[49:50], v[57:58], v[49:50], v[53:54]
	v_add_f64 v[53:54], v[59:60], v[49:50]
	v_add_f64 v[61:62], v[51:52], -v[53:54]
	v_add_f64 v[59:60], v[53:54], -v[59:60]
	v_add_f64 v[51:52], v[51:52], -v[61:62]
	v_add_f64 v[49:50], v[59:60], -v[49:50]
	v_add_f64 v[51:52], v[51:52], -v[53:54]
	v_mov_b32_e32 v53, 0x6b47b09a
	v_mov_b32_e32 v54, 0x3fc38538
	v_add_f64 v[25:26], v[25:26], v[51:52]
	v_add_f64 v[51:52], v[55:56], v[57:58]
	;; [unrolled: 1-line block ×3, first 2 shown]
	v_add_f64 v[49:50], v[51:52], -v[55:56]
	v_add_f64 v[25:26], v[61:62], v[25:26]
	v_add_f64 v[49:50], v[57:58], -v[49:50]
	v_mul_f64 v[25:26], v[27:28], v[25:26]
	v_add_f64 v[25:26], v[49:50], v[25:26]
	v_add_f64 v[27:28], v[51:52], v[25:26]
	v_mul_f64 v[49:50], v[27:28], v[27:28]
	v_fma_f64 v[53:54], v[49:50], s[36:37], v[53:54]
	s_mov_b32 s36, 0xd7f4df2e
	s_mov_b32 s37, 0x3fc7474d
	v_mul_f64 v[55:56], v[27:28], v[49:50]
	v_fma_f64 v[53:54], v[49:50], v[53:54], s[36:37]
	s_mov_b32 s36, 0x16291751
	s_mov_b32 s37, 0x3fcc71c0
	v_fma_f64 v[53:54], v[49:50], v[53:54], s[36:37]
	s_mov_b32 s36, 0x9b27acf1
	s_mov_b32 s37, 0x3fd24924
	;; [unrolled: 3-line block ×3, first 2 shown]
	v_fma_f64 v[53:54], v[49:50], v[53:54], s[36:37]
	v_fma_f64 v[49:50], v[49:50], v[53:54], s[4:5]
	v_ldexp_f64 v[53:54], v[27:28], 1
	v_add_f64 v[27:28], v[27:28], -v[51:52]
	s_mov_b32 s4, 0
	s_mov_b32 s5, 0x7ff00000
	v_cmp_neq_f64_e64 s[4:5], s[4:5], v[23:24]
	v_mul_f64 v[49:50], v[55:56], v[49:50]
	v_cvt_f64_i32_e32 v[55:56], v70
	v_add_f64 v[25:26], v[25:26], -v[27:28]
	v_mul_f64 v[57:58], v[55:56], s[30:31]
	s_and_b64 vcc, vcc, s[4:5]
	v_add_f64 v[51:52], v[53:54], v[49:50]
	v_ldexp_f64 v[25:26], v[25:26], 1
	v_add_f64 v[27:28], v[51:52], -v[53:54]
	v_fma_f64 v[53:54], v[55:56], s[30:31], -v[57:58]
	v_add_f64 v[27:28], v[49:50], -v[27:28]
	v_fma_f64 v[49:50], v[55:56], s[34:35], v[53:54]
	v_add_f64 v[25:26], v[25:26], v[27:28]
	v_add_f64 v[27:28], v[57:58], v[49:50]
	;; [unrolled: 1-line block ×3, first 2 shown]
	v_add_f64 v[57:58], v[27:28], -v[57:58]
	v_add_f64 v[55:56], v[27:28], v[53:54]
	v_add_f64 v[51:52], v[53:54], -v[51:52]
	v_add_f64 v[49:50], v[49:50], -v[57:58]
	;; [unrolled: 1-line block ×6, first 2 shown]
	v_add_f64 v[53:54], v[49:50], v[25:26]
	v_add_f64 v[27:28], v[27:28], -v[61:62]
	v_add_f64 v[27:28], v[51:52], v[27:28]
	v_add_f64 v[51:52], v[53:54], -v[49:50]
	;; [unrolled: 2-line block ×3, first 2 shown]
	v_add_f64 v[25:26], v[25:26], -v[51:52]
	v_add_f64 v[57:58], v[55:56], v[27:28]
	v_add_f64 v[49:50], v[49:50], -v[53:54]
	v_add_f64 v[51:52], v[57:58], -v[55:56]
	v_add_f64 v[25:26], v[25:26], v[49:50]
	v_add_f64 v[27:28], v[27:28], -v[51:52]
	v_add_f64 v[25:26], v[25:26], v[27:28]
	v_mov_b32_e32 v27, 0x7ff80000
	v_mov_b32_e32 v28, 0xfff00000
	v_add_f64 v[25:26], v[57:58], v[25:26]
	v_cndmask_b32_e32 v25, 0, v25, vcc
	v_cmp_ngt_f64_e32 vcc, -1.0, v[23:24]
	v_cndmask_b32_e64 v26, v69, v26, s[4:5]
	v_cndmask_b32_e32 v26, v27, v26, vcc
	v_cmp_neq_f64_e32 vcc, -1.0, v[23:24]
	v_cndmask_b32_e32 v26, v28, v26, vcc
	v_add_f64 v[49:50], v[21:22], v[25:26]
.LBB70_47:
	s_or_b64 exec, exec, s[26:27]
	v_lshrrev_b32_e32 v21, 2, v0
	v_and_b32_e32 v21, 24, v21
	v_lshl_add_u32 v21, v0, 3, v21
	v_cmp_gt_u32_e32 vcc, 64, v0
	ds_write_b64 v21, v[49:50]
	s_waitcnt lgkmcnt(0)
	s_barrier
	s_and_saveexec_b64 s[34:35], vcc
	s_cbranch_execz .LBB70_79
; %bb.48:
	v_lshrrev_b32_e32 v21, 1, v0
	v_and_b32_e32 v21, 56, v21
	v_lshlrev_b32_e32 v22, 4, v0
	v_add_u32_e32 v53, v21, v22
	ds_read2_b64 v[21:24], v53 offset1:1
	s_waitcnt lgkmcnt(0)
	v_max_f64 v[27:28], v[23:24], v[23:24]
	v_max_f64 v[25:26], v[21:22], v[21:22]
	v_cmp_u_f64_e64 s[26:27], v[21:22], v[21:22]
	v_cmp_u_f64_e64 s[4:5], v[23:24], v[23:24]
	v_min_f64 v[51:52], v[25:26], v[27:28]
	v_max_f64 v[27:28], v[25:26], v[27:28]
	v_cndmask_b32_e64 v51, v51, v21, s[26:27]
	v_cndmask_b32_e64 v52, v52, v22, s[26:27]
	;; [unrolled: 1-line block ×8, first 2 shown]
	v_cmp_neq_f64_e64 s[4:5], v[51:52], v[27:28]
	v_cmp_class_f64_e64 s[30:31], v[51:52], s1
	v_mov_b32_e32 v24, v22
	v_mov_b32_e32 v23, v21
	s_or_b64 s[4:5], s[4:5], s[30:31]
	s_and_saveexec_b64 s[36:37], s[4:5]
	s_cbranch_execz .LBB70_50
; %bb.49:
	v_add_f64 v[23:24], v[51:52], -v[27:28]
	s_mov_b32 s4, 0x652b82fe
	s_mov_b32 s5, 0x3ff71547
	;; [unrolled: 1-line block ×6, first 2 shown]
	v_mov_b32_e32 v56, 0xfca7ab0c
	v_mul_f64 v[51:52], v[23:24], s[4:5]
	s_mov_b32 s4, 0x6a5dcb37
	v_mov_b32_e32 v57, 0x3e928af3
	s_mov_b32 s5, 0x3e5ade15
	s_mov_b32 s30, 0
	;; [unrolled: 1-line block ×3, first 2 shown]
	v_cmp_ngt_f64_e64 s[30:31], s[30:31], v[23:24]
	v_mov_b32_e32 v64, 0x7ff00000
	v_rndne_f64_e32 v[51:52], v[51:52]
	v_fma_f64 v[54:55], v[51:52], s[38:39], v[23:24]
	s_mov_b32 s39, 0x3fe62e42
	v_fma_f64 v[54:55], v[51:52], s[40:41], v[54:55]
	v_cvt_i32_f64_e32 v51, v[51:52]
	s_mov_b32 s41, 0x3c7abc9e
	v_fma_f64 v[56:57], v[54:55], s[4:5], v[56:57]
	s_mov_b32 s4, 0x623fde64
	s_mov_b32 s5, 0x3ec71dee
	v_fma_f64 v[56:57], v[54:55], v[56:57], s[4:5]
	s_mov_b32 s4, 0x7c89e6b0
	;; [unrolled: 3-line block ×9, first 2 shown]
	s_mov_b32 s5, 0x40900000
	v_cmp_nlt_f64_e64 s[4:5], s[4:5], v[23:24]
	v_fma_f64 v[56:57], v[54:55], v[56:57], 1.0
	v_fma_f64 v[54:55], v[54:55], v[56:57], 1.0
	v_ldexp_f64 v[51:52], v[54:55], v51
	v_cndmask_b32_e64 v52, v64, v52, s[4:5]
	s_and_b64 s[4:5], s[30:31], s[4:5]
	v_cndmask_b32_e64 v24, 0, v52, s[30:31]
	v_cndmask_b32_e64 v23, 0, v51, s[4:5]
	v_add_f64 v[51:52], v[23:24], 1.0
	s_mov_b32 s31, 0x3fe55555
	s_mov_b32 s30, 0x55555555
	v_frexp_mant_f64_e32 v[56:57], v[51:52]
	v_frexp_exp_i32_f64_e32 v60, v[51:52]
	v_add_f64 v[54:55], v[51:52], -1.0
	v_cmp_gt_f64_e64 s[4:5], s[30:31], v[56:57]
	s_mov_b32 s30, 0x55555780
	v_add_f64 v[58:59], v[54:55], -v[51:52]
	v_add_f64 v[54:55], v[23:24], -v[54:55]
	v_subbrev_co_u32_e64 v77, s[4:5], 0, v60, s[4:5]
	v_sub_u32_e32 v60, 0, v77
	v_ldexp_f64 v[51:52], v[51:52], v60
	v_add_f64 v[56:57], v[58:59], 1.0
	s_mov_b32 s4, 0xbf559e2b
	s_mov_b32 s5, 0x3fc3ab76
	v_add_f64 v[58:59], v[51:52], 1.0
	v_add_f64 v[54:55], v[54:55], v[56:57]
	v_add_f64 v[67:68], v[51:52], -1.0
	v_add_f64 v[56:57], v[58:59], -1.0
	v_ldexp_f64 v[54:55], v[54:55], v60
	v_add_f64 v[69:70], v[67:68], 1.0
	v_add_f64 v[56:57], v[51:52], -v[56:57]
	v_add_f64 v[51:52], v[51:52], -v[69:70]
	v_add_f64 v[56:57], v[54:55], v[56:57]
	v_add_f64 v[51:52], v[54:55], v[51:52]
	;; [unrolled: 1-line block ×4, first 2 shown]
	v_rcp_f64_e32 v[62:63], v[60:61]
	v_add_f64 v[58:59], v[60:61], -v[58:59]
	v_add_f64 v[67:68], v[69:70], -v[67:68]
	;; [unrolled: 1-line block ×4, first 2 shown]
	v_fma_f64 v[71:72], -v[60:61], v[62:63], 1.0
	v_fma_f64 v[62:63], v[71:72], v[62:63], v[62:63]
	v_fma_f64 v[54:55], -v[60:61], v[62:63], 1.0
	v_fma_f64 v[54:55], v[54:55], v[62:63], v[62:63]
	v_mul_f64 v[62:63], v[69:70], v[54:55]
	v_mul_f64 v[71:72], v[60:61], v[62:63]
	v_fma_f64 v[58:59], v[62:63], v[60:61], -v[71:72]
	v_fma_f64 v[58:59], v[62:63], v[56:57], v[58:59]
	v_add_f64 v[73:74], v[71:72], v[58:59]
	v_add_f64 v[75:76], v[69:70], -v[73:74]
	v_add_f64 v[67:68], v[73:74], -v[71:72]
	;; [unrolled: 1-line block ×5, first 2 shown]
	v_add_f64 v[51:52], v[51:52], v[69:70]
	v_add_f64 v[51:52], v[58:59], v[51:52]
	;; [unrolled: 1-line block ×3, first 2 shown]
	v_mul_f64 v[67:68], v[54:55], v[58:59]
	v_add_f64 v[73:74], v[75:76], -v[58:59]
	v_mul_f64 v[69:70], v[60:61], v[67:68]
	v_add_f64 v[51:52], v[51:52], v[73:74]
	v_fma_f64 v[60:61], v[67:68], v[60:61], -v[69:70]
	v_fma_f64 v[56:57], v[67:68], v[56:57], v[60:61]
	v_add_f64 v[60:61], v[69:70], v[56:57]
	v_add_f64 v[71:72], v[58:59], -v[60:61]
	v_add_f64 v[69:70], v[60:61], -v[69:70]
	v_add_f64 v[58:59], v[58:59], -v[71:72]
	v_add_f64 v[56:57], v[69:70], -v[56:57]
	v_add_f64 v[58:59], v[58:59], -v[60:61]
	v_mov_b32_e32 v60, 0x6b47b09a
	v_mov_b32_e32 v61, 0x3fc38538
	v_add_f64 v[51:52], v[51:52], v[58:59]
	v_add_f64 v[58:59], v[62:63], v[67:68]
	;; [unrolled: 1-line block ×3, first 2 shown]
	v_add_f64 v[56:57], v[58:59], -v[62:63]
	v_add_f64 v[51:52], v[71:72], v[51:52]
	v_add_f64 v[56:57], v[67:68], -v[56:57]
	v_mul_f64 v[51:52], v[54:55], v[51:52]
	v_add_f64 v[51:52], v[56:57], v[51:52]
	v_add_f64 v[54:55], v[58:59], v[51:52]
	v_mul_f64 v[56:57], v[54:55], v[54:55]
	v_fma_f64 v[60:61], v[56:57], s[4:5], v[60:61]
	s_mov_b32 s4, 0xd7f4df2e
	s_mov_b32 s5, 0x3fc7474d
	v_mul_f64 v[62:63], v[54:55], v[56:57]
	v_fma_f64 v[60:61], v[56:57], v[60:61], s[4:5]
	s_mov_b32 s4, 0x16291751
	s_mov_b32 s5, 0x3fcc71c0
	v_fma_f64 v[60:61], v[56:57], v[60:61], s[4:5]
	s_mov_b32 s4, 0x9b27acf1
	s_mov_b32 s5, 0x3fd24924
	;; [unrolled: 3-line block ×3, first 2 shown]
	v_fma_f64 v[60:61], v[56:57], v[60:61], s[4:5]
	v_cmp_nge_f64_e64 s[4:5], -1.0, v[23:24]
	v_fma_f64 v[56:57], v[56:57], v[60:61], s[30:31]
	v_ldexp_f64 v[60:61], v[54:55], 1
	v_add_f64 v[54:55], v[54:55], -v[58:59]
	s_mov_b32 s30, 0
	s_mov_b32 s31, 0x7ff00000
	v_cmp_neq_f64_e64 s[30:31], s[30:31], v[23:24]
	v_mul_f64 v[56:57], v[62:63], v[56:57]
	v_cvt_f64_i32_e32 v[62:63], v77
	v_add_f64 v[51:52], v[51:52], -v[54:55]
	v_mul_f64 v[67:68], v[62:63], s[38:39]
	s_and_b64 s[4:5], s[4:5], s[30:31]
	v_add_f64 v[58:59], v[60:61], v[56:57]
	v_ldexp_f64 v[51:52], v[51:52], 1
	v_add_f64 v[54:55], v[58:59], -v[60:61]
	v_fma_f64 v[60:61], v[62:63], s[38:39], -v[67:68]
	v_add_f64 v[54:55], v[56:57], -v[54:55]
	v_fma_f64 v[56:57], v[62:63], s[40:41], v[60:61]
	v_add_f64 v[51:52], v[51:52], v[54:55]
	v_add_f64 v[54:55], v[67:68], v[56:57]
	;; [unrolled: 1-line block ×3, first 2 shown]
	v_add_f64 v[67:68], v[54:55], -v[67:68]
	v_add_f64 v[62:63], v[54:55], v[60:61]
	v_add_f64 v[58:59], v[60:61], -v[58:59]
	v_add_f64 v[56:57], v[56:57], -v[67:68]
	v_add_f64 v[69:70], v[62:63], -v[54:55]
	v_add_f64 v[51:52], v[51:52], -v[58:59]
	v_add_f64 v[71:72], v[62:63], -v[69:70]
	v_add_f64 v[58:59], v[60:61], -v[69:70]
	v_add_f64 v[60:61], v[56:57], v[51:52]
	v_add_f64 v[54:55], v[54:55], -v[71:72]
	v_add_f64 v[54:55], v[58:59], v[54:55]
	v_add_f64 v[58:59], v[60:61], -v[56:57]
	;; [unrolled: 2-line block ×3, first 2 shown]
	v_add_f64 v[51:52], v[51:52], -v[58:59]
	v_add_f64 v[67:68], v[62:63], v[54:55]
	v_add_f64 v[56:57], v[56:57], -v[60:61]
	v_add_f64 v[58:59], v[67:68], -v[62:63]
	v_add_f64 v[51:52], v[51:52], v[56:57]
	v_add_f64 v[54:55], v[54:55], -v[58:59]
	v_add_f64 v[51:52], v[51:52], v[54:55]
	v_mov_b32_e32 v54, 0x7ff80000
	v_mov_b32_e32 v55, 0xfff00000
	v_add_f64 v[51:52], v[67:68], v[51:52]
	v_cndmask_b32_e64 v51, 0, v51, s[4:5]
	v_cmp_ngt_f64_e64 s[4:5], -1.0, v[23:24]
	v_cndmask_b32_e64 v52, v64, v52, s[30:31]
	v_cndmask_b32_e64 v52, v54, v52, s[4:5]
	v_cmp_neq_f64_e64 s[4:5], -1.0, v[23:24]
	v_cndmask_b32_e64 v52, v55, v52, s[4:5]
	v_add_f64 v[23:24], v[27:28], v[51:52]
.LBB70_50:
	s_or_b64 exec, exec, s[36:37]
	v_mbcnt_lo_u32_b32 v27, -1, 0
	v_mbcnt_hi_u32_b32 v54, -1, v27
	v_and_b32_e32 v55, 15, v54
	v_mov_b32_dpp v27, v23 row_shr:1 row_mask:0xf bank_mask:0xf
	v_mov_b32_dpp v28, v24 row_shr:1 row_mask:0xf bank_mask:0xf
	v_cmp_ne_u32_e64 s[4:5], 0, v55
	v_mov_b32_e32 v51, v23
	v_mov_b32_e32 v52, v24
	s_and_saveexec_b64 s[30:31], s[4:5]
	s_xor_b64 s[36:37], exec, s[30:31]
	s_mov_b32 s50, s42
	s_cbranch_execz .LBB70_54
; %bb.51:
	v_max_f64 v[51:52], v[27:28], v[27:28]
	v_max_f64 v[56:57], v[23:24], v[23:24]
	v_cmp_u_f64_e64 s[4:5], v[27:28], v[27:28]
	v_cmp_u_f64_e64 s[30:31], v[23:24], v[23:24]
	v_min_f64 v[58:59], v[51:52], v[56:57]
	v_max_f64 v[51:52], v[51:52], v[56:57]
	v_cndmask_b32_e64 v56, v59, v28, s[4:5]
	v_cndmask_b32_e64 v57, v58, v27, s[4:5]
	;; [unrolled: 1-line block ×8, first 2 shown]
	v_cmp_neq_f64_e64 s[4:5], v[51:52], v[23:24]
	v_cmp_class_f64_e64 s[30:31], v[51:52], s1
	s_or_b64 s[4:5], s[4:5], s[30:31]
	s_and_saveexec_b64 s[38:39], s[4:5]
	s_cbranch_execz .LBB70_53
; %bb.52:
	v_add_f64 v[27:28], v[51:52], -v[23:24]
	s_mov_b32 s4, 0x652b82fe
	s_mov_b32 s5, 0x3ff71547
	;; [unrolled: 1-line block ×6, first 2 shown]
	v_mov_b32_e32 v58, 0xfca7ab0c
	v_mul_f64 v[51:52], v[27:28], s[4:5]
	s_mov_b32 s4, 0x6a5dcb37
	v_mov_b32_e32 v59, 0x3e928af3
	s_mov_b32 s5, 0x3e5ade15
	s_mov_b32 s30, 0
	;; [unrolled: 1-line block ×3, first 2 shown]
	v_cmp_ngt_f64_e64 s[30:31], s[30:31], v[27:28]
	v_mov_b32_e32 v64, 0x7ff00000
	v_rndne_f64_e32 v[51:52], v[51:52]
	v_fma_f64 v[56:57], v[51:52], s[40:41], v[27:28]
	s_mov_b32 s41, 0x3fe62e42
	v_fma_f64 v[56:57], v[51:52], s[42:43], v[56:57]
	v_cvt_i32_f64_e32 v51, v[51:52]
	s_mov_b32 s43, 0x3c7abc9e
	v_fma_f64 v[58:59], v[56:57], s[4:5], v[58:59]
	s_mov_b32 s4, 0x623fde64
	s_mov_b32 s5, 0x3ec71dee
	v_fma_f64 v[58:59], v[56:57], v[58:59], s[4:5]
	s_mov_b32 s4, 0x7c89e6b0
	;; [unrolled: 3-line block ×9, first 2 shown]
	s_mov_b32 s5, 0x40900000
	v_cmp_nlt_f64_e64 s[4:5], s[4:5], v[27:28]
	v_fma_f64 v[58:59], v[56:57], v[58:59], 1.0
	v_fma_f64 v[56:57], v[56:57], v[58:59], 1.0
	v_ldexp_f64 v[51:52], v[56:57], v51
	v_cndmask_b32_e64 v52, v64, v52, s[4:5]
	s_and_b64 s[4:5], s[30:31], s[4:5]
	v_cndmask_b32_e64 v28, 0, v52, s[30:31]
	v_cndmask_b32_e64 v27, 0, v51, s[4:5]
	v_add_f64 v[51:52], v[27:28], 1.0
	s_mov_b32 s31, 0x3fe55555
	s_mov_b32 s30, 0x55555555
	v_frexp_mant_f64_e32 v[58:59], v[51:52]
	v_frexp_exp_i32_f64_e32 v62, v[51:52]
	v_add_f64 v[56:57], v[51:52], -1.0
	v_cmp_gt_f64_e64 s[4:5], s[30:31], v[58:59]
	s_mov_b32 s30, 0x55555780
	v_add_f64 v[60:61], v[56:57], -v[51:52]
	v_add_f64 v[56:57], v[27:28], -v[56:57]
	v_subbrev_co_u32_e64 v79, s[4:5], 0, v62, s[4:5]
	v_sub_u32_e32 v62, 0, v79
	v_ldexp_f64 v[51:52], v[51:52], v62
	v_add_f64 v[58:59], v[60:61], 1.0
	s_mov_b32 s4, 0xbf559e2b
	s_mov_b32 s5, 0x3fc3ab76
	v_add_f64 v[60:61], v[51:52], 1.0
	v_add_f64 v[56:57], v[56:57], v[58:59]
	v_add_f64 v[69:70], v[51:52], -1.0
	v_add_f64 v[58:59], v[60:61], -1.0
	v_ldexp_f64 v[56:57], v[56:57], v62
	v_add_f64 v[71:72], v[69:70], 1.0
	v_add_f64 v[58:59], v[51:52], -v[58:59]
	v_add_f64 v[51:52], v[51:52], -v[71:72]
	v_add_f64 v[58:59], v[56:57], v[58:59]
	v_add_f64 v[51:52], v[56:57], v[51:52]
	;; [unrolled: 1-line block ×4, first 2 shown]
	v_rcp_f64_e32 v[67:68], v[62:63]
	v_add_f64 v[60:61], v[62:63], -v[60:61]
	v_add_f64 v[69:70], v[71:72], -v[69:70]
	;; [unrolled: 1-line block ×4, first 2 shown]
	v_fma_f64 v[73:74], -v[62:63], v[67:68], 1.0
	v_fma_f64 v[67:68], v[73:74], v[67:68], v[67:68]
	v_fma_f64 v[56:57], -v[62:63], v[67:68], 1.0
	v_fma_f64 v[56:57], v[56:57], v[67:68], v[67:68]
	v_mul_f64 v[67:68], v[71:72], v[56:57]
	v_mul_f64 v[73:74], v[62:63], v[67:68]
	v_fma_f64 v[60:61], v[67:68], v[62:63], -v[73:74]
	v_fma_f64 v[60:61], v[67:68], v[58:59], v[60:61]
	v_add_f64 v[75:76], v[73:74], v[60:61]
	v_add_f64 v[77:78], v[71:72], -v[75:76]
	v_add_f64 v[69:70], v[75:76], -v[73:74]
	;; [unrolled: 1-line block ×5, first 2 shown]
	v_add_f64 v[51:52], v[51:52], v[71:72]
	v_add_f64 v[51:52], v[60:61], v[51:52]
	;; [unrolled: 1-line block ×3, first 2 shown]
	v_mul_f64 v[69:70], v[56:57], v[60:61]
	v_add_f64 v[75:76], v[77:78], -v[60:61]
	v_mul_f64 v[71:72], v[62:63], v[69:70]
	v_add_f64 v[51:52], v[51:52], v[75:76]
	v_fma_f64 v[62:63], v[69:70], v[62:63], -v[71:72]
	v_fma_f64 v[58:59], v[69:70], v[58:59], v[62:63]
	v_add_f64 v[62:63], v[71:72], v[58:59]
	v_add_f64 v[73:74], v[60:61], -v[62:63]
	v_add_f64 v[71:72], v[62:63], -v[71:72]
	;; [unrolled: 1-line block ×5, first 2 shown]
	v_mov_b32_e32 v62, 0x6b47b09a
	v_mov_b32_e32 v63, 0x3fc38538
	v_add_f64 v[51:52], v[51:52], v[60:61]
	v_add_f64 v[60:61], v[67:68], v[69:70]
	;; [unrolled: 1-line block ×3, first 2 shown]
	v_add_f64 v[58:59], v[60:61], -v[67:68]
	v_add_f64 v[51:52], v[73:74], v[51:52]
	v_add_f64 v[58:59], v[69:70], -v[58:59]
	v_mul_f64 v[51:52], v[56:57], v[51:52]
	v_add_f64 v[51:52], v[58:59], v[51:52]
	v_add_f64 v[56:57], v[60:61], v[51:52]
	v_mul_f64 v[58:59], v[56:57], v[56:57]
	v_fma_f64 v[62:63], v[58:59], s[4:5], v[62:63]
	s_mov_b32 s4, 0xd7f4df2e
	s_mov_b32 s5, 0x3fc7474d
	v_mul_f64 v[67:68], v[56:57], v[58:59]
	v_fma_f64 v[62:63], v[58:59], v[62:63], s[4:5]
	s_mov_b32 s4, 0x16291751
	s_mov_b32 s5, 0x3fcc71c0
	v_fma_f64 v[62:63], v[58:59], v[62:63], s[4:5]
	s_mov_b32 s4, 0x9b27acf1
	s_mov_b32 s5, 0x3fd24924
	;; [unrolled: 3-line block ×3, first 2 shown]
	v_fma_f64 v[62:63], v[58:59], v[62:63], s[4:5]
	v_cmp_nge_f64_e64 s[4:5], -1.0, v[27:28]
	v_fma_f64 v[58:59], v[58:59], v[62:63], s[30:31]
	v_ldexp_f64 v[62:63], v[56:57], 1
	v_add_f64 v[56:57], v[56:57], -v[60:61]
	s_mov_b32 s30, 0
	s_mov_b32 s31, 0x7ff00000
	v_cmp_neq_f64_e64 s[30:31], s[30:31], v[27:28]
	v_mul_f64 v[58:59], v[67:68], v[58:59]
	v_cvt_f64_i32_e32 v[67:68], v79
	v_add_f64 v[51:52], v[51:52], -v[56:57]
	v_mul_f64 v[69:70], v[67:68], s[40:41]
	s_and_b64 s[4:5], s[4:5], s[30:31]
	v_add_f64 v[60:61], v[62:63], v[58:59]
	v_ldexp_f64 v[51:52], v[51:52], 1
	v_add_f64 v[56:57], v[60:61], -v[62:63]
	v_fma_f64 v[62:63], v[67:68], s[40:41], -v[69:70]
	v_add_f64 v[56:57], v[58:59], -v[56:57]
	v_fma_f64 v[58:59], v[67:68], s[42:43], v[62:63]
	s_mov_b32 s42, s50
	v_add_f64 v[51:52], v[51:52], v[56:57]
	v_add_f64 v[56:57], v[69:70], v[58:59]
	;; [unrolled: 1-line block ×3, first 2 shown]
	v_add_f64 v[69:70], v[56:57], -v[69:70]
	v_add_f64 v[67:68], v[56:57], v[62:63]
	v_add_f64 v[60:61], v[62:63], -v[60:61]
	v_add_f64 v[58:59], v[58:59], -v[69:70]
	;; [unrolled: 1-line block ×6, first 2 shown]
	v_add_f64 v[62:63], v[58:59], v[51:52]
	v_add_f64 v[56:57], v[56:57], -v[73:74]
	v_add_f64 v[56:57], v[60:61], v[56:57]
	v_add_f64 v[60:61], v[62:63], -v[58:59]
	;; [unrolled: 2-line block ×3, first 2 shown]
	v_add_f64 v[51:52], v[51:52], -v[60:61]
	v_add_f64 v[69:70], v[67:68], v[56:57]
	v_add_f64 v[58:59], v[58:59], -v[62:63]
	v_add_f64 v[60:61], v[69:70], -v[67:68]
	v_add_f64 v[51:52], v[51:52], v[58:59]
	v_add_f64 v[56:57], v[56:57], -v[60:61]
	v_add_f64 v[51:52], v[51:52], v[56:57]
	v_mov_b32_e32 v56, 0x7ff80000
	v_mov_b32_e32 v57, 0xfff00000
	v_add_f64 v[51:52], v[69:70], v[51:52]
	v_cndmask_b32_e64 v51, 0, v51, s[4:5]
	v_cmp_ngt_f64_e64 s[4:5], -1.0, v[27:28]
	v_cndmask_b32_e64 v52, v64, v52, s[30:31]
	v_cndmask_b32_e64 v52, v56, v52, s[4:5]
	v_cmp_neq_f64_e64 s[4:5], -1.0, v[27:28]
	v_cndmask_b32_e64 v52, v57, v52, s[4:5]
	v_add_f64 v[27:28], v[23:24], v[51:52]
.LBB70_53:
	s_or_b64 exec, exec, s[38:39]
	v_mov_b32_e32 v23, v27
	v_mov_b32_e32 v51, v27
	;; [unrolled: 1-line block ×4, first 2 shown]
.LBB70_54:
	s_or_b64 exec, exec, s[36:37]
	v_mov_b32_dpp v27, v51 row_shr:2 row_mask:0xf bank_mask:0xf
	v_mov_b32_dpp v28, v52 row_shr:2 row_mask:0xf bank_mask:0xf
	v_cmp_lt_u32_e64 s[4:5], 1, v55
	s_and_saveexec_b64 s[36:37], s[4:5]
	s_cbranch_execz .LBB70_58
; %bb.55:
	v_max_f64 v[51:52], v[27:28], v[27:28]
	v_max_f64 v[56:57], v[23:24], v[23:24]
	v_cmp_u_f64_e64 s[4:5], v[27:28], v[27:28]
	v_cmp_u_f64_e64 s[30:31], v[23:24], v[23:24]
	v_min_f64 v[58:59], v[51:52], v[56:57]
	v_max_f64 v[51:52], v[51:52], v[56:57]
	v_cndmask_b32_e64 v56, v59, v28, s[4:5]
	v_cndmask_b32_e64 v57, v58, v27, s[4:5]
	;; [unrolled: 1-line block ×8, first 2 shown]
	v_cmp_neq_f64_e64 s[4:5], v[51:52], v[23:24]
	v_cmp_class_f64_e64 s[30:31], v[51:52], s1
	s_or_b64 s[4:5], s[4:5], s[30:31]
	s_and_saveexec_b64 s[38:39], s[4:5]
	s_cbranch_execz .LBB70_57
; %bb.56:
	v_add_f64 v[27:28], v[51:52], -v[23:24]
	s_mov_b32 s4, 0x652b82fe
	s_mov_b32 s5, 0x3ff71547
	;; [unrolled: 1-line block ×6, first 2 shown]
	v_mov_b32_e32 v58, 0xfca7ab0c
	v_mul_f64 v[51:52], v[27:28], s[4:5]
	s_mov_b32 s4, 0x6a5dcb37
	v_mov_b32_e32 v59, 0x3e928af3
	s_mov_b32 s5, 0x3e5ade15
	s_mov_b32 s30, 0
	;; [unrolled: 1-line block ×3, first 2 shown]
	v_cmp_ngt_f64_e64 s[30:31], s[30:31], v[27:28]
	v_mov_b32_e32 v64, 0x7ff00000
	v_rndne_f64_e32 v[51:52], v[51:52]
	v_fma_f64 v[56:57], v[51:52], s[40:41], v[27:28]
	s_mov_b32 s41, 0x3fe62e42
	v_fma_f64 v[56:57], v[51:52], s[42:43], v[56:57]
	v_cvt_i32_f64_e32 v51, v[51:52]
	s_mov_b32 s43, 0x3c7abc9e
	v_fma_f64 v[58:59], v[56:57], s[4:5], v[58:59]
	s_mov_b32 s4, 0x623fde64
	s_mov_b32 s5, 0x3ec71dee
	v_fma_f64 v[58:59], v[56:57], v[58:59], s[4:5]
	s_mov_b32 s4, 0x7c89e6b0
	s_mov_b32 s5, 0x3efa0199
	v_fma_f64 v[58:59], v[56:57], v[58:59], s[4:5]
	s_mov_b32 s4, 0x14761f6e
	s_mov_b32 s5, 0x3f2a01a0
	v_fma_f64 v[58:59], v[56:57], v[58:59], s[4:5]
	s_mov_b32 s4, 0x1852b7b0
	s_mov_b32 s5, 0x3f56c16c
	v_fma_f64 v[58:59], v[56:57], v[58:59], s[4:5]
	s_mov_b32 s4, 0x11122322
	s_mov_b32 s5, 0x3f811111
	v_fma_f64 v[58:59], v[56:57], v[58:59], s[4:5]
	s_mov_b32 s4, 0x555502a1
	s_mov_b32 s5, 0x3fa55555
	v_fma_f64 v[58:59], v[56:57], v[58:59], s[4:5]
	s_mov_b32 s4, 0x55555511
	s_mov_b32 s5, 0x3fc55555
	v_fma_f64 v[58:59], v[56:57], v[58:59], s[4:5]
	s_mov_b32 s4, 11
	s_mov_b32 s5, 0x3fe00000
	v_fma_f64 v[58:59], v[56:57], v[58:59], s[4:5]
	s_mov_b32 s4, 0
	s_mov_b32 s5, 0x40900000
	v_cmp_nlt_f64_e64 s[4:5], s[4:5], v[27:28]
	v_fma_f64 v[58:59], v[56:57], v[58:59], 1.0
	v_fma_f64 v[56:57], v[56:57], v[58:59], 1.0
	v_ldexp_f64 v[51:52], v[56:57], v51
	v_cndmask_b32_e64 v52, v64, v52, s[4:5]
	s_and_b64 s[4:5], s[30:31], s[4:5]
	v_cndmask_b32_e64 v28, 0, v52, s[30:31]
	v_cndmask_b32_e64 v27, 0, v51, s[4:5]
	v_add_f64 v[51:52], v[27:28], 1.0
	s_mov_b32 s31, 0x3fe55555
	s_mov_b32 s30, 0x55555555
	v_frexp_mant_f64_e32 v[58:59], v[51:52]
	v_frexp_exp_i32_f64_e32 v62, v[51:52]
	v_add_f64 v[56:57], v[51:52], -1.0
	v_cmp_gt_f64_e64 s[4:5], s[30:31], v[58:59]
	s_mov_b32 s30, 0x55555780
	v_add_f64 v[60:61], v[56:57], -v[51:52]
	v_add_f64 v[56:57], v[27:28], -v[56:57]
	v_subbrev_co_u32_e64 v79, s[4:5], 0, v62, s[4:5]
	v_sub_u32_e32 v62, 0, v79
	v_ldexp_f64 v[51:52], v[51:52], v62
	v_add_f64 v[58:59], v[60:61], 1.0
	s_mov_b32 s4, 0xbf559e2b
	s_mov_b32 s5, 0x3fc3ab76
	v_add_f64 v[60:61], v[51:52], 1.0
	v_add_f64 v[56:57], v[56:57], v[58:59]
	v_add_f64 v[69:70], v[51:52], -1.0
	v_add_f64 v[58:59], v[60:61], -1.0
	v_ldexp_f64 v[56:57], v[56:57], v62
	v_add_f64 v[71:72], v[69:70], 1.0
	v_add_f64 v[58:59], v[51:52], -v[58:59]
	v_add_f64 v[51:52], v[51:52], -v[71:72]
	v_add_f64 v[58:59], v[56:57], v[58:59]
	v_add_f64 v[51:52], v[56:57], v[51:52]
	;; [unrolled: 1-line block ×4, first 2 shown]
	v_rcp_f64_e32 v[67:68], v[62:63]
	v_add_f64 v[60:61], v[62:63], -v[60:61]
	v_add_f64 v[69:70], v[71:72], -v[69:70]
	;; [unrolled: 1-line block ×4, first 2 shown]
	v_fma_f64 v[73:74], -v[62:63], v[67:68], 1.0
	v_fma_f64 v[67:68], v[73:74], v[67:68], v[67:68]
	v_fma_f64 v[56:57], -v[62:63], v[67:68], 1.0
	v_fma_f64 v[56:57], v[56:57], v[67:68], v[67:68]
	v_mul_f64 v[67:68], v[71:72], v[56:57]
	v_mul_f64 v[73:74], v[62:63], v[67:68]
	v_fma_f64 v[60:61], v[67:68], v[62:63], -v[73:74]
	v_fma_f64 v[60:61], v[67:68], v[58:59], v[60:61]
	v_add_f64 v[75:76], v[73:74], v[60:61]
	v_add_f64 v[77:78], v[71:72], -v[75:76]
	v_add_f64 v[69:70], v[75:76], -v[73:74]
	;; [unrolled: 1-line block ×5, first 2 shown]
	v_add_f64 v[51:52], v[51:52], v[71:72]
	v_add_f64 v[51:52], v[60:61], v[51:52]
	;; [unrolled: 1-line block ×3, first 2 shown]
	v_mul_f64 v[69:70], v[56:57], v[60:61]
	v_add_f64 v[75:76], v[77:78], -v[60:61]
	v_mul_f64 v[71:72], v[62:63], v[69:70]
	v_add_f64 v[51:52], v[51:52], v[75:76]
	v_fma_f64 v[62:63], v[69:70], v[62:63], -v[71:72]
	v_fma_f64 v[58:59], v[69:70], v[58:59], v[62:63]
	v_add_f64 v[62:63], v[71:72], v[58:59]
	v_add_f64 v[73:74], v[60:61], -v[62:63]
	v_add_f64 v[71:72], v[62:63], -v[71:72]
	v_add_f64 v[60:61], v[60:61], -v[73:74]
	v_add_f64 v[58:59], v[71:72], -v[58:59]
	v_add_f64 v[60:61], v[60:61], -v[62:63]
	v_mov_b32_e32 v62, 0x6b47b09a
	v_mov_b32_e32 v63, 0x3fc38538
	v_add_f64 v[51:52], v[51:52], v[60:61]
	v_add_f64 v[60:61], v[67:68], v[69:70]
	v_add_f64 v[51:52], v[58:59], v[51:52]
	v_add_f64 v[58:59], v[60:61], -v[67:68]
	v_add_f64 v[51:52], v[73:74], v[51:52]
	v_add_f64 v[58:59], v[69:70], -v[58:59]
	v_mul_f64 v[51:52], v[56:57], v[51:52]
	v_add_f64 v[51:52], v[58:59], v[51:52]
	v_add_f64 v[56:57], v[60:61], v[51:52]
	v_mul_f64 v[58:59], v[56:57], v[56:57]
	v_fma_f64 v[62:63], v[58:59], s[4:5], v[62:63]
	s_mov_b32 s4, 0xd7f4df2e
	s_mov_b32 s5, 0x3fc7474d
	v_mul_f64 v[67:68], v[56:57], v[58:59]
	v_fma_f64 v[62:63], v[58:59], v[62:63], s[4:5]
	s_mov_b32 s4, 0x16291751
	s_mov_b32 s5, 0x3fcc71c0
	v_fma_f64 v[62:63], v[58:59], v[62:63], s[4:5]
	s_mov_b32 s4, 0x9b27acf1
	s_mov_b32 s5, 0x3fd24924
	v_fma_f64 v[62:63], v[58:59], v[62:63], s[4:5]
	s_mov_b32 s4, 0x998ef7b6
	s_mov_b32 s5, 0x3fd99999
	v_fma_f64 v[62:63], v[58:59], v[62:63], s[4:5]
	v_cmp_nge_f64_e64 s[4:5], -1.0, v[27:28]
	v_fma_f64 v[58:59], v[58:59], v[62:63], s[30:31]
	v_ldexp_f64 v[62:63], v[56:57], 1
	v_add_f64 v[56:57], v[56:57], -v[60:61]
	s_mov_b32 s30, 0
	s_mov_b32 s31, 0x7ff00000
	v_cmp_neq_f64_e64 s[30:31], s[30:31], v[27:28]
	v_mul_f64 v[58:59], v[67:68], v[58:59]
	v_cvt_f64_i32_e32 v[67:68], v79
	v_add_f64 v[51:52], v[51:52], -v[56:57]
	v_mul_f64 v[69:70], v[67:68], s[40:41]
	s_and_b64 s[4:5], s[4:5], s[30:31]
	v_add_f64 v[60:61], v[62:63], v[58:59]
	v_ldexp_f64 v[51:52], v[51:52], 1
	v_add_f64 v[56:57], v[60:61], -v[62:63]
	v_fma_f64 v[62:63], v[67:68], s[40:41], -v[69:70]
	v_add_f64 v[56:57], v[58:59], -v[56:57]
	v_fma_f64 v[58:59], v[67:68], s[42:43], v[62:63]
	s_mov_b32 s42, s50
	v_add_f64 v[51:52], v[51:52], v[56:57]
	v_add_f64 v[56:57], v[69:70], v[58:59]
	;; [unrolled: 1-line block ×3, first 2 shown]
	v_add_f64 v[69:70], v[56:57], -v[69:70]
	v_add_f64 v[67:68], v[56:57], v[62:63]
	v_add_f64 v[60:61], v[62:63], -v[60:61]
	v_add_f64 v[58:59], v[58:59], -v[69:70]
	;; [unrolled: 1-line block ×6, first 2 shown]
	v_add_f64 v[62:63], v[58:59], v[51:52]
	v_add_f64 v[56:57], v[56:57], -v[73:74]
	v_add_f64 v[56:57], v[60:61], v[56:57]
	v_add_f64 v[60:61], v[62:63], -v[58:59]
	;; [unrolled: 2-line block ×3, first 2 shown]
	v_add_f64 v[51:52], v[51:52], -v[60:61]
	v_add_f64 v[69:70], v[67:68], v[56:57]
	v_add_f64 v[58:59], v[58:59], -v[62:63]
	v_add_f64 v[60:61], v[69:70], -v[67:68]
	v_add_f64 v[51:52], v[51:52], v[58:59]
	v_add_f64 v[56:57], v[56:57], -v[60:61]
	v_add_f64 v[51:52], v[51:52], v[56:57]
	v_mov_b32_e32 v56, 0x7ff80000
	v_mov_b32_e32 v57, 0xfff00000
	v_add_f64 v[51:52], v[69:70], v[51:52]
	v_cndmask_b32_e64 v51, 0, v51, s[4:5]
	v_cmp_ngt_f64_e64 s[4:5], -1.0, v[27:28]
	v_cndmask_b32_e64 v52, v64, v52, s[30:31]
	v_cndmask_b32_e64 v52, v56, v52, s[4:5]
	v_cmp_neq_f64_e64 s[4:5], -1.0, v[27:28]
	v_cndmask_b32_e64 v52, v57, v52, s[4:5]
	v_add_f64 v[27:28], v[23:24], v[51:52]
.LBB70_57:
	s_or_b64 exec, exec, s[38:39]
	v_mov_b32_e32 v23, v27
	v_mov_b32_e32 v24, v28
	;; [unrolled: 1-line block ×4, first 2 shown]
.LBB70_58:
	s_or_b64 exec, exec, s[36:37]
	v_mov_b32_dpp v27, v51 row_shr:4 row_mask:0xf bank_mask:0xf
	v_mov_b32_dpp v28, v52 row_shr:4 row_mask:0xf bank_mask:0xf
	v_cmp_lt_u32_e64 s[4:5], 3, v55
	s_and_saveexec_b64 s[36:37], s[4:5]
	s_cbranch_execz .LBB70_62
; %bb.59:
	v_max_f64 v[51:52], v[27:28], v[27:28]
	v_max_f64 v[56:57], v[23:24], v[23:24]
	v_cmp_u_f64_e64 s[4:5], v[27:28], v[27:28]
	v_cmp_u_f64_e64 s[30:31], v[23:24], v[23:24]
	v_min_f64 v[58:59], v[51:52], v[56:57]
	v_max_f64 v[51:52], v[51:52], v[56:57]
	v_cndmask_b32_e64 v56, v59, v28, s[4:5]
	v_cndmask_b32_e64 v57, v58, v27, s[4:5]
	;; [unrolled: 1-line block ×8, first 2 shown]
	v_cmp_neq_f64_e64 s[4:5], v[51:52], v[23:24]
	v_cmp_class_f64_e64 s[30:31], v[51:52], s1
	s_or_b64 s[4:5], s[4:5], s[30:31]
	s_and_saveexec_b64 s[38:39], s[4:5]
	s_cbranch_execz .LBB70_61
; %bb.60:
	v_add_f64 v[27:28], v[51:52], -v[23:24]
	s_mov_b32 s4, 0x652b82fe
	s_mov_b32 s5, 0x3ff71547
	;; [unrolled: 1-line block ×6, first 2 shown]
	v_mov_b32_e32 v58, 0xfca7ab0c
	v_mul_f64 v[51:52], v[27:28], s[4:5]
	s_mov_b32 s4, 0x6a5dcb37
	v_mov_b32_e32 v59, 0x3e928af3
	s_mov_b32 s5, 0x3e5ade15
	s_mov_b32 s30, 0
	;; [unrolled: 1-line block ×3, first 2 shown]
	v_cmp_ngt_f64_e64 s[30:31], s[30:31], v[27:28]
	v_mov_b32_e32 v64, 0x7ff00000
	v_rndne_f64_e32 v[51:52], v[51:52]
	v_fma_f64 v[56:57], v[51:52], s[40:41], v[27:28]
	s_mov_b32 s41, 0x3fe62e42
	v_fma_f64 v[56:57], v[51:52], s[42:43], v[56:57]
	v_cvt_i32_f64_e32 v51, v[51:52]
	s_mov_b32 s43, 0x3c7abc9e
	v_fma_f64 v[58:59], v[56:57], s[4:5], v[58:59]
	s_mov_b32 s4, 0x623fde64
	s_mov_b32 s5, 0x3ec71dee
	v_fma_f64 v[58:59], v[56:57], v[58:59], s[4:5]
	s_mov_b32 s4, 0x7c89e6b0
	;; [unrolled: 3-line block ×9, first 2 shown]
	s_mov_b32 s5, 0x40900000
	v_cmp_nlt_f64_e64 s[4:5], s[4:5], v[27:28]
	v_fma_f64 v[58:59], v[56:57], v[58:59], 1.0
	v_fma_f64 v[56:57], v[56:57], v[58:59], 1.0
	v_ldexp_f64 v[51:52], v[56:57], v51
	v_cndmask_b32_e64 v52, v64, v52, s[4:5]
	s_and_b64 s[4:5], s[30:31], s[4:5]
	v_cndmask_b32_e64 v28, 0, v52, s[30:31]
	v_cndmask_b32_e64 v27, 0, v51, s[4:5]
	v_add_f64 v[51:52], v[27:28], 1.0
	s_mov_b32 s31, 0x3fe55555
	s_mov_b32 s30, 0x55555555
	v_frexp_mant_f64_e32 v[58:59], v[51:52]
	v_frexp_exp_i32_f64_e32 v62, v[51:52]
	v_add_f64 v[56:57], v[51:52], -1.0
	v_cmp_gt_f64_e64 s[4:5], s[30:31], v[58:59]
	s_mov_b32 s30, 0x55555780
	v_add_f64 v[60:61], v[56:57], -v[51:52]
	v_add_f64 v[56:57], v[27:28], -v[56:57]
	v_subbrev_co_u32_e64 v79, s[4:5], 0, v62, s[4:5]
	v_sub_u32_e32 v62, 0, v79
	v_ldexp_f64 v[51:52], v[51:52], v62
	v_add_f64 v[58:59], v[60:61], 1.0
	s_mov_b32 s4, 0xbf559e2b
	s_mov_b32 s5, 0x3fc3ab76
	v_add_f64 v[60:61], v[51:52], 1.0
	v_add_f64 v[56:57], v[56:57], v[58:59]
	v_add_f64 v[69:70], v[51:52], -1.0
	v_add_f64 v[58:59], v[60:61], -1.0
	v_ldexp_f64 v[56:57], v[56:57], v62
	v_add_f64 v[71:72], v[69:70], 1.0
	v_add_f64 v[58:59], v[51:52], -v[58:59]
	v_add_f64 v[51:52], v[51:52], -v[71:72]
	v_add_f64 v[58:59], v[56:57], v[58:59]
	v_add_f64 v[51:52], v[56:57], v[51:52]
	;; [unrolled: 1-line block ×4, first 2 shown]
	v_rcp_f64_e32 v[67:68], v[62:63]
	v_add_f64 v[60:61], v[62:63], -v[60:61]
	v_add_f64 v[69:70], v[71:72], -v[69:70]
	;; [unrolled: 1-line block ×4, first 2 shown]
	v_fma_f64 v[73:74], -v[62:63], v[67:68], 1.0
	v_fma_f64 v[67:68], v[73:74], v[67:68], v[67:68]
	v_fma_f64 v[56:57], -v[62:63], v[67:68], 1.0
	v_fma_f64 v[56:57], v[56:57], v[67:68], v[67:68]
	v_mul_f64 v[67:68], v[71:72], v[56:57]
	v_mul_f64 v[73:74], v[62:63], v[67:68]
	v_fma_f64 v[60:61], v[67:68], v[62:63], -v[73:74]
	v_fma_f64 v[60:61], v[67:68], v[58:59], v[60:61]
	v_add_f64 v[75:76], v[73:74], v[60:61]
	v_add_f64 v[77:78], v[71:72], -v[75:76]
	v_add_f64 v[69:70], v[75:76], -v[73:74]
	;; [unrolled: 1-line block ×5, first 2 shown]
	v_add_f64 v[51:52], v[51:52], v[71:72]
	v_add_f64 v[51:52], v[60:61], v[51:52]
	;; [unrolled: 1-line block ×3, first 2 shown]
	v_mul_f64 v[69:70], v[56:57], v[60:61]
	v_add_f64 v[75:76], v[77:78], -v[60:61]
	v_mul_f64 v[71:72], v[62:63], v[69:70]
	v_add_f64 v[51:52], v[51:52], v[75:76]
	v_fma_f64 v[62:63], v[69:70], v[62:63], -v[71:72]
	v_fma_f64 v[58:59], v[69:70], v[58:59], v[62:63]
	v_add_f64 v[62:63], v[71:72], v[58:59]
	v_add_f64 v[73:74], v[60:61], -v[62:63]
	v_add_f64 v[71:72], v[62:63], -v[71:72]
	;; [unrolled: 1-line block ×5, first 2 shown]
	v_mov_b32_e32 v62, 0x6b47b09a
	v_mov_b32_e32 v63, 0x3fc38538
	v_add_f64 v[51:52], v[51:52], v[60:61]
	v_add_f64 v[60:61], v[67:68], v[69:70]
	;; [unrolled: 1-line block ×3, first 2 shown]
	v_add_f64 v[58:59], v[60:61], -v[67:68]
	v_add_f64 v[51:52], v[73:74], v[51:52]
	v_add_f64 v[58:59], v[69:70], -v[58:59]
	v_mul_f64 v[51:52], v[56:57], v[51:52]
	v_add_f64 v[51:52], v[58:59], v[51:52]
	v_add_f64 v[56:57], v[60:61], v[51:52]
	v_mul_f64 v[58:59], v[56:57], v[56:57]
	v_fma_f64 v[62:63], v[58:59], s[4:5], v[62:63]
	s_mov_b32 s4, 0xd7f4df2e
	s_mov_b32 s5, 0x3fc7474d
	v_mul_f64 v[67:68], v[56:57], v[58:59]
	v_fma_f64 v[62:63], v[58:59], v[62:63], s[4:5]
	s_mov_b32 s4, 0x16291751
	s_mov_b32 s5, 0x3fcc71c0
	v_fma_f64 v[62:63], v[58:59], v[62:63], s[4:5]
	s_mov_b32 s4, 0x9b27acf1
	s_mov_b32 s5, 0x3fd24924
	;; [unrolled: 3-line block ×3, first 2 shown]
	v_fma_f64 v[62:63], v[58:59], v[62:63], s[4:5]
	v_cmp_nge_f64_e64 s[4:5], -1.0, v[27:28]
	v_fma_f64 v[58:59], v[58:59], v[62:63], s[30:31]
	v_ldexp_f64 v[62:63], v[56:57], 1
	v_add_f64 v[56:57], v[56:57], -v[60:61]
	s_mov_b32 s30, 0
	s_mov_b32 s31, 0x7ff00000
	v_cmp_neq_f64_e64 s[30:31], s[30:31], v[27:28]
	v_mul_f64 v[58:59], v[67:68], v[58:59]
	v_cvt_f64_i32_e32 v[67:68], v79
	v_add_f64 v[51:52], v[51:52], -v[56:57]
	v_mul_f64 v[69:70], v[67:68], s[40:41]
	s_and_b64 s[4:5], s[4:5], s[30:31]
	v_add_f64 v[60:61], v[62:63], v[58:59]
	v_ldexp_f64 v[51:52], v[51:52], 1
	v_add_f64 v[56:57], v[60:61], -v[62:63]
	v_fma_f64 v[62:63], v[67:68], s[40:41], -v[69:70]
	v_add_f64 v[56:57], v[58:59], -v[56:57]
	v_fma_f64 v[58:59], v[67:68], s[42:43], v[62:63]
	s_mov_b32 s42, s50
	v_add_f64 v[51:52], v[51:52], v[56:57]
	v_add_f64 v[56:57], v[69:70], v[58:59]
	;; [unrolled: 1-line block ×3, first 2 shown]
	v_add_f64 v[69:70], v[56:57], -v[69:70]
	v_add_f64 v[67:68], v[56:57], v[62:63]
	v_add_f64 v[60:61], v[62:63], -v[60:61]
	v_add_f64 v[58:59], v[58:59], -v[69:70]
	;; [unrolled: 1-line block ×6, first 2 shown]
	v_add_f64 v[62:63], v[58:59], v[51:52]
	v_add_f64 v[56:57], v[56:57], -v[73:74]
	v_add_f64 v[56:57], v[60:61], v[56:57]
	v_add_f64 v[60:61], v[62:63], -v[58:59]
	;; [unrolled: 2-line block ×3, first 2 shown]
	v_add_f64 v[51:52], v[51:52], -v[60:61]
	v_add_f64 v[69:70], v[67:68], v[56:57]
	v_add_f64 v[58:59], v[58:59], -v[62:63]
	v_add_f64 v[60:61], v[69:70], -v[67:68]
	v_add_f64 v[51:52], v[51:52], v[58:59]
	v_add_f64 v[56:57], v[56:57], -v[60:61]
	v_add_f64 v[51:52], v[51:52], v[56:57]
	v_mov_b32_e32 v56, 0x7ff80000
	v_mov_b32_e32 v57, 0xfff00000
	v_add_f64 v[51:52], v[69:70], v[51:52]
	v_cndmask_b32_e64 v51, 0, v51, s[4:5]
	v_cmp_ngt_f64_e64 s[4:5], -1.0, v[27:28]
	v_cndmask_b32_e64 v52, v64, v52, s[30:31]
	v_cndmask_b32_e64 v52, v56, v52, s[4:5]
	v_cmp_neq_f64_e64 s[4:5], -1.0, v[27:28]
	v_cndmask_b32_e64 v52, v57, v52, s[4:5]
	v_add_f64 v[27:28], v[23:24], v[51:52]
.LBB70_61:
	s_or_b64 exec, exec, s[38:39]
	v_mov_b32_e32 v23, v27
	v_mov_b32_e32 v24, v28
	;; [unrolled: 1-line block ×4, first 2 shown]
.LBB70_62:
	s_or_b64 exec, exec, s[36:37]
	v_mov_b32_dpp v27, v51 row_shr:8 row_mask:0xf bank_mask:0xf
	v_mov_b32_dpp v28, v52 row_shr:8 row_mask:0xf bank_mask:0xf
	v_cmp_lt_u32_e64 s[4:5], 7, v55
	s_and_saveexec_b64 s[36:37], s[4:5]
	s_cbranch_execz .LBB70_66
; %bb.63:
	v_max_f64 v[51:52], v[27:28], v[27:28]
	v_max_f64 v[55:56], v[23:24], v[23:24]
	v_cmp_u_f64_e64 s[4:5], v[27:28], v[27:28]
	v_cmp_u_f64_e64 s[30:31], v[23:24], v[23:24]
	v_min_f64 v[57:58], v[51:52], v[55:56]
	v_max_f64 v[51:52], v[51:52], v[55:56]
	v_cndmask_b32_e64 v55, v58, v28, s[4:5]
	v_cndmask_b32_e64 v56, v57, v27, s[4:5]
	;; [unrolled: 1-line block ×8, first 2 shown]
	v_cmp_neq_f64_e64 s[4:5], v[51:52], v[23:24]
	v_cmp_class_f64_e64 s[30:31], v[51:52], s1
	s_or_b64 s[4:5], s[4:5], s[30:31]
	s_and_saveexec_b64 s[38:39], s[4:5]
	s_cbranch_execz .LBB70_65
; %bb.64:
	v_add_f64 v[27:28], v[51:52], -v[23:24]
	s_mov_b32 s4, 0x652b82fe
	s_mov_b32 s5, 0x3ff71547
	;; [unrolled: 1-line block ×6, first 2 shown]
	v_mov_b32_e32 v57, 0xfca7ab0c
	v_mul_f64 v[51:52], v[27:28], s[4:5]
	s_mov_b32 s4, 0x6a5dcb37
	v_mov_b32_e32 v58, 0x3e928af3
	s_mov_b32 s5, 0x3e5ade15
	s_mov_b32 s30, 0
	;; [unrolled: 1-line block ×3, first 2 shown]
	v_cmp_ngt_f64_e64 s[30:31], s[30:31], v[27:28]
	v_mov_b32_e32 v77, 0x7ff00000
	v_rndne_f64_e32 v[51:52], v[51:52]
	v_fma_f64 v[55:56], v[51:52], s[40:41], v[27:28]
	s_mov_b32 s41, 0x3fe62e42
	v_fma_f64 v[55:56], v[51:52], s[42:43], v[55:56]
	v_cvt_i32_f64_e32 v51, v[51:52]
	s_mov_b32 s43, 0x3c7abc9e
	v_fma_f64 v[57:58], v[55:56], s[4:5], v[57:58]
	s_mov_b32 s4, 0x623fde64
	s_mov_b32 s5, 0x3ec71dee
	v_fma_f64 v[57:58], v[55:56], v[57:58], s[4:5]
	s_mov_b32 s4, 0x7c89e6b0
	;; [unrolled: 3-line block ×9, first 2 shown]
	s_mov_b32 s5, 0x40900000
	v_cmp_nlt_f64_e64 s[4:5], s[4:5], v[27:28]
	v_fma_f64 v[57:58], v[55:56], v[57:58], 1.0
	v_fma_f64 v[55:56], v[55:56], v[57:58], 1.0
	v_ldexp_f64 v[51:52], v[55:56], v51
	v_cndmask_b32_e64 v52, v77, v52, s[4:5]
	s_and_b64 s[4:5], s[30:31], s[4:5]
	v_cndmask_b32_e64 v28, 0, v52, s[30:31]
	v_cndmask_b32_e64 v27, 0, v51, s[4:5]
	v_add_f64 v[51:52], v[27:28], 1.0
	s_mov_b32 s31, 0x3fe55555
	s_mov_b32 s30, 0x55555555
	v_frexp_mant_f64_e32 v[57:58], v[51:52]
	v_frexp_exp_i32_f64_e32 v61, v[51:52]
	v_add_f64 v[55:56], v[51:52], -1.0
	v_cmp_gt_f64_e64 s[4:5], s[30:31], v[57:58]
	s_mov_b32 s30, 0x55555780
	v_add_f64 v[59:60], v[55:56], -v[51:52]
	v_add_f64 v[55:56], v[27:28], -v[55:56]
	v_subbrev_co_u32_e64 v78, s[4:5], 0, v61, s[4:5]
	v_sub_u32_e32 v61, 0, v78
	v_ldexp_f64 v[51:52], v[51:52], v61
	v_add_f64 v[57:58], v[59:60], 1.0
	s_mov_b32 s4, 0xbf559e2b
	s_mov_b32 s5, 0x3fc3ab76
	v_add_f64 v[59:60], v[51:52], 1.0
	v_add_f64 v[55:56], v[55:56], v[57:58]
	v_add_f64 v[67:68], v[51:52], -1.0
	v_add_f64 v[57:58], v[59:60], -1.0
	v_ldexp_f64 v[55:56], v[55:56], v61
	v_add_f64 v[69:70], v[67:68], 1.0
	v_add_f64 v[57:58], v[51:52], -v[57:58]
	v_add_f64 v[51:52], v[51:52], -v[69:70]
	v_add_f64 v[57:58], v[55:56], v[57:58]
	v_add_f64 v[51:52], v[55:56], v[51:52]
	;; [unrolled: 1-line block ×4, first 2 shown]
	v_rcp_f64_e32 v[63:64], v[61:62]
	v_add_f64 v[59:60], v[61:62], -v[59:60]
	v_add_f64 v[67:68], v[69:70], -v[67:68]
	;; [unrolled: 1-line block ×4, first 2 shown]
	v_fma_f64 v[71:72], -v[61:62], v[63:64], 1.0
	v_fma_f64 v[63:64], v[71:72], v[63:64], v[63:64]
	v_fma_f64 v[55:56], -v[61:62], v[63:64], 1.0
	v_fma_f64 v[55:56], v[55:56], v[63:64], v[63:64]
	v_mul_f64 v[63:64], v[69:70], v[55:56]
	v_mul_f64 v[71:72], v[61:62], v[63:64]
	v_fma_f64 v[59:60], v[63:64], v[61:62], -v[71:72]
	v_fma_f64 v[59:60], v[63:64], v[57:58], v[59:60]
	v_add_f64 v[73:74], v[71:72], v[59:60]
	v_add_f64 v[75:76], v[69:70], -v[73:74]
	v_add_f64 v[67:68], v[73:74], -v[71:72]
	;; [unrolled: 1-line block ×5, first 2 shown]
	v_add_f64 v[51:52], v[51:52], v[69:70]
	v_add_f64 v[51:52], v[59:60], v[51:52]
	;; [unrolled: 1-line block ×3, first 2 shown]
	v_mul_f64 v[67:68], v[55:56], v[59:60]
	v_add_f64 v[73:74], v[75:76], -v[59:60]
	v_mul_f64 v[69:70], v[61:62], v[67:68]
	v_add_f64 v[51:52], v[51:52], v[73:74]
	v_fma_f64 v[61:62], v[67:68], v[61:62], -v[69:70]
	v_fma_f64 v[57:58], v[67:68], v[57:58], v[61:62]
	v_add_f64 v[61:62], v[69:70], v[57:58]
	v_add_f64 v[71:72], v[59:60], -v[61:62]
	v_add_f64 v[69:70], v[61:62], -v[69:70]
	;; [unrolled: 1-line block ×5, first 2 shown]
	v_mov_b32_e32 v61, 0x6b47b09a
	v_mov_b32_e32 v62, 0x3fc38538
	v_add_f64 v[51:52], v[51:52], v[59:60]
	v_add_f64 v[59:60], v[63:64], v[67:68]
	;; [unrolled: 1-line block ×3, first 2 shown]
	v_add_f64 v[57:58], v[59:60], -v[63:64]
	v_add_f64 v[51:52], v[71:72], v[51:52]
	v_add_f64 v[57:58], v[67:68], -v[57:58]
	v_mul_f64 v[51:52], v[55:56], v[51:52]
	v_add_f64 v[51:52], v[57:58], v[51:52]
	v_add_f64 v[55:56], v[59:60], v[51:52]
	v_mul_f64 v[57:58], v[55:56], v[55:56]
	v_fma_f64 v[61:62], v[57:58], s[4:5], v[61:62]
	s_mov_b32 s4, 0xd7f4df2e
	s_mov_b32 s5, 0x3fc7474d
	v_mul_f64 v[63:64], v[55:56], v[57:58]
	v_fma_f64 v[61:62], v[57:58], v[61:62], s[4:5]
	s_mov_b32 s4, 0x16291751
	s_mov_b32 s5, 0x3fcc71c0
	v_fma_f64 v[61:62], v[57:58], v[61:62], s[4:5]
	s_mov_b32 s4, 0x9b27acf1
	s_mov_b32 s5, 0x3fd24924
	;; [unrolled: 3-line block ×3, first 2 shown]
	v_fma_f64 v[61:62], v[57:58], v[61:62], s[4:5]
	v_cmp_nge_f64_e64 s[4:5], -1.0, v[27:28]
	v_fma_f64 v[57:58], v[57:58], v[61:62], s[30:31]
	v_ldexp_f64 v[61:62], v[55:56], 1
	v_add_f64 v[55:56], v[55:56], -v[59:60]
	s_mov_b32 s30, 0
	s_mov_b32 s31, 0x7ff00000
	v_cmp_neq_f64_e64 s[30:31], s[30:31], v[27:28]
	v_mul_f64 v[57:58], v[63:64], v[57:58]
	v_cvt_f64_i32_e32 v[63:64], v78
	v_add_f64 v[51:52], v[51:52], -v[55:56]
	v_mul_f64 v[67:68], v[63:64], s[40:41]
	s_and_b64 s[4:5], s[4:5], s[30:31]
	v_add_f64 v[59:60], v[61:62], v[57:58]
	v_ldexp_f64 v[51:52], v[51:52], 1
	v_add_f64 v[55:56], v[59:60], -v[61:62]
	v_fma_f64 v[61:62], v[63:64], s[40:41], -v[67:68]
	v_add_f64 v[55:56], v[57:58], -v[55:56]
	v_fma_f64 v[57:58], v[63:64], s[42:43], v[61:62]
	s_mov_b32 s42, s50
	v_add_f64 v[51:52], v[51:52], v[55:56]
	v_add_f64 v[55:56], v[67:68], v[57:58]
	v_add_f64 v[61:62], v[59:60], v[51:52]
	v_add_f64 v[67:68], v[55:56], -v[67:68]
	v_add_f64 v[63:64], v[55:56], v[61:62]
	v_add_f64 v[59:60], v[61:62], -v[59:60]
	v_add_f64 v[57:58], v[57:58], -v[67:68]
	;; [unrolled: 1-line block ×6, first 2 shown]
	v_add_f64 v[61:62], v[57:58], v[51:52]
	v_add_f64 v[55:56], v[55:56], -v[71:72]
	v_add_f64 v[55:56], v[59:60], v[55:56]
	v_add_f64 v[59:60], v[61:62], -v[57:58]
	;; [unrolled: 2-line block ×3, first 2 shown]
	v_add_f64 v[51:52], v[51:52], -v[59:60]
	v_add_f64 v[67:68], v[63:64], v[55:56]
	v_add_f64 v[57:58], v[57:58], -v[61:62]
	v_add_f64 v[59:60], v[67:68], -v[63:64]
	v_add_f64 v[51:52], v[51:52], v[57:58]
	v_add_f64 v[55:56], v[55:56], -v[59:60]
	v_add_f64 v[51:52], v[51:52], v[55:56]
	v_mov_b32_e32 v55, 0x7ff80000
	v_mov_b32_e32 v56, 0xfff00000
	v_add_f64 v[51:52], v[67:68], v[51:52]
	v_cndmask_b32_e64 v51, 0, v51, s[4:5]
	v_cmp_ngt_f64_e64 s[4:5], -1.0, v[27:28]
	v_cndmask_b32_e64 v52, v77, v52, s[30:31]
	v_cndmask_b32_e64 v52, v55, v52, s[4:5]
	v_cmp_neq_f64_e64 s[4:5], -1.0, v[27:28]
	v_cndmask_b32_e64 v52, v56, v52, s[4:5]
	v_add_f64 v[27:28], v[23:24], v[51:52]
.LBB70_65:
	s_or_b64 exec, exec, s[38:39]
	v_mov_b32_e32 v23, v27
	v_mov_b32_e32 v24, v28
	;; [unrolled: 1-line block ×4, first 2 shown]
.LBB70_66:
	s_or_b64 exec, exec, s[36:37]
	v_and_b32_e32 v55, 16, v54
	v_mov_b32_dpp v27, v51 row_bcast:15 row_mask:0xf bank_mask:0xf
	v_mov_b32_dpp v28, v52 row_bcast:15 row_mask:0xf bank_mask:0xf
	v_cmp_ne_u32_e64 s[4:5], 0, v55
	s_and_saveexec_b64 s[36:37], s[4:5]
	s_cbranch_execz .LBB70_70
; %bb.67:
	v_max_f64 v[51:52], v[27:28], v[27:28]
	v_max_f64 v[55:56], v[23:24], v[23:24]
	v_cmp_u_f64_e64 s[4:5], v[27:28], v[27:28]
	v_cmp_u_f64_e64 s[30:31], v[23:24], v[23:24]
	v_min_f64 v[57:58], v[51:52], v[55:56]
	v_max_f64 v[51:52], v[51:52], v[55:56]
	v_cndmask_b32_e64 v55, v58, v28, s[4:5]
	v_cndmask_b32_e64 v56, v57, v27, s[4:5]
	;; [unrolled: 1-line block ×8, first 2 shown]
	v_cmp_neq_f64_e64 s[4:5], v[51:52], v[23:24]
	v_cmp_class_f64_e64 s[30:31], v[51:52], s1
	s_or_b64 s[4:5], s[4:5], s[30:31]
	s_and_saveexec_b64 s[38:39], s[4:5]
	s_cbranch_execz .LBB70_69
; %bb.68:
	v_add_f64 v[27:28], v[51:52], -v[23:24]
	s_mov_b32 s4, 0x652b82fe
	s_mov_b32 s5, 0x3ff71547
	;; [unrolled: 1-line block ×6, first 2 shown]
	v_mov_b32_e32 v57, 0xfca7ab0c
	v_mul_f64 v[51:52], v[27:28], s[4:5]
	s_mov_b32 s4, 0x6a5dcb37
	v_mov_b32_e32 v58, 0x3e928af3
	s_mov_b32 s5, 0x3e5ade15
	s_mov_b32 s30, 0
	;; [unrolled: 1-line block ×3, first 2 shown]
	v_cmp_ngt_f64_e64 s[30:31], s[30:31], v[27:28]
	v_mov_b32_e32 v77, 0x7ff00000
	v_rndne_f64_e32 v[51:52], v[51:52]
	v_fma_f64 v[55:56], v[51:52], s[40:41], v[27:28]
	s_mov_b32 s41, 0x3fe62e42
	v_fma_f64 v[55:56], v[51:52], s[42:43], v[55:56]
	v_cvt_i32_f64_e32 v51, v[51:52]
	s_mov_b32 s43, 0x3c7abc9e
	v_fma_f64 v[57:58], v[55:56], s[4:5], v[57:58]
	s_mov_b32 s4, 0x623fde64
	s_mov_b32 s5, 0x3ec71dee
	v_fma_f64 v[57:58], v[55:56], v[57:58], s[4:5]
	s_mov_b32 s4, 0x7c89e6b0
	;; [unrolled: 3-line block ×9, first 2 shown]
	s_mov_b32 s5, 0x40900000
	v_cmp_nlt_f64_e64 s[4:5], s[4:5], v[27:28]
	v_fma_f64 v[57:58], v[55:56], v[57:58], 1.0
	v_fma_f64 v[55:56], v[55:56], v[57:58], 1.0
	v_ldexp_f64 v[51:52], v[55:56], v51
	v_cndmask_b32_e64 v52, v77, v52, s[4:5]
	s_and_b64 s[4:5], s[30:31], s[4:5]
	v_cndmask_b32_e64 v28, 0, v52, s[30:31]
	v_cndmask_b32_e64 v27, 0, v51, s[4:5]
	v_add_f64 v[51:52], v[27:28], 1.0
	s_mov_b32 s31, 0x3fe55555
	s_mov_b32 s30, 0x55555555
	v_frexp_mant_f64_e32 v[57:58], v[51:52]
	v_frexp_exp_i32_f64_e32 v61, v[51:52]
	v_add_f64 v[55:56], v[51:52], -1.0
	v_cmp_gt_f64_e64 s[4:5], s[30:31], v[57:58]
	s_mov_b32 s30, 0x55555780
	v_add_f64 v[59:60], v[55:56], -v[51:52]
	v_add_f64 v[55:56], v[27:28], -v[55:56]
	v_subbrev_co_u32_e64 v78, s[4:5], 0, v61, s[4:5]
	v_sub_u32_e32 v61, 0, v78
	v_ldexp_f64 v[51:52], v[51:52], v61
	v_add_f64 v[57:58], v[59:60], 1.0
	s_mov_b32 s4, 0xbf559e2b
	s_mov_b32 s5, 0x3fc3ab76
	v_add_f64 v[59:60], v[51:52], 1.0
	v_add_f64 v[55:56], v[55:56], v[57:58]
	v_add_f64 v[67:68], v[51:52], -1.0
	v_add_f64 v[57:58], v[59:60], -1.0
	v_ldexp_f64 v[55:56], v[55:56], v61
	v_add_f64 v[69:70], v[67:68], 1.0
	v_add_f64 v[57:58], v[51:52], -v[57:58]
	v_add_f64 v[51:52], v[51:52], -v[69:70]
	v_add_f64 v[57:58], v[55:56], v[57:58]
	v_add_f64 v[51:52], v[55:56], v[51:52]
	;; [unrolled: 1-line block ×4, first 2 shown]
	v_rcp_f64_e32 v[63:64], v[61:62]
	v_add_f64 v[59:60], v[61:62], -v[59:60]
	v_add_f64 v[67:68], v[69:70], -v[67:68]
	;; [unrolled: 1-line block ×4, first 2 shown]
	v_fma_f64 v[71:72], -v[61:62], v[63:64], 1.0
	v_fma_f64 v[63:64], v[71:72], v[63:64], v[63:64]
	v_fma_f64 v[55:56], -v[61:62], v[63:64], 1.0
	v_fma_f64 v[55:56], v[55:56], v[63:64], v[63:64]
	v_mul_f64 v[63:64], v[69:70], v[55:56]
	v_mul_f64 v[71:72], v[61:62], v[63:64]
	v_fma_f64 v[59:60], v[63:64], v[61:62], -v[71:72]
	v_fma_f64 v[59:60], v[63:64], v[57:58], v[59:60]
	v_add_f64 v[73:74], v[71:72], v[59:60]
	v_add_f64 v[75:76], v[69:70], -v[73:74]
	v_add_f64 v[67:68], v[73:74], -v[71:72]
	;; [unrolled: 1-line block ×5, first 2 shown]
	v_add_f64 v[51:52], v[51:52], v[69:70]
	v_add_f64 v[51:52], v[59:60], v[51:52]
	;; [unrolled: 1-line block ×3, first 2 shown]
	v_mul_f64 v[67:68], v[55:56], v[59:60]
	v_add_f64 v[73:74], v[75:76], -v[59:60]
	v_mul_f64 v[69:70], v[61:62], v[67:68]
	v_add_f64 v[51:52], v[51:52], v[73:74]
	v_fma_f64 v[61:62], v[67:68], v[61:62], -v[69:70]
	v_fma_f64 v[57:58], v[67:68], v[57:58], v[61:62]
	v_add_f64 v[61:62], v[69:70], v[57:58]
	v_add_f64 v[71:72], v[59:60], -v[61:62]
	v_add_f64 v[69:70], v[61:62], -v[69:70]
	v_add_f64 v[59:60], v[59:60], -v[71:72]
	v_add_f64 v[57:58], v[69:70], -v[57:58]
	v_add_f64 v[59:60], v[59:60], -v[61:62]
	v_mov_b32_e32 v61, 0x6b47b09a
	v_mov_b32_e32 v62, 0x3fc38538
	v_add_f64 v[51:52], v[51:52], v[59:60]
	v_add_f64 v[59:60], v[63:64], v[67:68]
	;; [unrolled: 1-line block ×3, first 2 shown]
	v_add_f64 v[57:58], v[59:60], -v[63:64]
	v_add_f64 v[51:52], v[71:72], v[51:52]
	v_add_f64 v[57:58], v[67:68], -v[57:58]
	v_mul_f64 v[51:52], v[55:56], v[51:52]
	v_add_f64 v[51:52], v[57:58], v[51:52]
	v_add_f64 v[55:56], v[59:60], v[51:52]
	v_mul_f64 v[57:58], v[55:56], v[55:56]
	v_fma_f64 v[61:62], v[57:58], s[4:5], v[61:62]
	s_mov_b32 s4, 0xd7f4df2e
	s_mov_b32 s5, 0x3fc7474d
	v_mul_f64 v[63:64], v[55:56], v[57:58]
	v_fma_f64 v[61:62], v[57:58], v[61:62], s[4:5]
	s_mov_b32 s4, 0x16291751
	s_mov_b32 s5, 0x3fcc71c0
	v_fma_f64 v[61:62], v[57:58], v[61:62], s[4:5]
	s_mov_b32 s4, 0x9b27acf1
	s_mov_b32 s5, 0x3fd24924
	;; [unrolled: 3-line block ×3, first 2 shown]
	v_fma_f64 v[61:62], v[57:58], v[61:62], s[4:5]
	v_cmp_nge_f64_e64 s[4:5], -1.0, v[27:28]
	v_fma_f64 v[57:58], v[57:58], v[61:62], s[30:31]
	v_ldexp_f64 v[61:62], v[55:56], 1
	v_add_f64 v[55:56], v[55:56], -v[59:60]
	s_mov_b32 s30, 0
	s_mov_b32 s31, 0x7ff00000
	v_cmp_neq_f64_e64 s[30:31], s[30:31], v[27:28]
	v_mul_f64 v[57:58], v[63:64], v[57:58]
	v_cvt_f64_i32_e32 v[63:64], v78
	v_add_f64 v[51:52], v[51:52], -v[55:56]
	v_mul_f64 v[67:68], v[63:64], s[40:41]
	s_and_b64 s[4:5], s[4:5], s[30:31]
	v_add_f64 v[59:60], v[61:62], v[57:58]
	v_ldexp_f64 v[51:52], v[51:52], 1
	v_add_f64 v[55:56], v[59:60], -v[61:62]
	v_fma_f64 v[61:62], v[63:64], s[40:41], -v[67:68]
	v_add_f64 v[55:56], v[57:58], -v[55:56]
	v_fma_f64 v[57:58], v[63:64], s[42:43], v[61:62]
	s_mov_b32 s42, s50
	v_add_f64 v[51:52], v[51:52], v[55:56]
	v_add_f64 v[55:56], v[67:68], v[57:58]
	;; [unrolled: 1-line block ×3, first 2 shown]
	v_add_f64 v[67:68], v[55:56], -v[67:68]
	v_add_f64 v[63:64], v[55:56], v[61:62]
	v_add_f64 v[59:60], v[61:62], -v[59:60]
	v_add_f64 v[57:58], v[57:58], -v[67:68]
	v_add_f64 v[69:70], v[63:64], -v[55:56]
	v_add_f64 v[51:52], v[51:52], -v[59:60]
	v_add_f64 v[71:72], v[63:64], -v[69:70]
	v_add_f64 v[59:60], v[61:62], -v[69:70]
	v_add_f64 v[61:62], v[57:58], v[51:52]
	v_add_f64 v[55:56], v[55:56], -v[71:72]
	v_add_f64 v[55:56], v[59:60], v[55:56]
	v_add_f64 v[59:60], v[61:62], -v[57:58]
	;; [unrolled: 2-line block ×3, first 2 shown]
	v_add_f64 v[51:52], v[51:52], -v[59:60]
	v_add_f64 v[67:68], v[63:64], v[55:56]
	v_add_f64 v[57:58], v[57:58], -v[61:62]
	v_add_f64 v[59:60], v[67:68], -v[63:64]
	v_add_f64 v[51:52], v[51:52], v[57:58]
	v_add_f64 v[55:56], v[55:56], -v[59:60]
	v_add_f64 v[51:52], v[51:52], v[55:56]
	v_mov_b32_e32 v55, 0x7ff80000
	v_mov_b32_e32 v56, 0xfff00000
	v_add_f64 v[51:52], v[67:68], v[51:52]
	v_cndmask_b32_e64 v51, 0, v51, s[4:5]
	v_cmp_ngt_f64_e64 s[4:5], -1.0, v[27:28]
	v_cndmask_b32_e64 v52, v77, v52, s[30:31]
	v_cndmask_b32_e64 v52, v55, v52, s[4:5]
	v_cmp_neq_f64_e64 s[4:5], -1.0, v[27:28]
	v_cndmask_b32_e64 v52, v56, v52, s[4:5]
	v_add_f64 v[27:28], v[23:24], v[51:52]
.LBB70_69:
	s_or_b64 exec, exec, s[38:39]
	v_mov_b32_e32 v23, v27
	v_mov_b32_e32 v51, v27
	;; [unrolled: 1-line block ×4, first 2 shown]
.LBB70_70:
	s_or_b64 exec, exec, s[36:37]
	v_mov_b32_dpp v27, v51 row_bcast:31 row_mask:0xf bank_mask:0xf
	v_mov_b32_dpp v28, v52 row_bcast:31 row_mask:0xf bank_mask:0xf
	v_cmp_lt_u32_e64 s[4:5], 31, v54
	s_and_saveexec_b64 s[36:37], s[4:5]
	s_cbranch_execz .LBB70_74
; %bb.71:
	v_max_f64 v[51:52], v[27:28], v[27:28]
	v_max_f64 v[55:56], v[23:24], v[23:24]
	v_cmp_u_f64_e64 s[4:5], v[27:28], v[27:28]
	v_cmp_u_f64_e64 s[30:31], v[23:24], v[23:24]
	v_min_f64 v[57:58], v[51:52], v[55:56]
	v_max_f64 v[51:52], v[51:52], v[55:56]
	v_cndmask_b32_e64 v55, v58, v28, s[4:5]
	v_cndmask_b32_e64 v56, v57, v27, s[4:5]
	;; [unrolled: 1-line block ×8, first 2 shown]
	v_cmp_neq_f64_e64 s[4:5], v[51:52], v[23:24]
	v_cmp_class_f64_e64 s[30:31], v[51:52], s1
	s_or_b64 s[4:5], s[4:5], s[30:31]
	s_and_saveexec_b64 s[38:39], s[4:5]
	s_cbranch_execz .LBB70_73
; %bb.72:
	v_add_f64 v[27:28], v[51:52], -v[23:24]
	s_mov_b32 s4, 0x652b82fe
	s_mov_b32 s5, 0x3ff71547
	;; [unrolled: 1-line block ×6, first 2 shown]
	v_mov_b32_e32 v57, 0xfca7ab0c
	v_mul_f64 v[51:52], v[27:28], s[4:5]
	s_mov_b32 s4, 0x6a5dcb37
	v_mov_b32_e32 v58, 0x3e928af3
	s_mov_b32 s5, 0x3e5ade15
	s_mov_b32 s30, 0
	;; [unrolled: 1-line block ×3, first 2 shown]
	v_cmp_ngt_f64_e64 s[30:31], s[30:31], v[27:28]
	v_mov_b32_e32 v77, 0x7ff00000
	v_rndne_f64_e32 v[51:52], v[51:52]
	v_fma_f64 v[55:56], v[51:52], s[40:41], v[27:28]
	s_mov_b32 s41, 0x3fe62e42
	v_fma_f64 v[55:56], v[51:52], s[42:43], v[55:56]
	v_cvt_i32_f64_e32 v51, v[51:52]
	s_mov_b32 s43, 0x3c7abc9e
	v_fma_f64 v[57:58], v[55:56], s[4:5], v[57:58]
	s_mov_b32 s4, 0x623fde64
	s_mov_b32 s5, 0x3ec71dee
	v_fma_f64 v[57:58], v[55:56], v[57:58], s[4:5]
	s_mov_b32 s4, 0x7c89e6b0
	;; [unrolled: 3-line block ×9, first 2 shown]
	s_mov_b32 s5, 0x40900000
	v_cmp_nlt_f64_e64 s[4:5], s[4:5], v[27:28]
	v_fma_f64 v[57:58], v[55:56], v[57:58], 1.0
	v_fma_f64 v[55:56], v[55:56], v[57:58], 1.0
	v_ldexp_f64 v[51:52], v[55:56], v51
	v_cndmask_b32_e64 v52, v77, v52, s[4:5]
	s_and_b64 s[4:5], s[30:31], s[4:5]
	v_cndmask_b32_e64 v28, 0, v52, s[30:31]
	v_cndmask_b32_e64 v27, 0, v51, s[4:5]
	v_add_f64 v[51:52], v[27:28], 1.0
	s_mov_b32 s31, 0x3fe55555
	s_mov_b32 s30, 0x55555555
	v_frexp_mant_f64_e32 v[57:58], v[51:52]
	v_frexp_exp_i32_f64_e32 v61, v[51:52]
	v_add_f64 v[55:56], v[51:52], -1.0
	v_cmp_gt_f64_e64 s[4:5], s[30:31], v[57:58]
	s_mov_b32 s30, 0x55555780
	v_add_f64 v[59:60], v[55:56], -v[51:52]
	v_add_f64 v[55:56], v[27:28], -v[55:56]
	v_subbrev_co_u32_e64 v78, s[4:5], 0, v61, s[4:5]
	v_sub_u32_e32 v61, 0, v78
	v_ldexp_f64 v[51:52], v[51:52], v61
	v_add_f64 v[57:58], v[59:60], 1.0
	s_mov_b32 s4, 0xbf559e2b
	s_mov_b32 s5, 0x3fc3ab76
	v_add_f64 v[59:60], v[51:52], 1.0
	v_add_f64 v[55:56], v[55:56], v[57:58]
	v_add_f64 v[67:68], v[51:52], -1.0
	v_add_f64 v[57:58], v[59:60], -1.0
	v_ldexp_f64 v[55:56], v[55:56], v61
	v_add_f64 v[69:70], v[67:68], 1.0
	v_add_f64 v[57:58], v[51:52], -v[57:58]
	v_add_f64 v[51:52], v[51:52], -v[69:70]
	v_add_f64 v[57:58], v[55:56], v[57:58]
	v_add_f64 v[51:52], v[55:56], v[51:52]
	;; [unrolled: 1-line block ×4, first 2 shown]
	v_rcp_f64_e32 v[63:64], v[61:62]
	v_add_f64 v[59:60], v[61:62], -v[59:60]
	v_add_f64 v[67:68], v[69:70], -v[67:68]
	v_add_f64 v[57:58], v[57:58], -v[59:60]
	v_add_f64 v[51:52], v[51:52], -v[67:68]
	v_fma_f64 v[71:72], -v[61:62], v[63:64], 1.0
	v_fma_f64 v[63:64], v[71:72], v[63:64], v[63:64]
	v_fma_f64 v[55:56], -v[61:62], v[63:64], 1.0
	v_fma_f64 v[55:56], v[55:56], v[63:64], v[63:64]
	v_mul_f64 v[63:64], v[69:70], v[55:56]
	v_mul_f64 v[71:72], v[61:62], v[63:64]
	v_fma_f64 v[59:60], v[63:64], v[61:62], -v[71:72]
	v_fma_f64 v[59:60], v[63:64], v[57:58], v[59:60]
	v_add_f64 v[73:74], v[71:72], v[59:60]
	v_add_f64 v[75:76], v[69:70], -v[73:74]
	v_add_f64 v[67:68], v[73:74], -v[71:72]
	;; [unrolled: 1-line block ×5, first 2 shown]
	v_add_f64 v[51:52], v[51:52], v[69:70]
	v_add_f64 v[51:52], v[59:60], v[51:52]
	;; [unrolled: 1-line block ×3, first 2 shown]
	v_mul_f64 v[67:68], v[55:56], v[59:60]
	v_add_f64 v[73:74], v[75:76], -v[59:60]
	v_mul_f64 v[69:70], v[61:62], v[67:68]
	v_add_f64 v[51:52], v[51:52], v[73:74]
	v_fma_f64 v[61:62], v[67:68], v[61:62], -v[69:70]
	v_fma_f64 v[57:58], v[67:68], v[57:58], v[61:62]
	v_add_f64 v[61:62], v[69:70], v[57:58]
	v_add_f64 v[71:72], v[59:60], -v[61:62]
	v_add_f64 v[69:70], v[61:62], -v[69:70]
	;; [unrolled: 1-line block ×5, first 2 shown]
	v_mov_b32_e32 v61, 0x6b47b09a
	v_mov_b32_e32 v62, 0x3fc38538
	v_add_f64 v[51:52], v[51:52], v[59:60]
	v_add_f64 v[59:60], v[63:64], v[67:68]
	;; [unrolled: 1-line block ×3, first 2 shown]
	v_add_f64 v[57:58], v[59:60], -v[63:64]
	v_add_f64 v[51:52], v[71:72], v[51:52]
	v_add_f64 v[57:58], v[67:68], -v[57:58]
	v_mul_f64 v[51:52], v[55:56], v[51:52]
	v_add_f64 v[51:52], v[57:58], v[51:52]
	v_add_f64 v[55:56], v[59:60], v[51:52]
	v_mul_f64 v[57:58], v[55:56], v[55:56]
	v_fma_f64 v[61:62], v[57:58], s[4:5], v[61:62]
	s_mov_b32 s4, 0xd7f4df2e
	s_mov_b32 s5, 0x3fc7474d
	v_mul_f64 v[63:64], v[55:56], v[57:58]
	v_fma_f64 v[61:62], v[57:58], v[61:62], s[4:5]
	s_mov_b32 s4, 0x16291751
	s_mov_b32 s5, 0x3fcc71c0
	v_fma_f64 v[61:62], v[57:58], v[61:62], s[4:5]
	s_mov_b32 s4, 0x9b27acf1
	s_mov_b32 s5, 0x3fd24924
	;; [unrolled: 3-line block ×3, first 2 shown]
	v_fma_f64 v[61:62], v[57:58], v[61:62], s[4:5]
	v_cmp_nge_f64_e64 s[4:5], -1.0, v[27:28]
	v_fma_f64 v[57:58], v[57:58], v[61:62], s[30:31]
	v_ldexp_f64 v[61:62], v[55:56], 1
	v_add_f64 v[55:56], v[55:56], -v[59:60]
	s_mov_b32 s30, 0
	s_mov_b32 s31, 0x7ff00000
	v_cmp_neq_f64_e64 s[30:31], s[30:31], v[27:28]
	v_mul_f64 v[57:58], v[63:64], v[57:58]
	v_cvt_f64_i32_e32 v[63:64], v78
	v_add_f64 v[51:52], v[51:52], -v[55:56]
	v_mul_f64 v[67:68], v[63:64], s[40:41]
	s_and_b64 s[4:5], s[4:5], s[30:31]
	v_add_f64 v[59:60], v[61:62], v[57:58]
	v_ldexp_f64 v[51:52], v[51:52], 1
	v_add_f64 v[55:56], v[59:60], -v[61:62]
	v_fma_f64 v[61:62], v[63:64], s[40:41], -v[67:68]
	v_add_f64 v[55:56], v[57:58], -v[55:56]
	v_fma_f64 v[57:58], v[63:64], s[42:43], v[61:62]
	s_mov_b32 s42, s50
	v_add_f64 v[51:52], v[51:52], v[55:56]
	v_add_f64 v[55:56], v[67:68], v[57:58]
	;; [unrolled: 1-line block ×3, first 2 shown]
	v_add_f64 v[67:68], v[55:56], -v[67:68]
	v_add_f64 v[63:64], v[55:56], v[61:62]
	v_add_f64 v[59:60], v[61:62], -v[59:60]
	v_add_f64 v[57:58], v[57:58], -v[67:68]
	v_add_f64 v[69:70], v[63:64], -v[55:56]
	v_add_f64 v[51:52], v[51:52], -v[59:60]
	v_add_f64 v[71:72], v[63:64], -v[69:70]
	v_add_f64 v[59:60], v[61:62], -v[69:70]
	v_add_f64 v[61:62], v[57:58], v[51:52]
	v_add_f64 v[55:56], v[55:56], -v[71:72]
	v_add_f64 v[55:56], v[59:60], v[55:56]
	v_add_f64 v[59:60], v[61:62], -v[57:58]
	;; [unrolled: 2-line block ×3, first 2 shown]
	v_add_f64 v[51:52], v[51:52], -v[59:60]
	v_add_f64 v[67:68], v[63:64], v[55:56]
	v_add_f64 v[57:58], v[57:58], -v[61:62]
	v_add_f64 v[59:60], v[67:68], -v[63:64]
	v_add_f64 v[51:52], v[51:52], v[57:58]
	v_add_f64 v[55:56], v[55:56], -v[59:60]
	v_add_f64 v[51:52], v[51:52], v[55:56]
	v_mov_b32_e32 v55, 0x7ff80000
	v_mov_b32_e32 v56, 0xfff00000
	v_add_f64 v[51:52], v[67:68], v[51:52]
	v_cndmask_b32_e64 v51, 0, v51, s[4:5]
	v_cmp_ngt_f64_e64 s[4:5], -1.0, v[27:28]
	v_cndmask_b32_e64 v52, v77, v52, s[30:31]
	v_cndmask_b32_e64 v52, v55, v52, s[4:5]
	v_cmp_neq_f64_e64 s[4:5], -1.0, v[27:28]
	v_cndmask_b32_e64 v52, v56, v52, s[4:5]
	v_add_f64 v[27:28], v[23:24], v[51:52]
.LBB70_73:
	s_or_b64 exec, exec, s[38:39]
	v_mov_b32_e32 v23, v27
	v_mov_b32_e32 v24, v28
.LBB70_74:
	s_or_b64 exec, exec, s[36:37]
	v_add_u32_e32 v27, -1, v54
	v_and_b32_e32 v28, 64, v54
	v_cmp_lt_i32_e64 s[4:5], v27, v28
	v_cndmask_b32_e64 v27, v27, v54, s[4:5]
	v_lshlrev_b32_e32 v27, 2, v27
	ds_bpermute_b32 v23, v27, v23
	ds_bpermute_b32 v24, v27, v24
	s_waitcnt lgkmcnt(0)
	v_max_f64 v[27:28], v[23:24], v[23:24]
	v_cmp_u_f64_e64 s[4:5], v[23:24], v[23:24]
	v_min_f64 v[51:52], v[27:28], v[25:26]
	v_max_f64 v[25:26], v[27:28], v[25:26]
	v_cndmask_b32_e64 v27, v51, v23, s[4:5]
	v_cndmask_b32_e64 v28, v52, v24, s[4:5]
	;; [unrolled: 1-line block ×8, first 2 shown]
	v_cmp_neq_f64_e64 s[4:5], v[25:26], v[21:22]
	v_cmp_class_f64_e64 s[26:27], v[25:26], s1
	s_or_b64 s[4:5], s[4:5], s[26:27]
	s_and_saveexec_b64 s[30:31], s[4:5]
	s_cbranch_execz .LBB70_76
; %bb.75:
	v_add_f64 v[23:24], v[25:26], -v[21:22]
	s_mov_b32 s4, 0x652b82fe
	s_mov_b32 s5, 0x3ff71547
	s_mov_b32 s37, 0xbfe62e42
	s_mov_b32 s36, 0xfefa39ef
	s_mov_b32 s39, 0xbc7abc9e
	s_mov_b32 s38, 0x3b39803f
	v_mov_b32_e32 v51, 0xfca7ab0c
	v_mul_f64 v[25:26], v[23:24], s[4:5]
	s_mov_b32 s4, 0x6a5dcb37
	v_mov_b32_e32 v52, 0x3e928af3
	s_mov_b32 s5, 0x3e5ade15
	s_mov_b32 s26, 0
	;; [unrolled: 1-line block ×3, first 2 shown]
	v_cmp_ngt_f64_e64 s[26:27], s[26:27], v[23:24]
	v_mov_b32_e32 v64, 0x7ff00000
	v_rndne_f64_e32 v[25:26], v[25:26]
	v_fma_f64 v[27:28], v[25:26], s[36:37], v[23:24]
	s_mov_b32 s37, 0x3fe62e42
	v_fma_f64 v[27:28], v[25:26], s[38:39], v[27:28]
	v_cvt_i32_f64_e32 v25, v[25:26]
	s_mov_b32 s39, 0x3c7abc9e
	v_fma_f64 v[51:52], v[27:28], s[4:5], v[51:52]
	s_mov_b32 s4, 0x623fde64
	s_mov_b32 s5, 0x3ec71dee
	v_fma_f64 v[51:52], v[27:28], v[51:52], s[4:5]
	s_mov_b32 s4, 0x7c89e6b0
	;; [unrolled: 3-line block ×9, first 2 shown]
	s_mov_b32 s5, 0x40900000
	v_cmp_nlt_f64_e64 s[4:5], s[4:5], v[23:24]
	v_fma_f64 v[51:52], v[27:28], v[51:52], 1.0
	v_fma_f64 v[27:28], v[27:28], v[51:52], 1.0
	v_ldexp_f64 v[25:26], v[27:28], v25
	v_cndmask_b32_e64 v26, v64, v26, s[4:5]
	s_and_b64 s[4:5], s[26:27], s[4:5]
	v_cndmask_b32_e64 v24, 0, v26, s[26:27]
	v_cndmask_b32_e64 v23, 0, v25, s[4:5]
	v_add_f64 v[25:26], v[23:24], 1.0
	s_mov_b32 s27, 0x3fe55555
	s_mov_b32 s26, 0x55555555
	v_frexp_mant_f64_e32 v[51:52], v[25:26]
	v_frexp_exp_i32_f64_e32 v56, v[25:26]
	v_add_f64 v[27:28], v[25:26], -1.0
	v_cmp_gt_f64_e64 s[4:5], s[26:27], v[51:52]
	s_mov_b32 s26, 0x55555780
	v_add_f64 v[54:55], v[27:28], -v[25:26]
	v_add_f64 v[27:28], v[23:24], -v[27:28]
	v_subbrev_co_u32_e64 v73, s[4:5], 0, v56, s[4:5]
	v_sub_u32_e32 v56, 0, v73
	v_ldexp_f64 v[25:26], v[25:26], v56
	v_add_f64 v[51:52], v[54:55], 1.0
	s_mov_b32 s4, 0xbf559e2b
	s_mov_b32 s5, 0x3fc3ab76
	v_add_f64 v[54:55], v[25:26], 1.0
	v_add_f64 v[27:28], v[27:28], v[51:52]
	v_add_f64 v[60:61], v[25:26], -1.0
	v_add_f64 v[51:52], v[54:55], -1.0
	v_ldexp_f64 v[27:28], v[27:28], v56
	v_add_f64 v[62:63], v[60:61], 1.0
	v_add_f64 v[51:52], v[25:26], -v[51:52]
	v_add_f64 v[25:26], v[25:26], -v[62:63]
	v_add_f64 v[51:52], v[27:28], v[51:52]
	v_add_f64 v[25:26], v[27:28], v[25:26]
	;; [unrolled: 1-line block ×4, first 2 shown]
	v_rcp_f64_e32 v[58:59], v[56:57]
	v_add_f64 v[54:55], v[56:57], -v[54:55]
	v_add_f64 v[60:61], v[62:63], -v[60:61]
	;; [unrolled: 1-line block ×4, first 2 shown]
	v_fma_f64 v[67:68], -v[56:57], v[58:59], 1.0
	v_fma_f64 v[58:59], v[67:68], v[58:59], v[58:59]
	v_fma_f64 v[27:28], -v[56:57], v[58:59], 1.0
	v_fma_f64 v[27:28], v[27:28], v[58:59], v[58:59]
	v_mul_f64 v[58:59], v[62:63], v[27:28]
	v_mul_f64 v[67:68], v[56:57], v[58:59]
	v_fma_f64 v[54:55], v[58:59], v[56:57], -v[67:68]
	v_fma_f64 v[54:55], v[58:59], v[51:52], v[54:55]
	v_add_f64 v[69:70], v[67:68], v[54:55]
	v_add_f64 v[71:72], v[62:63], -v[69:70]
	v_add_f64 v[60:61], v[69:70], -v[67:68]
	;; [unrolled: 1-line block ×5, first 2 shown]
	v_add_f64 v[25:26], v[25:26], v[62:63]
	v_add_f64 v[25:26], v[54:55], v[25:26]
	;; [unrolled: 1-line block ×3, first 2 shown]
	v_mul_f64 v[60:61], v[27:28], v[54:55]
	v_add_f64 v[69:70], v[71:72], -v[54:55]
	v_mul_f64 v[62:63], v[56:57], v[60:61]
	v_add_f64 v[25:26], v[25:26], v[69:70]
	v_fma_f64 v[56:57], v[60:61], v[56:57], -v[62:63]
	v_fma_f64 v[51:52], v[60:61], v[51:52], v[56:57]
	v_add_f64 v[56:57], v[62:63], v[51:52]
	v_add_f64 v[67:68], v[54:55], -v[56:57]
	v_add_f64 v[62:63], v[56:57], -v[62:63]
	v_add_f64 v[54:55], v[54:55], -v[67:68]
	v_add_f64 v[51:52], v[62:63], -v[51:52]
	v_add_f64 v[54:55], v[54:55], -v[56:57]
	v_mov_b32_e32 v56, 0x6b47b09a
	v_mov_b32_e32 v57, 0x3fc38538
	v_add_f64 v[25:26], v[25:26], v[54:55]
	v_add_f64 v[54:55], v[58:59], v[60:61]
	;; [unrolled: 1-line block ×3, first 2 shown]
	v_add_f64 v[51:52], v[54:55], -v[58:59]
	v_add_f64 v[25:26], v[67:68], v[25:26]
	v_add_f64 v[51:52], v[60:61], -v[51:52]
	v_mul_f64 v[25:26], v[27:28], v[25:26]
	v_add_f64 v[25:26], v[51:52], v[25:26]
	v_add_f64 v[27:28], v[54:55], v[25:26]
	v_mul_f64 v[51:52], v[27:28], v[27:28]
	v_fma_f64 v[56:57], v[51:52], s[4:5], v[56:57]
	s_mov_b32 s4, 0xd7f4df2e
	s_mov_b32 s5, 0x3fc7474d
	v_mul_f64 v[58:59], v[27:28], v[51:52]
	v_fma_f64 v[56:57], v[51:52], v[56:57], s[4:5]
	s_mov_b32 s4, 0x16291751
	s_mov_b32 s5, 0x3fcc71c0
	v_fma_f64 v[56:57], v[51:52], v[56:57], s[4:5]
	s_mov_b32 s4, 0x9b27acf1
	s_mov_b32 s5, 0x3fd24924
	v_fma_f64 v[56:57], v[51:52], v[56:57], s[4:5]
	s_mov_b32 s4, 0x998ef7b6
	s_mov_b32 s5, 0x3fd99999
	v_fma_f64 v[56:57], v[51:52], v[56:57], s[4:5]
	v_cmp_nge_f64_e64 s[4:5], -1.0, v[23:24]
	v_fma_f64 v[51:52], v[51:52], v[56:57], s[26:27]
	v_ldexp_f64 v[56:57], v[27:28], 1
	v_add_f64 v[27:28], v[27:28], -v[54:55]
	s_mov_b32 s26, 0
	s_mov_b32 s27, 0x7ff00000
	v_cmp_neq_f64_e64 s[26:27], s[26:27], v[23:24]
	v_mul_f64 v[51:52], v[58:59], v[51:52]
	v_cvt_f64_i32_e32 v[58:59], v73
	v_add_f64 v[25:26], v[25:26], -v[27:28]
	v_mul_f64 v[60:61], v[58:59], s[36:37]
	s_and_b64 s[4:5], s[4:5], s[26:27]
	v_add_f64 v[54:55], v[56:57], v[51:52]
	v_ldexp_f64 v[25:26], v[25:26], 1
	v_add_f64 v[27:28], v[54:55], -v[56:57]
	v_fma_f64 v[56:57], v[58:59], s[36:37], -v[60:61]
	v_add_f64 v[27:28], v[51:52], -v[27:28]
	v_fma_f64 v[51:52], v[58:59], s[38:39], v[56:57]
	v_add_f64 v[25:26], v[25:26], v[27:28]
	v_add_f64 v[27:28], v[60:61], v[51:52]
	;; [unrolled: 1-line block ×3, first 2 shown]
	v_add_f64 v[60:61], v[27:28], -v[60:61]
	v_add_f64 v[58:59], v[27:28], v[56:57]
	v_add_f64 v[54:55], v[56:57], -v[54:55]
	v_add_f64 v[51:52], v[51:52], -v[60:61]
	;; [unrolled: 1-line block ×6, first 2 shown]
	v_add_f64 v[56:57], v[51:52], v[25:26]
	v_add_f64 v[27:28], v[27:28], -v[67:68]
	v_add_f64 v[27:28], v[54:55], v[27:28]
	v_add_f64 v[54:55], v[56:57], -v[51:52]
	;; [unrolled: 2-line block ×3, first 2 shown]
	v_add_f64 v[25:26], v[25:26], -v[54:55]
	v_add_f64 v[60:61], v[58:59], v[27:28]
	v_add_f64 v[51:52], v[51:52], -v[56:57]
	v_add_f64 v[54:55], v[60:61], -v[58:59]
	v_add_f64 v[25:26], v[25:26], v[51:52]
	v_add_f64 v[27:28], v[27:28], -v[54:55]
	v_add_f64 v[25:26], v[25:26], v[27:28]
	v_mov_b32_e32 v27, 0x7ff80000
	v_mov_b32_e32 v28, 0xfff00000
	v_add_f64 v[25:26], v[60:61], v[25:26]
	v_cndmask_b32_e64 v25, 0, v25, s[4:5]
	v_cmp_ngt_f64_e64 s[4:5], -1.0, v[23:24]
	v_cndmask_b32_e64 v26, v64, v26, s[26:27]
	v_cndmask_b32_e64 v26, v27, v26, s[4:5]
	v_cmp_neq_f64_e64 s[4:5], -1.0, v[23:24]
	v_cndmask_b32_e64 v26, v28, v26, s[4:5]
	v_add_f64 v[23:24], v[21:22], v[25:26]
.LBB70_76:
	s_or_b64 exec, exec, s[30:31]
	v_cndmask_b32_e64 v24, v24, v50, s[28:29]
	v_cndmask_b32_e64 v23, v23, v49, s[28:29]
	; wave barrier
	ds_write_b64 v53, v[23:24]
	; wave barrier
	ds_read_b64 v[21:22], v53 offset:8
	v_max_f64 v[25:26], v[23:24], v[23:24]
	v_cmp_u_f64_e64 s[4:5], v[23:24], v[23:24]
	s_waitcnt lgkmcnt(0)
	v_max_f64 v[27:28], v[21:22], v[21:22]
	v_cmp_u_f64_e64 s[26:27], v[21:22], v[21:22]
	v_min_f64 v[51:52], v[25:26], v[27:28]
	v_max_f64 v[25:26], v[25:26], v[27:28]
	v_cndmask_b32_e64 v27, v51, v23, s[4:5]
	v_cndmask_b32_e64 v28, v52, v24, s[4:5]
	;; [unrolled: 1-line block ×8, first 2 shown]
	v_cmp_neq_f64_e64 s[4:5], v[25:26], v[21:22]
	v_cmp_class_f64_e64 s[26:27], v[25:26], s1
	s_or_b64 s[4:5], s[4:5], s[26:27]
	s_and_saveexec_b64 s[30:31], s[4:5]
	s_cbranch_execz .LBB70_78
; %bb.77:
	v_add_f64 v[23:24], v[25:26], -v[21:22]
	s_mov_b32 s4, 0x652b82fe
	s_mov_b32 s5, 0x3ff71547
	;; [unrolled: 1-line block ×6, first 2 shown]
	v_mov_b32_e32 v51, 0xfca7ab0c
	v_mul_f64 v[25:26], v[23:24], s[4:5]
	s_mov_b32 s4, 0x6a5dcb37
	v_mov_b32_e32 v52, 0x3e928af3
	s_mov_b32 s5, 0x3e5ade15
	s_mov_b32 s26, 0
	;; [unrolled: 1-line block ×3, first 2 shown]
	v_cmp_ngt_f64_e64 s[26:27], s[26:27], v[23:24]
	v_mov_b32_e32 v64, 0x7ff00000
	v_rndne_f64_e32 v[25:26], v[25:26]
	v_fma_f64 v[27:28], v[25:26], s[36:37], v[23:24]
	s_mov_b32 s37, 0x3fe62e42
	v_fma_f64 v[27:28], v[25:26], s[38:39], v[27:28]
	v_cvt_i32_f64_e32 v25, v[25:26]
	s_mov_b32 s39, 0x3c7abc9e
	v_fma_f64 v[51:52], v[27:28], s[4:5], v[51:52]
	s_mov_b32 s4, 0x623fde64
	s_mov_b32 s5, 0x3ec71dee
	v_fma_f64 v[51:52], v[27:28], v[51:52], s[4:5]
	s_mov_b32 s4, 0x7c89e6b0
	;; [unrolled: 3-line block ×9, first 2 shown]
	s_mov_b32 s5, 0x40900000
	v_cmp_nlt_f64_e64 s[4:5], s[4:5], v[23:24]
	v_fma_f64 v[51:52], v[27:28], v[51:52], 1.0
	v_fma_f64 v[27:28], v[27:28], v[51:52], 1.0
	v_ldexp_f64 v[25:26], v[27:28], v25
	v_cndmask_b32_e64 v26, v64, v26, s[4:5]
	s_and_b64 s[4:5], s[26:27], s[4:5]
	v_cndmask_b32_e64 v24, 0, v26, s[26:27]
	v_cndmask_b32_e64 v23, 0, v25, s[4:5]
	v_add_f64 v[25:26], v[23:24], 1.0
	s_mov_b32 s27, 0x3fe55555
	s_mov_b32 s26, 0x55555555
	v_frexp_mant_f64_e32 v[51:52], v[25:26]
	v_frexp_exp_i32_f64_e32 v56, v[25:26]
	v_add_f64 v[27:28], v[25:26], -1.0
	v_cmp_gt_f64_e64 s[4:5], s[26:27], v[51:52]
	s_mov_b32 s26, 0x55555780
	v_add_f64 v[54:55], v[27:28], -v[25:26]
	v_add_f64 v[27:28], v[23:24], -v[27:28]
	v_subbrev_co_u32_e64 v73, s[4:5], 0, v56, s[4:5]
	v_sub_u32_e32 v56, 0, v73
	v_ldexp_f64 v[25:26], v[25:26], v56
	v_add_f64 v[51:52], v[54:55], 1.0
	s_mov_b32 s4, 0xbf559e2b
	s_mov_b32 s5, 0x3fc3ab76
	v_add_f64 v[54:55], v[25:26], 1.0
	v_add_f64 v[27:28], v[27:28], v[51:52]
	v_add_f64 v[60:61], v[25:26], -1.0
	v_add_f64 v[51:52], v[54:55], -1.0
	v_ldexp_f64 v[27:28], v[27:28], v56
	v_add_f64 v[62:63], v[60:61], 1.0
	v_add_f64 v[51:52], v[25:26], -v[51:52]
	v_add_f64 v[25:26], v[25:26], -v[62:63]
	v_add_f64 v[51:52], v[27:28], v[51:52]
	v_add_f64 v[25:26], v[27:28], v[25:26]
	;; [unrolled: 1-line block ×4, first 2 shown]
	v_rcp_f64_e32 v[58:59], v[56:57]
	v_add_f64 v[54:55], v[56:57], -v[54:55]
	v_add_f64 v[60:61], v[62:63], -v[60:61]
	;; [unrolled: 1-line block ×4, first 2 shown]
	v_fma_f64 v[67:68], -v[56:57], v[58:59], 1.0
	v_fma_f64 v[58:59], v[67:68], v[58:59], v[58:59]
	v_fma_f64 v[27:28], -v[56:57], v[58:59], 1.0
	v_fma_f64 v[27:28], v[27:28], v[58:59], v[58:59]
	v_mul_f64 v[58:59], v[62:63], v[27:28]
	v_mul_f64 v[67:68], v[56:57], v[58:59]
	v_fma_f64 v[54:55], v[58:59], v[56:57], -v[67:68]
	v_fma_f64 v[54:55], v[58:59], v[51:52], v[54:55]
	v_add_f64 v[69:70], v[67:68], v[54:55]
	v_add_f64 v[71:72], v[62:63], -v[69:70]
	v_add_f64 v[60:61], v[69:70], -v[67:68]
	v_add_f64 v[62:63], v[62:63], -v[71:72]
	v_add_f64 v[54:55], v[60:61], -v[54:55]
	v_add_f64 v[62:63], v[62:63], -v[69:70]
	v_add_f64 v[25:26], v[25:26], v[62:63]
	v_add_f64 v[25:26], v[54:55], v[25:26]
	;; [unrolled: 1-line block ×3, first 2 shown]
	v_mul_f64 v[60:61], v[27:28], v[54:55]
	v_add_f64 v[69:70], v[71:72], -v[54:55]
	v_mul_f64 v[62:63], v[56:57], v[60:61]
	v_add_f64 v[25:26], v[25:26], v[69:70]
	v_fma_f64 v[56:57], v[60:61], v[56:57], -v[62:63]
	v_fma_f64 v[51:52], v[60:61], v[51:52], v[56:57]
	v_add_f64 v[56:57], v[62:63], v[51:52]
	v_add_f64 v[67:68], v[54:55], -v[56:57]
	v_add_f64 v[62:63], v[56:57], -v[62:63]
	;; [unrolled: 1-line block ×5, first 2 shown]
	v_mov_b32_e32 v56, 0x6b47b09a
	v_mov_b32_e32 v57, 0x3fc38538
	v_add_f64 v[25:26], v[25:26], v[54:55]
	v_add_f64 v[54:55], v[58:59], v[60:61]
	;; [unrolled: 1-line block ×3, first 2 shown]
	v_add_f64 v[51:52], v[54:55], -v[58:59]
	v_add_f64 v[25:26], v[67:68], v[25:26]
	v_add_f64 v[51:52], v[60:61], -v[51:52]
	v_mul_f64 v[25:26], v[27:28], v[25:26]
	v_add_f64 v[25:26], v[51:52], v[25:26]
	v_add_f64 v[27:28], v[54:55], v[25:26]
	v_mul_f64 v[51:52], v[27:28], v[27:28]
	v_fma_f64 v[56:57], v[51:52], s[4:5], v[56:57]
	s_mov_b32 s4, 0xd7f4df2e
	s_mov_b32 s5, 0x3fc7474d
	v_mul_f64 v[58:59], v[27:28], v[51:52]
	v_fma_f64 v[56:57], v[51:52], v[56:57], s[4:5]
	s_mov_b32 s4, 0x16291751
	s_mov_b32 s5, 0x3fcc71c0
	v_fma_f64 v[56:57], v[51:52], v[56:57], s[4:5]
	s_mov_b32 s4, 0x9b27acf1
	s_mov_b32 s5, 0x3fd24924
	;; [unrolled: 3-line block ×3, first 2 shown]
	v_fma_f64 v[56:57], v[51:52], v[56:57], s[4:5]
	v_cmp_nge_f64_e64 s[4:5], -1.0, v[23:24]
	v_fma_f64 v[51:52], v[51:52], v[56:57], s[26:27]
	v_ldexp_f64 v[56:57], v[27:28], 1
	v_add_f64 v[27:28], v[27:28], -v[54:55]
	s_mov_b32 s26, 0
	s_mov_b32 s27, 0x7ff00000
	v_cmp_neq_f64_e64 s[26:27], s[26:27], v[23:24]
	v_mul_f64 v[51:52], v[58:59], v[51:52]
	v_cvt_f64_i32_e32 v[58:59], v73
	v_add_f64 v[25:26], v[25:26], -v[27:28]
	v_mul_f64 v[60:61], v[58:59], s[36:37]
	s_and_b64 s[4:5], s[4:5], s[26:27]
	v_add_f64 v[54:55], v[56:57], v[51:52]
	v_ldexp_f64 v[25:26], v[25:26], 1
	v_add_f64 v[27:28], v[54:55], -v[56:57]
	v_fma_f64 v[56:57], v[58:59], s[36:37], -v[60:61]
	v_add_f64 v[27:28], v[51:52], -v[27:28]
	v_fma_f64 v[51:52], v[58:59], s[38:39], v[56:57]
	v_add_f64 v[25:26], v[25:26], v[27:28]
	v_add_f64 v[27:28], v[60:61], v[51:52]
	v_add_f64 v[56:57], v[54:55], v[25:26]
	v_add_f64 v[60:61], v[27:28], -v[60:61]
	v_add_f64 v[58:59], v[27:28], v[56:57]
	v_add_f64 v[54:55], v[56:57], -v[54:55]
	v_add_f64 v[51:52], v[51:52], -v[60:61]
	;; [unrolled: 1-line block ×6, first 2 shown]
	v_add_f64 v[56:57], v[51:52], v[25:26]
	v_add_f64 v[27:28], v[27:28], -v[67:68]
	v_add_f64 v[27:28], v[54:55], v[27:28]
	v_add_f64 v[54:55], v[56:57], -v[51:52]
	;; [unrolled: 2-line block ×3, first 2 shown]
	v_add_f64 v[25:26], v[25:26], -v[54:55]
	v_add_f64 v[60:61], v[58:59], v[27:28]
	v_add_f64 v[51:52], v[51:52], -v[56:57]
	v_add_f64 v[54:55], v[60:61], -v[58:59]
	v_add_f64 v[25:26], v[25:26], v[51:52]
	v_add_f64 v[27:28], v[27:28], -v[54:55]
	v_add_f64 v[25:26], v[25:26], v[27:28]
	v_mov_b32_e32 v27, 0x7ff80000
	v_mov_b32_e32 v28, 0xfff00000
	v_add_f64 v[25:26], v[60:61], v[25:26]
	v_cndmask_b32_e64 v25, 0, v25, s[4:5]
	v_cmp_ngt_f64_e64 s[4:5], -1.0, v[23:24]
	v_cndmask_b32_e64 v26, v64, v26, s[26:27]
	v_cndmask_b32_e64 v26, v27, v26, s[4:5]
	v_cmp_neq_f64_e64 s[4:5], -1.0, v[23:24]
	v_cndmask_b32_e64 v26, v28, v26, s[4:5]
	v_add_f64 v[23:24], v[21:22], v[25:26]
.LBB70_78:
	s_or_b64 exec, exec, s[30:31]
	ds_write_b64 v53, v[23:24] offset:8
.LBB70_79:
	s_or_b64 exec, exec, s[34:35]
	s_waitcnt lgkmcnt(0)
	s_barrier
	s_and_saveexec_b64 s[4:5], s[2:3]
; %bb.80:
	v_add_u32_e32 v21, -1, v0
	v_lshrrev_b32_e32 v22, 2, v21
	v_and_b32_e32 v22, 0x3ffffff8, v22
	v_lshl_add_u32 v21, v21, 3, v22
	ds_read_b64 v[49:50], v21
; %bb.81:
	s_or_b64 exec, exec, s[4:5]
	s_and_saveexec_b64 s[50:51], vcc
	s_cbranch_execz .LBB70_153
; %bb.82:
	v_mov_b32_e32 v24, 0
	ds_read_b64 v[21:22], v24 offset:1040
	v_mbcnt_lo_u32_b32 v23, -1, 0
	v_mbcnt_hi_u32_b32 v56, -1, v23
	s_mov_b32 s31, 0
	v_cmp_eq_u32_e64 s[26:27], 0, v56
	s_and_saveexec_b64 s[4:5], s[26:27]
	s_cbranch_execz .LBB70_84
; %bb.83:
	s_add_i32 s30, s0, 64
	s_lshl_b64 s[30:31], s[30:31], 4
	s_add_u32 s30, s52, s30
	s_addc_u32 s31, s53, s31
	v_mov_b32_e32 v25, s30
	v_mov_b32_e32 v23, 1
	;; [unrolled: 1-line block ×3, first 2 shown]
	s_waitcnt lgkmcnt(0)
	;;#ASMSTART
	global_store_dwordx4 v[25:26], v[21:24] off	
s_waitcnt vmcnt(0)
	;;#ASMEND
.LBB70_84:
	s_or_b64 exec, exec, s[4:5]
	v_xad_u32 v51, v56, -1, s0
	v_add_u32_e32 v23, 64, v51
	v_lshlrev_b64 v[25:26], 4, v[23:24]
	v_mov_b32_e32 v23, s53
	v_add_co_u32_e32 v52, vcc, s52, v25
	v_addc_co_u32_e32 v53, vcc, v23, v26, vcc
	;;#ASMSTART
	global_load_dwordx4 v[25:28], v[52:53] off glc	
s_waitcnt vmcnt(0)
	;;#ASMEND
	v_cmp_eq_u16_sdwa s[30:31], v27, v24 src0_sel:BYTE_0 src1_sel:DWORD
	s_and_saveexec_b64 s[4:5], s[30:31]
	s_cbranch_execz .LBB70_88
; %bb.85:
	s_mov_b64 s[30:31], 0
	v_mov_b32_e32 v23, 0
.LBB70_86:                              ; =>This Inner Loop Header: Depth=1
	;;#ASMSTART
	global_load_dwordx4 v[25:28], v[52:53] off glc	
s_waitcnt vmcnt(0)
	;;#ASMEND
	v_cmp_ne_u16_sdwa s[34:35], v27, v23 src0_sel:BYTE_0 src1_sel:DWORD
	s_or_b64 s[30:31], s[34:35], s[30:31]
	s_andn2_b64 exec, exec, s[30:31]
	s_cbranch_execnz .LBB70_86
; %bb.87:
	s_or_b64 exec, exec, s[30:31]
.LBB70_88:
	s_or_b64 exec, exec, s[4:5]
	v_and_b32_e32 v67, 63, v56
	v_mov_b32_e32 v28, 2
	v_lshlrev_b64 v[23:24], v56, -1
	v_cmp_ne_u32_e32 vcc, 63, v67
	v_cmp_eq_u16_sdwa s[4:5], v27, v28 src0_sel:BYTE_0 src1_sel:DWORD
	v_addc_co_u32_e32 v52, vcc, 0, v56, vcc
	v_and_b32_e32 v28, s5, v24
	v_lshlrev_b32_e32 v68, 2, v52
	v_or_b32_e32 v28, 0x80000000, v28
	ds_bpermute_b32 v52, v68, v25
	ds_bpermute_b32 v53, v68, v26
	v_and_b32_e32 v54, s4, v23
	v_ffbl_b32_e32 v28, v28
	v_add_u32_e32 v28, 32, v28
	v_ffbl_b32_e32 v54, v54
	v_min_u32_e32 v28, v54, v28
	v_mov_b32_e32 v60, v26
	v_cmp_lt_u32_e32 vcc, v67, v28
	v_mov_b32_e32 v59, v25
	s_and_saveexec_b64 s[30:31], vcc
	s_cbranch_execz .LBB70_92
; %bb.89:
	s_waitcnt lgkmcnt(0)
	v_max_f64 v[54:55], v[52:53], v[52:53]
	v_max_f64 v[57:58], v[25:26], v[25:26]
	v_cmp_u_f64_e32 vcc, v[52:53], v[52:53]
	v_cmp_u_f64_e64 s[4:5], v[25:26], v[25:26]
	s_movk_i32 s1, 0x1f8
	v_min_f64 v[59:60], v[54:55], v[57:58]
	v_max_f64 v[54:55], v[54:55], v[57:58]
	v_cndmask_b32_e32 v57, v60, v53, vcc
	v_cndmask_b32_e32 v58, v59, v52, vcc
	;; [unrolled: 1-line block ×4, first 2 shown]
	v_cndmask_b32_e64 v55, v57, v26, s[4:5]
	v_cndmask_b32_e64 v54, v58, v25, s[4:5]
	;; [unrolled: 1-line block ×4, first 2 shown]
	v_cmp_neq_f64_e32 vcc, v[54:55], v[25:26]
	v_cmp_class_f64_e64 s[4:5], v[54:55], s1
	s_or_b64 s[4:5], vcc, s[4:5]
	s_and_saveexec_b64 s[34:35], s[4:5]
	s_cbranch_execz .LBB70_91
; %bb.90:
	v_add_f64 v[52:53], v[54:55], -v[25:26]
	s_mov_b32 s4, 0x652b82fe
	s_mov_b32 s5, 0x3ff71547
	;; [unrolled: 1-line block ×6, first 2 shown]
	v_mov_b32_e32 v59, 0xfca7ab0c
	v_mul_f64 v[54:55], v[52:53], s[4:5]
	s_mov_b32 s4, 0x6a5dcb37
	v_mov_b32_e32 v60, 0x3e928af3
	s_mov_b32 s5, 0x3e5ade15
	v_mov_b32_e32 v79, 0x7ff00000
	s_mov_b32 s40, 0xbf559e2b
	s_mov_b32 s41, 0x3fc3ab76
	v_rndne_f64_e32 v[54:55], v[54:55]
	v_fma_f64 v[57:58], v[54:55], s[36:37], v[52:53]
	s_mov_b32 s37, 0x3fe62e42
	v_fma_f64 v[57:58], v[54:55], s[38:39], v[57:58]
	v_cvt_i32_f64_e32 v54, v[54:55]
	s_mov_b32 s39, 0x3c7abc9e
	v_fma_f64 v[59:60], v[57:58], s[4:5], v[59:60]
	s_mov_b32 s4, 0x623fde64
	s_mov_b32 s5, 0x3ec71dee
	v_fma_f64 v[59:60], v[57:58], v[59:60], s[4:5]
	s_mov_b32 s4, 0x7c89e6b0
	s_mov_b32 s5, 0x3efa0199
	v_fma_f64 v[59:60], v[57:58], v[59:60], s[4:5]
	s_mov_b32 s4, 0x14761f6e
	s_mov_b32 s5, 0x3f2a01a0
	v_fma_f64 v[59:60], v[57:58], v[59:60], s[4:5]
	s_mov_b32 s4, 0x1852b7b0
	s_mov_b32 s5, 0x3f56c16c
	v_fma_f64 v[59:60], v[57:58], v[59:60], s[4:5]
	s_mov_b32 s4, 0x11122322
	s_mov_b32 s5, 0x3f811111
	v_fma_f64 v[59:60], v[57:58], v[59:60], s[4:5]
	s_mov_b32 s4, 0x555502a1
	s_mov_b32 s5, 0x3fa55555
	v_fma_f64 v[59:60], v[57:58], v[59:60], s[4:5]
	s_mov_b32 s4, 0x55555511
	s_mov_b32 s5, 0x3fc55555
	v_fma_f64 v[59:60], v[57:58], v[59:60], s[4:5]
	s_mov_b32 s4, 11
	s_mov_b32 s5, 0x3fe00000
	v_fma_f64 v[59:60], v[57:58], v[59:60], s[4:5]
	s_mov_b32 s4, 0
	s_mov_b32 s5, 0x40900000
	v_cmp_nlt_f64_e32 vcc, s[4:5], v[52:53]
	s_mov_b32 s4, 0
	s_mov_b32 s5, 0xc090cc00
	v_cmp_ngt_f64_e64 s[4:5], s[4:5], v[52:53]
	v_fma_f64 v[59:60], v[57:58], v[59:60], 1.0
	v_fma_f64 v[57:58], v[57:58], v[59:60], 1.0
	v_ldexp_f64 v[54:55], v[57:58], v54
	v_cndmask_b32_e32 v55, v79, v55, vcc
	s_and_b64 vcc, s[4:5], vcc
	v_cndmask_b32_e32 v52, 0, v54, vcc
	v_cndmask_b32_e64 v53, 0, v55, s[4:5]
	v_add_f64 v[54:55], v[52:53], 1.0
	s_mov_b32 s5, 0x3fe55555
	s_mov_b32 s4, 0x55555555
	v_add_f64 v[57:58], v[54:55], -1.0
	v_frexp_exp_i32_f64_e32 v61, v[54:55]
	v_add_f64 v[59:60], v[57:58], -v[54:55]
	v_add_f64 v[57:58], v[52:53], -v[57:58]
	v_add_f64 v[59:60], v[59:60], 1.0
	v_add_f64 v[57:58], v[57:58], v[59:60]
	v_frexp_mant_f64_e32 v[59:60], v[54:55]
	v_cmp_gt_f64_e32 vcc, s[4:5], v[59:60]
	s_mov_b32 s4, 0x55555780
	v_subbrev_co_u32_e32 v80, vcc, 0, v61, vcc
	v_sub_u32_e32 v59, 0, v80
	v_ldexp_f64 v[54:55], v[54:55], v59
	v_ldexp_f64 v[57:58], v[57:58], v59
	v_add_f64 v[59:60], v[54:55], -1.0
	v_add_f64 v[61:62], v[59:60], 1.0
	v_add_f64 v[61:62], v[54:55], -v[61:62]
	v_add_f64 v[61:62], v[57:58], v[61:62]
	v_add_f64 v[63:64], v[59:60], v[61:62]
	v_add_f64 v[59:60], v[63:64], -v[59:60]
	v_add_f64 v[59:60], v[61:62], -v[59:60]
	v_add_f64 v[61:62], v[54:55], 1.0
	v_add_f64 v[69:70], v[61:62], -1.0
	v_add_f64 v[54:55], v[54:55], -v[69:70]
	v_add_f64 v[54:55], v[57:58], v[54:55]
	v_add_f64 v[57:58], v[61:62], v[54:55]
	v_add_f64 v[61:62], v[57:58], -v[61:62]
	v_add_f64 v[54:55], v[54:55], -v[61:62]
	v_rcp_f64_e32 v[61:62], v[57:58]
	v_fma_f64 v[69:70], -v[57:58], v[61:62], 1.0
	v_fma_f64 v[61:62], v[69:70], v[61:62], v[61:62]
	v_fma_f64 v[69:70], -v[57:58], v[61:62], 1.0
	v_fma_f64 v[61:62], v[69:70], v[61:62], v[61:62]
	v_mul_f64 v[69:70], v[63:64], v[61:62]
	v_mul_f64 v[71:72], v[57:58], v[69:70]
	v_fma_f64 v[73:74], v[69:70], v[57:58], -v[71:72]
	v_fma_f64 v[73:74], v[69:70], v[54:55], v[73:74]
	v_add_f64 v[75:76], v[71:72], v[73:74]
	v_add_f64 v[77:78], v[63:64], -v[75:76]
	v_add_f64 v[71:72], v[75:76], -v[71:72]
	;; [unrolled: 1-line block ×4, first 2 shown]
	v_add_f64 v[59:60], v[59:60], v[63:64]
	v_add_f64 v[63:64], v[71:72], -v[73:74]
	v_add_f64 v[59:60], v[63:64], v[59:60]
	v_add_f64 v[63:64], v[77:78], v[59:60]
	v_add_f64 v[71:72], v[77:78], -v[63:64]
	v_add_f64 v[59:60], v[59:60], v[71:72]
	v_mul_f64 v[71:72], v[61:62], v[63:64]
	v_mul_f64 v[73:74], v[57:58], v[71:72]
	v_fma_f64 v[57:58], v[71:72], v[57:58], -v[73:74]
	v_fma_f64 v[54:55], v[71:72], v[54:55], v[57:58]
	v_add_f64 v[57:58], v[73:74], v[54:55]
	v_add_f64 v[75:76], v[63:64], -v[57:58]
	v_add_f64 v[73:74], v[57:58], -v[73:74]
	;; [unrolled: 1-line block ×5, first 2 shown]
	v_cvt_f64_i32_e32 v[63:64], v80
	v_add_f64 v[57:58], v[59:60], v[57:58]
	v_add_f64 v[54:55], v[54:55], v[57:58]
	;; [unrolled: 1-line block ×4, first 2 shown]
	v_add_f64 v[59:60], v[57:58], -v[69:70]
	v_mul_f64 v[69:70], v[63:64], s[36:37]
	v_mul_f64 v[54:55], v[61:62], v[54:55]
	v_add_f64 v[59:60], v[71:72], -v[59:60]
	v_mov_b32_e32 v61, 0x6b47b09a
	v_mov_b32_e32 v62, 0x3fc38538
	v_fma_f64 v[71:72], v[63:64], s[36:37], -v[69:70]
	v_add_f64 v[54:55], v[59:60], v[54:55]
	v_fma_f64 v[63:64], v[63:64], s[38:39], v[71:72]
	v_add_f64 v[59:60], v[57:58], v[54:55]
	v_add_f64 v[71:72], v[69:70], v[63:64]
	v_add_f64 v[57:58], v[59:60], -v[57:58]
	v_add_f64 v[69:70], v[71:72], -v[69:70]
	;; [unrolled: 1-line block ×3, first 2 shown]
	v_mul_f64 v[57:58], v[59:60], v[59:60]
	v_add_f64 v[63:64], v[63:64], -v[69:70]
	v_ldexp_f64 v[69:70], v[59:60], 1
	v_ldexp_f64 v[54:55], v[54:55], 1
	v_fma_f64 v[61:62], v[57:58], s[40:41], v[61:62]
	s_mov_b32 s40, 0xd7f4df2e
	s_mov_b32 s41, 0x3fc7474d
	v_fma_f64 v[61:62], v[57:58], v[61:62], s[40:41]
	s_mov_b32 s40, 0x16291751
	s_mov_b32 s41, 0x3fcc71c0
	;; [unrolled: 3-line block ×4, first 2 shown]
	v_fma_f64 v[61:62], v[57:58], v[61:62], s[40:41]
	v_fma_f64 v[61:62], v[57:58], v[61:62], s[4:5]
	v_mul_f64 v[57:58], v[59:60], v[57:58]
	s_mov_b32 s4, 0
	s_mov_b32 s5, 0x7ff00000
	v_cmp_neq_f64_e32 vcc, s[4:5], v[52:53]
	v_cmp_ngt_f64_e64 s[4:5], -1.0, v[52:53]
	v_mul_f64 v[57:58], v[57:58], v[61:62]
	v_add_f64 v[59:60], v[69:70], v[57:58]
	v_add_f64 v[61:62], v[59:60], -v[69:70]
	v_add_f64 v[57:58], v[57:58], -v[61:62]
	v_add_f64 v[54:55], v[54:55], v[57:58]
	v_add_f64 v[57:58], v[59:60], v[54:55]
	v_add_f64 v[59:60], v[57:58], -v[59:60]
	v_add_f64 v[54:55], v[54:55], -v[59:60]
	v_add_f64 v[59:60], v[71:72], v[57:58]
	v_add_f64 v[61:62], v[59:60], -v[71:72]
	v_add_f64 v[69:70], v[59:60], -v[61:62]
	;; [unrolled: 1-line block ×3, first 2 shown]
	v_add_f64 v[61:62], v[63:64], v[54:55]
	v_add_f64 v[69:70], v[71:72], -v[69:70]
	v_add_f64 v[57:58], v[57:58], v[69:70]
	v_add_f64 v[69:70], v[61:62], -v[63:64]
	;; [unrolled: 2-line block ×3, first 2 shown]
	v_add_f64 v[54:55], v[54:55], -v[69:70]
	v_add_f64 v[61:62], v[59:60], v[57:58]
	v_add_f64 v[63:64], v[63:64], -v[71:72]
	v_add_f64 v[59:60], v[61:62], -v[59:60]
	v_add_f64 v[54:55], v[54:55], v[63:64]
	v_add_f64 v[57:58], v[57:58], -v[59:60]
	v_add_f64 v[54:55], v[54:55], v[57:58]
	v_mov_b32_e32 v57, 0x7ff80000
	v_add_f64 v[54:55], v[61:62], v[54:55]
	v_cndmask_b32_e32 v55, v79, v55, vcc
	v_cndmask_b32_e64 v55, v57, v55, s[4:5]
	v_cmp_nge_f64_e64 s[4:5], -1.0, v[52:53]
	s_and_b64 vcc, s[4:5], vcc
	v_cndmask_b32_e32 v54, 0, v54, vcc
	v_cmp_neq_f64_e32 vcc, -1.0, v[52:53]
	v_mov_b32_e32 v52, 0xfff00000
	v_cndmask_b32_e32 v55, v52, v55, vcc
	v_add_f64 v[52:53], v[25:26], v[54:55]
.LBB70_91:
	s_or_b64 exec, exec, s[34:35]
	v_mov_b32_e32 v60, v53
	v_mov_b32_e32 v25, v52
	;; [unrolled: 1-line block ×4, first 2 shown]
.LBB70_92:
	s_or_b64 exec, exec, s[30:31]
	v_cmp_gt_u32_e32 vcc, 62, v67
	s_waitcnt lgkmcnt(1)
	v_cndmask_b32_e64 v52, 0, 2, vcc
	v_add_lshl_u32 v69, v52, v56, 2
	ds_bpermute_b32 v52, v69, v25
	s_waitcnt lgkmcnt(1)
	ds_bpermute_b32 v53, v69, v26
	v_add_u32_e32 v70, 2, v67
	v_cmp_le_u32_e32 vcc, v70, v28
	s_and_saveexec_b64 s[36:37], vcc
	s_cbranch_execz .LBB70_96
; %bb.93:
	s_waitcnt lgkmcnt(0)
	v_max_f64 v[25:26], v[52:53], v[52:53]
	v_max_f64 v[54:55], v[59:60], v[59:60]
	v_cmp_u_f64_e32 vcc, v[52:53], v[52:53]
	v_cmp_u_f64_e64 s[4:5], v[59:60], v[59:60]
	s_movk_i32 s1, 0x1f8
	v_min_f64 v[57:58], v[25:26], v[54:55]
	v_max_f64 v[25:26], v[25:26], v[54:55]
	v_cndmask_b32_e32 v54, v58, v53, vcc
	v_cndmask_b32_e32 v57, v57, v52, vcc
	;; [unrolled: 1-line block ×4, first 2 shown]
	v_cndmask_b32_e64 v55, v54, v60, s[4:5]
	v_cndmask_b32_e64 v54, v57, v59, s[4:5]
	;; [unrolled: 1-line block ×4, first 2 shown]
	v_cmp_neq_f64_e32 vcc, v[54:55], v[25:26]
	v_cmp_class_f64_e64 s[4:5], v[54:55], s1
	s_or_b64 s[4:5], vcc, s[4:5]
	s_and_saveexec_b64 s[38:39], s[4:5]
	s_cbranch_execz .LBB70_95
; %bb.94:
	v_add_f64 v[52:53], v[54:55], -v[25:26]
	s_mov_b32 s4, 0x652b82fe
	s_mov_b32 s5, 0x3ff71547
	;; [unrolled: 1-line block ×6, first 2 shown]
	v_mov_b32_e32 v59, 0xfca7ab0c
	v_mul_f64 v[54:55], v[52:53], s[4:5]
	s_mov_b32 s4, 0x6a5dcb37
	v_mov_b32_e32 v60, 0x3e928af3
	s_mov_b32 s5, 0x3e5ade15
	s_mov_b32 s30, 0
	s_mov_b32 s31, 0xc090cc00
	v_mov_b32_e32 v83, 0x7ff00000
	v_rndne_f64_e32 v[54:55], v[54:55]
	v_fma_f64 v[57:58], v[54:55], s[34:35], v[52:53]
	s_mov_b32 s35, 0x3fe62e42
	v_fma_f64 v[57:58], v[54:55], s[40:41], v[57:58]
	v_cvt_i32_f64_e32 v54, v[54:55]
	s_mov_b32 s41, 0x3c7abc9e
	v_fma_f64 v[59:60], v[57:58], s[4:5], v[59:60]
	s_mov_b32 s4, 0x623fde64
	s_mov_b32 s5, 0x3ec71dee
	v_fma_f64 v[59:60], v[57:58], v[59:60], s[4:5]
	s_mov_b32 s4, 0x7c89e6b0
	;; [unrolled: 3-line block ×9, first 2 shown]
	s_mov_b32 s5, 0x40900000
	v_cmp_nlt_f64_e32 vcc, s[4:5], v[52:53]
	v_cmp_ngt_f64_e64 s[4:5], s[30:31], v[52:53]
	v_fma_f64 v[59:60], v[57:58], v[59:60], 1.0
	s_and_b64 s[30:31], s[4:5], vcc
	v_fma_f64 v[57:58], v[57:58], v[59:60], 1.0
	v_ldexp_f64 v[52:53], v[57:58], v54
	v_cndmask_b32_e32 v53, v83, v53, vcc
	v_cndmask_b32_e64 v52, 0, v52, s[30:31]
	v_cndmask_b32_e64 v53, 0, v53, s[4:5]
	v_add_f64 v[54:55], v[52:53], 1.0
	s_mov_b32 s5, 0x3fe55555
	s_mov_b32 s4, 0x55555555
	;; [unrolled: 1-line block ×4, first 2 shown]
	v_frexp_mant_f64_e32 v[57:58], v[54:55]
	v_frexp_exp_i32_f64_e32 v61, v[54:55]
	v_add_f64 v[59:60], v[54:55], -1.0
	v_cmp_gt_f64_e32 vcc, s[4:5], v[57:58]
	s_mov_b32 s4, 0x55555780
	v_add_f64 v[57:58], v[59:60], -v[54:55]
	v_add_f64 v[59:60], v[52:53], -v[59:60]
	v_subbrev_co_u32_e32 v84, vcc, 0, v61, vcc
	v_sub_u32_e32 v63, 0, v84
	v_ldexp_f64 v[54:55], v[54:55], v63
	v_add_f64 v[57:58], v[57:58], 1.0
	v_cmp_nge_f64_e32 vcc, -1.0, v[52:53]
	v_add_f64 v[61:62], v[54:55], 1.0
	v_add_f64 v[57:58], v[59:60], v[57:58]
	v_add_f64 v[73:74], v[54:55], -1.0
	v_add_f64 v[59:60], v[61:62], -1.0
	v_ldexp_f64 v[57:58], v[57:58], v63
	v_add_f64 v[75:76], v[73:74], 1.0
	v_add_f64 v[59:60], v[54:55], -v[59:60]
	v_add_f64 v[54:55], v[54:55], -v[75:76]
	v_add_f64 v[59:60], v[57:58], v[59:60]
	v_add_f64 v[54:55], v[57:58], v[54:55]
	;; [unrolled: 1-line block ×4, first 2 shown]
	v_rcp_f64_e32 v[71:72], v[63:64]
	v_add_f64 v[61:62], v[63:64], -v[61:62]
	v_add_f64 v[73:74], v[75:76], -v[73:74]
	;; [unrolled: 1-line block ×4, first 2 shown]
	v_fma_f64 v[77:78], -v[63:64], v[71:72], 1.0
	v_fma_f64 v[71:72], v[77:78], v[71:72], v[71:72]
	v_fma_f64 v[57:58], -v[63:64], v[71:72], 1.0
	v_fma_f64 v[57:58], v[57:58], v[71:72], v[71:72]
	v_mul_f64 v[71:72], v[75:76], v[57:58]
	v_mul_f64 v[77:78], v[63:64], v[71:72]
	v_fma_f64 v[61:62], v[71:72], v[63:64], -v[77:78]
	v_fma_f64 v[61:62], v[71:72], v[59:60], v[61:62]
	v_add_f64 v[79:80], v[77:78], v[61:62]
	v_add_f64 v[81:82], v[75:76], -v[79:80]
	v_add_f64 v[73:74], v[79:80], -v[77:78]
	;; [unrolled: 1-line block ×5, first 2 shown]
	v_add_f64 v[54:55], v[54:55], v[75:76]
	v_add_f64 v[54:55], v[61:62], v[54:55]
	v_add_f64 v[61:62], v[81:82], v[54:55]
	v_mul_f64 v[73:74], v[57:58], v[61:62]
	v_add_f64 v[79:80], v[81:82], -v[61:62]
	v_mul_f64 v[75:76], v[63:64], v[73:74]
	v_add_f64 v[54:55], v[54:55], v[79:80]
	v_fma_f64 v[63:64], v[73:74], v[63:64], -v[75:76]
	v_fma_f64 v[59:60], v[73:74], v[59:60], v[63:64]
	v_add_f64 v[63:64], v[75:76], v[59:60]
	v_add_f64 v[77:78], v[61:62], -v[63:64]
	v_add_f64 v[75:76], v[63:64], -v[75:76]
	;; [unrolled: 1-line block ×5, first 2 shown]
	v_mov_b32_e32 v63, 0x6b47b09a
	v_mov_b32_e32 v64, 0x3fc38538
	v_add_f64 v[54:55], v[54:55], v[61:62]
	v_add_f64 v[61:62], v[71:72], v[73:74]
	v_add_f64 v[54:55], v[59:60], v[54:55]
	v_add_f64 v[59:60], v[61:62], -v[71:72]
	v_add_f64 v[54:55], v[77:78], v[54:55]
	v_add_f64 v[59:60], v[73:74], -v[59:60]
	v_mul_f64 v[54:55], v[57:58], v[54:55]
	v_add_f64 v[54:55], v[59:60], v[54:55]
	v_add_f64 v[57:58], v[61:62], v[54:55]
	v_mul_f64 v[59:60], v[57:58], v[57:58]
	v_fma_f64 v[63:64], v[59:60], s[30:31], v[63:64]
	s_mov_b32 s30, 0xd7f4df2e
	s_mov_b32 s31, 0x3fc7474d
	v_mul_f64 v[71:72], v[57:58], v[59:60]
	v_fma_f64 v[63:64], v[59:60], v[63:64], s[30:31]
	s_mov_b32 s30, 0x16291751
	s_mov_b32 s31, 0x3fcc71c0
	v_fma_f64 v[63:64], v[59:60], v[63:64], s[30:31]
	s_mov_b32 s30, 0x9b27acf1
	s_mov_b32 s31, 0x3fd24924
	;; [unrolled: 3-line block ×3, first 2 shown]
	v_fma_f64 v[63:64], v[59:60], v[63:64], s[30:31]
	v_cmp_ngt_f64_e64 s[30:31], -1.0, v[52:53]
	v_fma_f64 v[59:60], v[59:60], v[63:64], s[4:5]
	v_ldexp_f64 v[63:64], v[57:58], 1
	v_add_f64 v[57:58], v[57:58], -v[61:62]
	s_mov_b32 s4, 0
	s_mov_b32 s5, 0x7ff00000
	v_cmp_neq_f64_e64 s[4:5], s[4:5], v[52:53]
	v_mul_f64 v[59:60], v[71:72], v[59:60]
	v_cvt_f64_i32_e32 v[71:72], v84
	v_add_f64 v[54:55], v[54:55], -v[57:58]
	v_mul_f64 v[73:74], v[71:72], s[34:35]
	s_and_b64 vcc, vcc, s[4:5]
	v_add_f64 v[61:62], v[63:64], v[59:60]
	v_ldexp_f64 v[54:55], v[54:55], 1
	v_add_f64 v[57:58], v[61:62], -v[63:64]
	v_fma_f64 v[63:64], v[71:72], s[34:35], -v[73:74]
	v_cmp_neq_f64_e64 s[34:35], -1.0, v[52:53]
	v_mov_b32_e32 v53, 0x7ff80000
	v_add_f64 v[57:58], v[59:60], -v[57:58]
	v_fma_f64 v[59:60], v[71:72], s[40:41], v[63:64]
	v_add_f64 v[54:55], v[54:55], v[57:58]
	v_add_f64 v[57:58], v[73:74], v[59:60]
	;; [unrolled: 1-line block ×3, first 2 shown]
	v_add_f64 v[73:74], v[57:58], -v[73:74]
	v_add_f64 v[71:72], v[57:58], v[63:64]
	v_add_f64 v[61:62], v[63:64], -v[61:62]
	v_add_f64 v[59:60], v[59:60], -v[73:74]
	;; [unrolled: 1-line block ×6, first 2 shown]
	v_add_f64 v[63:64], v[59:60], v[54:55]
	v_add_f64 v[57:58], v[57:58], -v[77:78]
	v_add_f64 v[57:58], v[61:62], v[57:58]
	v_add_f64 v[61:62], v[63:64], -v[59:60]
	;; [unrolled: 2-line block ×3, first 2 shown]
	v_add_f64 v[54:55], v[54:55], -v[61:62]
	v_add_f64 v[73:74], v[71:72], v[57:58]
	v_add_f64 v[59:60], v[59:60], -v[63:64]
	v_add_f64 v[61:62], v[73:74], -v[71:72]
	v_add_f64 v[54:55], v[54:55], v[59:60]
	v_add_f64 v[57:58], v[57:58], -v[61:62]
	v_add_f64 v[54:55], v[54:55], v[57:58]
	v_mov_b32_e32 v57, 0xfff00000
	v_add_f64 v[54:55], v[73:74], v[54:55]
	v_cndmask_b32_e64 v55, v83, v55, s[4:5]
	v_cndmask_b32_e64 v53, v53, v55, s[30:31]
	v_cndmask_b32_e32 v52, 0, v54, vcc
	v_cndmask_b32_e64 v53, v57, v53, s[34:35]
	v_add_f64 v[52:53], v[25:26], v[52:53]
.LBB70_95:
	s_or_b64 exec, exec, s[38:39]
	v_mov_b32_e32 v60, v53
	v_mov_b32_e32 v25, v52
	;; [unrolled: 1-line block ×4, first 2 shown]
.LBB70_96:
	s_or_b64 exec, exec, s[36:37]
	v_cmp_gt_u32_e32 vcc, 60, v67
	s_waitcnt lgkmcnt(1)
	v_cndmask_b32_e64 v52, 0, 4, vcc
	v_add_lshl_u32 v71, v52, v56, 2
	ds_bpermute_b32 v52, v71, v25
	s_waitcnt lgkmcnt(1)
	ds_bpermute_b32 v53, v71, v26
	v_add_u32_e32 v72, 4, v67
	v_cmp_le_u32_e32 vcc, v72, v28
	s_and_saveexec_b64 s[30:31], vcc
	s_cbranch_execz .LBB70_100
; %bb.97:
	s_waitcnt lgkmcnt(0)
	v_max_f64 v[25:26], v[52:53], v[52:53]
	v_max_f64 v[54:55], v[59:60], v[59:60]
	v_cmp_u_f64_e32 vcc, v[52:53], v[52:53]
	v_cmp_u_f64_e64 s[4:5], v[59:60], v[59:60]
	s_movk_i32 s1, 0x1f8
	v_min_f64 v[57:58], v[25:26], v[54:55]
	v_max_f64 v[25:26], v[25:26], v[54:55]
	v_cndmask_b32_e32 v54, v58, v53, vcc
	v_cndmask_b32_e32 v57, v57, v52, vcc
	;; [unrolled: 1-line block ×4, first 2 shown]
	v_cndmask_b32_e64 v55, v54, v60, s[4:5]
	v_cndmask_b32_e64 v54, v57, v59, s[4:5]
	;; [unrolled: 1-line block ×4, first 2 shown]
	v_cmp_neq_f64_e32 vcc, v[54:55], v[25:26]
	v_cmp_class_f64_e64 s[4:5], v[54:55], s1
	s_or_b64 s[4:5], vcc, s[4:5]
	s_and_saveexec_b64 s[34:35], s[4:5]
	s_cbranch_execz .LBB70_99
; %bb.98:
	v_add_f64 v[52:53], v[54:55], -v[25:26]
	s_mov_b32 s4, 0x652b82fe
	s_mov_b32 s5, 0x3ff71547
	;; [unrolled: 1-line block ×6, first 2 shown]
	v_mov_b32_e32 v59, 0xfca7ab0c
	v_mul_f64 v[54:55], v[52:53], s[4:5]
	s_mov_b32 s4, 0x6a5dcb37
	v_mov_b32_e32 v60, 0x3e928af3
	s_mov_b32 s5, 0x3e5ade15
	s_mov_b32 s40, 0
	;; [unrolled: 1-line block ×3, first 2 shown]
	v_mov_b32_e32 v85, 0x7ff00000
	v_rndne_f64_e32 v[54:55], v[54:55]
	v_fma_f64 v[57:58], v[54:55], s[36:37], v[52:53]
	s_mov_b32 s37, 0x3fe62e42
	v_fma_f64 v[57:58], v[54:55], s[38:39], v[57:58]
	v_cvt_i32_f64_e32 v54, v[54:55]
	s_mov_b32 s39, 0x3c7abc9e
	v_fma_f64 v[59:60], v[57:58], s[4:5], v[59:60]
	s_mov_b32 s4, 0x623fde64
	s_mov_b32 s5, 0x3ec71dee
	v_fma_f64 v[59:60], v[57:58], v[59:60], s[4:5]
	s_mov_b32 s4, 0x7c89e6b0
	;; [unrolled: 3-line block ×9, first 2 shown]
	s_mov_b32 s5, 0x40900000
	v_cmp_nlt_f64_e32 vcc, s[4:5], v[52:53]
	v_cmp_ngt_f64_e64 s[4:5], s[40:41], v[52:53]
	s_mov_b32 s40, 0xbf559e2b
	s_mov_b32 s41, 0x3fc3ab76
	v_fma_f64 v[59:60], v[57:58], v[59:60], 1.0
	v_fma_f64 v[57:58], v[57:58], v[59:60], 1.0
	v_ldexp_f64 v[54:55], v[57:58], v54
	v_cndmask_b32_e32 v55, v85, v55, vcc
	s_and_b64 vcc, s[4:5], vcc
	v_cndmask_b32_e64 v53, 0, v55, s[4:5]
	v_cndmask_b32_e32 v52, 0, v54, vcc
	v_add_f64 v[54:55], v[52:53], 1.0
	s_mov_b32 s5, 0x3fe55555
	s_mov_b32 s4, 0x55555555
	v_frexp_mant_f64_e32 v[59:60], v[54:55]
	v_frexp_exp_i32_f64_e32 v63, v[54:55]
	v_add_f64 v[57:58], v[54:55], -1.0
	v_cmp_gt_f64_e32 vcc, s[4:5], v[59:60]
	s_mov_b32 s4, 0x55555780
	v_add_f64 v[61:62], v[57:58], -v[54:55]
	v_add_f64 v[57:58], v[52:53], -v[57:58]
	v_subbrev_co_u32_e32 v86, vcc, 0, v63, vcc
	v_sub_u32_e32 v63, 0, v86
	v_ldexp_f64 v[54:55], v[54:55], v63
	v_add_f64 v[59:60], v[61:62], 1.0
	v_cmp_nge_f64_e32 vcc, -1.0, v[52:53]
	v_add_f64 v[61:62], v[54:55], 1.0
	v_add_f64 v[57:58], v[57:58], v[59:60]
	v_add_f64 v[75:76], v[54:55], -1.0
	v_add_f64 v[59:60], v[61:62], -1.0
	v_ldexp_f64 v[57:58], v[57:58], v63
	v_add_f64 v[77:78], v[75:76], 1.0
	v_add_f64 v[59:60], v[54:55], -v[59:60]
	v_add_f64 v[54:55], v[54:55], -v[77:78]
	v_add_f64 v[59:60], v[57:58], v[59:60]
	v_add_f64 v[54:55], v[57:58], v[54:55]
	;; [unrolled: 1-line block ×4, first 2 shown]
	v_rcp_f64_e32 v[73:74], v[63:64]
	v_add_f64 v[61:62], v[63:64], -v[61:62]
	v_add_f64 v[75:76], v[77:78], -v[75:76]
	;; [unrolled: 1-line block ×4, first 2 shown]
	v_fma_f64 v[79:80], -v[63:64], v[73:74], 1.0
	v_fma_f64 v[73:74], v[79:80], v[73:74], v[73:74]
	v_fma_f64 v[57:58], -v[63:64], v[73:74], 1.0
	v_fma_f64 v[57:58], v[57:58], v[73:74], v[73:74]
	v_mul_f64 v[73:74], v[77:78], v[57:58]
	v_mul_f64 v[79:80], v[63:64], v[73:74]
	v_fma_f64 v[61:62], v[73:74], v[63:64], -v[79:80]
	v_fma_f64 v[61:62], v[73:74], v[59:60], v[61:62]
	v_add_f64 v[81:82], v[79:80], v[61:62]
	v_add_f64 v[83:84], v[77:78], -v[81:82]
	v_add_f64 v[75:76], v[81:82], -v[79:80]
	;; [unrolled: 1-line block ×5, first 2 shown]
	v_add_f64 v[54:55], v[54:55], v[77:78]
	v_add_f64 v[54:55], v[61:62], v[54:55]
	;; [unrolled: 1-line block ×3, first 2 shown]
	v_mul_f64 v[75:76], v[57:58], v[61:62]
	v_add_f64 v[81:82], v[83:84], -v[61:62]
	v_mul_f64 v[77:78], v[63:64], v[75:76]
	v_add_f64 v[54:55], v[54:55], v[81:82]
	v_fma_f64 v[63:64], v[75:76], v[63:64], -v[77:78]
	v_fma_f64 v[59:60], v[75:76], v[59:60], v[63:64]
	v_add_f64 v[63:64], v[77:78], v[59:60]
	v_add_f64 v[79:80], v[61:62], -v[63:64]
	v_add_f64 v[77:78], v[63:64], -v[77:78]
	;; [unrolled: 1-line block ×5, first 2 shown]
	v_mov_b32_e32 v63, 0x6b47b09a
	v_mov_b32_e32 v64, 0x3fc38538
	v_add_f64 v[54:55], v[54:55], v[61:62]
	v_add_f64 v[61:62], v[73:74], v[75:76]
	;; [unrolled: 1-line block ×3, first 2 shown]
	v_add_f64 v[59:60], v[61:62], -v[73:74]
	v_add_f64 v[54:55], v[79:80], v[54:55]
	v_add_f64 v[59:60], v[75:76], -v[59:60]
	v_mul_f64 v[54:55], v[57:58], v[54:55]
	v_add_f64 v[54:55], v[59:60], v[54:55]
	v_add_f64 v[57:58], v[61:62], v[54:55]
	v_mul_f64 v[59:60], v[57:58], v[57:58]
	v_fma_f64 v[63:64], v[59:60], s[40:41], v[63:64]
	s_mov_b32 s40, 0xd7f4df2e
	s_mov_b32 s41, 0x3fc7474d
	v_mul_f64 v[73:74], v[57:58], v[59:60]
	v_fma_f64 v[63:64], v[59:60], v[63:64], s[40:41]
	s_mov_b32 s40, 0x16291751
	s_mov_b32 s41, 0x3fcc71c0
	v_fma_f64 v[63:64], v[59:60], v[63:64], s[40:41]
	s_mov_b32 s40, 0x9b27acf1
	s_mov_b32 s41, 0x3fd24924
	;; [unrolled: 3-line block ×3, first 2 shown]
	v_fma_f64 v[63:64], v[59:60], v[63:64], s[40:41]
	v_fma_f64 v[59:60], v[59:60], v[63:64], s[4:5]
	v_ldexp_f64 v[63:64], v[57:58], 1
	v_add_f64 v[57:58], v[57:58], -v[61:62]
	s_mov_b32 s4, 0
	s_mov_b32 s5, 0x7ff00000
	v_cmp_neq_f64_e64 s[4:5], s[4:5], v[52:53]
	v_mul_f64 v[59:60], v[73:74], v[59:60]
	v_cvt_f64_i32_e32 v[73:74], v86
	v_add_f64 v[54:55], v[54:55], -v[57:58]
	v_mul_f64 v[75:76], v[73:74], s[36:37]
	s_and_b64 vcc, vcc, s[4:5]
	v_add_f64 v[61:62], v[63:64], v[59:60]
	v_ldexp_f64 v[54:55], v[54:55], 1
	v_add_f64 v[57:58], v[61:62], -v[63:64]
	v_fma_f64 v[63:64], v[73:74], s[36:37], -v[75:76]
	v_add_f64 v[57:58], v[59:60], -v[57:58]
	v_fma_f64 v[59:60], v[73:74], s[38:39], v[63:64]
	v_add_f64 v[54:55], v[54:55], v[57:58]
	v_add_f64 v[57:58], v[75:76], v[59:60]
	;; [unrolled: 1-line block ×3, first 2 shown]
	v_add_f64 v[75:76], v[57:58], -v[75:76]
	v_add_f64 v[73:74], v[57:58], v[63:64]
	v_add_f64 v[61:62], v[63:64], -v[61:62]
	v_add_f64 v[59:60], v[59:60], -v[75:76]
	;; [unrolled: 1-line block ×6, first 2 shown]
	v_add_f64 v[63:64], v[59:60], v[54:55]
	v_add_f64 v[57:58], v[57:58], -v[79:80]
	v_add_f64 v[57:58], v[61:62], v[57:58]
	v_add_f64 v[61:62], v[63:64], -v[59:60]
	;; [unrolled: 2-line block ×3, first 2 shown]
	v_add_f64 v[54:55], v[54:55], -v[61:62]
	v_add_f64 v[75:76], v[73:74], v[57:58]
	v_add_f64 v[59:60], v[59:60], -v[63:64]
	v_add_f64 v[61:62], v[75:76], -v[73:74]
	v_add_f64 v[54:55], v[54:55], v[59:60]
	v_add_f64 v[57:58], v[57:58], -v[61:62]
	v_add_f64 v[54:55], v[54:55], v[57:58]
	v_mov_b32_e32 v57, 0x7ff80000
	v_mov_b32_e32 v58, 0xfff00000
	v_add_f64 v[54:55], v[75:76], v[54:55]
	v_cndmask_b32_e32 v54, 0, v54, vcc
	v_cmp_ngt_f64_e32 vcc, -1.0, v[52:53]
	v_cndmask_b32_e64 v55, v85, v55, s[4:5]
	v_cndmask_b32_e32 v55, v57, v55, vcc
	v_cmp_neq_f64_e32 vcc, -1.0, v[52:53]
	v_cndmask_b32_e32 v55, v58, v55, vcc
	v_add_f64 v[52:53], v[25:26], v[54:55]
.LBB70_99:
	s_or_b64 exec, exec, s[34:35]
	v_mov_b32_e32 v60, v53
	v_mov_b32_e32 v25, v52
	;; [unrolled: 1-line block ×4, first 2 shown]
.LBB70_100:
	s_or_b64 exec, exec, s[30:31]
	v_cmp_gt_u32_e32 vcc, 56, v67
	s_waitcnt lgkmcnt(1)
	v_cndmask_b32_e64 v52, 0, 8, vcc
	v_add_lshl_u32 v73, v52, v56, 2
	ds_bpermute_b32 v52, v73, v25
	s_waitcnt lgkmcnt(1)
	ds_bpermute_b32 v53, v73, v26
	v_add_u32_e32 v74, 8, v67
	v_cmp_le_u32_e32 vcc, v74, v28
	s_and_saveexec_b64 s[30:31], vcc
	s_cbranch_execz .LBB70_104
; %bb.101:
	s_waitcnt lgkmcnt(0)
	v_max_f64 v[25:26], v[52:53], v[52:53]
	v_max_f64 v[54:55], v[59:60], v[59:60]
	v_cmp_u_f64_e32 vcc, v[52:53], v[52:53]
	v_cmp_u_f64_e64 s[4:5], v[59:60], v[59:60]
	s_movk_i32 s1, 0x1f8
	v_min_f64 v[57:58], v[25:26], v[54:55]
	v_max_f64 v[25:26], v[25:26], v[54:55]
	v_cndmask_b32_e32 v54, v58, v53, vcc
	v_cndmask_b32_e32 v57, v57, v52, vcc
	;; [unrolled: 1-line block ×4, first 2 shown]
	v_cndmask_b32_e64 v55, v54, v60, s[4:5]
	v_cndmask_b32_e64 v54, v57, v59, s[4:5]
	;; [unrolled: 1-line block ×4, first 2 shown]
	v_cmp_neq_f64_e32 vcc, v[54:55], v[25:26]
	v_cmp_class_f64_e64 s[4:5], v[54:55], s1
	s_or_b64 s[4:5], vcc, s[4:5]
	s_and_saveexec_b64 s[34:35], s[4:5]
	s_cbranch_execz .LBB70_103
; %bb.102:
	v_add_f64 v[52:53], v[54:55], -v[25:26]
	s_mov_b32 s4, 0x652b82fe
	s_mov_b32 s5, 0x3ff71547
	;; [unrolled: 1-line block ×6, first 2 shown]
	v_mov_b32_e32 v59, 0xfca7ab0c
	v_mul_f64 v[54:55], v[52:53], s[4:5]
	s_mov_b32 s4, 0x6a5dcb37
	v_mov_b32_e32 v60, 0x3e928af3
	s_mov_b32 s5, 0x3e5ade15
	s_mov_b32 s40, 0
	;; [unrolled: 1-line block ×3, first 2 shown]
	v_mov_b32_e32 v87, 0x7ff00000
	v_rndne_f64_e32 v[54:55], v[54:55]
	v_fma_f64 v[57:58], v[54:55], s[36:37], v[52:53]
	s_mov_b32 s37, 0x3fe62e42
	v_fma_f64 v[57:58], v[54:55], s[38:39], v[57:58]
	v_cvt_i32_f64_e32 v54, v[54:55]
	s_mov_b32 s39, 0x3c7abc9e
	v_fma_f64 v[59:60], v[57:58], s[4:5], v[59:60]
	s_mov_b32 s4, 0x623fde64
	s_mov_b32 s5, 0x3ec71dee
	v_fma_f64 v[59:60], v[57:58], v[59:60], s[4:5]
	s_mov_b32 s4, 0x7c89e6b0
	;; [unrolled: 3-line block ×9, first 2 shown]
	s_mov_b32 s5, 0x40900000
	v_cmp_nlt_f64_e32 vcc, s[4:5], v[52:53]
	v_cmp_ngt_f64_e64 s[4:5], s[40:41], v[52:53]
	s_mov_b32 s40, 0xbf559e2b
	s_mov_b32 s41, 0x3fc3ab76
	v_fma_f64 v[59:60], v[57:58], v[59:60], 1.0
	v_fma_f64 v[57:58], v[57:58], v[59:60], 1.0
	v_ldexp_f64 v[54:55], v[57:58], v54
	v_cndmask_b32_e32 v55, v87, v55, vcc
	s_and_b64 vcc, s[4:5], vcc
	v_cndmask_b32_e64 v53, 0, v55, s[4:5]
	v_cndmask_b32_e32 v52, 0, v54, vcc
	v_add_f64 v[54:55], v[52:53], 1.0
	s_mov_b32 s5, 0x3fe55555
	s_mov_b32 s4, 0x55555555
	v_frexp_mant_f64_e32 v[59:60], v[54:55]
	v_frexp_exp_i32_f64_e32 v63, v[54:55]
	v_add_f64 v[57:58], v[54:55], -1.0
	v_cmp_gt_f64_e32 vcc, s[4:5], v[59:60]
	s_mov_b32 s4, 0x55555780
	v_add_f64 v[61:62], v[57:58], -v[54:55]
	v_add_f64 v[57:58], v[52:53], -v[57:58]
	v_subbrev_co_u32_e32 v88, vcc, 0, v63, vcc
	v_sub_u32_e32 v63, 0, v88
	v_ldexp_f64 v[54:55], v[54:55], v63
	v_add_f64 v[59:60], v[61:62], 1.0
	v_cmp_nge_f64_e32 vcc, -1.0, v[52:53]
	v_add_f64 v[61:62], v[54:55], 1.0
	v_add_f64 v[57:58], v[57:58], v[59:60]
	v_add_f64 v[77:78], v[54:55], -1.0
	v_add_f64 v[59:60], v[61:62], -1.0
	v_ldexp_f64 v[57:58], v[57:58], v63
	v_add_f64 v[79:80], v[77:78], 1.0
	v_add_f64 v[59:60], v[54:55], -v[59:60]
	v_add_f64 v[54:55], v[54:55], -v[79:80]
	v_add_f64 v[59:60], v[57:58], v[59:60]
	v_add_f64 v[54:55], v[57:58], v[54:55]
	v_add_f64 v[63:64], v[61:62], v[59:60]
	v_add_f64 v[79:80], v[77:78], v[54:55]
	v_rcp_f64_e32 v[75:76], v[63:64]
	v_add_f64 v[61:62], v[63:64], -v[61:62]
	v_add_f64 v[77:78], v[79:80], -v[77:78]
	;; [unrolled: 1-line block ×4, first 2 shown]
	v_fma_f64 v[81:82], -v[63:64], v[75:76], 1.0
	v_fma_f64 v[75:76], v[81:82], v[75:76], v[75:76]
	v_fma_f64 v[57:58], -v[63:64], v[75:76], 1.0
	v_fma_f64 v[57:58], v[57:58], v[75:76], v[75:76]
	v_mul_f64 v[75:76], v[79:80], v[57:58]
	v_mul_f64 v[81:82], v[63:64], v[75:76]
	v_fma_f64 v[61:62], v[75:76], v[63:64], -v[81:82]
	v_fma_f64 v[61:62], v[75:76], v[59:60], v[61:62]
	v_add_f64 v[83:84], v[81:82], v[61:62]
	v_add_f64 v[85:86], v[79:80], -v[83:84]
	v_add_f64 v[77:78], v[83:84], -v[81:82]
	;; [unrolled: 1-line block ×5, first 2 shown]
	v_add_f64 v[54:55], v[54:55], v[79:80]
	v_add_f64 v[54:55], v[61:62], v[54:55]
	;; [unrolled: 1-line block ×3, first 2 shown]
	v_mul_f64 v[77:78], v[57:58], v[61:62]
	v_add_f64 v[83:84], v[85:86], -v[61:62]
	v_mul_f64 v[79:80], v[63:64], v[77:78]
	v_add_f64 v[54:55], v[54:55], v[83:84]
	v_fma_f64 v[63:64], v[77:78], v[63:64], -v[79:80]
	v_fma_f64 v[59:60], v[77:78], v[59:60], v[63:64]
	v_add_f64 v[63:64], v[79:80], v[59:60]
	v_add_f64 v[81:82], v[61:62], -v[63:64]
	v_add_f64 v[79:80], v[63:64], -v[79:80]
	;; [unrolled: 1-line block ×5, first 2 shown]
	v_mov_b32_e32 v63, 0x6b47b09a
	v_mov_b32_e32 v64, 0x3fc38538
	v_add_f64 v[54:55], v[54:55], v[61:62]
	v_add_f64 v[61:62], v[75:76], v[77:78]
	;; [unrolled: 1-line block ×3, first 2 shown]
	v_add_f64 v[59:60], v[61:62], -v[75:76]
	v_add_f64 v[54:55], v[81:82], v[54:55]
	v_add_f64 v[59:60], v[77:78], -v[59:60]
	v_mul_f64 v[54:55], v[57:58], v[54:55]
	v_add_f64 v[54:55], v[59:60], v[54:55]
	v_add_f64 v[57:58], v[61:62], v[54:55]
	v_mul_f64 v[59:60], v[57:58], v[57:58]
	v_fma_f64 v[63:64], v[59:60], s[40:41], v[63:64]
	s_mov_b32 s40, 0xd7f4df2e
	s_mov_b32 s41, 0x3fc7474d
	v_mul_f64 v[75:76], v[57:58], v[59:60]
	v_fma_f64 v[63:64], v[59:60], v[63:64], s[40:41]
	s_mov_b32 s40, 0x16291751
	s_mov_b32 s41, 0x3fcc71c0
	v_fma_f64 v[63:64], v[59:60], v[63:64], s[40:41]
	s_mov_b32 s40, 0x9b27acf1
	s_mov_b32 s41, 0x3fd24924
	;; [unrolled: 3-line block ×3, first 2 shown]
	v_fma_f64 v[63:64], v[59:60], v[63:64], s[40:41]
	v_fma_f64 v[59:60], v[59:60], v[63:64], s[4:5]
	v_ldexp_f64 v[63:64], v[57:58], 1
	v_add_f64 v[57:58], v[57:58], -v[61:62]
	s_mov_b32 s4, 0
	s_mov_b32 s5, 0x7ff00000
	v_cmp_neq_f64_e64 s[4:5], s[4:5], v[52:53]
	v_mul_f64 v[59:60], v[75:76], v[59:60]
	v_cvt_f64_i32_e32 v[75:76], v88
	v_add_f64 v[54:55], v[54:55], -v[57:58]
	v_mul_f64 v[77:78], v[75:76], s[36:37]
	s_and_b64 vcc, vcc, s[4:5]
	v_add_f64 v[61:62], v[63:64], v[59:60]
	v_ldexp_f64 v[54:55], v[54:55], 1
	v_add_f64 v[57:58], v[61:62], -v[63:64]
	v_fma_f64 v[63:64], v[75:76], s[36:37], -v[77:78]
	v_add_f64 v[57:58], v[59:60], -v[57:58]
	v_fma_f64 v[59:60], v[75:76], s[38:39], v[63:64]
	v_add_f64 v[54:55], v[54:55], v[57:58]
	v_add_f64 v[57:58], v[77:78], v[59:60]
	;; [unrolled: 1-line block ×3, first 2 shown]
	v_add_f64 v[77:78], v[57:58], -v[77:78]
	v_add_f64 v[75:76], v[57:58], v[63:64]
	v_add_f64 v[61:62], v[63:64], -v[61:62]
	v_add_f64 v[59:60], v[59:60], -v[77:78]
	;; [unrolled: 1-line block ×6, first 2 shown]
	v_add_f64 v[63:64], v[59:60], v[54:55]
	v_add_f64 v[57:58], v[57:58], -v[81:82]
	v_add_f64 v[57:58], v[61:62], v[57:58]
	v_add_f64 v[61:62], v[63:64], -v[59:60]
	;; [unrolled: 2-line block ×3, first 2 shown]
	v_add_f64 v[54:55], v[54:55], -v[61:62]
	v_add_f64 v[77:78], v[75:76], v[57:58]
	v_add_f64 v[59:60], v[59:60], -v[63:64]
	v_add_f64 v[61:62], v[77:78], -v[75:76]
	v_add_f64 v[54:55], v[54:55], v[59:60]
	v_add_f64 v[57:58], v[57:58], -v[61:62]
	v_add_f64 v[54:55], v[54:55], v[57:58]
	v_mov_b32_e32 v57, 0x7ff80000
	v_mov_b32_e32 v58, 0xfff00000
	v_add_f64 v[54:55], v[77:78], v[54:55]
	v_cndmask_b32_e32 v54, 0, v54, vcc
	v_cmp_ngt_f64_e32 vcc, -1.0, v[52:53]
	v_cndmask_b32_e64 v55, v87, v55, s[4:5]
	v_cndmask_b32_e32 v55, v57, v55, vcc
	v_cmp_neq_f64_e32 vcc, -1.0, v[52:53]
	v_cndmask_b32_e32 v55, v58, v55, vcc
	v_add_f64 v[52:53], v[25:26], v[54:55]
.LBB70_103:
	s_or_b64 exec, exec, s[34:35]
	v_mov_b32_e32 v60, v53
	v_mov_b32_e32 v25, v52
	;; [unrolled: 1-line block ×4, first 2 shown]
.LBB70_104:
	s_or_b64 exec, exec, s[30:31]
	v_cmp_gt_u32_e32 vcc, 48, v67
	s_waitcnt lgkmcnt(1)
	v_cndmask_b32_e64 v52, 0, 16, vcc
	v_add_lshl_u32 v75, v52, v56, 2
	ds_bpermute_b32 v52, v75, v25
	s_waitcnt lgkmcnt(1)
	ds_bpermute_b32 v53, v75, v26
	v_add_u32_e32 v76, 16, v67
	v_cmp_le_u32_e32 vcc, v76, v28
	s_and_saveexec_b64 s[30:31], vcc
	s_cbranch_execz .LBB70_108
; %bb.105:
	s_waitcnt lgkmcnt(0)
	v_max_f64 v[25:26], v[52:53], v[52:53]
	v_max_f64 v[54:55], v[59:60], v[59:60]
	v_cmp_u_f64_e32 vcc, v[52:53], v[52:53]
	v_cmp_u_f64_e64 s[4:5], v[59:60], v[59:60]
	s_movk_i32 s1, 0x1f8
	v_min_f64 v[57:58], v[25:26], v[54:55]
	v_max_f64 v[25:26], v[25:26], v[54:55]
	v_cndmask_b32_e32 v54, v58, v53, vcc
	v_cndmask_b32_e32 v57, v57, v52, vcc
	v_cndmask_b32_e32 v26, v26, v53, vcc
	v_cndmask_b32_e32 v25, v25, v52, vcc
	v_cndmask_b32_e64 v55, v54, v60, s[4:5]
	v_cndmask_b32_e64 v54, v57, v59, s[4:5]
	v_cndmask_b32_e64 v26, v26, v60, s[4:5]
	v_cndmask_b32_e64 v25, v25, v59, s[4:5]
	v_cmp_neq_f64_e32 vcc, v[54:55], v[25:26]
	v_cmp_class_f64_e64 s[4:5], v[54:55], s1
	s_or_b64 s[4:5], vcc, s[4:5]
	s_and_saveexec_b64 s[34:35], s[4:5]
	s_cbranch_execz .LBB70_107
; %bb.106:
	v_add_f64 v[52:53], v[54:55], -v[25:26]
	s_mov_b32 s4, 0x652b82fe
	s_mov_b32 s5, 0x3ff71547
	;; [unrolled: 1-line block ×6, first 2 shown]
	v_mov_b32_e32 v59, 0xfca7ab0c
	v_mul_f64 v[54:55], v[52:53], s[4:5]
	s_mov_b32 s4, 0x6a5dcb37
	v_mov_b32_e32 v60, 0x3e928af3
	s_mov_b32 s5, 0x3e5ade15
	s_mov_b32 s40, 0
	;; [unrolled: 1-line block ×3, first 2 shown]
	v_mov_b32_e32 v89, 0x7ff00000
	v_rndne_f64_e32 v[54:55], v[54:55]
	v_fma_f64 v[57:58], v[54:55], s[36:37], v[52:53]
	s_mov_b32 s37, 0x3fe62e42
	v_fma_f64 v[57:58], v[54:55], s[38:39], v[57:58]
	v_cvt_i32_f64_e32 v54, v[54:55]
	s_mov_b32 s39, 0x3c7abc9e
	v_fma_f64 v[59:60], v[57:58], s[4:5], v[59:60]
	s_mov_b32 s4, 0x623fde64
	s_mov_b32 s5, 0x3ec71dee
	v_fma_f64 v[59:60], v[57:58], v[59:60], s[4:5]
	s_mov_b32 s4, 0x7c89e6b0
	;; [unrolled: 3-line block ×9, first 2 shown]
	s_mov_b32 s5, 0x40900000
	v_cmp_nlt_f64_e32 vcc, s[4:5], v[52:53]
	v_cmp_ngt_f64_e64 s[4:5], s[40:41], v[52:53]
	s_mov_b32 s40, 0xbf559e2b
	s_mov_b32 s41, 0x3fc3ab76
	v_fma_f64 v[59:60], v[57:58], v[59:60], 1.0
	v_fma_f64 v[57:58], v[57:58], v[59:60], 1.0
	v_ldexp_f64 v[54:55], v[57:58], v54
	v_cndmask_b32_e32 v55, v89, v55, vcc
	s_and_b64 vcc, s[4:5], vcc
	v_cndmask_b32_e64 v53, 0, v55, s[4:5]
	v_cndmask_b32_e32 v52, 0, v54, vcc
	v_add_f64 v[54:55], v[52:53], 1.0
	s_mov_b32 s5, 0x3fe55555
	s_mov_b32 s4, 0x55555555
	v_frexp_mant_f64_e32 v[59:60], v[54:55]
	v_frexp_exp_i32_f64_e32 v63, v[54:55]
	v_add_f64 v[57:58], v[54:55], -1.0
	v_cmp_gt_f64_e32 vcc, s[4:5], v[59:60]
	s_mov_b32 s4, 0x55555780
	v_add_f64 v[61:62], v[57:58], -v[54:55]
	v_add_f64 v[57:58], v[52:53], -v[57:58]
	v_subbrev_co_u32_e32 v90, vcc, 0, v63, vcc
	v_sub_u32_e32 v63, 0, v90
	v_ldexp_f64 v[54:55], v[54:55], v63
	v_add_f64 v[59:60], v[61:62], 1.0
	v_cmp_nge_f64_e32 vcc, -1.0, v[52:53]
	v_add_f64 v[61:62], v[54:55], 1.0
	v_add_f64 v[57:58], v[57:58], v[59:60]
	v_add_f64 v[79:80], v[54:55], -1.0
	v_add_f64 v[59:60], v[61:62], -1.0
	v_ldexp_f64 v[57:58], v[57:58], v63
	v_add_f64 v[81:82], v[79:80], 1.0
	v_add_f64 v[59:60], v[54:55], -v[59:60]
	v_add_f64 v[54:55], v[54:55], -v[81:82]
	v_add_f64 v[59:60], v[57:58], v[59:60]
	v_add_f64 v[54:55], v[57:58], v[54:55]
	;; [unrolled: 1-line block ×4, first 2 shown]
	v_rcp_f64_e32 v[77:78], v[63:64]
	v_add_f64 v[61:62], v[63:64], -v[61:62]
	v_add_f64 v[79:80], v[81:82], -v[79:80]
	;; [unrolled: 1-line block ×4, first 2 shown]
	v_fma_f64 v[83:84], -v[63:64], v[77:78], 1.0
	v_fma_f64 v[77:78], v[83:84], v[77:78], v[77:78]
	v_fma_f64 v[57:58], -v[63:64], v[77:78], 1.0
	v_fma_f64 v[57:58], v[57:58], v[77:78], v[77:78]
	v_mul_f64 v[77:78], v[81:82], v[57:58]
	v_mul_f64 v[83:84], v[63:64], v[77:78]
	v_fma_f64 v[61:62], v[77:78], v[63:64], -v[83:84]
	v_fma_f64 v[61:62], v[77:78], v[59:60], v[61:62]
	v_add_f64 v[85:86], v[83:84], v[61:62]
	v_add_f64 v[87:88], v[81:82], -v[85:86]
	v_add_f64 v[79:80], v[85:86], -v[83:84]
	;; [unrolled: 1-line block ×5, first 2 shown]
	v_add_f64 v[54:55], v[54:55], v[81:82]
	v_add_f64 v[54:55], v[61:62], v[54:55]
	;; [unrolled: 1-line block ×3, first 2 shown]
	v_mul_f64 v[79:80], v[57:58], v[61:62]
	v_add_f64 v[85:86], v[87:88], -v[61:62]
	v_mul_f64 v[81:82], v[63:64], v[79:80]
	v_add_f64 v[54:55], v[54:55], v[85:86]
	v_fma_f64 v[63:64], v[79:80], v[63:64], -v[81:82]
	v_fma_f64 v[59:60], v[79:80], v[59:60], v[63:64]
	v_add_f64 v[63:64], v[81:82], v[59:60]
	v_add_f64 v[83:84], v[61:62], -v[63:64]
	v_add_f64 v[81:82], v[63:64], -v[81:82]
	;; [unrolled: 1-line block ×5, first 2 shown]
	v_mov_b32_e32 v63, 0x6b47b09a
	v_mov_b32_e32 v64, 0x3fc38538
	v_add_f64 v[54:55], v[54:55], v[61:62]
	v_add_f64 v[61:62], v[77:78], v[79:80]
	;; [unrolled: 1-line block ×3, first 2 shown]
	v_add_f64 v[59:60], v[61:62], -v[77:78]
	v_add_f64 v[54:55], v[83:84], v[54:55]
	v_add_f64 v[59:60], v[79:80], -v[59:60]
	v_mul_f64 v[54:55], v[57:58], v[54:55]
	v_add_f64 v[54:55], v[59:60], v[54:55]
	v_add_f64 v[57:58], v[61:62], v[54:55]
	v_mul_f64 v[59:60], v[57:58], v[57:58]
	v_fma_f64 v[63:64], v[59:60], s[40:41], v[63:64]
	s_mov_b32 s40, 0xd7f4df2e
	s_mov_b32 s41, 0x3fc7474d
	v_mul_f64 v[77:78], v[57:58], v[59:60]
	v_fma_f64 v[63:64], v[59:60], v[63:64], s[40:41]
	s_mov_b32 s40, 0x16291751
	s_mov_b32 s41, 0x3fcc71c0
	v_fma_f64 v[63:64], v[59:60], v[63:64], s[40:41]
	s_mov_b32 s40, 0x9b27acf1
	s_mov_b32 s41, 0x3fd24924
	;; [unrolled: 3-line block ×3, first 2 shown]
	v_fma_f64 v[63:64], v[59:60], v[63:64], s[40:41]
	v_fma_f64 v[59:60], v[59:60], v[63:64], s[4:5]
	v_ldexp_f64 v[63:64], v[57:58], 1
	v_add_f64 v[57:58], v[57:58], -v[61:62]
	s_mov_b32 s4, 0
	s_mov_b32 s5, 0x7ff00000
	v_cmp_neq_f64_e64 s[4:5], s[4:5], v[52:53]
	v_mul_f64 v[59:60], v[77:78], v[59:60]
	v_cvt_f64_i32_e32 v[77:78], v90
	v_add_f64 v[54:55], v[54:55], -v[57:58]
	v_mul_f64 v[79:80], v[77:78], s[36:37]
	s_and_b64 vcc, vcc, s[4:5]
	v_add_f64 v[61:62], v[63:64], v[59:60]
	v_ldexp_f64 v[54:55], v[54:55], 1
	v_add_f64 v[57:58], v[61:62], -v[63:64]
	v_fma_f64 v[63:64], v[77:78], s[36:37], -v[79:80]
	v_add_f64 v[57:58], v[59:60], -v[57:58]
	v_fma_f64 v[59:60], v[77:78], s[38:39], v[63:64]
	v_add_f64 v[54:55], v[54:55], v[57:58]
	v_add_f64 v[57:58], v[79:80], v[59:60]
	;; [unrolled: 1-line block ×3, first 2 shown]
	v_add_f64 v[79:80], v[57:58], -v[79:80]
	v_add_f64 v[77:78], v[57:58], v[63:64]
	v_add_f64 v[61:62], v[63:64], -v[61:62]
	v_add_f64 v[59:60], v[59:60], -v[79:80]
	;; [unrolled: 1-line block ×6, first 2 shown]
	v_add_f64 v[63:64], v[59:60], v[54:55]
	v_add_f64 v[57:58], v[57:58], -v[83:84]
	v_add_f64 v[57:58], v[61:62], v[57:58]
	v_add_f64 v[61:62], v[63:64], -v[59:60]
	;; [unrolled: 2-line block ×3, first 2 shown]
	v_add_f64 v[54:55], v[54:55], -v[61:62]
	v_add_f64 v[79:80], v[77:78], v[57:58]
	v_add_f64 v[59:60], v[59:60], -v[63:64]
	v_add_f64 v[61:62], v[79:80], -v[77:78]
	v_add_f64 v[54:55], v[54:55], v[59:60]
	v_add_f64 v[57:58], v[57:58], -v[61:62]
	v_add_f64 v[54:55], v[54:55], v[57:58]
	v_mov_b32_e32 v57, 0x7ff80000
	v_mov_b32_e32 v58, 0xfff00000
	v_add_f64 v[54:55], v[79:80], v[54:55]
	v_cndmask_b32_e32 v54, 0, v54, vcc
	v_cmp_ngt_f64_e32 vcc, -1.0, v[52:53]
	v_cndmask_b32_e64 v55, v89, v55, s[4:5]
	v_cndmask_b32_e32 v55, v57, v55, vcc
	v_cmp_neq_f64_e32 vcc, -1.0, v[52:53]
	v_cndmask_b32_e32 v55, v58, v55, vcc
	v_add_f64 v[52:53], v[25:26], v[54:55]
.LBB70_107:
	s_or_b64 exec, exec, s[34:35]
	v_mov_b32_e32 v60, v53
	v_mov_b32_e32 v25, v52
	;; [unrolled: 1-line block ×4, first 2 shown]
.LBB70_108:
	s_or_b64 exec, exec, s[30:31]
	s_waitcnt lgkmcnt(1)
	v_mov_b32_e32 v52, 0x80
	v_lshl_or_b32 v77, v56, 2, v52
	ds_bpermute_b32 v52, v77, v25
	s_waitcnt lgkmcnt(1)
	ds_bpermute_b32 v53, v77, v26
	v_add_u32_e32 v78, 32, v67
	v_cmp_le_u32_e32 vcc, v78, v28
	s_and_saveexec_b64 s[30:31], vcc
	s_cbranch_execz .LBB70_112
; %bb.109:
	s_waitcnt lgkmcnt(0)
	v_max_f64 v[25:26], v[52:53], v[52:53]
	v_max_f64 v[54:55], v[59:60], v[59:60]
	v_cmp_u_f64_e32 vcc, v[52:53], v[52:53]
	v_cmp_u_f64_e64 s[4:5], v[59:60], v[59:60]
	s_movk_i32 s1, 0x1f8
	v_min_f64 v[56:57], v[25:26], v[54:55]
	v_max_f64 v[25:26], v[25:26], v[54:55]
	v_cndmask_b32_e32 v28, v57, v53, vcc
	v_cndmask_b32_e32 v54, v56, v52, vcc
	;; [unrolled: 1-line block ×4, first 2 shown]
	v_cndmask_b32_e64 v55, v28, v60, s[4:5]
	v_cndmask_b32_e64 v54, v54, v59, s[4:5]
	;; [unrolled: 1-line block ×4, first 2 shown]
	v_cmp_neq_f64_e32 vcc, v[54:55], v[25:26]
	v_cmp_class_f64_e64 s[4:5], v[54:55], s1
	s_or_b64 s[4:5], vcc, s[4:5]
	s_and_saveexec_b64 s[34:35], s[4:5]
	s_cbranch_execz .LBB70_111
; %bb.110:
	v_add_f64 v[52:53], v[54:55], -v[25:26]
	s_mov_b32 s4, 0x652b82fe
	s_mov_b32 s5, 0x3ff71547
	;; [unrolled: 1-line block ×6, first 2 shown]
	v_mov_b32_e32 v58, 0xfca7ab0c
	v_mul_f64 v[54:55], v[52:53], s[4:5]
	s_mov_b32 s4, 0x6a5dcb37
	v_mov_b32_e32 v59, 0x3e928af3
	s_mov_b32 s5, 0x3e5ade15
	s_mov_b32 s40, 0
	;; [unrolled: 1-line block ×3, first 2 shown]
	v_rndne_f64_e32 v[54:55], v[54:55]
	v_fma_f64 v[56:57], v[54:55], s[36:37], v[52:53]
	v_cvt_i32_f64_e32 v28, v[54:55]
	s_mov_b32 s37, 0x3fe62e42
	v_fma_f64 v[56:57], v[54:55], s[38:39], v[56:57]
	s_mov_b32 s39, 0x3c7abc9e
	v_fma_f64 v[58:59], v[56:57], s[4:5], v[58:59]
	s_mov_b32 s4, 0x623fde64
	s_mov_b32 s5, 0x3ec71dee
	v_fma_f64 v[58:59], v[56:57], v[58:59], s[4:5]
	s_mov_b32 s4, 0x7c89e6b0
	;; [unrolled: 3-line block ×9, first 2 shown]
	s_mov_b32 s5, 0x40900000
	v_cmp_nlt_f64_e32 vcc, s[4:5], v[52:53]
	v_cmp_ngt_f64_e64 s[4:5], s[40:41], v[52:53]
	s_mov_b32 s40, 0xbf559e2b
	s_mov_b32 s41, 0x3fc3ab76
	v_fma_f64 v[58:59], v[56:57], v[58:59], 1.0
	v_fma_f64 v[56:57], v[56:57], v[58:59], 1.0
	v_ldexp_f64 v[54:55], v[56:57], v28
	v_mov_b32_e32 v28, 0x7ff00000
	v_cndmask_b32_e32 v55, v28, v55, vcc
	s_and_b64 vcc, s[4:5], vcc
	v_cndmask_b32_e64 v53, 0, v55, s[4:5]
	v_cndmask_b32_e32 v52, 0, v54, vcc
	v_add_f64 v[54:55], v[52:53], 1.0
	s_mov_b32 s5, 0x3fe55555
	s_mov_b32 s4, 0x55555555
	v_frexp_mant_f64_e32 v[58:59], v[54:55]
	v_frexp_exp_i32_f64_e32 v62, v[54:55]
	v_add_f64 v[56:57], v[54:55], -1.0
	v_cmp_gt_f64_e32 vcc, s[4:5], v[58:59]
	s_mov_b32 s4, 0x55555780
	v_add_f64 v[60:61], v[56:57], -v[54:55]
	v_add_f64 v[56:57], v[52:53], -v[56:57]
	v_subbrev_co_u32_e32 v64, vcc, 0, v62, vcc
	v_sub_u32_e32 v62, 0, v64
	v_ldexp_f64 v[54:55], v[54:55], v62
	v_add_f64 v[58:59], v[60:61], 1.0
	v_cmp_nge_f64_e32 vcc, -1.0, v[52:53]
	v_add_f64 v[60:61], v[54:55], 1.0
	v_add_f64 v[56:57], v[56:57], v[58:59]
	v_add_f64 v[81:82], v[54:55], -1.0
	v_add_f64 v[58:59], v[60:61], -1.0
	v_ldexp_f64 v[56:57], v[56:57], v62
	v_add_f64 v[83:84], v[81:82], 1.0
	v_add_f64 v[58:59], v[54:55], -v[58:59]
	v_add_f64 v[54:55], v[54:55], -v[83:84]
	v_add_f64 v[58:59], v[56:57], v[58:59]
	v_add_f64 v[54:55], v[56:57], v[54:55]
	;; [unrolled: 1-line block ×4, first 2 shown]
	v_rcp_f64_e32 v[79:80], v[62:63]
	v_add_f64 v[60:61], v[62:63], -v[60:61]
	v_add_f64 v[81:82], v[83:84], -v[81:82]
	;; [unrolled: 1-line block ×4, first 2 shown]
	v_fma_f64 v[85:86], -v[62:63], v[79:80], 1.0
	v_fma_f64 v[79:80], v[85:86], v[79:80], v[79:80]
	v_fma_f64 v[56:57], -v[62:63], v[79:80], 1.0
	v_fma_f64 v[56:57], v[56:57], v[79:80], v[79:80]
	v_mul_f64 v[79:80], v[83:84], v[56:57]
	v_mul_f64 v[85:86], v[62:63], v[79:80]
	v_fma_f64 v[60:61], v[79:80], v[62:63], -v[85:86]
	v_fma_f64 v[60:61], v[79:80], v[58:59], v[60:61]
	v_add_f64 v[87:88], v[85:86], v[60:61]
	v_add_f64 v[89:90], v[83:84], -v[87:88]
	v_add_f64 v[81:82], v[87:88], -v[85:86]
	;; [unrolled: 1-line block ×5, first 2 shown]
	v_add_f64 v[54:55], v[54:55], v[83:84]
	v_add_f64 v[54:55], v[60:61], v[54:55]
	;; [unrolled: 1-line block ×3, first 2 shown]
	v_mul_f64 v[81:82], v[56:57], v[60:61]
	v_add_f64 v[87:88], v[89:90], -v[60:61]
	v_mul_f64 v[83:84], v[62:63], v[81:82]
	v_add_f64 v[54:55], v[54:55], v[87:88]
	v_fma_f64 v[62:63], v[81:82], v[62:63], -v[83:84]
	v_fma_f64 v[58:59], v[81:82], v[58:59], v[62:63]
	v_add_f64 v[62:63], v[83:84], v[58:59]
	v_add_f64 v[85:86], v[60:61], -v[62:63]
	v_add_f64 v[83:84], v[62:63], -v[83:84]
	;; [unrolled: 1-line block ×5, first 2 shown]
	v_mov_b32_e32 v62, 0x6b47b09a
	v_mov_b32_e32 v63, 0x3fc38538
	v_add_f64 v[54:55], v[54:55], v[60:61]
	v_add_f64 v[60:61], v[79:80], v[81:82]
	v_add_f64 v[54:55], v[58:59], v[54:55]
	v_add_f64 v[58:59], v[60:61], -v[79:80]
	v_add_f64 v[54:55], v[85:86], v[54:55]
	v_add_f64 v[58:59], v[81:82], -v[58:59]
	v_mul_f64 v[54:55], v[56:57], v[54:55]
	v_add_f64 v[54:55], v[58:59], v[54:55]
	v_add_f64 v[56:57], v[60:61], v[54:55]
	v_mul_f64 v[58:59], v[56:57], v[56:57]
	v_fma_f64 v[62:63], v[58:59], s[40:41], v[62:63]
	s_mov_b32 s40, 0xd7f4df2e
	s_mov_b32 s41, 0x3fc7474d
	v_mul_f64 v[79:80], v[56:57], v[58:59]
	v_fma_f64 v[62:63], v[58:59], v[62:63], s[40:41]
	s_mov_b32 s40, 0x16291751
	s_mov_b32 s41, 0x3fcc71c0
	v_fma_f64 v[62:63], v[58:59], v[62:63], s[40:41]
	s_mov_b32 s40, 0x9b27acf1
	s_mov_b32 s41, 0x3fd24924
	;; [unrolled: 3-line block ×3, first 2 shown]
	v_fma_f64 v[62:63], v[58:59], v[62:63], s[40:41]
	v_fma_f64 v[58:59], v[58:59], v[62:63], s[4:5]
	v_ldexp_f64 v[62:63], v[56:57], 1
	v_add_f64 v[56:57], v[56:57], -v[60:61]
	s_mov_b32 s4, 0
	s_mov_b32 s5, 0x7ff00000
	v_cmp_neq_f64_e64 s[4:5], s[4:5], v[52:53]
	v_mul_f64 v[58:59], v[79:80], v[58:59]
	v_cvt_f64_i32_e32 v[79:80], v64
	v_add_f64 v[54:55], v[54:55], -v[56:57]
	v_mul_f64 v[81:82], v[79:80], s[36:37]
	s_and_b64 vcc, vcc, s[4:5]
	v_add_f64 v[60:61], v[62:63], v[58:59]
	v_ldexp_f64 v[54:55], v[54:55], 1
	v_add_f64 v[56:57], v[60:61], -v[62:63]
	v_fma_f64 v[62:63], v[79:80], s[36:37], -v[81:82]
	v_add_f64 v[56:57], v[58:59], -v[56:57]
	v_fma_f64 v[58:59], v[79:80], s[38:39], v[62:63]
	v_add_f64 v[54:55], v[54:55], v[56:57]
	v_add_f64 v[56:57], v[81:82], v[58:59]
	;; [unrolled: 1-line block ×3, first 2 shown]
	v_add_f64 v[81:82], v[56:57], -v[81:82]
	v_add_f64 v[79:80], v[56:57], v[62:63]
	v_add_f64 v[60:61], v[62:63], -v[60:61]
	v_add_f64 v[58:59], v[58:59], -v[81:82]
	;; [unrolled: 1-line block ×6, first 2 shown]
	v_add_f64 v[62:63], v[58:59], v[54:55]
	v_add_f64 v[56:57], v[56:57], -v[85:86]
	v_add_f64 v[56:57], v[60:61], v[56:57]
	v_add_f64 v[60:61], v[62:63], -v[58:59]
	;; [unrolled: 2-line block ×3, first 2 shown]
	v_add_f64 v[54:55], v[54:55], -v[60:61]
	v_add_f64 v[81:82], v[79:80], v[56:57]
	v_add_f64 v[58:59], v[58:59], -v[62:63]
	v_add_f64 v[60:61], v[81:82], -v[79:80]
	v_add_f64 v[54:55], v[54:55], v[58:59]
	v_add_f64 v[56:57], v[56:57], -v[60:61]
	v_add_f64 v[54:55], v[54:55], v[56:57]
	v_mov_b32_e32 v56, 0x7ff80000
	v_mov_b32_e32 v57, 0xfff00000
	v_add_f64 v[54:55], v[81:82], v[54:55]
	v_cndmask_b32_e32 v54, 0, v54, vcc
	v_cmp_ngt_f64_e32 vcc, -1.0, v[52:53]
	v_cndmask_b32_e64 v28, v28, v55, s[4:5]
	v_cndmask_b32_e32 v28, v56, v28, vcc
	v_cmp_neq_f64_e32 vcc, -1.0, v[52:53]
	v_cndmask_b32_e32 v55, v57, v28, vcc
	v_add_f64 v[52:53], v[25:26], v[54:55]
.LBB70_111:
	s_or_b64 exec, exec, s[34:35]
	v_mov_b32_e32 v60, v53
	v_mov_b32_e32 v59, v52
.LBB70_112:
	s_or_b64 exec, exec, s[30:31]
	s_mov_b32 s30, 0x652b82fe
	s_mov_b32 s34, 0xfefa39ef
	;; [unrolled: 1-line block ×21, first 2 shown]
	s_waitcnt lgkmcnt(1)
	v_mov_b32_e32 v52, 0
	s_movk_i32 s1, 0x1f8
	s_mov_b32 s31, 0x3ff71547
	s_mov_b32 s35, 0xbfe62e42
	;; [unrolled: 1-line block ×24, first 2 shown]
	v_mov_b32_e32 v79, 2
	v_mov_b32_e32 v55, 0xfca7ab0c
	;; [unrolled: 1-line block ×8, first 2 shown]
	s_branch .LBB70_115
.LBB70_113:                             ;   in Loop: Header=BB70_115 Depth=1
	s_or_b64 exec, exec, s[38:39]
	v_subrev_u32_e32 v51, 64, v51
	s_mov_b64 s[4:5], 0
.LBB70_114:                             ;   in Loop: Header=BB70_115 Depth=1
	s_and_b64 vcc, exec, s[4:5]
	s_cbranch_vccnz .LBB70_147
.LBB70_115:                             ; =>This Loop Header: Depth=1
                                        ;     Child Loop BB70_118 Depth 2
	s_waitcnt lgkmcnt(0)
	v_mov_b32_e32 v53, v59
	v_cmp_ne_u16_sdwa s[4:5], v27, v79 src0_sel:BYTE_0 src1_sel:DWORD
	v_mov_b32_e32 v54, v60
	s_cmp_lg_u64 s[4:5], exec
	s_mov_b64 s[4:5], -1
                                        ; implicit-def: $vgpr59_vgpr60
                                        ; implicit-def: $vgpr27
	s_cbranch_scc1 .LBB70_114
; %bb.116:                              ;   in Loop: Header=BB70_115 Depth=1
	v_lshlrev_b64 v[25:26], 4, v[51:52]
	v_mov_b32_e32 v27, s53
	v_add_co_u32_e32 v59, vcc, s52, v25
	v_addc_co_u32_e32 v60, vcc, v27, v26, vcc
	;;#ASMSTART
	global_load_dwordx4 v[25:28], v[59:60] off glc	
s_waitcnt vmcnt(0)
	;;#ASMEND
	v_cmp_eq_u16_sdwa s[38:39], v27, v52 src0_sel:BYTE_0 src1_sel:DWORD
	s_and_saveexec_b64 s[4:5], s[38:39]
	s_cbranch_execz .LBB70_120
; %bb.117:                              ;   in Loop: Header=BB70_115 Depth=1
	s_mov_b64 s[38:39], 0
.LBB70_118:                             ;   Parent Loop BB70_115 Depth=1
                                        ; =>  This Inner Loop Header: Depth=2
	;;#ASMSTART
	global_load_dwordx4 v[25:28], v[59:60] off glc	
s_waitcnt vmcnt(0)
	;;#ASMEND
	v_cmp_ne_u16_sdwa s[40:41], v27, v52 src0_sel:BYTE_0 src1_sel:DWORD
	s_or_b64 s[38:39], s[40:41], s[38:39]
	s_andn2_b64 exec, exec, s[38:39]
	s_cbranch_execnz .LBB70_118
; %bb.119:                              ;   in Loop: Header=BB70_115 Depth=1
	s_or_b64 exec, exec, s[38:39]
.LBB70_120:                             ;   in Loop: Header=BB70_115 Depth=1
	s_or_b64 exec, exec, s[4:5]
	v_cmp_eq_u16_sdwa s[4:5], v27, v79 src0_sel:BYTE_0 src1_sel:DWORD
	v_and_b32_e32 v28, s5, v24
	v_or_b32_e32 v28, 0x80000000, v28
	ds_bpermute_b32 v61, v68, v25
	ds_bpermute_b32 v62, v68, v26
	v_and_b32_e32 v59, s4, v23
	v_ffbl_b32_e32 v28, v28
	v_add_u32_e32 v28, 32, v28
	v_ffbl_b32_e32 v59, v59
	v_min_u32_e32 v28, v59, v28
	v_mov_b32_e32 v60, v26
	v_cmp_lt_u32_e32 vcc, v67, v28
	v_mov_b32_e32 v59, v25
	s_and_saveexec_b64 s[38:39], vcc
	s_cbranch_execz .LBB70_124
; %bb.121:                              ;   in Loop: Header=BB70_115 Depth=1
	s_waitcnt lgkmcnt(0)
	v_max_f64 v[59:60], v[61:62], v[61:62]
	v_max_f64 v[63:64], v[25:26], v[25:26]
	v_cmp_u_f64_e32 vcc, v[61:62], v[61:62]
	v_cmp_u_f64_e64 s[4:5], v[25:26], v[25:26]
	v_min_f64 v[83:84], v[59:60], v[63:64]
	v_max_f64 v[59:60], v[59:60], v[63:64]
	v_cndmask_b32_e32 v63, v84, v62, vcc
	v_cndmask_b32_e32 v64, v83, v61, vcc
	;; [unrolled: 1-line block ×4, first 2 shown]
	v_cndmask_b32_e64 v60, v63, v26, s[4:5]
	v_cndmask_b32_e64 v59, v64, v25, s[4:5]
	v_cndmask_b32_e64 v26, v83, v26, s[4:5]
	v_cndmask_b32_e64 v25, v84, v25, s[4:5]
	v_cmp_neq_f64_e32 vcc, v[59:60], v[25:26]
	v_cmp_class_f64_e64 s[4:5], v[59:60], s1
	s_or_b64 s[4:5], vcc, s[4:5]
	s_and_saveexec_b64 s[40:41], s[4:5]
	s_cbranch_execz .LBB70_123
; %bb.122:                              ;   in Loop: Header=BB70_115 Depth=1
	v_add_f64 v[59:60], v[59:60], -v[25:26]
	s_mov_b32 s91, s79
	s_mov_b32 s92, s34
	;; [unrolled: 1-line block ×3, first 2 shown]
	v_mul_f64 v[61:62], v[59:60], s[30:31]
	v_cmp_nlt_f64_e32 vcc, s[74:75], v[59:60]
	v_cmp_ngt_f64_e64 s[4:5], s[76:77], v[59:60]
	v_rndne_f64_e32 v[61:62], v[61:62]
	v_fma_f64 v[63:64], v[61:62], s[34:35], v[59:60]
	v_fma_f64 v[63:64], v[61:62], s[54:55], v[63:64]
	v_cvt_i32_f64_e32 v61, v[61:62]
	v_fma_f64 v[83:84], v[63:64], s[56:57], v[55:56]
	v_fma_f64 v[83:84], v[63:64], v[83:84], s[58:59]
	;; [unrolled: 1-line block ×9, first 2 shown]
	v_fma_f64 v[83:84], v[63:64], v[83:84], 1.0
	v_fma_f64 v[63:64], v[63:64], v[83:84], 1.0
	v_ldexp_f64 v[61:62], v[63:64], v61
	v_cndmask_b32_e32 v62, v80, v62, vcc
	s_and_b64 vcc, s[4:5], vcc
	v_cndmask_b32_e64 v60, 0, v62, s[4:5]
	v_cndmask_b32_e32 v59, 0, v61, vcc
	v_add_f64 v[61:62], v[59:60], 1.0
	v_cmp_neq_f64_e64 s[4:5], s[36:37], v[59:60]
	v_frexp_mant_f64_e32 v[83:84], v[61:62]
	v_frexp_exp_i32_f64_e32 v87, v[61:62]
	v_add_f64 v[63:64], v[61:62], -1.0
	v_cmp_gt_f64_e32 vcc, s[78:79], v[83:84]
	v_add_f64 v[85:86], v[63:64], -v[61:62]
	v_add_f64 v[63:64], v[59:60], -v[63:64]
	v_subbrev_co_u32_e32 v101, vcc, 0, v87, vcc
	v_sub_u32_e32 v87, 0, v101
	v_ldexp_f64 v[61:62], v[61:62], v87
	v_add_f64 v[83:84], v[85:86], 1.0
	v_cmp_nge_f64_e32 vcc, -1.0, v[59:60]
	v_add_f64 v[85:86], v[61:62], 1.0
	v_add_f64 v[63:64], v[63:64], v[83:84]
	v_add_f64 v[91:92], v[61:62], -1.0
	s_and_b64 vcc, vcc, s[4:5]
	v_add_f64 v[83:84], v[85:86], -1.0
	v_ldexp_f64 v[63:64], v[63:64], v87
	v_add_f64 v[93:94], v[91:92], 1.0
	v_add_f64 v[83:84], v[61:62], -v[83:84]
	v_add_f64 v[61:62], v[61:62], -v[93:94]
	v_add_f64 v[83:84], v[63:64], v[83:84]
	v_add_f64 v[61:62], v[63:64], v[61:62]
	;; [unrolled: 1-line block ×4, first 2 shown]
	v_rcp_f64_e32 v[89:90], v[87:88]
	v_add_f64 v[85:86], v[87:88], -v[85:86]
	v_add_f64 v[91:92], v[93:94], -v[91:92]
	;; [unrolled: 1-line block ×4, first 2 shown]
	v_fma_f64 v[95:96], -v[87:88], v[89:90], 1.0
	v_fma_f64 v[89:90], v[95:96], v[89:90], v[89:90]
	v_fma_f64 v[63:64], -v[87:88], v[89:90], 1.0
	v_fma_f64 v[63:64], v[63:64], v[89:90], v[89:90]
	v_mul_f64 v[89:90], v[93:94], v[63:64]
	v_mul_f64 v[95:96], v[87:88], v[89:90]
	v_fma_f64 v[85:86], v[89:90], v[87:88], -v[95:96]
	v_fma_f64 v[85:86], v[89:90], v[83:84], v[85:86]
	v_add_f64 v[97:98], v[95:96], v[85:86]
	v_add_f64 v[99:100], v[93:94], -v[97:98]
	v_add_f64 v[91:92], v[97:98], -v[95:96]
	;; [unrolled: 1-line block ×5, first 2 shown]
	v_add_f64 v[61:62], v[61:62], v[93:94]
	v_add_f64 v[61:62], v[85:86], v[61:62]
	v_add_f64 v[85:86], v[99:100], v[61:62]
	v_mul_f64 v[91:92], v[63:64], v[85:86]
	v_add_f64 v[97:98], v[99:100], -v[85:86]
	v_mul_f64 v[93:94], v[87:88], v[91:92]
	v_add_f64 v[61:62], v[61:62], v[97:98]
	v_fma_f64 v[87:88], v[91:92], v[87:88], -v[93:94]
	v_fma_f64 v[83:84], v[91:92], v[83:84], v[87:88]
	v_add_f64 v[87:88], v[93:94], v[83:84]
	v_add_f64 v[95:96], v[85:86], -v[87:88]
	v_add_f64 v[93:94], v[87:88], -v[93:94]
	;; [unrolled: 1-line block ×5, first 2 shown]
	v_add_f64 v[61:62], v[61:62], v[85:86]
	v_add_f64 v[85:86], v[89:90], v[91:92]
	;; [unrolled: 1-line block ×3, first 2 shown]
	v_add_f64 v[83:84], v[85:86], -v[89:90]
	v_add_f64 v[61:62], v[95:96], v[61:62]
	v_add_f64 v[83:84], v[91:92], -v[83:84]
	v_mul_f64 v[61:62], v[63:64], v[61:62]
	v_add_f64 v[61:62], v[83:84], v[61:62]
	v_add_f64 v[63:64], v[85:86], v[61:62]
	v_mul_f64 v[83:84], v[63:64], v[63:64]
	v_fma_f64 v[87:88], v[83:84], s[80:81], v[57:58]
	v_mul_f64 v[89:90], v[63:64], v[83:84]
	v_fma_f64 v[87:88], v[83:84], v[87:88], s[82:83]
	v_fma_f64 v[87:88], v[83:84], v[87:88], s[84:85]
	;; [unrolled: 1-line block ×5, first 2 shown]
	v_ldexp_f64 v[87:88], v[63:64], 1
	v_add_f64 v[63:64], v[63:64], -v[85:86]
	v_mul_f64 v[83:84], v[89:90], v[83:84]
	v_cvt_f64_i32_e32 v[89:90], v101
	v_add_f64 v[61:62], v[61:62], -v[63:64]
	v_mul_f64 v[91:92], v[89:90], s[92:93]
	v_add_f64 v[85:86], v[87:88], v[83:84]
	v_ldexp_f64 v[61:62], v[61:62], 1
	v_add_f64 v[63:64], v[85:86], -v[87:88]
	v_fma_f64 v[87:88], v[89:90], s[92:93], -v[91:92]
	v_add_f64 v[63:64], v[83:84], -v[63:64]
	v_fma_f64 v[83:84], v[89:90], s[94:95], v[87:88]
	v_add_f64 v[61:62], v[61:62], v[63:64]
	v_add_f64 v[63:64], v[91:92], v[83:84]
	;; [unrolled: 1-line block ×3, first 2 shown]
	v_add_f64 v[91:92], v[63:64], -v[91:92]
	v_add_f64 v[89:90], v[63:64], v[87:88]
	v_add_f64 v[85:86], v[87:88], -v[85:86]
	v_add_f64 v[83:84], v[83:84], -v[91:92]
	;; [unrolled: 1-line block ×6, first 2 shown]
	v_add_f64 v[87:88], v[83:84], v[61:62]
	v_add_f64 v[63:64], v[63:64], -v[95:96]
	v_add_f64 v[63:64], v[85:86], v[63:64]
	v_add_f64 v[85:86], v[87:88], -v[83:84]
	v_add_f64 v[63:64], v[87:88], v[63:64]
	v_add_f64 v[87:88], v[87:88], -v[85:86]
	v_add_f64 v[61:62], v[61:62], -v[85:86]
	v_add_f64 v[91:92], v[89:90], v[63:64]
	v_add_f64 v[83:84], v[83:84], -v[87:88]
	v_add_f64 v[85:86], v[91:92], -v[89:90]
	v_add_f64 v[61:62], v[61:62], v[83:84]
	v_add_f64 v[63:64], v[63:64], -v[85:86]
	v_add_f64 v[61:62], v[61:62], v[63:64]
	v_add_f64 v[61:62], v[91:92], v[61:62]
	v_cndmask_b32_e32 v61, 0, v61, vcc
	v_cmp_ngt_f64_e32 vcc, -1.0, v[59:60]
	v_cndmask_b32_e64 v62, v80, v62, s[4:5]
	v_cndmask_b32_e32 v62, v81, v62, vcc
	v_cmp_neq_f64_e32 vcc, -1.0, v[59:60]
	v_cndmask_b32_e32 v62, v82, v62, vcc
	v_add_f64 v[61:62], v[25:26], v[61:62]
.LBB70_123:                             ;   in Loop: Header=BB70_115 Depth=1
	s_or_b64 exec, exec, s[40:41]
	v_mov_b32_e32 v59, v61
	v_mov_b32_e32 v25, v61
	;; [unrolled: 1-line block ×4, first 2 shown]
.LBB70_124:                             ;   in Loop: Header=BB70_115 Depth=1
	s_or_b64 exec, exec, s[38:39]
	s_waitcnt lgkmcnt(1)
	ds_bpermute_b32 v61, v69, v25
	s_waitcnt lgkmcnt(1)
	ds_bpermute_b32 v62, v69, v26
	v_cmp_le_u32_e32 vcc, v70, v28
	s_and_saveexec_b64 s[38:39], vcc
	s_cbranch_execz .LBB70_128
; %bb.125:                              ;   in Loop: Header=BB70_115 Depth=1
	s_waitcnt lgkmcnt(0)
	v_max_f64 v[25:26], v[61:62], v[61:62]
	v_max_f64 v[63:64], v[59:60], v[59:60]
	v_cmp_u_f64_e32 vcc, v[61:62], v[61:62]
	v_cmp_u_f64_e64 s[4:5], v[59:60], v[59:60]
	v_min_f64 v[83:84], v[25:26], v[63:64]
	v_max_f64 v[25:26], v[25:26], v[63:64]
	v_cndmask_b32_e32 v63, v84, v62, vcc
	v_cndmask_b32_e32 v83, v83, v61, vcc
	;; [unrolled: 1-line block ×4, first 2 shown]
	v_cndmask_b32_e64 v64, v63, v60, s[4:5]
	v_cndmask_b32_e64 v63, v83, v59, s[4:5]
	;; [unrolled: 1-line block ×4, first 2 shown]
	v_cmp_neq_f64_e32 vcc, v[63:64], v[25:26]
	v_cmp_class_f64_e64 s[4:5], v[63:64], s1
	s_or_b64 s[4:5], vcc, s[4:5]
	s_and_saveexec_b64 s[40:41], s[4:5]
	s_cbranch_execz .LBB70_127
; %bb.126:                              ;   in Loop: Header=BB70_115 Depth=1
	v_add_f64 v[59:60], v[63:64], -v[25:26]
	s_mov_b32 s91, s79
	s_mov_b32 s92, s34
	;; [unrolled: 1-line block ×3, first 2 shown]
	v_mul_f64 v[61:62], v[59:60], s[30:31]
	v_cmp_nlt_f64_e32 vcc, s[74:75], v[59:60]
	v_cmp_ngt_f64_e64 s[4:5], s[76:77], v[59:60]
	v_rndne_f64_e32 v[61:62], v[61:62]
	v_fma_f64 v[63:64], v[61:62], s[34:35], v[59:60]
	v_fma_f64 v[63:64], v[61:62], s[54:55], v[63:64]
	v_cvt_i32_f64_e32 v61, v[61:62]
	v_fma_f64 v[83:84], v[63:64], s[56:57], v[55:56]
	v_fma_f64 v[83:84], v[63:64], v[83:84], s[58:59]
	;; [unrolled: 1-line block ×9, first 2 shown]
	v_fma_f64 v[83:84], v[63:64], v[83:84], 1.0
	v_fma_f64 v[63:64], v[63:64], v[83:84], 1.0
	v_ldexp_f64 v[61:62], v[63:64], v61
	v_cndmask_b32_e32 v62, v80, v62, vcc
	s_and_b64 vcc, s[4:5], vcc
	v_cndmask_b32_e64 v60, 0, v62, s[4:5]
	v_cndmask_b32_e32 v59, 0, v61, vcc
	v_add_f64 v[61:62], v[59:60], 1.0
	v_cmp_neq_f64_e64 s[4:5], s[36:37], v[59:60]
	v_frexp_mant_f64_e32 v[83:84], v[61:62]
	v_frexp_exp_i32_f64_e32 v87, v[61:62]
	v_add_f64 v[63:64], v[61:62], -1.0
	v_cmp_gt_f64_e32 vcc, s[78:79], v[83:84]
	v_add_f64 v[85:86], v[63:64], -v[61:62]
	v_add_f64 v[63:64], v[59:60], -v[63:64]
	v_subbrev_co_u32_e32 v101, vcc, 0, v87, vcc
	v_sub_u32_e32 v87, 0, v101
	v_ldexp_f64 v[61:62], v[61:62], v87
	v_add_f64 v[83:84], v[85:86], 1.0
	v_cmp_nge_f64_e32 vcc, -1.0, v[59:60]
	v_add_f64 v[85:86], v[61:62], 1.0
	v_add_f64 v[63:64], v[63:64], v[83:84]
	v_add_f64 v[91:92], v[61:62], -1.0
	s_and_b64 vcc, vcc, s[4:5]
	v_add_f64 v[83:84], v[85:86], -1.0
	v_ldexp_f64 v[63:64], v[63:64], v87
	v_add_f64 v[93:94], v[91:92], 1.0
	v_add_f64 v[83:84], v[61:62], -v[83:84]
	v_add_f64 v[61:62], v[61:62], -v[93:94]
	v_add_f64 v[83:84], v[63:64], v[83:84]
	v_add_f64 v[61:62], v[63:64], v[61:62]
	;; [unrolled: 1-line block ×4, first 2 shown]
	v_rcp_f64_e32 v[89:90], v[87:88]
	v_add_f64 v[85:86], v[87:88], -v[85:86]
	v_add_f64 v[91:92], v[93:94], -v[91:92]
	;; [unrolled: 1-line block ×4, first 2 shown]
	v_fma_f64 v[95:96], -v[87:88], v[89:90], 1.0
	v_fma_f64 v[89:90], v[95:96], v[89:90], v[89:90]
	v_fma_f64 v[63:64], -v[87:88], v[89:90], 1.0
	v_fma_f64 v[63:64], v[63:64], v[89:90], v[89:90]
	v_mul_f64 v[89:90], v[93:94], v[63:64]
	v_mul_f64 v[95:96], v[87:88], v[89:90]
	v_fma_f64 v[85:86], v[89:90], v[87:88], -v[95:96]
	v_fma_f64 v[85:86], v[89:90], v[83:84], v[85:86]
	v_add_f64 v[97:98], v[95:96], v[85:86]
	v_add_f64 v[99:100], v[93:94], -v[97:98]
	v_add_f64 v[91:92], v[97:98], -v[95:96]
	;; [unrolled: 1-line block ×5, first 2 shown]
	v_add_f64 v[61:62], v[61:62], v[93:94]
	v_add_f64 v[61:62], v[85:86], v[61:62]
	;; [unrolled: 1-line block ×3, first 2 shown]
	v_mul_f64 v[91:92], v[63:64], v[85:86]
	v_add_f64 v[97:98], v[99:100], -v[85:86]
	v_mul_f64 v[93:94], v[87:88], v[91:92]
	v_add_f64 v[61:62], v[61:62], v[97:98]
	v_fma_f64 v[87:88], v[91:92], v[87:88], -v[93:94]
	v_fma_f64 v[83:84], v[91:92], v[83:84], v[87:88]
	v_add_f64 v[87:88], v[93:94], v[83:84]
	v_add_f64 v[95:96], v[85:86], -v[87:88]
	v_add_f64 v[93:94], v[87:88], -v[93:94]
	;; [unrolled: 1-line block ×5, first 2 shown]
	v_add_f64 v[61:62], v[61:62], v[85:86]
	v_add_f64 v[85:86], v[89:90], v[91:92]
	;; [unrolled: 1-line block ×3, first 2 shown]
	v_add_f64 v[83:84], v[85:86], -v[89:90]
	v_add_f64 v[61:62], v[95:96], v[61:62]
	v_add_f64 v[83:84], v[91:92], -v[83:84]
	v_mul_f64 v[61:62], v[63:64], v[61:62]
	v_add_f64 v[61:62], v[83:84], v[61:62]
	v_add_f64 v[63:64], v[85:86], v[61:62]
	v_mul_f64 v[83:84], v[63:64], v[63:64]
	v_fma_f64 v[87:88], v[83:84], s[80:81], v[57:58]
	v_mul_f64 v[89:90], v[63:64], v[83:84]
	v_fma_f64 v[87:88], v[83:84], v[87:88], s[82:83]
	v_fma_f64 v[87:88], v[83:84], v[87:88], s[84:85]
	;; [unrolled: 1-line block ×5, first 2 shown]
	v_ldexp_f64 v[87:88], v[63:64], 1
	v_add_f64 v[63:64], v[63:64], -v[85:86]
	v_mul_f64 v[83:84], v[89:90], v[83:84]
	v_cvt_f64_i32_e32 v[89:90], v101
	v_add_f64 v[61:62], v[61:62], -v[63:64]
	v_mul_f64 v[91:92], v[89:90], s[92:93]
	v_add_f64 v[85:86], v[87:88], v[83:84]
	v_ldexp_f64 v[61:62], v[61:62], 1
	v_add_f64 v[63:64], v[85:86], -v[87:88]
	v_fma_f64 v[87:88], v[89:90], s[92:93], -v[91:92]
	v_add_f64 v[63:64], v[83:84], -v[63:64]
	v_fma_f64 v[83:84], v[89:90], s[94:95], v[87:88]
	v_add_f64 v[61:62], v[61:62], v[63:64]
	v_add_f64 v[63:64], v[91:92], v[83:84]
	;; [unrolled: 1-line block ×3, first 2 shown]
	v_add_f64 v[91:92], v[63:64], -v[91:92]
	v_add_f64 v[89:90], v[63:64], v[87:88]
	v_add_f64 v[85:86], v[87:88], -v[85:86]
	v_add_f64 v[83:84], v[83:84], -v[91:92]
	;; [unrolled: 1-line block ×6, first 2 shown]
	v_add_f64 v[87:88], v[83:84], v[61:62]
	v_add_f64 v[63:64], v[63:64], -v[95:96]
	v_add_f64 v[63:64], v[85:86], v[63:64]
	v_add_f64 v[85:86], v[87:88], -v[83:84]
	;; [unrolled: 2-line block ×3, first 2 shown]
	v_add_f64 v[61:62], v[61:62], -v[85:86]
	v_add_f64 v[91:92], v[89:90], v[63:64]
	v_add_f64 v[83:84], v[83:84], -v[87:88]
	v_add_f64 v[85:86], v[91:92], -v[89:90]
	v_add_f64 v[61:62], v[61:62], v[83:84]
	v_add_f64 v[63:64], v[63:64], -v[85:86]
	v_add_f64 v[61:62], v[61:62], v[63:64]
	v_add_f64 v[61:62], v[91:92], v[61:62]
	v_cndmask_b32_e32 v61, 0, v61, vcc
	v_cmp_ngt_f64_e32 vcc, -1.0, v[59:60]
	v_cndmask_b32_e64 v62, v80, v62, s[4:5]
	v_cndmask_b32_e32 v62, v81, v62, vcc
	v_cmp_neq_f64_e32 vcc, -1.0, v[59:60]
	v_cndmask_b32_e32 v62, v82, v62, vcc
	v_add_f64 v[61:62], v[25:26], v[61:62]
.LBB70_127:                             ;   in Loop: Header=BB70_115 Depth=1
	s_or_b64 exec, exec, s[40:41]
	v_mov_b32_e32 v59, v61
	v_mov_b32_e32 v25, v61
	;; [unrolled: 1-line block ×4, first 2 shown]
.LBB70_128:                             ;   in Loop: Header=BB70_115 Depth=1
	s_or_b64 exec, exec, s[38:39]
	s_waitcnt lgkmcnt(1)
	ds_bpermute_b32 v61, v71, v25
	s_waitcnt lgkmcnt(1)
	ds_bpermute_b32 v62, v71, v26
	v_cmp_le_u32_e32 vcc, v72, v28
	s_and_saveexec_b64 s[38:39], vcc
	s_cbranch_execz .LBB70_132
; %bb.129:                              ;   in Loop: Header=BB70_115 Depth=1
	s_waitcnt lgkmcnt(0)
	v_max_f64 v[25:26], v[61:62], v[61:62]
	v_max_f64 v[63:64], v[59:60], v[59:60]
	v_cmp_u_f64_e32 vcc, v[61:62], v[61:62]
	v_cmp_u_f64_e64 s[4:5], v[59:60], v[59:60]
	v_min_f64 v[83:84], v[25:26], v[63:64]
	v_max_f64 v[25:26], v[25:26], v[63:64]
	v_cndmask_b32_e32 v63, v84, v62, vcc
	v_cndmask_b32_e32 v83, v83, v61, vcc
	;; [unrolled: 1-line block ×4, first 2 shown]
	v_cndmask_b32_e64 v64, v63, v60, s[4:5]
	v_cndmask_b32_e64 v63, v83, v59, s[4:5]
	;; [unrolled: 1-line block ×4, first 2 shown]
	v_cmp_neq_f64_e32 vcc, v[63:64], v[25:26]
	v_cmp_class_f64_e64 s[4:5], v[63:64], s1
	s_or_b64 s[4:5], vcc, s[4:5]
	s_and_saveexec_b64 s[40:41], s[4:5]
	s_cbranch_execz .LBB70_131
; %bb.130:                              ;   in Loop: Header=BB70_115 Depth=1
	v_add_f64 v[59:60], v[63:64], -v[25:26]
	s_mov_b32 s91, s79
	s_mov_b32 s92, s34
	;; [unrolled: 1-line block ×3, first 2 shown]
	v_mul_f64 v[61:62], v[59:60], s[30:31]
	v_cmp_nlt_f64_e32 vcc, s[74:75], v[59:60]
	v_cmp_ngt_f64_e64 s[4:5], s[76:77], v[59:60]
	v_rndne_f64_e32 v[61:62], v[61:62]
	v_fma_f64 v[63:64], v[61:62], s[34:35], v[59:60]
	v_fma_f64 v[63:64], v[61:62], s[54:55], v[63:64]
	v_cvt_i32_f64_e32 v61, v[61:62]
	v_fma_f64 v[83:84], v[63:64], s[56:57], v[55:56]
	v_fma_f64 v[83:84], v[63:64], v[83:84], s[58:59]
	;; [unrolled: 1-line block ×9, first 2 shown]
	v_fma_f64 v[83:84], v[63:64], v[83:84], 1.0
	v_fma_f64 v[63:64], v[63:64], v[83:84], 1.0
	v_ldexp_f64 v[61:62], v[63:64], v61
	v_cndmask_b32_e32 v62, v80, v62, vcc
	s_and_b64 vcc, s[4:5], vcc
	v_cndmask_b32_e64 v60, 0, v62, s[4:5]
	v_cndmask_b32_e32 v59, 0, v61, vcc
	v_add_f64 v[61:62], v[59:60], 1.0
	v_cmp_neq_f64_e64 s[4:5], s[36:37], v[59:60]
	v_frexp_mant_f64_e32 v[83:84], v[61:62]
	v_frexp_exp_i32_f64_e32 v87, v[61:62]
	v_add_f64 v[63:64], v[61:62], -1.0
	v_cmp_gt_f64_e32 vcc, s[78:79], v[83:84]
	v_add_f64 v[85:86], v[63:64], -v[61:62]
	v_add_f64 v[63:64], v[59:60], -v[63:64]
	v_subbrev_co_u32_e32 v101, vcc, 0, v87, vcc
	v_sub_u32_e32 v87, 0, v101
	v_ldexp_f64 v[61:62], v[61:62], v87
	v_add_f64 v[83:84], v[85:86], 1.0
	v_cmp_nge_f64_e32 vcc, -1.0, v[59:60]
	v_add_f64 v[85:86], v[61:62], 1.0
	v_add_f64 v[63:64], v[63:64], v[83:84]
	v_add_f64 v[91:92], v[61:62], -1.0
	s_and_b64 vcc, vcc, s[4:5]
	v_add_f64 v[83:84], v[85:86], -1.0
	v_ldexp_f64 v[63:64], v[63:64], v87
	v_add_f64 v[93:94], v[91:92], 1.0
	v_add_f64 v[83:84], v[61:62], -v[83:84]
	v_add_f64 v[61:62], v[61:62], -v[93:94]
	v_add_f64 v[83:84], v[63:64], v[83:84]
	v_add_f64 v[61:62], v[63:64], v[61:62]
	;; [unrolled: 1-line block ×4, first 2 shown]
	v_rcp_f64_e32 v[89:90], v[87:88]
	v_add_f64 v[85:86], v[87:88], -v[85:86]
	v_add_f64 v[91:92], v[93:94], -v[91:92]
	;; [unrolled: 1-line block ×4, first 2 shown]
	v_fma_f64 v[95:96], -v[87:88], v[89:90], 1.0
	v_fma_f64 v[89:90], v[95:96], v[89:90], v[89:90]
	v_fma_f64 v[63:64], -v[87:88], v[89:90], 1.0
	v_fma_f64 v[63:64], v[63:64], v[89:90], v[89:90]
	v_mul_f64 v[89:90], v[93:94], v[63:64]
	v_mul_f64 v[95:96], v[87:88], v[89:90]
	v_fma_f64 v[85:86], v[89:90], v[87:88], -v[95:96]
	v_fma_f64 v[85:86], v[89:90], v[83:84], v[85:86]
	v_add_f64 v[97:98], v[95:96], v[85:86]
	v_add_f64 v[99:100], v[93:94], -v[97:98]
	v_add_f64 v[91:92], v[97:98], -v[95:96]
	;; [unrolled: 1-line block ×5, first 2 shown]
	v_add_f64 v[61:62], v[61:62], v[93:94]
	v_add_f64 v[61:62], v[85:86], v[61:62]
	;; [unrolled: 1-line block ×3, first 2 shown]
	v_mul_f64 v[91:92], v[63:64], v[85:86]
	v_add_f64 v[97:98], v[99:100], -v[85:86]
	v_mul_f64 v[93:94], v[87:88], v[91:92]
	v_add_f64 v[61:62], v[61:62], v[97:98]
	v_fma_f64 v[87:88], v[91:92], v[87:88], -v[93:94]
	v_fma_f64 v[83:84], v[91:92], v[83:84], v[87:88]
	v_add_f64 v[87:88], v[93:94], v[83:84]
	v_add_f64 v[95:96], v[85:86], -v[87:88]
	v_add_f64 v[93:94], v[87:88], -v[93:94]
	v_add_f64 v[85:86], v[85:86], -v[95:96]
	v_add_f64 v[83:84], v[93:94], -v[83:84]
	v_add_f64 v[85:86], v[85:86], -v[87:88]
	v_add_f64 v[61:62], v[61:62], v[85:86]
	v_add_f64 v[85:86], v[89:90], v[91:92]
	;; [unrolled: 1-line block ×3, first 2 shown]
	v_add_f64 v[83:84], v[85:86], -v[89:90]
	v_add_f64 v[61:62], v[95:96], v[61:62]
	v_add_f64 v[83:84], v[91:92], -v[83:84]
	v_mul_f64 v[61:62], v[63:64], v[61:62]
	v_add_f64 v[61:62], v[83:84], v[61:62]
	v_add_f64 v[63:64], v[85:86], v[61:62]
	v_mul_f64 v[83:84], v[63:64], v[63:64]
	v_fma_f64 v[87:88], v[83:84], s[80:81], v[57:58]
	v_mul_f64 v[89:90], v[63:64], v[83:84]
	v_fma_f64 v[87:88], v[83:84], v[87:88], s[82:83]
	v_fma_f64 v[87:88], v[83:84], v[87:88], s[84:85]
	v_fma_f64 v[87:88], v[83:84], v[87:88], s[86:87]
	v_fma_f64 v[87:88], v[83:84], v[87:88], s[88:89]
	v_fma_f64 v[83:84], v[83:84], v[87:88], s[90:91]
	v_ldexp_f64 v[87:88], v[63:64], 1
	v_add_f64 v[63:64], v[63:64], -v[85:86]
	v_mul_f64 v[83:84], v[89:90], v[83:84]
	v_cvt_f64_i32_e32 v[89:90], v101
	v_add_f64 v[61:62], v[61:62], -v[63:64]
	v_mul_f64 v[91:92], v[89:90], s[92:93]
	v_add_f64 v[85:86], v[87:88], v[83:84]
	v_ldexp_f64 v[61:62], v[61:62], 1
	v_add_f64 v[63:64], v[85:86], -v[87:88]
	v_fma_f64 v[87:88], v[89:90], s[92:93], -v[91:92]
	v_add_f64 v[63:64], v[83:84], -v[63:64]
	v_fma_f64 v[83:84], v[89:90], s[94:95], v[87:88]
	v_add_f64 v[61:62], v[61:62], v[63:64]
	v_add_f64 v[63:64], v[91:92], v[83:84]
	;; [unrolled: 1-line block ×3, first 2 shown]
	v_add_f64 v[91:92], v[63:64], -v[91:92]
	v_add_f64 v[89:90], v[63:64], v[87:88]
	v_add_f64 v[85:86], v[87:88], -v[85:86]
	v_add_f64 v[83:84], v[83:84], -v[91:92]
	v_add_f64 v[93:94], v[89:90], -v[63:64]
	v_add_f64 v[61:62], v[61:62], -v[85:86]
	v_add_f64 v[95:96], v[89:90], -v[93:94]
	v_add_f64 v[85:86], v[87:88], -v[93:94]
	v_add_f64 v[87:88], v[83:84], v[61:62]
	v_add_f64 v[63:64], v[63:64], -v[95:96]
	v_add_f64 v[63:64], v[85:86], v[63:64]
	v_add_f64 v[85:86], v[87:88], -v[83:84]
	;; [unrolled: 2-line block ×3, first 2 shown]
	v_add_f64 v[61:62], v[61:62], -v[85:86]
	v_add_f64 v[91:92], v[89:90], v[63:64]
	v_add_f64 v[83:84], v[83:84], -v[87:88]
	v_add_f64 v[85:86], v[91:92], -v[89:90]
	v_add_f64 v[61:62], v[61:62], v[83:84]
	v_add_f64 v[63:64], v[63:64], -v[85:86]
	v_add_f64 v[61:62], v[61:62], v[63:64]
	v_add_f64 v[61:62], v[91:92], v[61:62]
	v_cndmask_b32_e32 v61, 0, v61, vcc
	v_cmp_ngt_f64_e32 vcc, -1.0, v[59:60]
	v_cndmask_b32_e64 v62, v80, v62, s[4:5]
	v_cndmask_b32_e32 v62, v81, v62, vcc
	v_cmp_neq_f64_e32 vcc, -1.0, v[59:60]
	v_cndmask_b32_e32 v62, v82, v62, vcc
	v_add_f64 v[61:62], v[25:26], v[61:62]
.LBB70_131:                             ;   in Loop: Header=BB70_115 Depth=1
	s_or_b64 exec, exec, s[40:41]
	v_mov_b32_e32 v59, v61
	v_mov_b32_e32 v25, v61
	;; [unrolled: 1-line block ×4, first 2 shown]
.LBB70_132:                             ;   in Loop: Header=BB70_115 Depth=1
	s_or_b64 exec, exec, s[38:39]
	s_waitcnt lgkmcnt(1)
	ds_bpermute_b32 v61, v73, v25
	s_waitcnt lgkmcnt(1)
	ds_bpermute_b32 v62, v73, v26
	v_cmp_le_u32_e32 vcc, v74, v28
	s_and_saveexec_b64 s[38:39], vcc
	s_cbranch_execz .LBB70_136
; %bb.133:                              ;   in Loop: Header=BB70_115 Depth=1
	s_waitcnt lgkmcnt(0)
	v_max_f64 v[25:26], v[61:62], v[61:62]
	v_max_f64 v[63:64], v[59:60], v[59:60]
	v_cmp_u_f64_e32 vcc, v[61:62], v[61:62]
	v_cmp_u_f64_e64 s[4:5], v[59:60], v[59:60]
	v_min_f64 v[83:84], v[25:26], v[63:64]
	v_max_f64 v[25:26], v[25:26], v[63:64]
	v_cndmask_b32_e32 v63, v84, v62, vcc
	v_cndmask_b32_e32 v83, v83, v61, vcc
	;; [unrolled: 1-line block ×4, first 2 shown]
	v_cndmask_b32_e64 v64, v63, v60, s[4:5]
	v_cndmask_b32_e64 v63, v83, v59, s[4:5]
	;; [unrolled: 1-line block ×4, first 2 shown]
	v_cmp_neq_f64_e32 vcc, v[63:64], v[25:26]
	v_cmp_class_f64_e64 s[4:5], v[63:64], s1
	s_or_b64 s[4:5], vcc, s[4:5]
	s_and_saveexec_b64 s[40:41], s[4:5]
	s_cbranch_execz .LBB70_135
; %bb.134:                              ;   in Loop: Header=BB70_115 Depth=1
	v_add_f64 v[59:60], v[63:64], -v[25:26]
	s_mov_b32 s91, s79
	s_mov_b32 s92, s34
	;; [unrolled: 1-line block ×3, first 2 shown]
	v_mul_f64 v[61:62], v[59:60], s[30:31]
	v_cmp_nlt_f64_e32 vcc, s[74:75], v[59:60]
	v_cmp_ngt_f64_e64 s[4:5], s[76:77], v[59:60]
	v_rndne_f64_e32 v[61:62], v[61:62]
	v_fma_f64 v[63:64], v[61:62], s[34:35], v[59:60]
	v_fma_f64 v[63:64], v[61:62], s[54:55], v[63:64]
	v_cvt_i32_f64_e32 v61, v[61:62]
	v_fma_f64 v[83:84], v[63:64], s[56:57], v[55:56]
	v_fma_f64 v[83:84], v[63:64], v[83:84], s[58:59]
	;; [unrolled: 1-line block ×9, first 2 shown]
	v_fma_f64 v[83:84], v[63:64], v[83:84], 1.0
	v_fma_f64 v[63:64], v[63:64], v[83:84], 1.0
	v_ldexp_f64 v[61:62], v[63:64], v61
	v_cndmask_b32_e32 v62, v80, v62, vcc
	s_and_b64 vcc, s[4:5], vcc
	v_cndmask_b32_e64 v60, 0, v62, s[4:5]
	v_cndmask_b32_e32 v59, 0, v61, vcc
	v_add_f64 v[61:62], v[59:60], 1.0
	v_cmp_neq_f64_e64 s[4:5], s[36:37], v[59:60]
	v_frexp_mant_f64_e32 v[83:84], v[61:62]
	v_frexp_exp_i32_f64_e32 v87, v[61:62]
	v_add_f64 v[63:64], v[61:62], -1.0
	v_cmp_gt_f64_e32 vcc, s[78:79], v[83:84]
	v_add_f64 v[85:86], v[63:64], -v[61:62]
	v_add_f64 v[63:64], v[59:60], -v[63:64]
	v_subbrev_co_u32_e32 v101, vcc, 0, v87, vcc
	v_sub_u32_e32 v87, 0, v101
	v_ldexp_f64 v[61:62], v[61:62], v87
	v_add_f64 v[83:84], v[85:86], 1.0
	v_cmp_nge_f64_e32 vcc, -1.0, v[59:60]
	v_add_f64 v[85:86], v[61:62], 1.0
	v_add_f64 v[63:64], v[63:64], v[83:84]
	v_add_f64 v[91:92], v[61:62], -1.0
	s_and_b64 vcc, vcc, s[4:5]
	v_add_f64 v[83:84], v[85:86], -1.0
	v_ldexp_f64 v[63:64], v[63:64], v87
	v_add_f64 v[93:94], v[91:92], 1.0
	v_add_f64 v[83:84], v[61:62], -v[83:84]
	v_add_f64 v[61:62], v[61:62], -v[93:94]
	v_add_f64 v[83:84], v[63:64], v[83:84]
	v_add_f64 v[61:62], v[63:64], v[61:62]
	;; [unrolled: 1-line block ×4, first 2 shown]
	v_rcp_f64_e32 v[89:90], v[87:88]
	v_add_f64 v[85:86], v[87:88], -v[85:86]
	v_add_f64 v[91:92], v[93:94], -v[91:92]
	;; [unrolled: 1-line block ×4, first 2 shown]
	v_fma_f64 v[95:96], -v[87:88], v[89:90], 1.0
	v_fma_f64 v[89:90], v[95:96], v[89:90], v[89:90]
	v_fma_f64 v[63:64], -v[87:88], v[89:90], 1.0
	v_fma_f64 v[63:64], v[63:64], v[89:90], v[89:90]
	v_mul_f64 v[89:90], v[93:94], v[63:64]
	v_mul_f64 v[95:96], v[87:88], v[89:90]
	v_fma_f64 v[85:86], v[89:90], v[87:88], -v[95:96]
	v_fma_f64 v[85:86], v[89:90], v[83:84], v[85:86]
	v_add_f64 v[97:98], v[95:96], v[85:86]
	v_add_f64 v[99:100], v[93:94], -v[97:98]
	v_add_f64 v[91:92], v[97:98], -v[95:96]
	;; [unrolled: 1-line block ×5, first 2 shown]
	v_add_f64 v[61:62], v[61:62], v[93:94]
	v_add_f64 v[61:62], v[85:86], v[61:62]
	;; [unrolled: 1-line block ×3, first 2 shown]
	v_mul_f64 v[91:92], v[63:64], v[85:86]
	v_add_f64 v[97:98], v[99:100], -v[85:86]
	v_mul_f64 v[93:94], v[87:88], v[91:92]
	v_add_f64 v[61:62], v[61:62], v[97:98]
	v_fma_f64 v[87:88], v[91:92], v[87:88], -v[93:94]
	v_fma_f64 v[83:84], v[91:92], v[83:84], v[87:88]
	v_add_f64 v[87:88], v[93:94], v[83:84]
	v_add_f64 v[95:96], v[85:86], -v[87:88]
	v_add_f64 v[93:94], v[87:88], -v[93:94]
	v_add_f64 v[85:86], v[85:86], -v[95:96]
	v_add_f64 v[83:84], v[93:94], -v[83:84]
	v_add_f64 v[85:86], v[85:86], -v[87:88]
	v_add_f64 v[61:62], v[61:62], v[85:86]
	v_add_f64 v[85:86], v[89:90], v[91:92]
	;; [unrolled: 1-line block ×3, first 2 shown]
	v_add_f64 v[83:84], v[85:86], -v[89:90]
	v_add_f64 v[61:62], v[95:96], v[61:62]
	v_add_f64 v[83:84], v[91:92], -v[83:84]
	v_mul_f64 v[61:62], v[63:64], v[61:62]
	v_add_f64 v[61:62], v[83:84], v[61:62]
	v_add_f64 v[63:64], v[85:86], v[61:62]
	v_mul_f64 v[83:84], v[63:64], v[63:64]
	v_fma_f64 v[87:88], v[83:84], s[80:81], v[57:58]
	v_mul_f64 v[89:90], v[63:64], v[83:84]
	v_fma_f64 v[87:88], v[83:84], v[87:88], s[82:83]
	v_fma_f64 v[87:88], v[83:84], v[87:88], s[84:85]
	;; [unrolled: 1-line block ×5, first 2 shown]
	v_ldexp_f64 v[87:88], v[63:64], 1
	v_add_f64 v[63:64], v[63:64], -v[85:86]
	v_mul_f64 v[83:84], v[89:90], v[83:84]
	v_cvt_f64_i32_e32 v[89:90], v101
	v_add_f64 v[61:62], v[61:62], -v[63:64]
	v_mul_f64 v[91:92], v[89:90], s[92:93]
	v_add_f64 v[85:86], v[87:88], v[83:84]
	v_ldexp_f64 v[61:62], v[61:62], 1
	v_add_f64 v[63:64], v[85:86], -v[87:88]
	v_fma_f64 v[87:88], v[89:90], s[92:93], -v[91:92]
	v_add_f64 v[63:64], v[83:84], -v[63:64]
	v_fma_f64 v[83:84], v[89:90], s[94:95], v[87:88]
	v_add_f64 v[61:62], v[61:62], v[63:64]
	v_add_f64 v[63:64], v[91:92], v[83:84]
	;; [unrolled: 1-line block ×3, first 2 shown]
	v_add_f64 v[91:92], v[63:64], -v[91:92]
	v_add_f64 v[89:90], v[63:64], v[87:88]
	v_add_f64 v[85:86], v[87:88], -v[85:86]
	v_add_f64 v[83:84], v[83:84], -v[91:92]
	v_add_f64 v[93:94], v[89:90], -v[63:64]
	v_add_f64 v[61:62], v[61:62], -v[85:86]
	v_add_f64 v[95:96], v[89:90], -v[93:94]
	v_add_f64 v[85:86], v[87:88], -v[93:94]
	v_add_f64 v[87:88], v[83:84], v[61:62]
	v_add_f64 v[63:64], v[63:64], -v[95:96]
	v_add_f64 v[63:64], v[85:86], v[63:64]
	v_add_f64 v[85:86], v[87:88], -v[83:84]
	;; [unrolled: 2-line block ×3, first 2 shown]
	v_add_f64 v[61:62], v[61:62], -v[85:86]
	v_add_f64 v[91:92], v[89:90], v[63:64]
	v_add_f64 v[83:84], v[83:84], -v[87:88]
	v_add_f64 v[85:86], v[91:92], -v[89:90]
	v_add_f64 v[61:62], v[61:62], v[83:84]
	v_add_f64 v[63:64], v[63:64], -v[85:86]
	v_add_f64 v[61:62], v[61:62], v[63:64]
	v_add_f64 v[61:62], v[91:92], v[61:62]
	v_cndmask_b32_e32 v61, 0, v61, vcc
	v_cmp_ngt_f64_e32 vcc, -1.0, v[59:60]
	v_cndmask_b32_e64 v62, v80, v62, s[4:5]
	v_cndmask_b32_e32 v62, v81, v62, vcc
	v_cmp_neq_f64_e32 vcc, -1.0, v[59:60]
	v_cndmask_b32_e32 v62, v82, v62, vcc
	v_add_f64 v[61:62], v[25:26], v[61:62]
.LBB70_135:                             ;   in Loop: Header=BB70_115 Depth=1
	s_or_b64 exec, exec, s[40:41]
	v_mov_b32_e32 v59, v61
	v_mov_b32_e32 v25, v61
	;; [unrolled: 1-line block ×4, first 2 shown]
.LBB70_136:                             ;   in Loop: Header=BB70_115 Depth=1
	s_or_b64 exec, exec, s[38:39]
	s_waitcnt lgkmcnt(1)
	ds_bpermute_b32 v61, v75, v25
	s_waitcnt lgkmcnt(1)
	ds_bpermute_b32 v62, v75, v26
	v_cmp_le_u32_e32 vcc, v76, v28
	s_and_saveexec_b64 s[38:39], vcc
	s_cbranch_execz .LBB70_140
; %bb.137:                              ;   in Loop: Header=BB70_115 Depth=1
	s_waitcnt lgkmcnt(0)
	v_max_f64 v[25:26], v[61:62], v[61:62]
	v_max_f64 v[63:64], v[59:60], v[59:60]
	v_cmp_u_f64_e32 vcc, v[61:62], v[61:62]
	v_cmp_u_f64_e64 s[4:5], v[59:60], v[59:60]
	v_min_f64 v[83:84], v[25:26], v[63:64]
	v_max_f64 v[25:26], v[25:26], v[63:64]
	v_cndmask_b32_e32 v63, v84, v62, vcc
	v_cndmask_b32_e32 v83, v83, v61, vcc
	;; [unrolled: 1-line block ×4, first 2 shown]
	v_cndmask_b32_e64 v64, v63, v60, s[4:5]
	v_cndmask_b32_e64 v63, v83, v59, s[4:5]
	;; [unrolled: 1-line block ×4, first 2 shown]
	v_cmp_neq_f64_e32 vcc, v[63:64], v[25:26]
	v_cmp_class_f64_e64 s[4:5], v[63:64], s1
	s_or_b64 s[4:5], vcc, s[4:5]
	s_and_saveexec_b64 s[40:41], s[4:5]
	s_cbranch_execz .LBB70_139
; %bb.138:                              ;   in Loop: Header=BB70_115 Depth=1
	v_add_f64 v[59:60], v[63:64], -v[25:26]
	s_mov_b32 s91, s79
	s_mov_b32 s92, s34
	;; [unrolled: 1-line block ×3, first 2 shown]
	v_mul_f64 v[61:62], v[59:60], s[30:31]
	v_cmp_nlt_f64_e32 vcc, s[74:75], v[59:60]
	v_cmp_ngt_f64_e64 s[4:5], s[76:77], v[59:60]
	v_rndne_f64_e32 v[61:62], v[61:62]
	v_fma_f64 v[63:64], v[61:62], s[34:35], v[59:60]
	v_fma_f64 v[63:64], v[61:62], s[54:55], v[63:64]
	v_cvt_i32_f64_e32 v61, v[61:62]
	v_fma_f64 v[83:84], v[63:64], s[56:57], v[55:56]
	v_fma_f64 v[83:84], v[63:64], v[83:84], s[58:59]
	;; [unrolled: 1-line block ×9, first 2 shown]
	v_fma_f64 v[83:84], v[63:64], v[83:84], 1.0
	v_fma_f64 v[63:64], v[63:64], v[83:84], 1.0
	v_ldexp_f64 v[61:62], v[63:64], v61
	v_cndmask_b32_e32 v62, v80, v62, vcc
	s_and_b64 vcc, s[4:5], vcc
	v_cndmask_b32_e64 v60, 0, v62, s[4:5]
	v_cndmask_b32_e32 v59, 0, v61, vcc
	v_add_f64 v[61:62], v[59:60], 1.0
	v_cmp_neq_f64_e64 s[4:5], s[36:37], v[59:60]
	v_frexp_mant_f64_e32 v[83:84], v[61:62]
	v_frexp_exp_i32_f64_e32 v87, v[61:62]
	v_add_f64 v[63:64], v[61:62], -1.0
	v_cmp_gt_f64_e32 vcc, s[78:79], v[83:84]
	v_add_f64 v[85:86], v[63:64], -v[61:62]
	v_add_f64 v[63:64], v[59:60], -v[63:64]
	v_subbrev_co_u32_e32 v101, vcc, 0, v87, vcc
	v_sub_u32_e32 v87, 0, v101
	v_ldexp_f64 v[61:62], v[61:62], v87
	v_add_f64 v[83:84], v[85:86], 1.0
	v_cmp_nge_f64_e32 vcc, -1.0, v[59:60]
	v_add_f64 v[85:86], v[61:62], 1.0
	v_add_f64 v[63:64], v[63:64], v[83:84]
	v_add_f64 v[91:92], v[61:62], -1.0
	s_and_b64 vcc, vcc, s[4:5]
	v_add_f64 v[83:84], v[85:86], -1.0
	v_ldexp_f64 v[63:64], v[63:64], v87
	v_add_f64 v[93:94], v[91:92], 1.0
	v_add_f64 v[83:84], v[61:62], -v[83:84]
	v_add_f64 v[61:62], v[61:62], -v[93:94]
	v_add_f64 v[83:84], v[63:64], v[83:84]
	v_add_f64 v[61:62], v[63:64], v[61:62]
	;; [unrolled: 1-line block ×4, first 2 shown]
	v_rcp_f64_e32 v[89:90], v[87:88]
	v_add_f64 v[85:86], v[87:88], -v[85:86]
	v_add_f64 v[91:92], v[93:94], -v[91:92]
	;; [unrolled: 1-line block ×4, first 2 shown]
	v_fma_f64 v[95:96], -v[87:88], v[89:90], 1.0
	v_fma_f64 v[89:90], v[95:96], v[89:90], v[89:90]
	v_fma_f64 v[63:64], -v[87:88], v[89:90], 1.0
	v_fma_f64 v[63:64], v[63:64], v[89:90], v[89:90]
	v_mul_f64 v[89:90], v[93:94], v[63:64]
	v_mul_f64 v[95:96], v[87:88], v[89:90]
	v_fma_f64 v[85:86], v[89:90], v[87:88], -v[95:96]
	v_fma_f64 v[85:86], v[89:90], v[83:84], v[85:86]
	v_add_f64 v[97:98], v[95:96], v[85:86]
	v_add_f64 v[99:100], v[93:94], -v[97:98]
	v_add_f64 v[91:92], v[97:98], -v[95:96]
	;; [unrolled: 1-line block ×5, first 2 shown]
	v_add_f64 v[61:62], v[61:62], v[93:94]
	v_add_f64 v[61:62], v[85:86], v[61:62]
	;; [unrolled: 1-line block ×3, first 2 shown]
	v_mul_f64 v[91:92], v[63:64], v[85:86]
	v_add_f64 v[97:98], v[99:100], -v[85:86]
	v_mul_f64 v[93:94], v[87:88], v[91:92]
	v_add_f64 v[61:62], v[61:62], v[97:98]
	v_fma_f64 v[87:88], v[91:92], v[87:88], -v[93:94]
	v_fma_f64 v[83:84], v[91:92], v[83:84], v[87:88]
	v_add_f64 v[87:88], v[93:94], v[83:84]
	v_add_f64 v[95:96], v[85:86], -v[87:88]
	v_add_f64 v[93:94], v[87:88], -v[93:94]
	;; [unrolled: 1-line block ×5, first 2 shown]
	v_add_f64 v[61:62], v[61:62], v[85:86]
	v_add_f64 v[85:86], v[89:90], v[91:92]
	v_add_f64 v[61:62], v[83:84], v[61:62]
	v_add_f64 v[83:84], v[85:86], -v[89:90]
	v_add_f64 v[61:62], v[95:96], v[61:62]
	v_add_f64 v[83:84], v[91:92], -v[83:84]
	v_mul_f64 v[61:62], v[63:64], v[61:62]
	v_add_f64 v[61:62], v[83:84], v[61:62]
	v_add_f64 v[63:64], v[85:86], v[61:62]
	v_mul_f64 v[83:84], v[63:64], v[63:64]
	v_fma_f64 v[87:88], v[83:84], s[80:81], v[57:58]
	v_mul_f64 v[89:90], v[63:64], v[83:84]
	v_fma_f64 v[87:88], v[83:84], v[87:88], s[82:83]
	v_fma_f64 v[87:88], v[83:84], v[87:88], s[84:85]
	;; [unrolled: 1-line block ×5, first 2 shown]
	v_ldexp_f64 v[87:88], v[63:64], 1
	v_add_f64 v[63:64], v[63:64], -v[85:86]
	v_mul_f64 v[83:84], v[89:90], v[83:84]
	v_cvt_f64_i32_e32 v[89:90], v101
	v_add_f64 v[61:62], v[61:62], -v[63:64]
	v_mul_f64 v[91:92], v[89:90], s[92:93]
	v_add_f64 v[85:86], v[87:88], v[83:84]
	v_ldexp_f64 v[61:62], v[61:62], 1
	v_add_f64 v[63:64], v[85:86], -v[87:88]
	v_fma_f64 v[87:88], v[89:90], s[92:93], -v[91:92]
	v_add_f64 v[63:64], v[83:84], -v[63:64]
	v_fma_f64 v[83:84], v[89:90], s[94:95], v[87:88]
	v_add_f64 v[61:62], v[61:62], v[63:64]
	v_add_f64 v[63:64], v[91:92], v[83:84]
	;; [unrolled: 1-line block ×3, first 2 shown]
	v_add_f64 v[91:92], v[63:64], -v[91:92]
	v_add_f64 v[89:90], v[63:64], v[87:88]
	v_add_f64 v[85:86], v[87:88], -v[85:86]
	v_add_f64 v[83:84], v[83:84], -v[91:92]
	;; [unrolled: 1-line block ×6, first 2 shown]
	v_add_f64 v[87:88], v[83:84], v[61:62]
	v_add_f64 v[63:64], v[63:64], -v[95:96]
	v_add_f64 v[63:64], v[85:86], v[63:64]
	v_add_f64 v[85:86], v[87:88], -v[83:84]
	;; [unrolled: 2-line block ×3, first 2 shown]
	v_add_f64 v[61:62], v[61:62], -v[85:86]
	v_add_f64 v[91:92], v[89:90], v[63:64]
	v_add_f64 v[83:84], v[83:84], -v[87:88]
	v_add_f64 v[85:86], v[91:92], -v[89:90]
	v_add_f64 v[61:62], v[61:62], v[83:84]
	v_add_f64 v[63:64], v[63:64], -v[85:86]
	v_add_f64 v[61:62], v[61:62], v[63:64]
	v_add_f64 v[61:62], v[91:92], v[61:62]
	v_cndmask_b32_e32 v61, 0, v61, vcc
	v_cmp_ngt_f64_e32 vcc, -1.0, v[59:60]
	v_cndmask_b32_e64 v62, v80, v62, s[4:5]
	v_cndmask_b32_e32 v62, v81, v62, vcc
	v_cmp_neq_f64_e32 vcc, -1.0, v[59:60]
	v_cndmask_b32_e32 v62, v82, v62, vcc
	v_add_f64 v[61:62], v[25:26], v[61:62]
.LBB70_139:                             ;   in Loop: Header=BB70_115 Depth=1
	s_or_b64 exec, exec, s[40:41]
	v_mov_b32_e32 v59, v61
	v_mov_b32_e32 v25, v61
	;; [unrolled: 1-line block ×4, first 2 shown]
.LBB70_140:                             ;   in Loop: Header=BB70_115 Depth=1
	s_or_b64 exec, exec, s[38:39]
	s_waitcnt lgkmcnt(1)
	ds_bpermute_b32 v61, v77, v25
	s_waitcnt lgkmcnt(1)
	ds_bpermute_b32 v62, v77, v26
	v_cmp_le_u32_e32 vcc, v78, v28
	s_and_saveexec_b64 s[38:39], vcc
	s_cbranch_execz .LBB70_144
; %bb.141:                              ;   in Loop: Header=BB70_115 Depth=1
	s_waitcnt lgkmcnt(0)
	v_max_f64 v[25:26], v[61:62], v[61:62]
	v_max_f64 v[63:64], v[59:60], v[59:60]
	v_cmp_u_f64_e32 vcc, v[61:62], v[61:62]
	v_cmp_u_f64_e64 s[4:5], v[59:60], v[59:60]
	v_min_f64 v[83:84], v[25:26], v[63:64]
	v_max_f64 v[25:26], v[25:26], v[63:64]
	v_cndmask_b32_e32 v28, v84, v62, vcc
	v_cndmask_b32_e32 v63, v83, v61, vcc
	;; [unrolled: 1-line block ×4, first 2 shown]
	v_cndmask_b32_e64 v64, v28, v60, s[4:5]
	v_cndmask_b32_e64 v63, v63, v59, s[4:5]
	;; [unrolled: 1-line block ×4, first 2 shown]
	v_cmp_neq_f64_e32 vcc, v[63:64], v[25:26]
	v_cmp_class_f64_e64 s[4:5], v[63:64], s1
	s_or_b64 s[4:5], vcc, s[4:5]
	s_and_saveexec_b64 s[40:41], s[4:5]
	s_cbranch_execz .LBB70_143
; %bb.142:                              ;   in Loop: Header=BB70_115 Depth=1
	v_add_f64 v[59:60], v[63:64], -v[25:26]
	s_mov_b32 s91, s79
	s_mov_b32 s92, s34
	;; [unrolled: 1-line block ×3, first 2 shown]
	v_mul_f64 v[61:62], v[59:60], s[30:31]
	v_cmp_nlt_f64_e32 vcc, s[74:75], v[59:60]
	v_cmp_ngt_f64_e64 s[4:5], s[76:77], v[59:60]
	v_rndne_f64_e32 v[61:62], v[61:62]
	v_fma_f64 v[63:64], v[61:62], s[34:35], v[59:60]
	v_cvt_i32_f64_e32 v28, v[61:62]
	v_fma_f64 v[63:64], v[61:62], s[54:55], v[63:64]
	v_fma_f64 v[83:84], v[63:64], s[56:57], v[55:56]
	;; [unrolled: 1-line block ×10, first 2 shown]
	v_fma_f64 v[83:84], v[63:64], v[83:84], 1.0
	v_fma_f64 v[63:64], v[63:64], v[83:84], 1.0
	v_ldexp_f64 v[61:62], v[63:64], v28
	v_cndmask_b32_e32 v28, v80, v62, vcc
	s_and_b64 vcc, s[4:5], vcc
	v_cndmask_b32_e64 v60, 0, v28, s[4:5]
	v_cndmask_b32_e32 v59, 0, v61, vcc
	v_add_f64 v[61:62], v[59:60], 1.0
	v_cmp_neq_f64_e64 s[4:5], s[36:37], v[59:60]
	v_frexp_mant_f64_e32 v[83:84], v[61:62]
	v_frexp_exp_i32_f64_e32 v28, v[61:62]
	v_add_f64 v[63:64], v[61:62], -1.0
	v_cmp_gt_f64_e32 vcc, s[78:79], v[83:84]
	v_add_f64 v[85:86], v[63:64], -v[61:62]
	v_add_f64 v[63:64], v[59:60], -v[63:64]
	v_subbrev_co_u32_e32 v28, vcc, 0, v28, vcc
	v_sub_u32_e32 v87, 0, v28
	v_ldexp_f64 v[61:62], v[61:62], v87
	v_add_f64 v[83:84], v[85:86], 1.0
	v_cmp_nge_f64_e32 vcc, -1.0, v[59:60]
	v_add_f64 v[85:86], v[61:62], 1.0
	v_add_f64 v[63:64], v[63:64], v[83:84]
	v_add_f64 v[91:92], v[61:62], -1.0
	s_and_b64 vcc, vcc, s[4:5]
	v_add_f64 v[83:84], v[85:86], -1.0
	v_ldexp_f64 v[63:64], v[63:64], v87
	v_add_f64 v[93:94], v[91:92], 1.0
	v_add_f64 v[83:84], v[61:62], -v[83:84]
	v_add_f64 v[61:62], v[61:62], -v[93:94]
	v_add_f64 v[83:84], v[63:64], v[83:84]
	v_add_f64 v[61:62], v[63:64], v[61:62]
	;; [unrolled: 1-line block ×4, first 2 shown]
	v_rcp_f64_e32 v[89:90], v[87:88]
	v_add_f64 v[85:86], v[87:88], -v[85:86]
	v_add_f64 v[91:92], v[93:94], -v[91:92]
	;; [unrolled: 1-line block ×4, first 2 shown]
	v_fma_f64 v[95:96], -v[87:88], v[89:90], 1.0
	v_fma_f64 v[89:90], v[95:96], v[89:90], v[89:90]
	v_fma_f64 v[63:64], -v[87:88], v[89:90], 1.0
	v_fma_f64 v[63:64], v[63:64], v[89:90], v[89:90]
	v_mul_f64 v[89:90], v[93:94], v[63:64]
	v_mul_f64 v[95:96], v[87:88], v[89:90]
	v_fma_f64 v[85:86], v[89:90], v[87:88], -v[95:96]
	v_fma_f64 v[85:86], v[89:90], v[83:84], v[85:86]
	v_add_f64 v[97:98], v[95:96], v[85:86]
	v_add_f64 v[99:100], v[93:94], -v[97:98]
	v_add_f64 v[91:92], v[97:98], -v[95:96]
	;; [unrolled: 1-line block ×5, first 2 shown]
	v_add_f64 v[61:62], v[61:62], v[93:94]
	v_add_f64 v[61:62], v[85:86], v[61:62]
	;; [unrolled: 1-line block ×3, first 2 shown]
	v_mul_f64 v[91:92], v[63:64], v[85:86]
	v_add_f64 v[97:98], v[99:100], -v[85:86]
	v_mul_f64 v[93:94], v[87:88], v[91:92]
	v_add_f64 v[61:62], v[61:62], v[97:98]
	v_fma_f64 v[87:88], v[91:92], v[87:88], -v[93:94]
	v_fma_f64 v[83:84], v[91:92], v[83:84], v[87:88]
	v_add_f64 v[87:88], v[93:94], v[83:84]
	v_add_f64 v[95:96], v[85:86], -v[87:88]
	v_add_f64 v[93:94], v[87:88], -v[93:94]
	;; [unrolled: 1-line block ×5, first 2 shown]
	v_add_f64 v[61:62], v[61:62], v[85:86]
	v_add_f64 v[85:86], v[89:90], v[91:92]
	;; [unrolled: 1-line block ×3, first 2 shown]
	v_add_f64 v[83:84], v[85:86], -v[89:90]
	v_add_f64 v[61:62], v[95:96], v[61:62]
	v_add_f64 v[83:84], v[91:92], -v[83:84]
	v_mul_f64 v[61:62], v[63:64], v[61:62]
	v_add_f64 v[61:62], v[83:84], v[61:62]
	v_add_f64 v[63:64], v[85:86], v[61:62]
	v_mul_f64 v[83:84], v[63:64], v[63:64]
	v_fma_f64 v[87:88], v[83:84], s[80:81], v[57:58]
	v_mul_f64 v[89:90], v[63:64], v[83:84]
	v_fma_f64 v[87:88], v[83:84], v[87:88], s[82:83]
	v_fma_f64 v[87:88], v[83:84], v[87:88], s[84:85]
	;; [unrolled: 1-line block ×5, first 2 shown]
	v_ldexp_f64 v[87:88], v[63:64], 1
	v_add_f64 v[63:64], v[63:64], -v[85:86]
	v_mul_f64 v[83:84], v[89:90], v[83:84]
	v_cvt_f64_i32_e32 v[89:90], v28
	v_add_f64 v[61:62], v[61:62], -v[63:64]
	v_mul_f64 v[91:92], v[89:90], s[92:93]
	v_add_f64 v[85:86], v[87:88], v[83:84]
	v_ldexp_f64 v[61:62], v[61:62], 1
	v_add_f64 v[63:64], v[85:86], -v[87:88]
	v_fma_f64 v[87:88], v[89:90], s[92:93], -v[91:92]
	v_add_f64 v[63:64], v[83:84], -v[63:64]
	v_fma_f64 v[83:84], v[89:90], s[94:95], v[87:88]
	v_add_f64 v[61:62], v[61:62], v[63:64]
	v_add_f64 v[63:64], v[91:92], v[83:84]
	;; [unrolled: 1-line block ×3, first 2 shown]
	v_add_f64 v[91:92], v[63:64], -v[91:92]
	v_add_f64 v[89:90], v[63:64], v[87:88]
	v_add_f64 v[85:86], v[87:88], -v[85:86]
	v_add_f64 v[83:84], v[83:84], -v[91:92]
	;; [unrolled: 1-line block ×6, first 2 shown]
	v_add_f64 v[87:88], v[83:84], v[61:62]
	v_add_f64 v[63:64], v[63:64], -v[95:96]
	v_add_f64 v[63:64], v[85:86], v[63:64]
	v_add_f64 v[85:86], v[87:88], -v[83:84]
	;; [unrolled: 2-line block ×3, first 2 shown]
	v_add_f64 v[61:62], v[61:62], -v[85:86]
	v_add_f64 v[91:92], v[89:90], v[63:64]
	v_add_f64 v[83:84], v[83:84], -v[87:88]
	v_add_f64 v[85:86], v[91:92], -v[89:90]
	v_add_f64 v[61:62], v[61:62], v[83:84]
	v_add_f64 v[63:64], v[63:64], -v[85:86]
	v_add_f64 v[61:62], v[61:62], v[63:64]
	v_add_f64 v[61:62], v[91:92], v[61:62]
	v_cndmask_b32_e32 v61, 0, v61, vcc
	v_cmp_ngt_f64_e32 vcc, -1.0, v[59:60]
	v_cndmask_b32_e64 v28, v80, v62, s[4:5]
	v_cndmask_b32_e32 v28, v81, v28, vcc
	v_cmp_neq_f64_e32 vcc, -1.0, v[59:60]
	v_cndmask_b32_e32 v62, v82, v28, vcc
	v_add_f64 v[61:62], v[25:26], v[61:62]
.LBB70_143:                             ;   in Loop: Header=BB70_115 Depth=1
	s_or_b64 exec, exec, s[40:41]
	v_mov_b32_e32 v59, v61
	v_mov_b32_e32 v60, v62
.LBB70_144:                             ;   in Loop: Header=BB70_115 Depth=1
	s_or_b64 exec, exec, s[38:39]
	v_max_f64 v[25:26], v[53:54], v[53:54]
	s_waitcnt lgkmcnt(0)
	v_max_f64 v[61:62], v[59:60], v[59:60]
	v_cmp_u_f64_e32 vcc, v[59:60], v[59:60]
	v_cmp_u_f64_e64 s[4:5], v[53:54], v[53:54]
	v_min_f64 v[63:64], v[61:62], v[25:26]
	v_max_f64 v[25:26], v[61:62], v[25:26]
	v_cndmask_b32_e32 v28, v63, v59, vcc
	v_cndmask_b32_e32 v61, v64, v60, vcc
	;; [unrolled: 1-line block ×4, first 2 shown]
	v_cndmask_b32_e64 v62, v61, v54, s[4:5]
	v_cndmask_b32_e64 v61, v28, v53, s[4:5]
	;; [unrolled: 1-line block ×4, first 2 shown]
	v_cmp_neq_f64_e32 vcc, v[61:62], v[25:26]
	v_cmp_class_f64_e64 s[4:5], v[61:62], s1
	s_or_b64 s[4:5], vcc, s[4:5]
	s_and_saveexec_b64 s[38:39], s[4:5]
	s_xor_b64 s[38:39], exec, s[38:39]
	s_cbranch_execz .LBB70_113
; %bb.145:                              ;   in Loop: Header=BB70_115 Depth=1
	v_add_f64 v[59:60], v[61:62], -v[25:26]
	s_mov_b32 s91, s79
	s_mov_b32 s92, s34
	;; [unrolled: 1-line block ×3, first 2 shown]
	v_mul_f64 v[61:62], v[59:60], s[30:31]
	v_cmp_nlt_f64_e32 vcc, s[74:75], v[59:60]
	v_cmp_ngt_f64_e64 s[4:5], s[76:77], v[59:60]
	v_rndne_f64_e32 v[61:62], v[61:62]
	v_fma_f64 v[63:64], v[61:62], s[34:35], v[59:60]
	v_cvt_i32_f64_e32 v28, v[61:62]
	v_fma_f64 v[63:64], v[61:62], s[54:55], v[63:64]
	v_fma_f64 v[83:84], v[63:64], s[56:57], v[55:56]
	;; [unrolled: 1-line block ×10, first 2 shown]
	v_fma_f64 v[83:84], v[63:64], v[83:84], 1.0
	v_fma_f64 v[63:64], v[63:64], v[83:84], 1.0
	v_ldexp_f64 v[61:62], v[63:64], v28
	v_cndmask_b32_e32 v28, v80, v62, vcc
	s_and_b64 vcc, s[4:5], vcc
	v_cndmask_b32_e64 v60, 0, v28, s[4:5]
	v_cndmask_b32_e32 v59, 0, v61, vcc
	v_add_f64 v[61:62], v[59:60], 1.0
	v_cmp_neq_f64_e64 s[4:5], s[36:37], v[59:60]
	v_frexp_mant_f64_e32 v[83:84], v[61:62]
	v_frexp_exp_i32_f64_e32 v28, v[61:62]
	v_add_f64 v[63:64], v[61:62], -1.0
	v_cmp_gt_f64_e32 vcc, s[78:79], v[83:84]
	v_add_f64 v[85:86], v[63:64], -v[61:62]
	v_add_f64 v[63:64], v[59:60], -v[63:64]
	v_subbrev_co_u32_e32 v28, vcc, 0, v28, vcc
	v_sub_u32_e32 v87, 0, v28
	v_ldexp_f64 v[61:62], v[61:62], v87
	v_add_f64 v[83:84], v[85:86], 1.0
	v_cmp_nge_f64_e32 vcc, -1.0, v[59:60]
	v_add_f64 v[85:86], v[61:62], 1.0
	v_add_f64 v[63:64], v[63:64], v[83:84]
	v_add_f64 v[91:92], v[61:62], -1.0
	s_and_b64 vcc, vcc, s[4:5]
	v_add_f64 v[83:84], v[85:86], -1.0
	v_ldexp_f64 v[63:64], v[63:64], v87
	v_add_f64 v[93:94], v[91:92], 1.0
	v_add_f64 v[83:84], v[61:62], -v[83:84]
	v_add_f64 v[61:62], v[61:62], -v[93:94]
	v_add_f64 v[83:84], v[63:64], v[83:84]
	v_add_f64 v[61:62], v[63:64], v[61:62]
	;; [unrolled: 1-line block ×4, first 2 shown]
	v_rcp_f64_e32 v[89:90], v[87:88]
	v_add_f64 v[85:86], v[87:88], -v[85:86]
	v_add_f64 v[91:92], v[93:94], -v[91:92]
	;; [unrolled: 1-line block ×4, first 2 shown]
	v_fma_f64 v[95:96], -v[87:88], v[89:90], 1.0
	v_fma_f64 v[89:90], v[95:96], v[89:90], v[89:90]
	v_fma_f64 v[63:64], -v[87:88], v[89:90], 1.0
	v_fma_f64 v[63:64], v[63:64], v[89:90], v[89:90]
	v_mul_f64 v[89:90], v[93:94], v[63:64]
	v_mul_f64 v[95:96], v[87:88], v[89:90]
	v_fma_f64 v[85:86], v[89:90], v[87:88], -v[95:96]
	v_fma_f64 v[85:86], v[89:90], v[83:84], v[85:86]
	v_add_f64 v[97:98], v[95:96], v[85:86]
	v_add_f64 v[99:100], v[93:94], -v[97:98]
	v_add_f64 v[91:92], v[97:98], -v[95:96]
	;; [unrolled: 1-line block ×5, first 2 shown]
	v_add_f64 v[61:62], v[61:62], v[93:94]
	v_add_f64 v[61:62], v[85:86], v[61:62]
	;; [unrolled: 1-line block ×3, first 2 shown]
	v_mul_f64 v[91:92], v[63:64], v[85:86]
	v_add_f64 v[97:98], v[99:100], -v[85:86]
	v_mul_f64 v[93:94], v[87:88], v[91:92]
	v_add_f64 v[61:62], v[61:62], v[97:98]
	v_fma_f64 v[87:88], v[91:92], v[87:88], -v[93:94]
	v_fma_f64 v[83:84], v[91:92], v[83:84], v[87:88]
	v_add_f64 v[87:88], v[93:94], v[83:84]
	v_add_f64 v[95:96], v[85:86], -v[87:88]
	v_add_f64 v[93:94], v[87:88], -v[93:94]
	;; [unrolled: 1-line block ×5, first 2 shown]
	v_add_f64 v[61:62], v[61:62], v[85:86]
	v_add_f64 v[85:86], v[89:90], v[91:92]
	;; [unrolled: 1-line block ×3, first 2 shown]
	v_add_f64 v[83:84], v[85:86], -v[89:90]
	v_add_f64 v[61:62], v[95:96], v[61:62]
	v_add_f64 v[83:84], v[91:92], -v[83:84]
	v_mul_f64 v[61:62], v[63:64], v[61:62]
	v_add_f64 v[61:62], v[83:84], v[61:62]
	v_add_f64 v[63:64], v[85:86], v[61:62]
	v_mul_f64 v[83:84], v[63:64], v[63:64]
	v_fma_f64 v[87:88], v[83:84], s[80:81], v[57:58]
	v_mul_f64 v[89:90], v[63:64], v[83:84]
	v_fma_f64 v[87:88], v[83:84], v[87:88], s[82:83]
	v_fma_f64 v[87:88], v[83:84], v[87:88], s[84:85]
	;; [unrolled: 1-line block ×5, first 2 shown]
	v_ldexp_f64 v[87:88], v[63:64], 1
	v_add_f64 v[63:64], v[63:64], -v[85:86]
	v_mul_f64 v[83:84], v[89:90], v[83:84]
	v_cvt_f64_i32_e32 v[89:90], v28
	v_add_f64 v[61:62], v[61:62], -v[63:64]
	v_mul_f64 v[91:92], v[89:90], s[92:93]
	v_add_f64 v[85:86], v[87:88], v[83:84]
	v_ldexp_f64 v[61:62], v[61:62], 1
	v_add_f64 v[63:64], v[85:86], -v[87:88]
	v_fma_f64 v[87:88], v[89:90], s[92:93], -v[91:92]
	v_add_f64 v[63:64], v[83:84], -v[63:64]
	v_fma_f64 v[83:84], v[89:90], s[94:95], v[87:88]
	v_add_f64 v[61:62], v[61:62], v[63:64]
	v_add_f64 v[63:64], v[91:92], v[83:84]
	;; [unrolled: 1-line block ×3, first 2 shown]
	v_add_f64 v[91:92], v[63:64], -v[91:92]
	v_add_f64 v[89:90], v[63:64], v[87:88]
	v_add_f64 v[85:86], v[87:88], -v[85:86]
	v_add_f64 v[83:84], v[83:84], -v[91:92]
	;; [unrolled: 1-line block ×6, first 2 shown]
	v_add_f64 v[87:88], v[83:84], v[61:62]
	v_add_f64 v[63:64], v[63:64], -v[95:96]
	v_add_f64 v[63:64], v[85:86], v[63:64]
	v_add_f64 v[85:86], v[87:88], -v[83:84]
	;; [unrolled: 2-line block ×3, first 2 shown]
	v_add_f64 v[61:62], v[61:62], -v[85:86]
	v_add_f64 v[91:92], v[89:90], v[63:64]
	v_add_f64 v[83:84], v[83:84], -v[87:88]
	v_add_f64 v[85:86], v[91:92], -v[89:90]
	v_add_f64 v[61:62], v[61:62], v[83:84]
	v_add_f64 v[63:64], v[63:64], -v[85:86]
	v_add_f64 v[61:62], v[61:62], v[63:64]
	v_add_f64 v[61:62], v[91:92], v[61:62]
	v_cndmask_b32_e32 v61, 0, v61, vcc
	v_cmp_ngt_f64_e32 vcc, -1.0, v[59:60]
	v_cndmask_b32_e64 v28, v80, v62, s[4:5]
	v_cndmask_b32_e32 v28, v81, v28, vcc
	v_cmp_neq_f64_e32 vcc, -1.0, v[59:60]
	v_cndmask_b32_e32 v62, v82, v28, vcc
	v_add_f64 v[59:60], v[25:26], v[61:62]
	s_branch .LBB70_113
.LBB70_146:
                                        ; implicit-def: $vgpr21_vgpr22
                                        ; implicit-def: $vgpr25_vgpr26
                                        ; implicit-def: $vgpr29_vgpr30
                                        ; implicit-def: $vgpr33_vgpr34
                                        ; implicit-def: $vgpr37_vgpr38
	s_cbranch_execnz .LBB70_178
	s_branch .LBB70_257
.LBB70_147:
	s_and_saveexec_b64 s[30:31], s[26:27]
	s_cbranch_execz .LBB70_151
; %bb.148:
	v_max_f64 v[23:24], v[21:22], v[21:22]
	v_max_f64 v[25:26], v[53:54], v[53:54]
	v_cmp_u_f64_e32 vcc, v[53:54], v[53:54]
	v_cmp_u_f64_e64 s[4:5], v[21:22], v[21:22]
	s_movk_i32 s1, 0x1f8
	v_min_f64 v[27:28], v[25:26], v[23:24]
	v_max_f64 v[23:24], v[25:26], v[23:24]
	v_cndmask_b32_e32 v25, v27, v53, vcc
	v_cndmask_b32_e32 v26, v28, v54, vcc
	;; [unrolled: 1-line block ×4, first 2 shown]
	v_cndmask_b32_e64 v26, v26, v22, s[4:5]
	v_cndmask_b32_e64 v25, v25, v21, s[4:5]
	;; [unrolled: 1-line block ×4, first 2 shown]
	v_cmp_neq_f64_e32 vcc, v[25:26], v[23:24]
	v_cmp_class_f64_e64 s[4:5], v[25:26], s1
	v_mov_b32_e32 v21, v53
	v_mov_b32_e32 v22, v54
	s_or_b64 s[4:5], vcc, s[4:5]
	s_and_saveexec_b64 s[26:27], s[4:5]
	s_cbranch_execz .LBB70_150
; %bb.149:
	v_add_f64 v[21:22], v[25:26], -v[23:24]
	s_mov_b32 s4, 0x652b82fe
	s_mov_b32 s5, 0x3ff71547
	;; [unrolled: 1-line block ×6, first 2 shown]
	v_mov_b32_e32 v51, 0xfca7ab0c
	v_mul_f64 v[25:26], v[21:22], s[4:5]
	s_mov_b32 s4, 0x6a5dcb37
	v_mov_b32_e32 v52, 0x3e928af3
	s_mov_b32 s5, 0x3e5ade15
	s_mov_b32 s38, 0
	;; [unrolled: 1-line block ×3, first 2 shown]
	v_mov_b32_e32 v73, 0x7ff00000
	v_rndne_f64_e32 v[25:26], v[25:26]
	v_fma_f64 v[27:28], v[25:26], s[34:35], v[21:22]
	s_mov_b32 s35, 0x3fe62e42
	v_fma_f64 v[27:28], v[25:26], s[36:37], v[27:28]
	v_cvt_i32_f64_e32 v25, v[25:26]
	s_mov_b32 s37, 0x3c7abc9e
	v_fma_f64 v[51:52], v[27:28], s[4:5], v[51:52]
	s_mov_b32 s4, 0x623fde64
	s_mov_b32 s5, 0x3ec71dee
	v_fma_f64 v[51:52], v[27:28], v[51:52], s[4:5]
	s_mov_b32 s4, 0x7c89e6b0
	;; [unrolled: 3-line block ×9, first 2 shown]
	s_mov_b32 s5, 0x40900000
	v_cmp_nlt_f64_e32 vcc, s[4:5], v[21:22]
	v_cmp_ngt_f64_e64 s[4:5], s[38:39], v[21:22]
	s_mov_b32 s38, 0xbf559e2b
	s_mov_b32 s39, 0x3fc3ab76
	v_fma_f64 v[51:52], v[27:28], v[51:52], 1.0
	v_fma_f64 v[27:28], v[27:28], v[51:52], 1.0
	v_ldexp_f64 v[25:26], v[27:28], v25
	v_cndmask_b32_e32 v26, v73, v26, vcc
	s_and_b64 vcc, s[4:5], vcc
	v_cndmask_b32_e64 v22, 0, v26, s[4:5]
	v_cndmask_b32_e32 v21, 0, v25, vcc
	v_add_f64 v[25:26], v[21:22], 1.0
	s_mov_b32 s5, 0x3fe55555
	s_mov_b32 s4, 0x55555555
	v_frexp_mant_f64_e32 v[51:52], v[25:26]
	v_frexp_exp_i32_f64_e32 v57, v[25:26]
	v_add_f64 v[27:28], v[25:26], -1.0
	v_cmp_gt_f64_e32 vcc, s[4:5], v[51:52]
	s_mov_b32 s4, 0x55555780
	v_add_f64 v[55:56], v[27:28], -v[25:26]
	v_add_f64 v[27:28], v[21:22], -v[27:28]
	v_subbrev_co_u32_e32 v74, vcc, 0, v57, vcc
	v_sub_u32_e32 v57, 0, v74
	v_ldexp_f64 v[25:26], v[25:26], v57
	v_add_f64 v[51:52], v[55:56], 1.0
	v_cmp_nge_f64_e32 vcc, -1.0, v[21:22]
	v_add_f64 v[55:56], v[25:26], 1.0
	v_add_f64 v[27:28], v[27:28], v[51:52]
	v_add_f64 v[61:62], v[25:26], -1.0
	v_add_f64 v[51:52], v[55:56], -1.0
	v_ldexp_f64 v[27:28], v[27:28], v57
	v_add_f64 v[63:64], v[61:62], 1.0
	v_add_f64 v[51:52], v[25:26], -v[51:52]
	v_add_f64 v[25:26], v[25:26], -v[63:64]
	v_add_f64 v[51:52], v[27:28], v[51:52]
	v_add_f64 v[25:26], v[27:28], v[25:26]
	;; [unrolled: 1-line block ×4, first 2 shown]
	v_rcp_f64_e32 v[59:60], v[57:58]
	v_add_f64 v[55:56], v[57:58], -v[55:56]
	v_add_f64 v[61:62], v[63:64], -v[61:62]
	;; [unrolled: 1-line block ×4, first 2 shown]
	v_fma_f64 v[67:68], -v[57:58], v[59:60], 1.0
	v_fma_f64 v[59:60], v[67:68], v[59:60], v[59:60]
	v_fma_f64 v[27:28], -v[57:58], v[59:60], 1.0
	v_fma_f64 v[27:28], v[27:28], v[59:60], v[59:60]
	v_mul_f64 v[59:60], v[63:64], v[27:28]
	v_mul_f64 v[67:68], v[57:58], v[59:60]
	v_fma_f64 v[55:56], v[59:60], v[57:58], -v[67:68]
	v_fma_f64 v[55:56], v[59:60], v[51:52], v[55:56]
	v_add_f64 v[69:70], v[67:68], v[55:56]
	v_add_f64 v[71:72], v[63:64], -v[69:70]
	v_add_f64 v[61:62], v[69:70], -v[67:68]
	;; [unrolled: 1-line block ×5, first 2 shown]
	v_add_f64 v[25:26], v[25:26], v[63:64]
	v_add_f64 v[25:26], v[55:56], v[25:26]
	;; [unrolled: 1-line block ×3, first 2 shown]
	v_mul_f64 v[61:62], v[27:28], v[55:56]
	v_add_f64 v[69:70], v[71:72], -v[55:56]
	v_mul_f64 v[63:64], v[57:58], v[61:62]
	v_add_f64 v[25:26], v[25:26], v[69:70]
	v_fma_f64 v[57:58], v[61:62], v[57:58], -v[63:64]
	v_fma_f64 v[51:52], v[61:62], v[51:52], v[57:58]
	v_add_f64 v[57:58], v[63:64], v[51:52]
	v_add_f64 v[67:68], v[55:56], -v[57:58]
	v_add_f64 v[63:64], v[57:58], -v[63:64]
	;; [unrolled: 1-line block ×5, first 2 shown]
	v_mov_b32_e32 v57, 0x6b47b09a
	v_mov_b32_e32 v58, 0x3fc38538
	v_add_f64 v[25:26], v[25:26], v[55:56]
	v_add_f64 v[55:56], v[59:60], v[61:62]
	;; [unrolled: 1-line block ×3, first 2 shown]
	v_add_f64 v[51:52], v[55:56], -v[59:60]
	v_add_f64 v[25:26], v[67:68], v[25:26]
	v_add_f64 v[51:52], v[61:62], -v[51:52]
	v_mul_f64 v[25:26], v[27:28], v[25:26]
	v_add_f64 v[25:26], v[51:52], v[25:26]
	v_add_f64 v[27:28], v[55:56], v[25:26]
	v_mul_f64 v[51:52], v[27:28], v[27:28]
	v_fma_f64 v[57:58], v[51:52], s[38:39], v[57:58]
	s_mov_b32 s38, 0xd7f4df2e
	s_mov_b32 s39, 0x3fc7474d
	v_mul_f64 v[59:60], v[27:28], v[51:52]
	v_fma_f64 v[57:58], v[51:52], v[57:58], s[38:39]
	s_mov_b32 s38, 0x16291751
	s_mov_b32 s39, 0x3fcc71c0
	v_fma_f64 v[57:58], v[51:52], v[57:58], s[38:39]
	s_mov_b32 s38, 0x9b27acf1
	s_mov_b32 s39, 0x3fd24924
	;; [unrolled: 3-line block ×3, first 2 shown]
	v_fma_f64 v[57:58], v[51:52], v[57:58], s[38:39]
	v_fma_f64 v[51:52], v[51:52], v[57:58], s[4:5]
	v_ldexp_f64 v[57:58], v[27:28], 1
	v_add_f64 v[27:28], v[27:28], -v[55:56]
	s_mov_b32 s4, 0
	s_mov_b32 s5, 0x7ff00000
	v_cmp_neq_f64_e64 s[4:5], s[4:5], v[21:22]
	v_mul_f64 v[51:52], v[59:60], v[51:52]
	v_cvt_f64_i32_e32 v[59:60], v74
	v_add_f64 v[25:26], v[25:26], -v[27:28]
	v_mul_f64 v[61:62], v[59:60], s[34:35]
	s_and_b64 vcc, vcc, s[4:5]
	v_add_f64 v[55:56], v[57:58], v[51:52]
	v_ldexp_f64 v[25:26], v[25:26], 1
	v_add_f64 v[27:28], v[55:56], -v[57:58]
	v_fma_f64 v[57:58], v[59:60], s[34:35], -v[61:62]
	v_add_f64 v[27:28], v[51:52], -v[27:28]
	v_fma_f64 v[51:52], v[59:60], s[36:37], v[57:58]
	v_add_f64 v[25:26], v[25:26], v[27:28]
	v_add_f64 v[27:28], v[61:62], v[51:52]
	v_add_f64 v[57:58], v[55:56], v[25:26]
	v_add_f64 v[61:62], v[27:28], -v[61:62]
	v_add_f64 v[59:60], v[27:28], v[57:58]
	v_add_f64 v[55:56], v[57:58], -v[55:56]
	v_add_f64 v[51:52], v[51:52], -v[61:62]
	;; [unrolled: 1-line block ×6, first 2 shown]
	v_add_f64 v[57:58], v[51:52], v[25:26]
	v_add_f64 v[27:28], v[27:28], -v[67:68]
	v_add_f64 v[27:28], v[55:56], v[27:28]
	v_add_f64 v[55:56], v[57:58], -v[51:52]
	;; [unrolled: 2-line block ×3, first 2 shown]
	v_add_f64 v[25:26], v[25:26], -v[55:56]
	v_add_f64 v[61:62], v[59:60], v[27:28]
	v_add_f64 v[51:52], v[51:52], -v[57:58]
	v_add_f64 v[55:56], v[61:62], -v[59:60]
	v_add_f64 v[25:26], v[25:26], v[51:52]
	v_add_f64 v[27:28], v[27:28], -v[55:56]
	v_add_f64 v[25:26], v[25:26], v[27:28]
	v_mov_b32_e32 v27, 0x7ff80000
	v_mov_b32_e32 v28, 0xfff00000
	v_add_f64 v[25:26], v[61:62], v[25:26]
	v_cndmask_b32_e32 v25, 0, v25, vcc
	v_cmp_ngt_f64_e32 vcc, -1.0, v[21:22]
	v_cndmask_b32_e64 v26, v73, v26, s[4:5]
	v_cndmask_b32_e32 v26, v27, v26, vcc
	v_cmp_neq_f64_e32 vcc, -1.0, v[21:22]
	v_cndmask_b32_e32 v26, v28, v26, vcc
	v_add_f64 v[21:22], v[23:24], v[25:26]
.LBB70_150:
	s_or_b64 exec, exec, s[26:27]
	s_add_i32 s0, s0, 64
	s_mov_b32 s1, 0
	s_lshl_b64 s[0:1], s[0:1], 4
	s_add_u32 s0, s52, s0
	s_addc_u32 s1, s53, s1
	v_mov_b32_e32 v26, s1
	v_mov_b32_e32 v23, 2
	;; [unrolled: 1-line block ×4, first 2 shown]
	;;#ASMSTART
	global_store_dwordx4 v[25:26], v[21:24] off	
s_waitcnt vmcnt(0)
	;;#ASMEND
.LBB70_151:
	s_or_b64 exec, exec, s[30:31]
	s_and_b64 exec, exec, s[28:29]
; %bb.152:
	v_mov_b32_e32 v21, 0
	ds_write_b64 v21, v[53:54]
.LBB70_153:
	s_or_b64 exec, exec, s[50:51]
	v_mov_b32_e32 v21, 0
	s_waitcnt lgkmcnt(0)
	s_barrier
	ds_read_b64 v[21:22], v21
	v_mov_b32_e32 v24, v2
	v_mov_b32_e32 v23, v1
	s_and_saveexec_b64 s[26:27], s[2:3]
	s_cbranch_execz .LBB70_157
; %bb.154:
	v_max_f64 v[23:24], v[49:50], v[49:50]
	v_cmp_u_f64_e32 vcc, v[49:50], v[49:50]
	s_movk_i32 s0, 0x1f8
	v_min_f64 v[25:26], v[23:24], v[47:48]
	v_max_f64 v[23:24], v[23:24], v[47:48]
	v_cndmask_b32_e32 v25, v25, v49, vcc
	v_cndmask_b32_e32 v26, v26, v50, vcc
	;; [unrolled: 1-line block ×4, first 2 shown]
	v_cndmask_b32_e64 v26, v26, v2, s[24:25]
	v_cndmask_b32_e64 v25, v25, v1, s[24:25]
	;; [unrolled: 1-line block ×4, first 2 shown]
	v_cmp_neq_f64_e32 vcc, v[25:26], v[23:24]
	v_cmp_class_f64_e64 s[0:1], v[25:26], s0
	s_or_b64 s[0:1], vcc, s[0:1]
	s_and_saveexec_b64 s[24:25], s[0:1]
	s_cbranch_execz .LBB70_156
; %bb.155:
	v_add_f64 v[25:26], v[25:26], -v[23:24]
	s_mov_b32 s0, 0x652b82fe
	s_mov_b32 s1, 0x3ff71547
	;; [unrolled: 1-line block ×6, first 2 shown]
	v_mov_b32_e32 v49, 0xfca7ab0c
	v_mul_f64 v[27:28], v[25:26], s[0:1]
	s_mov_b32 s0, 0x6a5dcb37
	v_mov_b32_e32 v50, 0x3e928af3
	s_mov_b32 s1, 0x3e5ade15
	s_mov_b32 s4, 0
	;; [unrolled: 1-line block ×3, first 2 shown]
	v_cmp_ngt_f64_e64 s[4:5], s[4:5], v[25:26]
	v_mov_b32_e32 v69, 0x7ff00000
	v_rndne_f64_e32 v[27:28], v[27:28]
	v_fma_f64 v[47:48], v[27:28], s[30:31], v[25:26]
	s_mov_b32 s31, 0x3fe62e42
	v_fma_f64 v[47:48], v[27:28], s[34:35], v[47:48]
	v_cvt_i32_f64_e32 v27, v[27:28]
	s_mov_b32 s35, 0x3c7abc9e
	v_fma_f64 v[49:50], v[47:48], s[0:1], v[49:50]
	s_mov_b32 s0, 0x623fde64
	s_mov_b32 s1, 0x3ec71dee
	v_fma_f64 v[49:50], v[47:48], v[49:50], s[0:1]
	s_mov_b32 s0, 0x7c89e6b0
	;; [unrolled: 3-line block ×9, first 2 shown]
	s_mov_b32 s1, 0x40900000
	v_cmp_nlt_f64_e32 vcc, s[0:1], v[25:26]
	s_mov_b32 s0, 0xbf559e2b
	s_mov_b32 s1, 0x3fc3ab76
	v_fma_f64 v[49:50], v[47:48], v[49:50], 1.0
	v_fma_f64 v[47:48], v[47:48], v[49:50], 1.0
	v_ldexp_f64 v[27:28], v[47:48], v27
	v_cndmask_b32_e32 v28, v69, v28, vcc
	s_and_b64 vcc, s[4:5], vcc
	v_cndmask_b32_e64 v26, 0, v28, s[4:5]
	v_cndmask_b32_e32 v25, 0, v27, vcc
	v_add_f64 v[27:28], v[25:26], 1.0
	s_mov_b32 s5, 0x3fe55555
	s_mov_b32 s4, 0x55555555
	v_frexp_mant_f64_e32 v[49:50], v[27:28]
	v_frexp_exp_i32_f64_e32 v53, v[27:28]
	v_add_f64 v[47:48], v[27:28], -1.0
	v_cmp_gt_f64_e32 vcc, s[4:5], v[49:50]
	s_mov_b32 s4, 0x55555780
	v_add_f64 v[51:52], v[47:48], -v[27:28]
	v_add_f64 v[47:48], v[25:26], -v[47:48]
	v_subbrev_co_u32_e32 v70, vcc, 0, v53, vcc
	v_sub_u32_e32 v53, 0, v70
	v_ldexp_f64 v[27:28], v[27:28], v53
	v_add_f64 v[49:50], v[51:52], 1.0
	v_cmp_nge_f64_e32 vcc, -1.0, v[25:26]
	v_add_f64 v[51:52], v[27:28], 1.0
	v_add_f64 v[47:48], v[47:48], v[49:50]
	v_add_f64 v[57:58], v[27:28], -1.0
	v_add_f64 v[49:50], v[51:52], -1.0
	v_ldexp_f64 v[47:48], v[47:48], v53
	v_add_f64 v[59:60], v[57:58], 1.0
	v_add_f64 v[49:50], v[27:28], -v[49:50]
	v_add_f64 v[27:28], v[27:28], -v[59:60]
	v_add_f64 v[49:50], v[47:48], v[49:50]
	v_add_f64 v[27:28], v[47:48], v[27:28]
	;; [unrolled: 1-line block ×4, first 2 shown]
	v_rcp_f64_e32 v[55:56], v[53:54]
	v_add_f64 v[51:52], v[53:54], -v[51:52]
	v_add_f64 v[57:58], v[59:60], -v[57:58]
	;; [unrolled: 1-line block ×4, first 2 shown]
	v_fma_f64 v[61:62], -v[53:54], v[55:56], 1.0
	v_fma_f64 v[55:56], v[61:62], v[55:56], v[55:56]
	v_fma_f64 v[47:48], -v[53:54], v[55:56], 1.0
	v_fma_f64 v[47:48], v[47:48], v[55:56], v[55:56]
	v_mul_f64 v[55:56], v[59:60], v[47:48]
	v_mul_f64 v[61:62], v[53:54], v[55:56]
	v_fma_f64 v[51:52], v[55:56], v[53:54], -v[61:62]
	v_fma_f64 v[51:52], v[55:56], v[49:50], v[51:52]
	v_add_f64 v[63:64], v[61:62], v[51:52]
	v_add_f64 v[67:68], v[59:60], -v[63:64]
	v_add_f64 v[57:58], v[63:64], -v[61:62]
	v_add_f64 v[59:60], v[59:60], -v[67:68]
	v_add_f64 v[51:52], v[57:58], -v[51:52]
	v_add_f64 v[59:60], v[59:60], -v[63:64]
	v_add_f64 v[27:28], v[27:28], v[59:60]
	v_add_f64 v[27:28], v[51:52], v[27:28]
	;; [unrolled: 1-line block ×3, first 2 shown]
	v_mul_f64 v[57:58], v[47:48], v[51:52]
	v_add_f64 v[63:64], v[67:68], -v[51:52]
	v_mul_f64 v[59:60], v[53:54], v[57:58]
	v_add_f64 v[27:28], v[27:28], v[63:64]
	v_fma_f64 v[53:54], v[57:58], v[53:54], -v[59:60]
	v_fma_f64 v[49:50], v[57:58], v[49:50], v[53:54]
	v_add_f64 v[53:54], v[59:60], v[49:50]
	v_add_f64 v[61:62], v[51:52], -v[53:54]
	v_add_f64 v[59:60], v[53:54], -v[59:60]
	;; [unrolled: 1-line block ×5, first 2 shown]
	v_mov_b32_e32 v53, 0x6b47b09a
	v_mov_b32_e32 v54, 0x3fc38538
	v_add_f64 v[27:28], v[27:28], v[51:52]
	v_add_f64 v[51:52], v[55:56], v[57:58]
	;; [unrolled: 1-line block ×3, first 2 shown]
	v_add_f64 v[49:50], v[51:52], -v[55:56]
	v_add_f64 v[27:28], v[61:62], v[27:28]
	v_add_f64 v[49:50], v[57:58], -v[49:50]
	v_mul_f64 v[27:28], v[47:48], v[27:28]
	v_add_f64 v[27:28], v[49:50], v[27:28]
	v_add_f64 v[47:48], v[51:52], v[27:28]
	v_mul_f64 v[49:50], v[47:48], v[47:48]
	v_fma_f64 v[53:54], v[49:50], s[0:1], v[53:54]
	s_mov_b32 s0, 0xd7f4df2e
	s_mov_b32 s1, 0x3fc7474d
	v_mul_f64 v[55:56], v[47:48], v[49:50]
	v_fma_f64 v[53:54], v[49:50], v[53:54], s[0:1]
	s_mov_b32 s0, 0x16291751
	s_mov_b32 s1, 0x3fcc71c0
	v_fma_f64 v[53:54], v[49:50], v[53:54], s[0:1]
	s_mov_b32 s0, 0x9b27acf1
	s_mov_b32 s1, 0x3fd24924
	;; [unrolled: 3-line block ×4, first 2 shown]
	v_fma_f64 v[49:50], v[49:50], v[53:54], s[4:5]
	v_ldexp_f64 v[53:54], v[47:48], 1
	v_add_f64 v[47:48], v[47:48], -v[51:52]
	v_cmp_neq_f64_e64 s[4:5], s[0:1], v[25:26]
	v_mul_f64 v[49:50], v[55:56], v[49:50]
	v_cvt_f64_i32_e32 v[55:56], v70
	v_add_f64 v[27:28], v[27:28], -v[47:48]
	s_and_b64 vcc, vcc, s[4:5]
	v_mul_f64 v[57:58], v[55:56], s[30:31]
	v_add_f64 v[51:52], v[53:54], v[49:50]
	v_ldexp_f64 v[27:28], v[27:28], 1
	v_add_f64 v[47:48], v[51:52], -v[53:54]
	v_fma_f64 v[53:54], v[55:56], s[30:31], -v[57:58]
	v_add_f64 v[47:48], v[49:50], -v[47:48]
	v_fma_f64 v[49:50], v[55:56], s[34:35], v[53:54]
	v_add_f64 v[27:28], v[27:28], v[47:48]
	v_add_f64 v[47:48], v[57:58], v[49:50]
	v_add_f64 v[53:54], v[51:52], v[27:28]
	v_add_f64 v[57:58], v[47:48], -v[57:58]
	v_add_f64 v[55:56], v[47:48], v[53:54]
	v_add_f64 v[51:52], v[53:54], -v[51:52]
	v_add_f64 v[49:50], v[49:50], -v[57:58]
	;; [unrolled: 1-line block ×6, first 2 shown]
	v_add_f64 v[53:54], v[49:50], v[27:28]
	v_add_f64 v[47:48], v[47:48], -v[61:62]
	v_add_f64 v[47:48], v[51:52], v[47:48]
	v_add_f64 v[51:52], v[53:54], -v[49:50]
	;; [unrolled: 2-line block ×3, first 2 shown]
	v_add_f64 v[27:28], v[27:28], -v[51:52]
	v_add_f64 v[57:58], v[55:56], v[47:48]
	v_add_f64 v[49:50], v[49:50], -v[53:54]
	v_add_f64 v[51:52], v[57:58], -v[55:56]
	v_add_f64 v[27:28], v[27:28], v[49:50]
	v_add_f64 v[47:48], v[47:48], -v[51:52]
	v_add_f64 v[27:28], v[27:28], v[47:48]
	v_mov_b32_e32 v47, 0x7ff80000
	v_mov_b32_e32 v48, 0xfff00000
	v_add_f64 v[27:28], v[57:58], v[27:28]
	v_cndmask_b32_e32 v27, 0, v27, vcc
	v_cmp_ngt_f64_e32 vcc, -1.0, v[25:26]
	v_cndmask_b32_e64 v28, v69, v28, s[4:5]
	v_cndmask_b32_e32 v28, v47, v28, vcc
	v_cmp_neq_f64_e32 vcc, -1.0, v[25:26]
	v_cndmask_b32_e32 v28, v48, v28, vcc
	v_add_f64 v[49:50], v[23:24], v[27:28]
.LBB70_156:
	s_or_b64 exec, exec, s[24:25]
	v_mov_b32_e32 v23, v49
	v_mov_b32_e32 v24, v50
.LBB70_157:
	s_or_b64 exec, exec, s[26:27]
	v_max_f64 v[25:26], v[23:24], v[23:24]
	s_waitcnt lgkmcnt(0)
	v_max_f64 v[27:28], v[21:22], v[21:22]
	v_cmp_u_f64_e32 vcc, v[21:22], v[21:22]
	v_cmp_u_f64_e64 s[4:5], v[23:24], v[23:24]
	s_movk_i32 s0, 0x1f8
	v_min_f64 v[47:48], v[27:28], v[25:26]
	v_max_f64 v[25:26], v[27:28], v[25:26]
	v_cndmask_b32_e32 v27, v47, v21, vcc
	v_cndmask_b32_e32 v28, v48, v22, vcc
	;; [unrolled: 1-line block ×4, first 2 shown]
	v_cndmask_b32_e64 v26, v28, v24, s[4:5]
	v_cndmask_b32_e64 v25, v27, v23, s[4:5]
	;; [unrolled: 1-line block ×4, first 2 shown]
	v_cmp_neq_f64_e32 vcc, v[25:26], v[23:24]
	v_cmp_class_f64_e64 s[4:5], v[25:26], s0
	s_or_b64 s[4:5], vcc, s[4:5]
	s_and_saveexec_b64 s[24:25], s[4:5]
	s_cbranch_execz .LBB70_159
; %bb.158:
	v_add_f64 v[21:22], v[25:26], -v[23:24]
	s_mov_b32 s4, 0x652b82fe
	s_mov_b32 s5, 0x3ff71547
	;; [unrolled: 1-line block ×6, first 2 shown]
	v_mov_b32_e32 v47, 0xfca7ab0c
	v_mul_f64 v[25:26], v[21:22], s[4:5]
	s_mov_b32 s4, 0x6a5dcb37
	v_mov_b32_e32 v48, 0x3e928af3
	s_mov_b32 s5, 0x3e5ade15
	s_mov_b32 s34, 0
	;; [unrolled: 1-line block ×3, first 2 shown]
	v_mov_b32_e32 v67, 0x7ff00000
	v_rndne_f64_e32 v[25:26], v[25:26]
	v_fma_f64 v[27:28], v[25:26], s[26:27], v[21:22]
	s_mov_b32 s27, 0x3fe62e42
	v_fma_f64 v[27:28], v[25:26], s[30:31], v[27:28]
	v_cvt_i32_f64_e32 v25, v[25:26]
	s_mov_b32 s31, 0x3c7abc9e
	v_fma_f64 v[47:48], v[27:28], s[4:5], v[47:48]
	s_mov_b32 s4, 0x623fde64
	s_mov_b32 s5, 0x3ec71dee
	v_fma_f64 v[47:48], v[27:28], v[47:48], s[4:5]
	s_mov_b32 s4, 0x7c89e6b0
	;; [unrolled: 3-line block ×9, first 2 shown]
	s_mov_b32 s5, 0x40900000
	v_cmp_nlt_f64_e32 vcc, s[4:5], v[21:22]
	v_cmp_ngt_f64_e64 s[4:5], s[34:35], v[21:22]
	s_mov_b32 s34, 0xbf559e2b
	s_mov_b32 s35, 0x3fc3ab76
	v_fma_f64 v[47:48], v[27:28], v[47:48], 1.0
	v_fma_f64 v[27:28], v[27:28], v[47:48], 1.0
	v_ldexp_f64 v[25:26], v[27:28], v25
	v_cndmask_b32_e32 v26, v67, v26, vcc
	s_and_b64 vcc, s[4:5], vcc
	v_cndmask_b32_e64 v22, 0, v26, s[4:5]
	v_cndmask_b32_e32 v21, 0, v25, vcc
	v_add_f64 v[25:26], v[21:22], 1.0
	s_mov_b32 s5, 0x3fe55555
	s_mov_b32 s4, 0x55555555
	v_frexp_mant_f64_e32 v[47:48], v[25:26]
	v_frexp_exp_i32_f64_e32 v51, v[25:26]
	v_add_f64 v[27:28], v[25:26], -1.0
	v_cmp_gt_f64_e32 vcc, s[4:5], v[47:48]
	s_mov_b32 s4, 0x55555780
	v_add_f64 v[49:50], v[27:28], -v[25:26]
	v_add_f64 v[27:28], v[21:22], -v[27:28]
	v_subbrev_co_u32_e32 v68, vcc, 0, v51, vcc
	v_sub_u32_e32 v51, 0, v68
	v_ldexp_f64 v[25:26], v[25:26], v51
	v_add_f64 v[47:48], v[49:50], 1.0
	v_cmp_nge_f64_e32 vcc, -1.0, v[21:22]
	v_add_f64 v[49:50], v[25:26], 1.0
	v_add_f64 v[27:28], v[27:28], v[47:48]
	v_add_f64 v[55:56], v[25:26], -1.0
	v_add_f64 v[47:48], v[49:50], -1.0
	v_ldexp_f64 v[27:28], v[27:28], v51
	v_add_f64 v[57:58], v[55:56], 1.0
	v_add_f64 v[47:48], v[25:26], -v[47:48]
	v_add_f64 v[25:26], v[25:26], -v[57:58]
	v_add_f64 v[47:48], v[27:28], v[47:48]
	v_add_f64 v[25:26], v[27:28], v[25:26]
	;; [unrolled: 1-line block ×4, first 2 shown]
	v_rcp_f64_e32 v[53:54], v[51:52]
	v_add_f64 v[49:50], v[51:52], -v[49:50]
	v_add_f64 v[55:56], v[57:58], -v[55:56]
	;; [unrolled: 1-line block ×4, first 2 shown]
	v_fma_f64 v[59:60], -v[51:52], v[53:54], 1.0
	v_fma_f64 v[53:54], v[59:60], v[53:54], v[53:54]
	v_fma_f64 v[27:28], -v[51:52], v[53:54], 1.0
	v_fma_f64 v[27:28], v[27:28], v[53:54], v[53:54]
	v_mul_f64 v[53:54], v[57:58], v[27:28]
	v_mul_f64 v[59:60], v[51:52], v[53:54]
	v_fma_f64 v[49:50], v[53:54], v[51:52], -v[59:60]
	v_fma_f64 v[49:50], v[53:54], v[47:48], v[49:50]
	v_add_f64 v[61:62], v[59:60], v[49:50]
	v_add_f64 v[63:64], v[57:58], -v[61:62]
	v_add_f64 v[55:56], v[61:62], -v[59:60]
	;; [unrolled: 1-line block ×5, first 2 shown]
	v_add_f64 v[25:26], v[25:26], v[57:58]
	v_add_f64 v[25:26], v[49:50], v[25:26]
	;; [unrolled: 1-line block ×3, first 2 shown]
	v_mul_f64 v[55:56], v[27:28], v[49:50]
	v_add_f64 v[61:62], v[63:64], -v[49:50]
	v_mul_f64 v[57:58], v[51:52], v[55:56]
	v_add_f64 v[25:26], v[25:26], v[61:62]
	v_fma_f64 v[51:52], v[55:56], v[51:52], -v[57:58]
	v_fma_f64 v[47:48], v[55:56], v[47:48], v[51:52]
	v_add_f64 v[51:52], v[57:58], v[47:48]
	v_add_f64 v[59:60], v[49:50], -v[51:52]
	v_add_f64 v[57:58], v[51:52], -v[57:58]
	;; [unrolled: 1-line block ×5, first 2 shown]
	v_mov_b32_e32 v51, 0x6b47b09a
	v_mov_b32_e32 v52, 0x3fc38538
	v_add_f64 v[25:26], v[25:26], v[49:50]
	v_add_f64 v[49:50], v[53:54], v[55:56]
	;; [unrolled: 1-line block ×3, first 2 shown]
	v_add_f64 v[47:48], v[49:50], -v[53:54]
	v_add_f64 v[25:26], v[59:60], v[25:26]
	v_add_f64 v[47:48], v[55:56], -v[47:48]
	v_mul_f64 v[25:26], v[27:28], v[25:26]
	v_add_f64 v[25:26], v[47:48], v[25:26]
	v_add_f64 v[27:28], v[49:50], v[25:26]
	v_mul_f64 v[47:48], v[27:28], v[27:28]
	v_fma_f64 v[51:52], v[47:48], s[34:35], v[51:52]
	s_mov_b32 s34, 0xd7f4df2e
	s_mov_b32 s35, 0x3fc7474d
	v_mul_f64 v[53:54], v[27:28], v[47:48]
	v_fma_f64 v[51:52], v[47:48], v[51:52], s[34:35]
	s_mov_b32 s34, 0x16291751
	s_mov_b32 s35, 0x3fcc71c0
	v_fma_f64 v[51:52], v[47:48], v[51:52], s[34:35]
	s_mov_b32 s34, 0x9b27acf1
	s_mov_b32 s35, 0x3fd24924
	;; [unrolled: 3-line block ×3, first 2 shown]
	v_fma_f64 v[51:52], v[47:48], v[51:52], s[34:35]
	v_fma_f64 v[47:48], v[47:48], v[51:52], s[4:5]
	v_ldexp_f64 v[51:52], v[27:28], 1
	v_add_f64 v[27:28], v[27:28], -v[49:50]
	s_mov_b32 s4, 0
	s_mov_b32 s5, 0x7ff00000
	v_cmp_neq_f64_e64 s[4:5], s[4:5], v[21:22]
	v_mul_f64 v[47:48], v[53:54], v[47:48]
	v_cvt_f64_i32_e32 v[53:54], v68
	v_add_f64 v[25:26], v[25:26], -v[27:28]
	v_mul_f64 v[55:56], v[53:54], s[26:27]
	s_and_b64 vcc, vcc, s[4:5]
	v_add_f64 v[49:50], v[51:52], v[47:48]
	v_ldexp_f64 v[25:26], v[25:26], 1
	v_add_f64 v[27:28], v[49:50], -v[51:52]
	v_fma_f64 v[51:52], v[53:54], s[26:27], -v[55:56]
	v_add_f64 v[27:28], v[47:48], -v[27:28]
	v_fma_f64 v[47:48], v[53:54], s[30:31], v[51:52]
	v_add_f64 v[25:26], v[25:26], v[27:28]
	v_add_f64 v[27:28], v[55:56], v[47:48]
	;; [unrolled: 1-line block ×3, first 2 shown]
	v_add_f64 v[55:56], v[27:28], -v[55:56]
	v_add_f64 v[53:54], v[27:28], v[51:52]
	v_add_f64 v[49:50], v[51:52], -v[49:50]
	v_add_f64 v[47:48], v[47:48], -v[55:56]
	;; [unrolled: 1-line block ×6, first 2 shown]
	v_add_f64 v[51:52], v[47:48], v[25:26]
	v_add_f64 v[27:28], v[27:28], -v[59:60]
	v_add_f64 v[27:28], v[49:50], v[27:28]
	v_add_f64 v[49:50], v[51:52], -v[47:48]
	;; [unrolled: 2-line block ×3, first 2 shown]
	v_add_f64 v[25:26], v[25:26], -v[49:50]
	v_add_f64 v[55:56], v[53:54], v[27:28]
	v_add_f64 v[47:48], v[47:48], -v[51:52]
	v_add_f64 v[49:50], v[55:56], -v[53:54]
	v_add_f64 v[25:26], v[25:26], v[47:48]
	v_add_f64 v[27:28], v[27:28], -v[49:50]
	v_add_f64 v[25:26], v[25:26], v[27:28]
	v_mov_b32_e32 v27, 0x7ff80000
	v_mov_b32_e32 v28, 0xfff00000
	v_add_f64 v[25:26], v[55:56], v[25:26]
	v_cndmask_b32_e32 v25, 0, v25, vcc
	v_cmp_ngt_f64_e32 vcc, -1.0, v[21:22]
	v_cndmask_b32_e64 v26, v67, v26, s[4:5]
	v_cndmask_b32_e32 v26, v27, v26, vcc
	v_cmp_neq_f64_e32 vcc, -1.0, v[21:22]
	v_cndmask_b32_e32 v26, v28, v26, vcc
	v_add_f64 v[21:22], v[23:24], v[25:26]
.LBB70_159:
	s_or_b64 exec, exec, s[24:25]
	v_max_f64 v[23:24], v[21:22], v[21:22]
	v_cmp_u_f64_e32 vcc, v[21:22], v[21:22]
	v_min_f64 v[25:26], v[23:24], v[41:42]
	v_max_f64 v[23:24], v[23:24], v[41:42]
	v_cndmask_b32_e32 v25, v25, v21, vcc
	v_cndmask_b32_e32 v26, v26, v22, vcc
	;; [unrolled: 1-line block ×4, first 2 shown]
	v_cndmask_b32_e64 v28, v26, v4, s[6:7]
	v_cndmask_b32_e64 v27, v25, v3, s[6:7]
	;; [unrolled: 1-line block ×4, first 2 shown]
	v_cmp_neq_f64_e32 vcc, v[27:28], v[25:26]
	v_cmp_class_f64_e64 s[0:1], v[27:28], s0
	v_mov_b32_e32 v24, v22
	v_mov_b32_e32 v23, v21
	s_or_b64 s[0:1], vcc, s[0:1]
	s_and_saveexec_b64 s[6:7], s[0:1]
	s_cbranch_execz .LBB70_161
; %bb.160:
	v_add_f64 v[23:24], v[27:28], -v[25:26]
	s_mov_b32 s0, 0x652b82fe
	s_mov_b32 s1, 0x3ff71547
	;; [unrolled: 1-line block ×6, first 2 shown]
	v_mov_b32_e32 v49, 0xfca7ab0c
	v_mul_f64 v[27:28], v[23:24], s[0:1]
	s_mov_b32 s0, 0x6a5dcb37
	v_mov_b32_e32 v50, 0x3e928af3
	s_mov_b32 s1, 0x3e5ade15
	s_mov_b32 s4, 0
	;; [unrolled: 1-line block ×3, first 2 shown]
	v_cmp_ngt_f64_e64 s[4:5], s[4:5], v[23:24]
	v_mov_b32_e32 v69, 0x7ff00000
	v_rndne_f64_e32 v[27:28], v[27:28]
	v_fma_f64 v[47:48], v[27:28], s[24:25], v[23:24]
	s_mov_b32 s25, 0x3fe62e42
	v_fma_f64 v[47:48], v[27:28], s[26:27], v[47:48]
	v_cvt_i32_f64_e32 v27, v[27:28]
	s_mov_b32 s27, 0x3c7abc9e
	v_fma_f64 v[49:50], v[47:48], s[0:1], v[49:50]
	s_mov_b32 s0, 0x623fde64
	s_mov_b32 s1, 0x3ec71dee
	v_fma_f64 v[49:50], v[47:48], v[49:50], s[0:1]
	s_mov_b32 s0, 0x7c89e6b0
	;; [unrolled: 3-line block ×9, first 2 shown]
	s_mov_b32 s1, 0x40900000
	v_cmp_nlt_f64_e32 vcc, s[0:1], v[23:24]
	s_mov_b32 s0, 0xbf559e2b
	s_mov_b32 s1, 0x3fc3ab76
	v_fma_f64 v[49:50], v[47:48], v[49:50], 1.0
	v_fma_f64 v[47:48], v[47:48], v[49:50], 1.0
	v_ldexp_f64 v[27:28], v[47:48], v27
	v_cndmask_b32_e32 v28, v69, v28, vcc
	s_and_b64 vcc, s[4:5], vcc
	v_cndmask_b32_e64 v24, 0, v28, s[4:5]
	v_cndmask_b32_e32 v23, 0, v27, vcc
	v_add_f64 v[27:28], v[23:24], 1.0
	s_mov_b32 s5, 0x3fe55555
	s_mov_b32 s4, 0x55555555
	v_frexp_mant_f64_e32 v[49:50], v[27:28]
	v_frexp_exp_i32_f64_e32 v53, v[27:28]
	v_add_f64 v[47:48], v[27:28], -1.0
	v_cmp_gt_f64_e32 vcc, s[4:5], v[49:50]
	s_mov_b32 s4, 0x55555780
	v_add_f64 v[51:52], v[47:48], -v[27:28]
	v_add_f64 v[47:48], v[23:24], -v[47:48]
	v_subbrev_co_u32_e32 v70, vcc, 0, v53, vcc
	v_sub_u32_e32 v53, 0, v70
	v_ldexp_f64 v[27:28], v[27:28], v53
	v_add_f64 v[49:50], v[51:52], 1.0
	v_cmp_nge_f64_e32 vcc, -1.0, v[23:24]
	v_add_f64 v[51:52], v[27:28], 1.0
	v_add_f64 v[47:48], v[47:48], v[49:50]
	v_add_f64 v[57:58], v[27:28], -1.0
	v_add_f64 v[49:50], v[51:52], -1.0
	v_ldexp_f64 v[47:48], v[47:48], v53
	v_add_f64 v[59:60], v[57:58], 1.0
	v_add_f64 v[49:50], v[27:28], -v[49:50]
	v_add_f64 v[27:28], v[27:28], -v[59:60]
	v_add_f64 v[49:50], v[47:48], v[49:50]
	v_add_f64 v[27:28], v[47:48], v[27:28]
	;; [unrolled: 1-line block ×4, first 2 shown]
	v_rcp_f64_e32 v[55:56], v[53:54]
	v_add_f64 v[51:52], v[53:54], -v[51:52]
	v_add_f64 v[57:58], v[59:60], -v[57:58]
	;; [unrolled: 1-line block ×4, first 2 shown]
	v_fma_f64 v[61:62], -v[53:54], v[55:56], 1.0
	v_fma_f64 v[55:56], v[61:62], v[55:56], v[55:56]
	v_fma_f64 v[47:48], -v[53:54], v[55:56], 1.0
	v_fma_f64 v[47:48], v[47:48], v[55:56], v[55:56]
	v_mul_f64 v[55:56], v[59:60], v[47:48]
	v_mul_f64 v[61:62], v[53:54], v[55:56]
	v_fma_f64 v[51:52], v[55:56], v[53:54], -v[61:62]
	v_fma_f64 v[51:52], v[55:56], v[49:50], v[51:52]
	v_add_f64 v[63:64], v[61:62], v[51:52]
	v_add_f64 v[67:68], v[59:60], -v[63:64]
	v_add_f64 v[57:58], v[63:64], -v[61:62]
	;; [unrolled: 1-line block ×5, first 2 shown]
	v_add_f64 v[27:28], v[27:28], v[59:60]
	v_add_f64 v[27:28], v[51:52], v[27:28]
	;; [unrolled: 1-line block ×3, first 2 shown]
	v_mul_f64 v[57:58], v[47:48], v[51:52]
	v_add_f64 v[63:64], v[67:68], -v[51:52]
	v_mul_f64 v[59:60], v[53:54], v[57:58]
	v_add_f64 v[27:28], v[27:28], v[63:64]
	v_fma_f64 v[53:54], v[57:58], v[53:54], -v[59:60]
	v_fma_f64 v[49:50], v[57:58], v[49:50], v[53:54]
	v_add_f64 v[53:54], v[59:60], v[49:50]
	v_add_f64 v[61:62], v[51:52], -v[53:54]
	v_add_f64 v[59:60], v[53:54], -v[59:60]
	v_add_f64 v[51:52], v[51:52], -v[61:62]
	v_add_f64 v[49:50], v[59:60], -v[49:50]
	v_add_f64 v[51:52], v[51:52], -v[53:54]
	v_mov_b32_e32 v53, 0x6b47b09a
	v_mov_b32_e32 v54, 0x3fc38538
	v_add_f64 v[27:28], v[27:28], v[51:52]
	v_add_f64 v[51:52], v[55:56], v[57:58]
	;; [unrolled: 1-line block ×3, first 2 shown]
	v_add_f64 v[49:50], v[51:52], -v[55:56]
	v_add_f64 v[27:28], v[61:62], v[27:28]
	v_add_f64 v[49:50], v[57:58], -v[49:50]
	v_mul_f64 v[27:28], v[47:48], v[27:28]
	v_add_f64 v[27:28], v[49:50], v[27:28]
	v_add_f64 v[47:48], v[51:52], v[27:28]
	v_mul_f64 v[49:50], v[47:48], v[47:48]
	v_fma_f64 v[53:54], v[49:50], s[0:1], v[53:54]
	s_mov_b32 s0, 0xd7f4df2e
	s_mov_b32 s1, 0x3fc7474d
	v_mul_f64 v[55:56], v[47:48], v[49:50]
	v_fma_f64 v[53:54], v[49:50], v[53:54], s[0:1]
	s_mov_b32 s0, 0x16291751
	s_mov_b32 s1, 0x3fcc71c0
	v_fma_f64 v[53:54], v[49:50], v[53:54], s[0:1]
	s_mov_b32 s0, 0x9b27acf1
	s_mov_b32 s1, 0x3fd24924
	;; [unrolled: 3-line block ×4, first 2 shown]
	v_fma_f64 v[49:50], v[49:50], v[53:54], s[4:5]
	v_ldexp_f64 v[53:54], v[47:48], 1
	v_add_f64 v[47:48], v[47:48], -v[51:52]
	v_cmp_neq_f64_e64 s[4:5], s[0:1], v[23:24]
	v_mul_f64 v[49:50], v[55:56], v[49:50]
	v_cvt_f64_i32_e32 v[55:56], v70
	v_add_f64 v[27:28], v[27:28], -v[47:48]
	s_and_b64 vcc, vcc, s[4:5]
	v_mul_f64 v[57:58], v[55:56], s[24:25]
	v_add_f64 v[51:52], v[53:54], v[49:50]
	v_ldexp_f64 v[27:28], v[27:28], 1
	v_add_f64 v[47:48], v[51:52], -v[53:54]
	v_fma_f64 v[53:54], v[55:56], s[24:25], -v[57:58]
	v_add_f64 v[47:48], v[49:50], -v[47:48]
	v_fma_f64 v[49:50], v[55:56], s[26:27], v[53:54]
	v_add_f64 v[27:28], v[27:28], v[47:48]
	v_add_f64 v[47:48], v[57:58], v[49:50]
	;; [unrolled: 1-line block ×3, first 2 shown]
	v_add_f64 v[57:58], v[47:48], -v[57:58]
	v_add_f64 v[55:56], v[47:48], v[53:54]
	v_add_f64 v[51:52], v[53:54], -v[51:52]
	v_add_f64 v[49:50], v[49:50], -v[57:58]
	v_add_f64 v[59:60], v[55:56], -v[47:48]
	v_add_f64 v[27:28], v[27:28], -v[51:52]
	v_add_f64 v[61:62], v[55:56], -v[59:60]
	v_add_f64 v[51:52], v[53:54], -v[59:60]
	v_add_f64 v[53:54], v[49:50], v[27:28]
	v_add_f64 v[47:48], v[47:48], -v[61:62]
	v_add_f64 v[47:48], v[51:52], v[47:48]
	v_add_f64 v[51:52], v[53:54], -v[49:50]
	;; [unrolled: 2-line block ×3, first 2 shown]
	v_add_f64 v[27:28], v[27:28], -v[51:52]
	v_add_f64 v[57:58], v[55:56], v[47:48]
	v_add_f64 v[49:50], v[49:50], -v[53:54]
	v_add_f64 v[51:52], v[57:58], -v[55:56]
	v_add_f64 v[27:28], v[27:28], v[49:50]
	v_add_f64 v[47:48], v[47:48], -v[51:52]
	v_add_f64 v[27:28], v[27:28], v[47:48]
	v_mov_b32_e32 v47, 0x7ff80000
	v_mov_b32_e32 v48, 0xfff00000
	v_add_f64 v[27:28], v[57:58], v[27:28]
	v_cndmask_b32_e32 v27, 0, v27, vcc
	v_cmp_ngt_f64_e32 vcc, -1.0, v[23:24]
	v_cndmask_b32_e64 v28, v69, v28, s[4:5]
	v_cndmask_b32_e32 v28, v47, v28, vcc
	v_cmp_neq_f64_e32 vcc, -1.0, v[23:24]
	v_cndmask_b32_e32 v28, v48, v28, vcc
	v_add_f64 v[23:24], v[25:26], v[27:28]
.LBB70_161:
	s_or_b64 exec, exec, s[6:7]
	v_max_f64 v[25:26], v[23:24], v[23:24]
	v_cmp_u_f64_e32 vcc, v[23:24], v[23:24]
	s_movk_i32 s0, 0x1f8
	v_min_f64 v[27:28], v[25:26], v[31:32]
	v_max_f64 v[25:26], v[25:26], v[31:32]
	v_cndmask_b32_e32 v27, v27, v23, vcc
	v_cndmask_b32_e32 v28, v28, v24, vcc
	;; [unrolled: 1-line block ×4, first 2 shown]
	v_cndmask_b32_e64 v32, v28, v18, s[8:9]
	v_cndmask_b32_e64 v31, v27, v17, s[8:9]
	;; [unrolled: 1-line block ×4, first 2 shown]
	v_cmp_neq_f64_e32 vcc, v[31:32], v[27:28]
	v_cmp_class_f64_e64 s[4:5], v[31:32], s0
	v_mov_b32_e32 v26, v24
	v_mov_b32_e32 v25, v23
	s_or_b64 s[4:5], vcc, s[4:5]
	s_and_saveexec_b64 s[6:7], s[4:5]
	s_cbranch_execz .LBB70_163
; %bb.162:
	v_add_f64 v[25:26], v[31:32], -v[27:28]
	s_mov_b32 s4, 0x652b82fe
	s_mov_b32 s5, 0x3ff71547
	;; [unrolled: 1-line block ×6, first 2 shown]
	v_mov_b32_e32 v49, 0xfca7ab0c
	v_mul_f64 v[31:32], v[25:26], s[4:5]
	s_mov_b32 s4, 0x6a5dcb37
	v_mov_b32_e32 v50, 0x3e928af3
	s_mov_b32 s5, 0x3e5ade15
	s_mov_b32 s26, 0
	;; [unrolled: 1-line block ×3, first 2 shown]
	v_mov_b32_e32 v69, 0x7ff00000
	v_rndne_f64_e32 v[31:32], v[31:32]
	v_fma_f64 v[47:48], v[31:32], s[8:9], v[25:26]
	s_mov_b32 s9, 0x3fe62e42
	v_fma_f64 v[47:48], v[31:32], s[24:25], v[47:48]
	v_cvt_i32_f64_e32 v31, v[31:32]
	s_mov_b32 s25, 0x3c7abc9e
	v_fma_f64 v[49:50], v[47:48], s[4:5], v[49:50]
	s_mov_b32 s4, 0x623fde64
	s_mov_b32 s5, 0x3ec71dee
	v_fma_f64 v[49:50], v[47:48], v[49:50], s[4:5]
	s_mov_b32 s4, 0x7c89e6b0
	;; [unrolled: 3-line block ×9, first 2 shown]
	s_mov_b32 s5, 0x40900000
	v_cmp_nlt_f64_e32 vcc, s[4:5], v[25:26]
	v_cmp_ngt_f64_e64 s[4:5], s[26:27], v[25:26]
	s_mov_b32 s26, 0xbf559e2b
	s_mov_b32 s27, 0x3fc3ab76
	v_fma_f64 v[49:50], v[47:48], v[49:50], 1.0
	v_fma_f64 v[47:48], v[47:48], v[49:50], 1.0
	v_ldexp_f64 v[31:32], v[47:48], v31
	v_cndmask_b32_e32 v32, v69, v32, vcc
	s_and_b64 vcc, s[4:5], vcc
	v_cndmask_b32_e64 v26, 0, v32, s[4:5]
	v_cndmask_b32_e32 v25, 0, v31, vcc
	v_add_f64 v[31:32], v[25:26], 1.0
	s_mov_b32 s5, 0x3fe55555
	s_mov_b32 s4, 0x55555555
	v_frexp_mant_f64_e32 v[49:50], v[31:32]
	v_frexp_exp_i32_f64_e32 v53, v[31:32]
	v_add_f64 v[47:48], v[31:32], -1.0
	v_cmp_gt_f64_e32 vcc, s[4:5], v[49:50]
	s_mov_b32 s4, 0x55555780
	v_add_f64 v[51:52], v[47:48], -v[31:32]
	v_add_f64 v[47:48], v[25:26], -v[47:48]
	v_subbrev_co_u32_e32 v70, vcc, 0, v53, vcc
	v_sub_u32_e32 v53, 0, v70
	v_ldexp_f64 v[31:32], v[31:32], v53
	v_add_f64 v[49:50], v[51:52], 1.0
	v_cmp_nge_f64_e32 vcc, -1.0, v[25:26]
	v_add_f64 v[51:52], v[31:32], 1.0
	v_add_f64 v[47:48], v[47:48], v[49:50]
	v_add_f64 v[57:58], v[31:32], -1.0
	v_add_f64 v[49:50], v[51:52], -1.0
	v_ldexp_f64 v[47:48], v[47:48], v53
	v_add_f64 v[59:60], v[57:58], 1.0
	v_add_f64 v[49:50], v[31:32], -v[49:50]
	v_add_f64 v[31:32], v[31:32], -v[59:60]
	v_add_f64 v[49:50], v[47:48], v[49:50]
	v_add_f64 v[31:32], v[47:48], v[31:32]
	;; [unrolled: 1-line block ×4, first 2 shown]
	v_rcp_f64_e32 v[55:56], v[53:54]
	v_add_f64 v[51:52], v[53:54], -v[51:52]
	v_add_f64 v[57:58], v[59:60], -v[57:58]
	;; [unrolled: 1-line block ×4, first 2 shown]
	v_fma_f64 v[61:62], -v[53:54], v[55:56], 1.0
	v_fma_f64 v[55:56], v[61:62], v[55:56], v[55:56]
	v_fma_f64 v[47:48], -v[53:54], v[55:56], 1.0
	v_fma_f64 v[47:48], v[47:48], v[55:56], v[55:56]
	v_mul_f64 v[55:56], v[59:60], v[47:48]
	v_mul_f64 v[61:62], v[53:54], v[55:56]
	v_fma_f64 v[51:52], v[55:56], v[53:54], -v[61:62]
	v_fma_f64 v[51:52], v[55:56], v[49:50], v[51:52]
	v_add_f64 v[63:64], v[61:62], v[51:52]
	v_add_f64 v[67:68], v[59:60], -v[63:64]
	v_add_f64 v[57:58], v[63:64], -v[61:62]
	;; [unrolled: 1-line block ×5, first 2 shown]
	v_add_f64 v[31:32], v[31:32], v[59:60]
	v_add_f64 v[31:32], v[51:52], v[31:32]
	;; [unrolled: 1-line block ×3, first 2 shown]
	v_mul_f64 v[57:58], v[47:48], v[51:52]
	v_add_f64 v[63:64], v[67:68], -v[51:52]
	v_mul_f64 v[59:60], v[53:54], v[57:58]
	v_add_f64 v[31:32], v[31:32], v[63:64]
	v_fma_f64 v[53:54], v[57:58], v[53:54], -v[59:60]
	v_fma_f64 v[49:50], v[57:58], v[49:50], v[53:54]
	v_add_f64 v[53:54], v[59:60], v[49:50]
	v_add_f64 v[61:62], v[51:52], -v[53:54]
	v_add_f64 v[59:60], v[53:54], -v[59:60]
	v_add_f64 v[51:52], v[51:52], -v[61:62]
	v_add_f64 v[49:50], v[59:60], -v[49:50]
	v_add_f64 v[51:52], v[51:52], -v[53:54]
	v_mov_b32_e32 v53, 0x6b47b09a
	v_mov_b32_e32 v54, 0x3fc38538
	v_add_f64 v[31:32], v[31:32], v[51:52]
	v_add_f64 v[51:52], v[55:56], v[57:58]
	;; [unrolled: 1-line block ×3, first 2 shown]
	v_add_f64 v[49:50], v[51:52], -v[55:56]
	v_add_f64 v[31:32], v[61:62], v[31:32]
	v_add_f64 v[49:50], v[57:58], -v[49:50]
	v_mul_f64 v[31:32], v[47:48], v[31:32]
	v_add_f64 v[31:32], v[49:50], v[31:32]
	v_add_f64 v[47:48], v[51:52], v[31:32]
	v_mul_f64 v[49:50], v[47:48], v[47:48]
	v_fma_f64 v[53:54], v[49:50], s[26:27], v[53:54]
	s_mov_b32 s26, 0xd7f4df2e
	s_mov_b32 s27, 0x3fc7474d
	v_mul_f64 v[55:56], v[47:48], v[49:50]
	v_fma_f64 v[53:54], v[49:50], v[53:54], s[26:27]
	s_mov_b32 s26, 0x16291751
	s_mov_b32 s27, 0x3fcc71c0
	v_fma_f64 v[53:54], v[49:50], v[53:54], s[26:27]
	s_mov_b32 s26, 0x9b27acf1
	s_mov_b32 s27, 0x3fd24924
	;; [unrolled: 3-line block ×3, first 2 shown]
	v_fma_f64 v[53:54], v[49:50], v[53:54], s[26:27]
	v_fma_f64 v[49:50], v[49:50], v[53:54], s[4:5]
	v_ldexp_f64 v[53:54], v[47:48], 1
	v_add_f64 v[47:48], v[47:48], -v[51:52]
	s_mov_b32 s4, 0
	s_mov_b32 s5, 0x7ff00000
	v_cmp_neq_f64_e64 s[4:5], s[4:5], v[25:26]
	v_mul_f64 v[49:50], v[55:56], v[49:50]
	v_cvt_f64_i32_e32 v[55:56], v70
	v_add_f64 v[31:32], v[31:32], -v[47:48]
	v_mul_f64 v[57:58], v[55:56], s[8:9]
	s_and_b64 vcc, vcc, s[4:5]
	v_add_f64 v[51:52], v[53:54], v[49:50]
	v_ldexp_f64 v[31:32], v[31:32], 1
	v_add_f64 v[47:48], v[51:52], -v[53:54]
	v_fma_f64 v[53:54], v[55:56], s[8:9], -v[57:58]
	v_add_f64 v[47:48], v[49:50], -v[47:48]
	v_fma_f64 v[49:50], v[55:56], s[24:25], v[53:54]
	v_add_f64 v[31:32], v[31:32], v[47:48]
	v_add_f64 v[47:48], v[57:58], v[49:50]
	;; [unrolled: 1-line block ×3, first 2 shown]
	v_add_f64 v[57:58], v[47:48], -v[57:58]
	v_add_f64 v[55:56], v[47:48], v[53:54]
	v_add_f64 v[51:52], v[53:54], -v[51:52]
	v_add_f64 v[49:50], v[49:50], -v[57:58]
	;; [unrolled: 1-line block ×6, first 2 shown]
	v_add_f64 v[53:54], v[49:50], v[31:32]
	v_add_f64 v[47:48], v[47:48], -v[61:62]
	v_add_f64 v[47:48], v[51:52], v[47:48]
	v_add_f64 v[51:52], v[53:54], -v[49:50]
	;; [unrolled: 2-line block ×3, first 2 shown]
	v_add_f64 v[31:32], v[31:32], -v[51:52]
	v_add_f64 v[57:58], v[55:56], v[47:48]
	v_add_f64 v[49:50], v[49:50], -v[53:54]
	v_add_f64 v[51:52], v[57:58], -v[55:56]
	v_add_f64 v[31:32], v[31:32], v[49:50]
	v_add_f64 v[47:48], v[47:48], -v[51:52]
	v_add_f64 v[31:32], v[31:32], v[47:48]
	v_mov_b32_e32 v47, 0x7ff80000
	v_mov_b32_e32 v48, 0xfff00000
	v_add_f64 v[31:32], v[57:58], v[31:32]
	v_cndmask_b32_e32 v31, 0, v31, vcc
	v_cmp_ngt_f64_e32 vcc, -1.0, v[25:26]
	v_cndmask_b32_e64 v32, v69, v32, s[4:5]
	v_cndmask_b32_e32 v32, v47, v32, vcc
	v_cmp_neq_f64_e32 vcc, -1.0, v[25:26]
	v_cndmask_b32_e32 v32, v48, v32, vcc
	v_add_f64 v[25:26], v[27:28], v[31:32]
.LBB70_163:
	s_or_b64 exec, exec, s[6:7]
	v_max_f64 v[27:28], v[25:26], v[25:26]
	v_cmp_u_f64_e32 vcc, v[25:26], v[25:26]
	v_min_f64 v[31:32], v[27:28], v[29:30]
	v_max_f64 v[27:28], v[27:28], v[29:30]
	v_cndmask_b32_e32 v29, v31, v25, vcc
	v_cndmask_b32_e32 v30, v32, v26, vcc
	;; [unrolled: 1-line block ×4, first 2 shown]
	v_cndmask_b32_e64 v32, v30, v20, s[10:11]
	v_cndmask_b32_e64 v31, v29, v19, s[10:11]
	;; [unrolled: 1-line block ×4, first 2 shown]
	v_cmp_neq_f64_e32 vcc, v[31:32], v[29:30]
	v_cmp_class_f64_e64 s[0:1], v[31:32], s0
	v_mov_b32_e32 v28, v26
	v_mov_b32_e32 v27, v25
	s_or_b64 s[0:1], vcc, s[0:1]
	s_and_saveexec_b64 s[6:7], s[0:1]
	s_cbranch_execz .LBB70_165
; %bb.164:
	v_add_f64 v[27:28], v[31:32], -v[29:30]
	s_mov_b32 s0, 0x652b82fe
	s_mov_b32 s1, 0x3ff71547
	;; [unrolled: 1-line block ×6, first 2 shown]
	v_mov_b32_e32 v49, 0xfca7ab0c
	v_mul_f64 v[31:32], v[27:28], s[0:1]
	s_mov_b32 s0, 0x6a5dcb37
	v_mov_b32_e32 v50, 0x3e928af3
	s_mov_b32 s1, 0x3e5ade15
	s_mov_b32 s4, 0
	s_mov_b32 s5, 0xc090cc00
	v_cmp_ngt_f64_e64 s[4:5], s[4:5], v[27:28]
	v_mov_b32_e32 v69, 0x7ff00000
	v_rndne_f64_e32 v[31:32], v[31:32]
	v_fma_f64 v[47:48], v[31:32], s[8:9], v[27:28]
	s_mov_b32 s9, 0x3fe62e42
	v_fma_f64 v[47:48], v[31:32], s[10:11], v[47:48]
	v_cvt_i32_f64_e32 v31, v[31:32]
	s_mov_b32 s11, 0x3c7abc9e
	v_fma_f64 v[49:50], v[47:48], s[0:1], v[49:50]
	s_mov_b32 s0, 0x623fde64
	s_mov_b32 s1, 0x3ec71dee
	v_fma_f64 v[49:50], v[47:48], v[49:50], s[0:1]
	s_mov_b32 s0, 0x7c89e6b0
	;; [unrolled: 3-line block ×9, first 2 shown]
	s_mov_b32 s1, 0x40900000
	v_cmp_nlt_f64_e32 vcc, s[0:1], v[27:28]
	s_mov_b32 s0, 0xbf559e2b
	s_mov_b32 s1, 0x3fc3ab76
	v_fma_f64 v[49:50], v[47:48], v[49:50], 1.0
	v_fma_f64 v[47:48], v[47:48], v[49:50], 1.0
	v_ldexp_f64 v[31:32], v[47:48], v31
	v_cndmask_b32_e32 v32, v69, v32, vcc
	s_and_b64 vcc, s[4:5], vcc
	v_cndmask_b32_e64 v28, 0, v32, s[4:5]
	v_cndmask_b32_e32 v27, 0, v31, vcc
	v_add_f64 v[31:32], v[27:28], 1.0
	s_mov_b32 s5, 0x3fe55555
	s_mov_b32 s4, 0x55555555
	v_frexp_mant_f64_e32 v[49:50], v[31:32]
	v_frexp_exp_i32_f64_e32 v53, v[31:32]
	v_add_f64 v[47:48], v[31:32], -1.0
	v_cmp_gt_f64_e32 vcc, s[4:5], v[49:50]
	s_mov_b32 s4, 0x55555780
	v_add_f64 v[51:52], v[47:48], -v[31:32]
	v_add_f64 v[47:48], v[27:28], -v[47:48]
	v_subbrev_co_u32_e32 v70, vcc, 0, v53, vcc
	v_sub_u32_e32 v53, 0, v70
	v_ldexp_f64 v[31:32], v[31:32], v53
	v_add_f64 v[49:50], v[51:52], 1.0
	v_cmp_nge_f64_e32 vcc, -1.0, v[27:28]
	v_add_f64 v[51:52], v[31:32], 1.0
	v_add_f64 v[47:48], v[47:48], v[49:50]
	v_add_f64 v[57:58], v[31:32], -1.0
	v_add_f64 v[49:50], v[51:52], -1.0
	v_ldexp_f64 v[47:48], v[47:48], v53
	v_add_f64 v[59:60], v[57:58], 1.0
	v_add_f64 v[49:50], v[31:32], -v[49:50]
	v_add_f64 v[31:32], v[31:32], -v[59:60]
	v_add_f64 v[49:50], v[47:48], v[49:50]
	v_add_f64 v[31:32], v[47:48], v[31:32]
	;; [unrolled: 1-line block ×4, first 2 shown]
	v_rcp_f64_e32 v[55:56], v[53:54]
	v_add_f64 v[51:52], v[53:54], -v[51:52]
	v_add_f64 v[57:58], v[59:60], -v[57:58]
	;; [unrolled: 1-line block ×4, first 2 shown]
	v_fma_f64 v[61:62], -v[53:54], v[55:56], 1.0
	v_fma_f64 v[55:56], v[61:62], v[55:56], v[55:56]
	v_fma_f64 v[47:48], -v[53:54], v[55:56], 1.0
	v_fma_f64 v[47:48], v[47:48], v[55:56], v[55:56]
	v_mul_f64 v[55:56], v[59:60], v[47:48]
	v_mul_f64 v[61:62], v[53:54], v[55:56]
	v_fma_f64 v[51:52], v[55:56], v[53:54], -v[61:62]
	v_fma_f64 v[51:52], v[55:56], v[49:50], v[51:52]
	v_add_f64 v[63:64], v[61:62], v[51:52]
	v_add_f64 v[67:68], v[59:60], -v[63:64]
	v_add_f64 v[57:58], v[63:64], -v[61:62]
	;; [unrolled: 1-line block ×5, first 2 shown]
	v_add_f64 v[31:32], v[31:32], v[59:60]
	v_add_f64 v[31:32], v[51:52], v[31:32]
	;; [unrolled: 1-line block ×3, first 2 shown]
	v_mul_f64 v[57:58], v[47:48], v[51:52]
	v_add_f64 v[63:64], v[67:68], -v[51:52]
	v_mul_f64 v[59:60], v[53:54], v[57:58]
	v_add_f64 v[31:32], v[31:32], v[63:64]
	v_fma_f64 v[53:54], v[57:58], v[53:54], -v[59:60]
	v_fma_f64 v[49:50], v[57:58], v[49:50], v[53:54]
	v_add_f64 v[53:54], v[59:60], v[49:50]
	v_add_f64 v[61:62], v[51:52], -v[53:54]
	v_add_f64 v[59:60], v[53:54], -v[59:60]
	;; [unrolled: 1-line block ×5, first 2 shown]
	v_mov_b32_e32 v53, 0x6b47b09a
	v_mov_b32_e32 v54, 0x3fc38538
	v_add_f64 v[31:32], v[31:32], v[51:52]
	v_add_f64 v[51:52], v[55:56], v[57:58]
	;; [unrolled: 1-line block ×3, first 2 shown]
	v_add_f64 v[49:50], v[51:52], -v[55:56]
	v_add_f64 v[31:32], v[61:62], v[31:32]
	v_add_f64 v[49:50], v[57:58], -v[49:50]
	v_mul_f64 v[31:32], v[47:48], v[31:32]
	v_add_f64 v[31:32], v[49:50], v[31:32]
	v_add_f64 v[47:48], v[51:52], v[31:32]
	v_mul_f64 v[49:50], v[47:48], v[47:48]
	v_fma_f64 v[53:54], v[49:50], s[0:1], v[53:54]
	s_mov_b32 s0, 0xd7f4df2e
	s_mov_b32 s1, 0x3fc7474d
	v_mul_f64 v[55:56], v[47:48], v[49:50]
	v_fma_f64 v[53:54], v[49:50], v[53:54], s[0:1]
	s_mov_b32 s0, 0x16291751
	s_mov_b32 s1, 0x3fcc71c0
	v_fma_f64 v[53:54], v[49:50], v[53:54], s[0:1]
	s_mov_b32 s0, 0x9b27acf1
	s_mov_b32 s1, 0x3fd24924
	;; [unrolled: 3-line block ×4, first 2 shown]
	v_fma_f64 v[49:50], v[49:50], v[53:54], s[4:5]
	v_ldexp_f64 v[53:54], v[47:48], 1
	v_add_f64 v[47:48], v[47:48], -v[51:52]
	v_cmp_neq_f64_e64 s[4:5], s[0:1], v[27:28]
	v_mul_f64 v[49:50], v[55:56], v[49:50]
	v_cvt_f64_i32_e32 v[55:56], v70
	v_add_f64 v[31:32], v[31:32], -v[47:48]
	s_and_b64 vcc, vcc, s[4:5]
	v_mul_f64 v[57:58], v[55:56], s[8:9]
	v_add_f64 v[51:52], v[53:54], v[49:50]
	v_ldexp_f64 v[31:32], v[31:32], 1
	v_add_f64 v[47:48], v[51:52], -v[53:54]
	v_fma_f64 v[53:54], v[55:56], s[8:9], -v[57:58]
	v_add_f64 v[47:48], v[49:50], -v[47:48]
	v_fma_f64 v[49:50], v[55:56], s[10:11], v[53:54]
	v_add_f64 v[31:32], v[31:32], v[47:48]
	v_add_f64 v[47:48], v[57:58], v[49:50]
	;; [unrolled: 1-line block ×3, first 2 shown]
	v_add_f64 v[57:58], v[47:48], -v[57:58]
	v_add_f64 v[55:56], v[47:48], v[53:54]
	v_add_f64 v[51:52], v[53:54], -v[51:52]
	v_add_f64 v[49:50], v[49:50], -v[57:58]
	;; [unrolled: 1-line block ×6, first 2 shown]
	v_add_f64 v[53:54], v[49:50], v[31:32]
	v_add_f64 v[47:48], v[47:48], -v[61:62]
	v_add_f64 v[47:48], v[51:52], v[47:48]
	v_add_f64 v[51:52], v[53:54], -v[49:50]
	;; [unrolled: 2-line block ×3, first 2 shown]
	v_add_f64 v[31:32], v[31:32], -v[51:52]
	v_add_f64 v[57:58], v[55:56], v[47:48]
	v_add_f64 v[49:50], v[49:50], -v[53:54]
	v_add_f64 v[51:52], v[57:58], -v[55:56]
	v_add_f64 v[31:32], v[31:32], v[49:50]
	v_add_f64 v[47:48], v[47:48], -v[51:52]
	v_add_f64 v[31:32], v[31:32], v[47:48]
	v_mov_b32_e32 v47, 0x7ff80000
	v_mov_b32_e32 v48, 0xfff00000
	v_add_f64 v[31:32], v[57:58], v[31:32]
	v_cndmask_b32_e32 v31, 0, v31, vcc
	v_cmp_ngt_f64_e32 vcc, -1.0, v[27:28]
	v_cndmask_b32_e64 v32, v69, v32, s[4:5]
	v_cndmask_b32_e32 v32, v47, v32, vcc
	v_cmp_neq_f64_e32 vcc, -1.0, v[27:28]
	v_cndmask_b32_e32 v32, v48, v32, vcc
	v_add_f64 v[27:28], v[29:30], v[31:32]
.LBB70_165:
	s_or_b64 exec, exec, s[6:7]
	v_max_f64 v[29:30], v[27:28], v[27:28]
	v_cmp_u_f64_e32 vcc, v[27:28], v[27:28]
	s_movk_i32 s0, 0x1f8
	v_min_f64 v[31:32], v[29:30], v[35:36]
	v_max_f64 v[29:30], v[29:30], v[35:36]
	v_cndmask_b32_e32 v31, v31, v27, vcc
	v_cndmask_b32_e32 v32, v32, v28, vcc
	;; [unrolled: 1-line block ×4, first 2 shown]
	v_cndmask_b32_e64 v36, v32, v14, s[12:13]
	v_cndmask_b32_e64 v35, v31, v13, s[12:13]
	;; [unrolled: 1-line block ×4, first 2 shown]
	v_cmp_neq_f64_e32 vcc, v[35:36], v[31:32]
	v_cmp_class_f64_e64 s[4:5], v[35:36], s0
	v_mov_b32_e32 v30, v28
	v_mov_b32_e32 v29, v27
	s_or_b64 s[4:5], vcc, s[4:5]
	s_and_saveexec_b64 s[6:7], s[4:5]
	s_cbranch_execz .LBB70_167
; %bb.166:
	v_add_f64 v[29:30], v[35:36], -v[31:32]
	s_mov_b32 s4, 0x652b82fe
	s_mov_b32 s5, 0x3ff71547
	;; [unrolled: 1-line block ×6, first 2 shown]
	v_mov_b32_e32 v49, 0xfca7ab0c
	v_mul_f64 v[35:36], v[29:30], s[4:5]
	s_mov_b32 s4, 0x6a5dcb37
	v_mov_b32_e32 v50, 0x3e928af3
	s_mov_b32 s5, 0x3e5ade15
	s_mov_b32 s12, 0
	;; [unrolled: 1-line block ×3, first 2 shown]
	v_mov_b32_e32 v69, 0x7ff00000
	v_rndne_f64_e32 v[35:36], v[35:36]
	v_fma_f64 v[47:48], v[35:36], s[8:9], v[29:30]
	s_mov_b32 s9, 0x3fe62e42
	v_fma_f64 v[47:48], v[35:36], s[10:11], v[47:48]
	v_cvt_i32_f64_e32 v35, v[35:36]
	s_mov_b32 s11, 0x3c7abc9e
	v_fma_f64 v[49:50], v[47:48], s[4:5], v[49:50]
	s_mov_b32 s4, 0x623fde64
	s_mov_b32 s5, 0x3ec71dee
	v_fma_f64 v[49:50], v[47:48], v[49:50], s[4:5]
	s_mov_b32 s4, 0x7c89e6b0
	;; [unrolled: 3-line block ×9, first 2 shown]
	s_mov_b32 s5, 0x40900000
	v_cmp_nlt_f64_e32 vcc, s[4:5], v[29:30]
	v_cmp_ngt_f64_e64 s[4:5], s[12:13], v[29:30]
	s_mov_b32 s12, 0xbf559e2b
	s_mov_b32 s13, 0x3fc3ab76
	v_fma_f64 v[49:50], v[47:48], v[49:50], 1.0
	v_fma_f64 v[47:48], v[47:48], v[49:50], 1.0
	v_ldexp_f64 v[35:36], v[47:48], v35
	v_cndmask_b32_e32 v36, v69, v36, vcc
	s_and_b64 vcc, s[4:5], vcc
	v_cndmask_b32_e64 v30, 0, v36, s[4:5]
	v_cndmask_b32_e32 v29, 0, v35, vcc
	v_add_f64 v[35:36], v[29:30], 1.0
	s_mov_b32 s5, 0x3fe55555
	s_mov_b32 s4, 0x55555555
	v_frexp_mant_f64_e32 v[49:50], v[35:36]
	v_frexp_exp_i32_f64_e32 v53, v[35:36]
	v_add_f64 v[47:48], v[35:36], -1.0
	v_cmp_gt_f64_e32 vcc, s[4:5], v[49:50]
	s_mov_b32 s4, 0x55555780
	v_add_f64 v[51:52], v[47:48], -v[35:36]
	v_add_f64 v[47:48], v[29:30], -v[47:48]
	v_subbrev_co_u32_e32 v70, vcc, 0, v53, vcc
	v_sub_u32_e32 v53, 0, v70
	v_ldexp_f64 v[35:36], v[35:36], v53
	v_add_f64 v[49:50], v[51:52], 1.0
	v_cmp_nge_f64_e32 vcc, -1.0, v[29:30]
	v_add_f64 v[51:52], v[35:36], 1.0
	v_add_f64 v[47:48], v[47:48], v[49:50]
	v_add_f64 v[57:58], v[35:36], -1.0
	v_add_f64 v[49:50], v[51:52], -1.0
	v_ldexp_f64 v[47:48], v[47:48], v53
	v_add_f64 v[59:60], v[57:58], 1.0
	v_add_f64 v[49:50], v[35:36], -v[49:50]
	v_add_f64 v[35:36], v[35:36], -v[59:60]
	v_add_f64 v[49:50], v[47:48], v[49:50]
	v_add_f64 v[35:36], v[47:48], v[35:36]
	;; [unrolled: 1-line block ×4, first 2 shown]
	v_rcp_f64_e32 v[55:56], v[53:54]
	v_add_f64 v[51:52], v[53:54], -v[51:52]
	v_add_f64 v[57:58], v[59:60], -v[57:58]
	;; [unrolled: 1-line block ×4, first 2 shown]
	v_fma_f64 v[61:62], -v[53:54], v[55:56], 1.0
	v_fma_f64 v[55:56], v[61:62], v[55:56], v[55:56]
	v_fma_f64 v[47:48], -v[53:54], v[55:56], 1.0
	v_fma_f64 v[47:48], v[47:48], v[55:56], v[55:56]
	v_mul_f64 v[55:56], v[59:60], v[47:48]
	v_mul_f64 v[61:62], v[53:54], v[55:56]
	v_fma_f64 v[51:52], v[55:56], v[53:54], -v[61:62]
	v_fma_f64 v[51:52], v[55:56], v[49:50], v[51:52]
	v_add_f64 v[63:64], v[61:62], v[51:52]
	v_add_f64 v[67:68], v[59:60], -v[63:64]
	v_add_f64 v[57:58], v[63:64], -v[61:62]
	;; [unrolled: 1-line block ×5, first 2 shown]
	v_add_f64 v[35:36], v[35:36], v[59:60]
	v_add_f64 v[35:36], v[51:52], v[35:36]
	;; [unrolled: 1-line block ×3, first 2 shown]
	v_mul_f64 v[57:58], v[47:48], v[51:52]
	v_add_f64 v[63:64], v[67:68], -v[51:52]
	v_mul_f64 v[59:60], v[53:54], v[57:58]
	v_add_f64 v[35:36], v[35:36], v[63:64]
	v_fma_f64 v[53:54], v[57:58], v[53:54], -v[59:60]
	v_fma_f64 v[49:50], v[57:58], v[49:50], v[53:54]
	v_add_f64 v[53:54], v[59:60], v[49:50]
	v_add_f64 v[61:62], v[51:52], -v[53:54]
	v_add_f64 v[59:60], v[53:54], -v[59:60]
	;; [unrolled: 1-line block ×5, first 2 shown]
	v_mov_b32_e32 v53, 0x6b47b09a
	v_mov_b32_e32 v54, 0x3fc38538
	v_add_f64 v[35:36], v[35:36], v[51:52]
	v_add_f64 v[51:52], v[55:56], v[57:58]
	;; [unrolled: 1-line block ×3, first 2 shown]
	v_add_f64 v[49:50], v[51:52], -v[55:56]
	v_add_f64 v[35:36], v[61:62], v[35:36]
	v_add_f64 v[49:50], v[57:58], -v[49:50]
	v_mul_f64 v[35:36], v[47:48], v[35:36]
	v_add_f64 v[35:36], v[49:50], v[35:36]
	v_add_f64 v[47:48], v[51:52], v[35:36]
	v_mul_f64 v[49:50], v[47:48], v[47:48]
	v_fma_f64 v[53:54], v[49:50], s[12:13], v[53:54]
	s_mov_b32 s12, 0xd7f4df2e
	s_mov_b32 s13, 0x3fc7474d
	v_mul_f64 v[55:56], v[47:48], v[49:50]
	v_fma_f64 v[53:54], v[49:50], v[53:54], s[12:13]
	s_mov_b32 s12, 0x16291751
	s_mov_b32 s13, 0x3fcc71c0
	v_fma_f64 v[53:54], v[49:50], v[53:54], s[12:13]
	s_mov_b32 s12, 0x9b27acf1
	s_mov_b32 s13, 0x3fd24924
	;; [unrolled: 3-line block ×3, first 2 shown]
	v_fma_f64 v[53:54], v[49:50], v[53:54], s[12:13]
	v_fma_f64 v[49:50], v[49:50], v[53:54], s[4:5]
	v_ldexp_f64 v[53:54], v[47:48], 1
	v_add_f64 v[47:48], v[47:48], -v[51:52]
	s_mov_b32 s4, 0
	s_mov_b32 s5, 0x7ff00000
	v_cmp_neq_f64_e64 s[4:5], s[4:5], v[29:30]
	v_mul_f64 v[49:50], v[55:56], v[49:50]
	v_cvt_f64_i32_e32 v[55:56], v70
	v_add_f64 v[35:36], v[35:36], -v[47:48]
	v_mul_f64 v[57:58], v[55:56], s[8:9]
	s_and_b64 vcc, vcc, s[4:5]
	v_add_f64 v[51:52], v[53:54], v[49:50]
	v_ldexp_f64 v[35:36], v[35:36], 1
	v_add_f64 v[47:48], v[51:52], -v[53:54]
	v_fma_f64 v[53:54], v[55:56], s[8:9], -v[57:58]
	v_add_f64 v[47:48], v[49:50], -v[47:48]
	v_fma_f64 v[49:50], v[55:56], s[10:11], v[53:54]
	v_add_f64 v[35:36], v[35:36], v[47:48]
	v_add_f64 v[47:48], v[57:58], v[49:50]
	;; [unrolled: 1-line block ×3, first 2 shown]
	v_add_f64 v[57:58], v[47:48], -v[57:58]
	v_add_f64 v[55:56], v[47:48], v[53:54]
	v_add_f64 v[51:52], v[53:54], -v[51:52]
	v_add_f64 v[49:50], v[49:50], -v[57:58]
	;; [unrolled: 1-line block ×6, first 2 shown]
	v_add_f64 v[53:54], v[49:50], v[35:36]
	v_add_f64 v[47:48], v[47:48], -v[61:62]
	v_add_f64 v[47:48], v[51:52], v[47:48]
	v_add_f64 v[51:52], v[53:54], -v[49:50]
	;; [unrolled: 2-line block ×3, first 2 shown]
	v_add_f64 v[35:36], v[35:36], -v[51:52]
	v_add_f64 v[57:58], v[55:56], v[47:48]
	v_add_f64 v[49:50], v[49:50], -v[53:54]
	v_add_f64 v[51:52], v[57:58], -v[55:56]
	v_add_f64 v[35:36], v[35:36], v[49:50]
	v_add_f64 v[47:48], v[47:48], -v[51:52]
	v_add_f64 v[35:36], v[35:36], v[47:48]
	v_mov_b32_e32 v47, 0x7ff80000
	v_mov_b32_e32 v48, 0xfff00000
	v_add_f64 v[35:36], v[57:58], v[35:36]
	v_cndmask_b32_e32 v35, 0, v35, vcc
	v_cmp_ngt_f64_e32 vcc, -1.0, v[29:30]
	v_cndmask_b32_e64 v36, v69, v36, s[4:5]
	v_cndmask_b32_e32 v36, v47, v36, vcc
	v_cmp_neq_f64_e32 vcc, -1.0, v[29:30]
	v_cndmask_b32_e32 v36, v48, v36, vcc
	v_add_f64 v[29:30], v[31:32], v[35:36]
.LBB70_167:
	s_or_b64 exec, exec, s[6:7]
	v_max_f64 v[31:32], v[29:30], v[29:30]
	v_cmp_u_f64_e32 vcc, v[29:30], v[29:30]
	v_min_f64 v[35:36], v[31:32], v[33:34]
	v_max_f64 v[31:32], v[31:32], v[33:34]
	v_cndmask_b32_e32 v33, v35, v29, vcc
	v_cndmask_b32_e32 v34, v36, v30, vcc
	v_cndmask_b32_e32 v31, v31, v29, vcc
	v_cndmask_b32_e32 v32, v32, v30, vcc
	v_cndmask_b32_e64 v36, v34, v16, s[14:15]
	v_cndmask_b32_e64 v35, v33, v15, s[14:15]
	;; [unrolled: 1-line block ×4, first 2 shown]
	v_cmp_neq_f64_e32 vcc, v[35:36], v[33:34]
	v_cmp_class_f64_e64 s[0:1], v[35:36], s0
	v_mov_b32_e32 v32, v30
	v_mov_b32_e32 v31, v29
	s_or_b64 s[0:1], vcc, s[0:1]
	s_and_saveexec_b64 s[6:7], s[0:1]
	s_cbranch_execz .LBB70_169
; %bb.168:
	v_add_f64 v[31:32], v[35:36], -v[33:34]
	s_mov_b32 s0, 0x652b82fe
	s_mov_b32 s1, 0x3ff71547
	;; [unrolled: 1-line block ×6, first 2 shown]
	v_mov_b32_e32 v49, 0xfca7ab0c
	v_mul_f64 v[35:36], v[31:32], s[0:1]
	s_mov_b32 s0, 0x6a5dcb37
	v_mov_b32_e32 v50, 0x3e928af3
	s_mov_b32 s1, 0x3e5ade15
	s_mov_b32 s4, 0
	;; [unrolled: 1-line block ×3, first 2 shown]
	v_cmp_ngt_f64_e64 s[4:5], s[4:5], v[31:32]
	v_mov_b32_e32 v69, 0x7ff00000
	v_rndne_f64_e32 v[35:36], v[35:36]
	v_fma_f64 v[47:48], v[35:36], s[8:9], v[31:32]
	s_mov_b32 s9, 0x3fe62e42
	v_fma_f64 v[47:48], v[35:36], s[10:11], v[47:48]
	v_cvt_i32_f64_e32 v35, v[35:36]
	s_mov_b32 s11, 0x3c7abc9e
	v_fma_f64 v[49:50], v[47:48], s[0:1], v[49:50]
	s_mov_b32 s0, 0x623fde64
	s_mov_b32 s1, 0x3ec71dee
	v_fma_f64 v[49:50], v[47:48], v[49:50], s[0:1]
	s_mov_b32 s0, 0x7c89e6b0
	;; [unrolled: 3-line block ×9, first 2 shown]
	s_mov_b32 s1, 0x40900000
	v_cmp_nlt_f64_e32 vcc, s[0:1], v[31:32]
	s_mov_b32 s0, 0xbf559e2b
	s_mov_b32 s1, 0x3fc3ab76
	v_fma_f64 v[49:50], v[47:48], v[49:50], 1.0
	v_fma_f64 v[47:48], v[47:48], v[49:50], 1.0
	v_ldexp_f64 v[35:36], v[47:48], v35
	v_cndmask_b32_e32 v36, v69, v36, vcc
	s_and_b64 vcc, s[4:5], vcc
	v_cndmask_b32_e64 v32, 0, v36, s[4:5]
	v_cndmask_b32_e32 v31, 0, v35, vcc
	v_add_f64 v[35:36], v[31:32], 1.0
	s_mov_b32 s5, 0x3fe55555
	s_mov_b32 s4, 0x55555555
	v_frexp_mant_f64_e32 v[49:50], v[35:36]
	v_frexp_exp_i32_f64_e32 v53, v[35:36]
	v_add_f64 v[47:48], v[35:36], -1.0
	v_cmp_gt_f64_e32 vcc, s[4:5], v[49:50]
	s_mov_b32 s4, 0x55555780
	v_add_f64 v[51:52], v[47:48], -v[35:36]
	v_add_f64 v[47:48], v[31:32], -v[47:48]
	v_subbrev_co_u32_e32 v70, vcc, 0, v53, vcc
	v_sub_u32_e32 v53, 0, v70
	v_ldexp_f64 v[35:36], v[35:36], v53
	v_add_f64 v[49:50], v[51:52], 1.0
	v_cmp_nge_f64_e32 vcc, -1.0, v[31:32]
	v_add_f64 v[51:52], v[35:36], 1.0
	v_add_f64 v[47:48], v[47:48], v[49:50]
	v_add_f64 v[57:58], v[35:36], -1.0
	v_add_f64 v[49:50], v[51:52], -1.0
	v_ldexp_f64 v[47:48], v[47:48], v53
	v_add_f64 v[59:60], v[57:58], 1.0
	v_add_f64 v[49:50], v[35:36], -v[49:50]
	v_add_f64 v[35:36], v[35:36], -v[59:60]
	v_add_f64 v[49:50], v[47:48], v[49:50]
	v_add_f64 v[35:36], v[47:48], v[35:36]
	v_add_f64 v[53:54], v[51:52], v[49:50]
	v_add_f64 v[59:60], v[57:58], v[35:36]
	v_rcp_f64_e32 v[55:56], v[53:54]
	v_add_f64 v[51:52], v[53:54], -v[51:52]
	v_add_f64 v[57:58], v[59:60], -v[57:58]
	;; [unrolled: 1-line block ×4, first 2 shown]
	v_fma_f64 v[61:62], -v[53:54], v[55:56], 1.0
	v_fma_f64 v[55:56], v[61:62], v[55:56], v[55:56]
	v_fma_f64 v[47:48], -v[53:54], v[55:56], 1.0
	v_fma_f64 v[47:48], v[47:48], v[55:56], v[55:56]
	v_mul_f64 v[55:56], v[59:60], v[47:48]
	v_mul_f64 v[61:62], v[53:54], v[55:56]
	v_fma_f64 v[51:52], v[55:56], v[53:54], -v[61:62]
	v_fma_f64 v[51:52], v[55:56], v[49:50], v[51:52]
	v_add_f64 v[63:64], v[61:62], v[51:52]
	v_add_f64 v[67:68], v[59:60], -v[63:64]
	v_add_f64 v[57:58], v[63:64], -v[61:62]
	;; [unrolled: 1-line block ×5, first 2 shown]
	v_add_f64 v[35:36], v[35:36], v[59:60]
	v_add_f64 v[35:36], v[51:52], v[35:36]
	;; [unrolled: 1-line block ×3, first 2 shown]
	v_mul_f64 v[57:58], v[47:48], v[51:52]
	v_add_f64 v[63:64], v[67:68], -v[51:52]
	v_mul_f64 v[59:60], v[53:54], v[57:58]
	v_add_f64 v[35:36], v[35:36], v[63:64]
	v_fma_f64 v[53:54], v[57:58], v[53:54], -v[59:60]
	v_fma_f64 v[49:50], v[57:58], v[49:50], v[53:54]
	v_add_f64 v[53:54], v[59:60], v[49:50]
	v_add_f64 v[61:62], v[51:52], -v[53:54]
	v_add_f64 v[59:60], v[53:54], -v[59:60]
	v_add_f64 v[51:52], v[51:52], -v[61:62]
	v_add_f64 v[49:50], v[59:60], -v[49:50]
	v_add_f64 v[51:52], v[51:52], -v[53:54]
	v_mov_b32_e32 v53, 0x6b47b09a
	v_mov_b32_e32 v54, 0x3fc38538
	v_add_f64 v[35:36], v[35:36], v[51:52]
	v_add_f64 v[51:52], v[55:56], v[57:58]
	v_add_f64 v[35:36], v[49:50], v[35:36]
	v_add_f64 v[49:50], v[51:52], -v[55:56]
	v_add_f64 v[35:36], v[61:62], v[35:36]
	v_add_f64 v[49:50], v[57:58], -v[49:50]
	v_mul_f64 v[35:36], v[47:48], v[35:36]
	v_add_f64 v[35:36], v[49:50], v[35:36]
	v_add_f64 v[47:48], v[51:52], v[35:36]
	v_mul_f64 v[49:50], v[47:48], v[47:48]
	v_fma_f64 v[53:54], v[49:50], s[0:1], v[53:54]
	s_mov_b32 s0, 0xd7f4df2e
	s_mov_b32 s1, 0x3fc7474d
	v_mul_f64 v[55:56], v[47:48], v[49:50]
	v_fma_f64 v[53:54], v[49:50], v[53:54], s[0:1]
	s_mov_b32 s0, 0x16291751
	s_mov_b32 s1, 0x3fcc71c0
	v_fma_f64 v[53:54], v[49:50], v[53:54], s[0:1]
	s_mov_b32 s0, 0x9b27acf1
	s_mov_b32 s1, 0x3fd24924
	;; [unrolled: 3-line block ×4, first 2 shown]
	v_fma_f64 v[49:50], v[49:50], v[53:54], s[4:5]
	v_ldexp_f64 v[53:54], v[47:48], 1
	v_add_f64 v[47:48], v[47:48], -v[51:52]
	v_cmp_neq_f64_e64 s[4:5], s[0:1], v[31:32]
	v_mul_f64 v[49:50], v[55:56], v[49:50]
	v_cvt_f64_i32_e32 v[55:56], v70
	v_add_f64 v[35:36], v[35:36], -v[47:48]
	s_and_b64 vcc, vcc, s[4:5]
	v_mul_f64 v[57:58], v[55:56], s[8:9]
	v_add_f64 v[51:52], v[53:54], v[49:50]
	v_ldexp_f64 v[35:36], v[35:36], 1
	v_add_f64 v[47:48], v[51:52], -v[53:54]
	v_fma_f64 v[53:54], v[55:56], s[8:9], -v[57:58]
	v_add_f64 v[47:48], v[49:50], -v[47:48]
	v_fma_f64 v[49:50], v[55:56], s[10:11], v[53:54]
	v_add_f64 v[35:36], v[35:36], v[47:48]
	v_add_f64 v[47:48], v[57:58], v[49:50]
	v_add_f64 v[53:54], v[51:52], v[35:36]
	v_add_f64 v[57:58], v[47:48], -v[57:58]
	v_add_f64 v[55:56], v[47:48], v[53:54]
	v_add_f64 v[51:52], v[53:54], -v[51:52]
	v_add_f64 v[49:50], v[49:50], -v[57:58]
	v_add_f64 v[59:60], v[55:56], -v[47:48]
	v_add_f64 v[35:36], v[35:36], -v[51:52]
	v_add_f64 v[61:62], v[55:56], -v[59:60]
	v_add_f64 v[51:52], v[53:54], -v[59:60]
	v_add_f64 v[53:54], v[49:50], v[35:36]
	v_add_f64 v[47:48], v[47:48], -v[61:62]
	v_add_f64 v[47:48], v[51:52], v[47:48]
	v_add_f64 v[51:52], v[53:54], -v[49:50]
	;; [unrolled: 2-line block ×3, first 2 shown]
	v_add_f64 v[35:36], v[35:36], -v[51:52]
	v_add_f64 v[57:58], v[55:56], v[47:48]
	v_add_f64 v[49:50], v[49:50], -v[53:54]
	v_add_f64 v[51:52], v[57:58], -v[55:56]
	v_add_f64 v[35:36], v[35:36], v[49:50]
	v_add_f64 v[47:48], v[47:48], -v[51:52]
	v_add_f64 v[35:36], v[35:36], v[47:48]
	v_mov_b32_e32 v47, 0x7ff80000
	v_mov_b32_e32 v48, 0xfff00000
	v_add_f64 v[35:36], v[57:58], v[35:36]
	v_cndmask_b32_e32 v35, 0, v35, vcc
	v_cmp_ngt_f64_e32 vcc, -1.0, v[31:32]
	v_cndmask_b32_e64 v36, v69, v36, s[4:5]
	v_cndmask_b32_e32 v36, v47, v36, vcc
	v_cmp_neq_f64_e32 vcc, -1.0, v[31:32]
	v_cndmask_b32_e32 v36, v48, v36, vcc
	v_add_f64 v[31:32], v[33:34], v[35:36]
.LBB70_169:
	s_or_b64 exec, exec, s[6:7]
	v_max_f64 v[33:34], v[31:32], v[31:32]
	v_cmp_u_f64_e32 vcc, v[31:32], v[31:32]
	s_movk_i32 s0, 0x1f8
	v_min_f64 v[35:36], v[33:34], v[39:40]
	v_max_f64 v[33:34], v[33:34], v[39:40]
	v_cndmask_b32_e32 v35, v35, v31, vcc
	v_cndmask_b32_e32 v36, v36, v32, vcc
	;; [unrolled: 1-line block ×4, first 2 shown]
	v_cndmask_b32_e64 v40, v36, v10, s[16:17]
	v_cndmask_b32_e64 v39, v35, v9, s[16:17]
	;; [unrolled: 1-line block ×4, first 2 shown]
	v_cmp_neq_f64_e32 vcc, v[39:40], v[35:36]
	v_cmp_class_f64_e64 s[4:5], v[39:40], s0
	v_mov_b32_e32 v34, v32
	v_mov_b32_e32 v33, v31
	s_or_b64 s[4:5], vcc, s[4:5]
	s_and_saveexec_b64 s[6:7], s[4:5]
	s_cbranch_execz .LBB70_171
; %bb.170:
	v_add_f64 v[33:34], v[39:40], -v[35:36]
	s_mov_b32 s4, 0x652b82fe
	s_mov_b32 s5, 0x3ff71547
	;; [unrolled: 1-line block ×6, first 2 shown]
	v_mov_b32_e32 v49, 0xfca7ab0c
	v_mul_f64 v[39:40], v[33:34], s[4:5]
	s_mov_b32 s4, 0x6a5dcb37
	v_mov_b32_e32 v50, 0x3e928af3
	s_mov_b32 s5, 0x3e5ade15
	s_mov_b32 s12, 0
	s_mov_b32 s13, 0xc090cc00
	v_mov_b32_e32 v69, 0x7ff00000
	v_rndne_f64_e32 v[39:40], v[39:40]
	v_fma_f64 v[47:48], v[39:40], s[8:9], v[33:34]
	s_mov_b32 s9, 0x3fe62e42
	v_fma_f64 v[47:48], v[39:40], s[10:11], v[47:48]
	v_cvt_i32_f64_e32 v39, v[39:40]
	s_mov_b32 s11, 0x3c7abc9e
	v_fma_f64 v[49:50], v[47:48], s[4:5], v[49:50]
	s_mov_b32 s4, 0x623fde64
	s_mov_b32 s5, 0x3ec71dee
	v_fma_f64 v[49:50], v[47:48], v[49:50], s[4:5]
	s_mov_b32 s4, 0x7c89e6b0
	;; [unrolled: 3-line block ×9, first 2 shown]
	s_mov_b32 s5, 0x40900000
	v_cmp_nlt_f64_e32 vcc, s[4:5], v[33:34]
	v_cmp_ngt_f64_e64 s[4:5], s[12:13], v[33:34]
	s_mov_b32 s12, 0xbf559e2b
	s_mov_b32 s13, 0x3fc3ab76
	v_fma_f64 v[49:50], v[47:48], v[49:50], 1.0
	v_fma_f64 v[47:48], v[47:48], v[49:50], 1.0
	v_ldexp_f64 v[39:40], v[47:48], v39
	v_cndmask_b32_e32 v40, v69, v40, vcc
	s_and_b64 vcc, s[4:5], vcc
	v_cndmask_b32_e64 v34, 0, v40, s[4:5]
	v_cndmask_b32_e32 v33, 0, v39, vcc
	v_add_f64 v[39:40], v[33:34], 1.0
	s_mov_b32 s5, 0x3fe55555
	s_mov_b32 s4, 0x55555555
	v_frexp_mant_f64_e32 v[49:50], v[39:40]
	v_frexp_exp_i32_f64_e32 v53, v[39:40]
	v_add_f64 v[47:48], v[39:40], -1.0
	v_cmp_gt_f64_e32 vcc, s[4:5], v[49:50]
	s_mov_b32 s4, 0x55555780
	v_add_f64 v[51:52], v[47:48], -v[39:40]
	v_add_f64 v[47:48], v[33:34], -v[47:48]
	v_subbrev_co_u32_e32 v70, vcc, 0, v53, vcc
	v_sub_u32_e32 v53, 0, v70
	v_ldexp_f64 v[39:40], v[39:40], v53
	v_add_f64 v[49:50], v[51:52], 1.0
	v_cmp_nge_f64_e32 vcc, -1.0, v[33:34]
	v_add_f64 v[51:52], v[39:40], 1.0
	v_add_f64 v[47:48], v[47:48], v[49:50]
	v_add_f64 v[57:58], v[39:40], -1.0
	v_add_f64 v[49:50], v[51:52], -1.0
	v_ldexp_f64 v[47:48], v[47:48], v53
	v_add_f64 v[59:60], v[57:58], 1.0
	v_add_f64 v[49:50], v[39:40], -v[49:50]
	v_add_f64 v[39:40], v[39:40], -v[59:60]
	v_add_f64 v[49:50], v[47:48], v[49:50]
	v_add_f64 v[39:40], v[47:48], v[39:40]
	;; [unrolled: 1-line block ×4, first 2 shown]
	v_rcp_f64_e32 v[55:56], v[53:54]
	v_add_f64 v[51:52], v[53:54], -v[51:52]
	v_add_f64 v[57:58], v[59:60], -v[57:58]
	;; [unrolled: 1-line block ×4, first 2 shown]
	v_fma_f64 v[61:62], -v[53:54], v[55:56], 1.0
	v_fma_f64 v[55:56], v[61:62], v[55:56], v[55:56]
	v_fma_f64 v[47:48], -v[53:54], v[55:56], 1.0
	v_fma_f64 v[47:48], v[47:48], v[55:56], v[55:56]
	v_mul_f64 v[55:56], v[59:60], v[47:48]
	v_mul_f64 v[61:62], v[53:54], v[55:56]
	v_fma_f64 v[51:52], v[55:56], v[53:54], -v[61:62]
	v_fma_f64 v[51:52], v[55:56], v[49:50], v[51:52]
	v_add_f64 v[63:64], v[61:62], v[51:52]
	v_add_f64 v[67:68], v[59:60], -v[63:64]
	v_add_f64 v[57:58], v[63:64], -v[61:62]
	;; [unrolled: 1-line block ×5, first 2 shown]
	v_add_f64 v[39:40], v[39:40], v[59:60]
	v_add_f64 v[39:40], v[51:52], v[39:40]
	;; [unrolled: 1-line block ×3, first 2 shown]
	v_mul_f64 v[57:58], v[47:48], v[51:52]
	v_add_f64 v[63:64], v[67:68], -v[51:52]
	v_mul_f64 v[59:60], v[53:54], v[57:58]
	v_add_f64 v[39:40], v[39:40], v[63:64]
	v_fma_f64 v[53:54], v[57:58], v[53:54], -v[59:60]
	v_fma_f64 v[49:50], v[57:58], v[49:50], v[53:54]
	v_add_f64 v[53:54], v[59:60], v[49:50]
	v_add_f64 v[61:62], v[51:52], -v[53:54]
	v_add_f64 v[59:60], v[53:54], -v[59:60]
	;; [unrolled: 1-line block ×5, first 2 shown]
	v_mov_b32_e32 v53, 0x6b47b09a
	v_mov_b32_e32 v54, 0x3fc38538
	v_add_f64 v[39:40], v[39:40], v[51:52]
	v_add_f64 v[51:52], v[55:56], v[57:58]
	;; [unrolled: 1-line block ×3, first 2 shown]
	v_add_f64 v[49:50], v[51:52], -v[55:56]
	v_add_f64 v[39:40], v[61:62], v[39:40]
	v_add_f64 v[49:50], v[57:58], -v[49:50]
	v_mul_f64 v[39:40], v[47:48], v[39:40]
	v_add_f64 v[39:40], v[49:50], v[39:40]
	v_add_f64 v[47:48], v[51:52], v[39:40]
	v_mul_f64 v[49:50], v[47:48], v[47:48]
	v_fma_f64 v[53:54], v[49:50], s[12:13], v[53:54]
	s_mov_b32 s12, 0xd7f4df2e
	s_mov_b32 s13, 0x3fc7474d
	v_mul_f64 v[55:56], v[47:48], v[49:50]
	v_fma_f64 v[53:54], v[49:50], v[53:54], s[12:13]
	s_mov_b32 s12, 0x16291751
	s_mov_b32 s13, 0x3fcc71c0
	v_fma_f64 v[53:54], v[49:50], v[53:54], s[12:13]
	s_mov_b32 s12, 0x9b27acf1
	s_mov_b32 s13, 0x3fd24924
	;; [unrolled: 3-line block ×3, first 2 shown]
	v_fma_f64 v[53:54], v[49:50], v[53:54], s[12:13]
	v_fma_f64 v[49:50], v[49:50], v[53:54], s[4:5]
	v_ldexp_f64 v[53:54], v[47:48], 1
	v_add_f64 v[47:48], v[47:48], -v[51:52]
	s_mov_b32 s4, 0
	s_mov_b32 s5, 0x7ff00000
	v_cmp_neq_f64_e64 s[4:5], s[4:5], v[33:34]
	v_mul_f64 v[49:50], v[55:56], v[49:50]
	v_cvt_f64_i32_e32 v[55:56], v70
	v_add_f64 v[39:40], v[39:40], -v[47:48]
	v_mul_f64 v[57:58], v[55:56], s[8:9]
	s_and_b64 vcc, vcc, s[4:5]
	v_add_f64 v[51:52], v[53:54], v[49:50]
	v_ldexp_f64 v[39:40], v[39:40], 1
	v_add_f64 v[47:48], v[51:52], -v[53:54]
	v_fma_f64 v[53:54], v[55:56], s[8:9], -v[57:58]
	v_add_f64 v[47:48], v[49:50], -v[47:48]
	v_fma_f64 v[49:50], v[55:56], s[10:11], v[53:54]
	v_add_f64 v[39:40], v[39:40], v[47:48]
	v_add_f64 v[47:48], v[57:58], v[49:50]
	;; [unrolled: 1-line block ×3, first 2 shown]
	v_add_f64 v[57:58], v[47:48], -v[57:58]
	v_add_f64 v[55:56], v[47:48], v[53:54]
	v_add_f64 v[51:52], v[53:54], -v[51:52]
	v_add_f64 v[49:50], v[49:50], -v[57:58]
	;; [unrolled: 1-line block ×6, first 2 shown]
	v_add_f64 v[53:54], v[49:50], v[39:40]
	v_add_f64 v[47:48], v[47:48], -v[61:62]
	v_add_f64 v[47:48], v[51:52], v[47:48]
	v_add_f64 v[51:52], v[53:54], -v[49:50]
	;; [unrolled: 2-line block ×3, first 2 shown]
	v_add_f64 v[39:40], v[39:40], -v[51:52]
	v_add_f64 v[57:58], v[55:56], v[47:48]
	v_add_f64 v[49:50], v[49:50], -v[53:54]
	v_add_f64 v[51:52], v[57:58], -v[55:56]
	v_add_f64 v[39:40], v[39:40], v[49:50]
	v_add_f64 v[47:48], v[47:48], -v[51:52]
	v_add_f64 v[39:40], v[39:40], v[47:48]
	v_mov_b32_e32 v47, 0x7ff80000
	v_mov_b32_e32 v48, 0xfff00000
	v_add_f64 v[39:40], v[57:58], v[39:40]
	v_cndmask_b32_e32 v39, 0, v39, vcc
	v_cmp_ngt_f64_e32 vcc, -1.0, v[33:34]
	v_cndmask_b32_e64 v40, v69, v40, s[4:5]
	v_cndmask_b32_e32 v40, v47, v40, vcc
	v_cmp_neq_f64_e32 vcc, -1.0, v[33:34]
	v_cndmask_b32_e32 v40, v48, v40, vcc
	v_add_f64 v[33:34], v[35:36], v[39:40]
.LBB70_171:
	s_or_b64 exec, exec, s[6:7]
	v_max_f64 v[35:36], v[33:34], v[33:34]
	v_cmp_u_f64_e32 vcc, v[33:34], v[33:34]
	v_min_f64 v[39:40], v[35:36], v[37:38]
	v_max_f64 v[35:36], v[35:36], v[37:38]
	v_cndmask_b32_e32 v37, v39, v33, vcc
	v_cndmask_b32_e32 v38, v40, v34, vcc
	;; [unrolled: 1-line block ×4, first 2 shown]
	v_cndmask_b32_e64 v40, v38, v12, s[18:19]
	v_cndmask_b32_e64 v39, v37, v11, s[18:19]
	;; [unrolled: 1-line block ×4, first 2 shown]
	v_cmp_neq_f64_e32 vcc, v[39:40], v[37:38]
	v_cmp_class_f64_e64 s[0:1], v[39:40], s0
	v_mov_b32_e32 v36, v34
	v_mov_b32_e32 v35, v33
	s_or_b64 s[0:1], vcc, s[0:1]
	s_and_saveexec_b64 s[6:7], s[0:1]
	s_cbranch_execz .LBB70_173
; %bb.172:
	v_add_f64 v[35:36], v[39:40], -v[37:38]
	s_mov_b32 s0, 0x652b82fe
	s_mov_b32 s1, 0x3ff71547
	;; [unrolled: 1-line block ×6, first 2 shown]
	v_mov_b32_e32 v49, 0xfca7ab0c
	v_mul_f64 v[39:40], v[35:36], s[0:1]
	s_mov_b32 s0, 0x6a5dcb37
	v_mov_b32_e32 v50, 0x3e928af3
	s_mov_b32 s1, 0x3e5ade15
	s_mov_b32 s4, 0
	;; [unrolled: 1-line block ×3, first 2 shown]
	v_cmp_ngt_f64_e64 s[4:5], s[4:5], v[35:36]
	v_mov_b32_e32 v69, 0x7ff00000
	v_rndne_f64_e32 v[39:40], v[39:40]
	v_fma_f64 v[47:48], v[39:40], s[8:9], v[35:36]
	s_mov_b32 s9, 0x3fe62e42
	v_fma_f64 v[47:48], v[39:40], s[10:11], v[47:48]
	v_cvt_i32_f64_e32 v39, v[39:40]
	s_mov_b32 s11, 0x3c7abc9e
	v_fma_f64 v[49:50], v[47:48], s[0:1], v[49:50]
	s_mov_b32 s0, 0x623fde64
	s_mov_b32 s1, 0x3ec71dee
	v_fma_f64 v[49:50], v[47:48], v[49:50], s[0:1]
	s_mov_b32 s0, 0x7c89e6b0
	;; [unrolled: 3-line block ×9, first 2 shown]
	s_mov_b32 s1, 0x40900000
	v_cmp_nlt_f64_e32 vcc, s[0:1], v[35:36]
	s_mov_b32 s0, 0xbf559e2b
	s_mov_b32 s1, 0x3fc3ab76
	v_fma_f64 v[49:50], v[47:48], v[49:50], 1.0
	v_fma_f64 v[47:48], v[47:48], v[49:50], 1.0
	v_ldexp_f64 v[39:40], v[47:48], v39
	v_cndmask_b32_e32 v40, v69, v40, vcc
	s_and_b64 vcc, s[4:5], vcc
	v_cndmask_b32_e64 v36, 0, v40, s[4:5]
	v_cndmask_b32_e32 v35, 0, v39, vcc
	v_add_f64 v[39:40], v[35:36], 1.0
	s_mov_b32 s5, 0x3fe55555
	s_mov_b32 s4, 0x55555555
	v_frexp_mant_f64_e32 v[49:50], v[39:40]
	v_frexp_exp_i32_f64_e32 v53, v[39:40]
	v_add_f64 v[47:48], v[39:40], -1.0
	v_cmp_gt_f64_e32 vcc, s[4:5], v[49:50]
	s_mov_b32 s4, 0x55555780
	v_add_f64 v[51:52], v[47:48], -v[39:40]
	v_add_f64 v[47:48], v[35:36], -v[47:48]
	v_subbrev_co_u32_e32 v70, vcc, 0, v53, vcc
	v_sub_u32_e32 v53, 0, v70
	v_ldexp_f64 v[39:40], v[39:40], v53
	v_add_f64 v[49:50], v[51:52], 1.0
	v_cmp_nge_f64_e32 vcc, -1.0, v[35:36]
	v_add_f64 v[51:52], v[39:40], 1.0
	v_add_f64 v[47:48], v[47:48], v[49:50]
	v_add_f64 v[57:58], v[39:40], -1.0
	v_add_f64 v[49:50], v[51:52], -1.0
	v_ldexp_f64 v[47:48], v[47:48], v53
	v_add_f64 v[59:60], v[57:58], 1.0
	v_add_f64 v[49:50], v[39:40], -v[49:50]
	v_add_f64 v[39:40], v[39:40], -v[59:60]
	v_add_f64 v[49:50], v[47:48], v[49:50]
	v_add_f64 v[39:40], v[47:48], v[39:40]
	;; [unrolled: 1-line block ×4, first 2 shown]
	v_rcp_f64_e32 v[55:56], v[53:54]
	v_add_f64 v[51:52], v[53:54], -v[51:52]
	v_add_f64 v[57:58], v[59:60], -v[57:58]
	;; [unrolled: 1-line block ×4, first 2 shown]
	v_fma_f64 v[61:62], -v[53:54], v[55:56], 1.0
	v_fma_f64 v[55:56], v[61:62], v[55:56], v[55:56]
	v_fma_f64 v[47:48], -v[53:54], v[55:56], 1.0
	v_fma_f64 v[47:48], v[47:48], v[55:56], v[55:56]
	v_mul_f64 v[55:56], v[59:60], v[47:48]
	v_mul_f64 v[61:62], v[53:54], v[55:56]
	v_fma_f64 v[51:52], v[55:56], v[53:54], -v[61:62]
	v_fma_f64 v[51:52], v[55:56], v[49:50], v[51:52]
	v_add_f64 v[63:64], v[61:62], v[51:52]
	v_add_f64 v[67:68], v[59:60], -v[63:64]
	v_add_f64 v[57:58], v[63:64], -v[61:62]
	;; [unrolled: 1-line block ×5, first 2 shown]
	v_add_f64 v[39:40], v[39:40], v[59:60]
	v_add_f64 v[39:40], v[51:52], v[39:40]
	;; [unrolled: 1-line block ×3, first 2 shown]
	v_mul_f64 v[57:58], v[47:48], v[51:52]
	v_add_f64 v[63:64], v[67:68], -v[51:52]
	v_mul_f64 v[59:60], v[53:54], v[57:58]
	v_add_f64 v[39:40], v[39:40], v[63:64]
	v_fma_f64 v[53:54], v[57:58], v[53:54], -v[59:60]
	v_fma_f64 v[49:50], v[57:58], v[49:50], v[53:54]
	v_add_f64 v[53:54], v[59:60], v[49:50]
	v_add_f64 v[61:62], v[51:52], -v[53:54]
	v_add_f64 v[59:60], v[53:54], -v[59:60]
	;; [unrolled: 1-line block ×5, first 2 shown]
	v_mov_b32_e32 v53, 0x6b47b09a
	v_mov_b32_e32 v54, 0x3fc38538
	v_add_f64 v[39:40], v[39:40], v[51:52]
	v_add_f64 v[51:52], v[55:56], v[57:58]
	;; [unrolled: 1-line block ×3, first 2 shown]
	v_add_f64 v[49:50], v[51:52], -v[55:56]
	v_add_f64 v[39:40], v[61:62], v[39:40]
	v_add_f64 v[49:50], v[57:58], -v[49:50]
	v_mul_f64 v[39:40], v[47:48], v[39:40]
	v_add_f64 v[39:40], v[49:50], v[39:40]
	v_add_f64 v[47:48], v[51:52], v[39:40]
	v_mul_f64 v[49:50], v[47:48], v[47:48]
	v_fma_f64 v[53:54], v[49:50], s[0:1], v[53:54]
	s_mov_b32 s0, 0xd7f4df2e
	s_mov_b32 s1, 0x3fc7474d
	v_mul_f64 v[55:56], v[47:48], v[49:50]
	v_fma_f64 v[53:54], v[49:50], v[53:54], s[0:1]
	s_mov_b32 s0, 0x16291751
	s_mov_b32 s1, 0x3fcc71c0
	v_fma_f64 v[53:54], v[49:50], v[53:54], s[0:1]
	s_mov_b32 s0, 0x9b27acf1
	s_mov_b32 s1, 0x3fd24924
	;; [unrolled: 3-line block ×4, first 2 shown]
	v_fma_f64 v[49:50], v[49:50], v[53:54], s[4:5]
	v_ldexp_f64 v[53:54], v[47:48], 1
	v_add_f64 v[47:48], v[47:48], -v[51:52]
	v_cmp_neq_f64_e64 s[4:5], s[0:1], v[35:36]
	v_mul_f64 v[49:50], v[55:56], v[49:50]
	v_cvt_f64_i32_e32 v[55:56], v70
	v_add_f64 v[39:40], v[39:40], -v[47:48]
	s_and_b64 vcc, vcc, s[4:5]
	v_mul_f64 v[57:58], v[55:56], s[8:9]
	v_add_f64 v[51:52], v[53:54], v[49:50]
	v_ldexp_f64 v[39:40], v[39:40], 1
	v_add_f64 v[47:48], v[51:52], -v[53:54]
	v_fma_f64 v[53:54], v[55:56], s[8:9], -v[57:58]
	v_add_f64 v[47:48], v[49:50], -v[47:48]
	v_fma_f64 v[49:50], v[55:56], s[10:11], v[53:54]
	v_add_f64 v[39:40], v[39:40], v[47:48]
	v_add_f64 v[47:48], v[57:58], v[49:50]
	;; [unrolled: 1-line block ×3, first 2 shown]
	v_add_f64 v[57:58], v[47:48], -v[57:58]
	v_add_f64 v[55:56], v[47:48], v[53:54]
	v_add_f64 v[51:52], v[53:54], -v[51:52]
	v_add_f64 v[49:50], v[49:50], -v[57:58]
	;; [unrolled: 1-line block ×6, first 2 shown]
	v_add_f64 v[53:54], v[49:50], v[39:40]
	v_add_f64 v[47:48], v[47:48], -v[61:62]
	v_add_f64 v[47:48], v[51:52], v[47:48]
	v_add_f64 v[51:52], v[53:54], -v[49:50]
	;; [unrolled: 2-line block ×3, first 2 shown]
	v_add_f64 v[39:40], v[39:40], -v[51:52]
	v_add_f64 v[57:58], v[55:56], v[47:48]
	v_add_f64 v[49:50], v[49:50], -v[53:54]
	v_add_f64 v[51:52], v[57:58], -v[55:56]
	v_add_f64 v[39:40], v[39:40], v[49:50]
	v_add_f64 v[47:48], v[47:48], -v[51:52]
	v_add_f64 v[39:40], v[39:40], v[47:48]
	v_mov_b32_e32 v47, 0x7ff80000
	v_mov_b32_e32 v48, 0xfff00000
	v_add_f64 v[39:40], v[57:58], v[39:40]
	v_cndmask_b32_e32 v39, 0, v39, vcc
	v_cmp_ngt_f64_e32 vcc, -1.0, v[35:36]
	v_cndmask_b32_e64 v40, v69, v40, s[4:5]
	v_cndmask_b32_e32 v40, v47, v40, vcc
	v_cmp_neq_f64_e32 vcc, -1.0, v[35:36]
	v_cndmask_b32_e32 v40, v48, v40, vcc
	v_add_f64 v[35:36], v[37:38], v[39:40]
.LBB70_173:
	s_or_b64 exec, exec, s[6:7]
	v_max_f64 v[37:38], v[35:36], v[35:36]
	v_cmp_u_f64_e32 vcc, v[35:36], v[35:36]
	s_movk_i32 s0, 0x1f8
	v_min_f64 v[39:40], v[37:38], v[45:46]
	v_max_f64 v[37:38], v[37:38], v[45:46]
	v_cndmask_b32_e32 v39, v39, v35, vcc
	v_cndmask_b32_e32 v40, v40, v36, vcc
	;; [unrolled: 1-line block ×4, first 2 shown]
	v_cndmask_b32_e64 v46, v40, v6, s[20:21]
	v_cndmask_b32_e64 v45, v39, v5, s[20:21]
	;; [unrolled: 1-line block ×4, first 2 shown]
	v_cmp_neq_f64_e32 vcc, v[45:46], v[39:40]
	v_cmp_class_f64_e64 s[4:5], v[45:46], s0
	v_mov_b32_e32 v38, v36
	v_mov_b32_e32 v37, v35
	s_or_b64 s[4:5], vcc, s[4:5]
	s_and_saveexec_b64 s[6:7], s[4:5]
	s_cbranch_execz .LBB70_175
; %bb.174:
	v_add_f64 v[37:38], v[45:46], -v[39:40]
	s_mov_b32 s4, 0x652b82fe
	s_mov_b32 s5, 0x3ff71547
	;; [unrolled: 1-line block ×6, first 2 shown]
	v_mov_b32_e32 v49, 0xfca7ab0c
	v_mul_f64 v[45:46], v[37:38], s[4:5]
	s_mov_b32 s4, 0x6a5dcb37
	v_mov_b32_e32 v50, 0x3e928af3
	s_mov_b32 s5, 0x3e5ade15
	s_mov_b32 s12, 0
	s_mov_b32 s13, 0xc090cc00
	v_mov_b32_e32 v69, 0x7ff00000
	v_rndne_f64_e32 v[45:46], v[45:46]
	v_fma_f64 v[47:48], v[45:46], s[8:9], v[37:38]
	s_mov_b32 s9, 0x3fe62e42
	v_fma_f64 v[47:48], v[45:46], s[10:11], v[47:48]
	v_cvt_i32_f64_e32 v45, v[45:46]
	s_mov_b32 s11, 0x3c7abc9e
	v_fma_f64 v[49:50], v[47:48], s[4:5], v[49:50]
	s_mov_b32 s4, 0x623fde64
	s_mov_b32 s5, 0x3ec71dee
	v_fma_f64 v[49:50], v[47:48], v[49:50], s[4:5]
	s_mov_b32 s4, 0x7c89e6b0
	;; [unrolled: 3-line block ×9, first 2 shown]
	s_mov_b32 s5, 0x40900000
	v_cmp_nlt_f64_e32 vcc, s[4:5], v[37:38]
	v_cmp_ngt_f64_e64 s[4:5], s[12:13], v[37:38]
	s_mov_b32 s12, 0xbf559e2b
	s_mov_b32 s13, 0x3fc3ab76
	v_fma_f64 v[49:50], v[47:48], v[49:50], 1.0
	v_fma_f64 v[47:48], v[47:48], v[49:50], 1.0
	v_ldexp_f64 v[45:46], v[47:48], v45
	v_cndmask_b32_e32 v46, v69, v46, vcc
	s_and_b64 vcc, s[4:5], vcc
	v_cndmask_b32_e64 v38, 0, v46, s[4:5]
	v_cndmask_b32_e32 v37, 0, v45, vcc
	v_add_f64 v[45:46], v[37:38], 1.0
	s_mov_b32 s5, 0x3fe55555
	s_mov_b32 s4, 0x55555555
	v_frexp_mant_f64_e32 v[49:50], v[45:46]
	v_frexp_exp_i32_f64_e32 v53, v[45:46]
	v_add_f64 v[47:48], v[45:46], -1.0
	v_cmp_gt_f64_e32 vcc, s[4:5], v[49:50]
	s_mov_b32 s4, 0x55555780
	v_add_f64 v[51:52], v[47:48], -v[45:46]
	v_add_f64 v[47:48], v[37:38], -v[47:48]
	v_subbrev_co_u32_e32 v70, vcc, 0, v53, vcc
	v_sub_u32_e32 v53, 0, v70
	v_ldexp_f64 v[45:46], v[45:46], v53
	v_add_f64 v[49:50], v[51:52], 1.0
	v_cmp_nge_f64_e32 vcc, -1.0, v[37:38]
	v_add_f64 v[51:52], v[45:46], 1.0
	v_add_f64 v[47:48], v[47:48], v[49:50]
	v_add_f64 v[57:58], v[45:46], -1.0
	v_add_f64 v[49:50], v[51:52], -1.0
	v_ldexp_f64 v[47:48], v[47:48], v53
	v_add_f64 v[59:60], v[57:58], 1.0
	v_add_f64 v[49:50], v[45:46], -v[49:50]
	v_add_f64 v[45:46], v[45:46], -v[59:60]
	v_add_f64 v[49:50], v[47:48], v[49:50]
	v_add_f64 v[45:46], v[47:48], v[45:46]
	;; [unrolled: 1-line block ×4, first 2 shown]
	v_rcp_f64_e32 v[55:56], v[53:54]
	v_add_f64 v[51:52], v[53:54], -v[51:52]
	v_add_f64 v[57:58], v[59:60], -v[57:58]
	;; [unrolled: 1-line block ×4, first 2 shown]
	v_fma_f64 v[61:62], -v[53:54], v[55:56], 1.0
	v_fma_f64 v[55:56], v[61:62], v[55:56], v[55:56]
	v_fma_f64 v[47:48], -v[53:54], v[55:56], 1.0
	v_fma_f64 v[47:48], v[47:48], v[55:56], v[55:56]
	v_mul_f64 v[55:56], v[59:60], v[47:48]
	v_mul_f64 v[61:62], v[53:54], v[55:56]
	v_fma_f64 v[51:52], v[55:56], v[53:54], -v[61:62]
	v_fma_f64 v[51:52], v[55:56], v[49:50], v[51:52]
	v_add_f64 v[63:64], v[61:62], v[51:52]
	v_add_f64 v[67:68], v[59:60], -v[63:64]
	v_add_f64 v[57:58], v[63:64], -v[61:62]
	;; [unrolled: 1-line block ×5, first 2 shown]
	v_add_f64 v[45:46], v[45:46], v[59:60]
	v_add_f64 v[45:46], v[51:52], v[45:46]
	;; [unrolled: 1-line block ×3, first 2 shown]
	v_mul_f64 v[57:58], v[47:48], v[51:52]
	v_add_f64 v[63:64], v[67:68], -v[51:52]
	v_mul_f64 v[59:60], v[53:54], v[57:58]
	v_add_f64 v[45:46], v[45:46], v[63:64]
	v_fma_f64 v[53:54], v[57:58], v[53:54], -v[59:60]
	v_fma_f64 v[49:50], v[57:58], v[49:50], v[53:54]
	v_add_f64 v[53:54], v[59:60], v[49:50]
	v_add_f64 v[61:62], v[51:52], -v[53:54]
	v_add_f64 v[59:60], v[53:54], -v[59:60]
	;; [unrolled: 1-line block ×5, first 2 shown]
	v_mov_b32_e32 v53, 0x6b47b09a
	v_mov_b32_e32 v54, 0x3fc38538
	v_add_f64 v[45:46], v[45:46], v[51:52]
	v_add_f64 v[51:52], v[55:56], v[57:58]
	;; [unrolled: 1-line block ×3, first 2 shown]
	v_add_f64 v[49:50], v[51:52], -v[55:56]
	v_add_f64 v[45:46], v[61:62], v[45:46]
	v_add_f64 v[49:50], v[57:58], -v[49:50]
	v_mul_f64 v[45:46], v[47:48], v[45:46]
	v_add_f64 v[45:46], v[49:50], v[45:46]
	v_add_f64 v[47:48], v[51:52], v[45:46]
	v_mul_f64 v[49:50], v[47:48], v[47:48]
	v_fma_f64 v[53:54], v[49:50], s[12:13], v[53:54]
	s_mov_b32 s12, 0xd7f4df2e
	s_mov_b32 s13, 0x3fc7474d
	v_mul_f64 v[55:56], v[47:48], v[49:50]
	v_fma_f64 v[53:54], v[49:50], v[53:54], s[12:13]
	s_mov_b32 s12, 0x16291751
	s_mov_b32 s13, 0x3fcc71c0
	v_fma_f64 v[53:54], v[49:50], v[53:54], s[12:13]
	s_mov_b32 s12, 0x9b27acf1
	s_mov_b32 s13, 0x3fd24924
	v_fma_f64 v[53:54], v[49:50], v[53:54], s[12:13]
	s_mov_b32 s12, 0x998ef7b6
	s_mov_b32 s13, 0x3fd99999
	v_fma_f64 v[53:54], v[49:50], v[53:54], s[12:13]
	v_fma_f64 v[49:50], v[49:50], v[53:54], s[4:5]
	v_ldexp_f64 v[53:54], v[47:48], 1
	v_add_f64 v[47:48], v[47:48], -v[51:52]
	s_mov_b32 s4, 0
	s_mov_b32 s5, 0x7ff00000
	v_cmp_neq_f64_e64 s[4:5], s[4:5], v[37:38]
	v_mul_f64 v[49:50], v[55:56], v[49:50]
	v_cvt_f64_i32_e32 v[55:56], v70
	v_add_f64 v[45:46], v[45:46], -v[47:48]
	v_mul_f64 v[57:58], v[55:56], s[8:9]
	s_and_b64 vcc, vcc, s[4:5]
	v_add_f64 v[51:52], v[53:54], v[49:50]
	v_ldexp_f64 v[45:46], v[45:46], 1
	v_add_f64 v[47:48], v[51:52], -v[53:54]
	v_fma_f64 v[53:54], v[55:56], s[8:9], -v[57:58]
	v_add_f64 v[47:48], v[49:50], -v[47:48]
	v_fma_f64 v[49:50], v[55:56], s[10:11], v[53:54]
	v_add_f64 v[45:46], v[45:46], v[47:48]
	v_add_f64 v[47:48], v[57:58], v[49:50]
	v_add_f64 v[53:54], v[51:52], v[45:46]
	v_add_f64 v[57:58], v[47:48], -v[57:58]
	v_add_f64 v[55:56], v[47:48], v[53:54]
	v_add_f64 v[51:52], v[53:54], -v[51:52]
	v_add_f64 v[49:50], v[49:50], -v[57:58]
	;; [unrolled: 1-line block ×6, first 2 shown]
	v_add_f64 v[53:54], v[49:50], v[45:46]
	v_add_f64 v[47:48], v[47:48], -v[61:62]
	v_add_f64 v[47:48], v[51:52], v[47:48]
	v_add_f64 v[51:52], v[53:54], -v[49:50]
	;; [unrolled: 2-line block ×3, first 2 shown]
	v_add_f64 v[45:46], v[45:46], -v[51:52]
	v_add_f64 v[57:58], v[55:56], v[47:48]
	v_add_f64 v[49:50], v[49:50], -v[53:54]
	v_add_f64 v[51:52], v[57:58], -v[55:56]
	v_add_f64 v[45:46], v[45:46], v[49:50]
	v_add_f64 v[47:48], v[47:48], -v[51:52]
	v_add_f64 v[45:46], v[45:46], v[47:48]
	v_mov_b32_e32 v47, 0x7ff80000
	v_mov_b32_e32 v48, 0xfff00000
	v_add_f64 v[45:46], v[57:58], v[45:46]
	v_cndmask_b32_e32 v45, 0, v45, vcc
	v_cmp_ngt_f64_e32 vcc, -1.0, v[37:38]
	v_cndmask_b32_e64 v46, v69, v46, s[4:5]
	v_cndmask_b32_e32 v46, v47, v46, vcc
	v_cmp_neq_f64_e32 vcc, -1.0, v[37:38]
	v_cndmask_b32_e32 v46, v48, v46, vcc
	v_add_f64 v[37:38], v[39:40], v[45:46]
.LBB70_175:
	s_or_b64 exec, exec, s[6:7]
	v_max_f64 v[39:40], v[37:38], v[37:38]
	v_cmp_u_f64_e32 vcc, v[37:38], v[37:38]
	v_min_f64 v[45:46], v[39:40], v[43:44]
	v_max_f64 v[39:40], v[39:40], v[43:44]
	v_cndmask_b32_e32 v43, v45, v37, vcc
	v_cndmask_b32_e32 v44, v46, v38, vcc
	;; [unrolled: 1-line block ×4, first 2 shown]
	v_cndmask_b32_e64 v46, v44, v8, s[22:23]
	v_cndmask_b32_e64 v45, v43, v7, s[22:23]
	;; [unrolled: 1-line block ×4, first 2 shown]
	v_cmp_neq_f64_e32 vcc, v[45:46], v[43:44]
	v_cmp_class_f64_e64 s[0:1], v[45:46], s0
	v_mov_b32_e32 v40, v38
	v_mov_b32_e32 v39, v37
	s_or_b64 s[0:1], vcc, s[0:1]
	s_and_saveexec_b64 s[6:7], s[0:1]
	s_cbranch_execz .LBB70_177
; %bb.176:
	v_add_f64 v[39:40], v[45:46], -v[43:44]
	s_mov_b32 s0, 0x652b82fe
	s_mov_b32 s1, 0x3ff71547
	;; [unrolled: 1-line block ×6, first 2 shown]
	v_mov_b32_e32 v49, 0xfca7ab0c
	v_mul_f64 v[45:46], v[39:40], s[0:1]
	s_mov_b32 s0, 0x6a5dcb37
	v_mov_b32_e32 v50, 0x3e928af3
	s_mov_b32 s1, 0x3e5ade15
	s_mov_b32 s4, 0
	s_mov_b32 s5, 0xc090cc00
	v_cmp_ngt_f64_e64 s[4:5], s[4:5], v[39:40]
	v_mov_b32_e32 v69, 0x7ff00000
	v_rndne_f64_e32 v[45:46], v[45:46]
	v_fma_f64 v[47:48], v[45:46], s[8:9], v[39:40]
	s_mov_b32 s9, 0x3fe62e42
	v_fma_f64 v[47:48], v[45:46], s[10:11], v[47:48]
	v_cvt_i32_f64_e32 v45, v[45:46]
	s_mov_b32 s11, 0x3c7abc9e
	v_fma_f64 v[49:50], v[47:48], s[0:1], v[49:50]
	s_mov_b32 s0, 0x623fde64
	s_mov_b32 s1, 0x3ec71dee
	v_fma_f64 v[49:50], v[47:48], v[49:50], s[0:1]
	s_mov_b32 s0, 0x7c89e6b0
	;; [unrolled: 3-line block ×9, first 2 shown]
	s_mov_b32 s1, 0x40900000
	v_cmp_nlt_f64_e32 vcc, s[0:1], v[39:40]
	s_mov_b32 s0, 0xbf559e2b
	s_mov_b32 s1, 0x3fc3ab76
	v_fma_f64 v[49:50], v[47:48], v[49:50], 1.0
	v_fma_f64 v[47:48], v[47:48], v[49:50], 1.0
	v_ldexp_f64 v[45:46], v[47:48], v45
	v_cndmask_b32_e32 v46, v69, v46, vcc
	s_and_b64 vcc, s[4:5], vcc
	v_cndmask_b32_e64 v40, 0, v46, s[4:5]
	v_cndmask_b32_e32 v39, 0, v45, vcc
	v_add_f64 v[45:46], v[39:40], 1.0
	s_mov_b32 s5, 0x3fe55555
	s_mov_b32 s4, 0x55555555
	v_frexp_mant_f64_e32 v[49:50], v[45:46]
	v_frexp_exp_i32_f64_e32 v53, v[45:46]
	v_add_f64 v[47:48], v[45:46], -1.0
	v_cmp_gt_f64_e32 vcc, s[4:5], v[49:50]
	s_mov_b32 s4, 0x55555780
	v_add_f64 v[51:52], v[47:48], -v[45:46]
	v_add_f64 v[47:48], v[39:40], -v[47:48]
	v_subbrev_co_u32_e32 v70, vcc, 0, v53, vcc
	v_sub_u32_e32 v53, 0, v70
	v_ldexp_f64 v[45:46], v[45:46], v53
	v_add_f64 v[49:50], v[51:52], 1.0
	v_cmp_nge_f64_e32 vcc, -1.0, v[39:40]
	v_add_f64 v[51:52], v[45:46], 1.0
	v_add_f64 v[47:48], v[47:48], v[49:50]
	v_add_f64 v[57:58], v[45:46], -1.0
	v_add_f64 v[49:50], v[51:52], -1.0
	v_ldexp_f64 v[47:48], v[47:48], v53
	v_add_f64 v[59:60], v[57:58], 1.0
	v_add_f64 v[49:50], v[45:46], -v[49:50]
	v_add_f64 v[45:46], v[45:46], -v[59:60]
	v_add_f64 v[49:50], v[47:48], v[49:50]
	v_add_f64 v[45:46], v[47:48], v[45:46]
	;; [unrolled: 1-line block ×4, first 2 shown]
	v_rcp_f64_e32 v[55:56], v[53:54]
	v_add_f64 v[51:52], v[53:54], -v[51:52]
	v_add_f64 v[57:58], v[59:60], -v[57:58]
	;; [unrolled: 1-line block ×4, first 2 shown]
	v_fma_f64 v[61:62], -v[53:54], v[55:56], 1.0
	v_fma_f64 v[55:56], v[61:62], v[55:56], v[55:56]
	v_fma_f64 v[47:48], -v[53:54], v[55:56], 1.0
	v_fma_f64 v[47:48], v[47:48], v[55:56], v[55:56]
	v_mul_f64 v[55:56], v[59:60], v[47:48]
	v_mul_f64 v[61:62], v[53:54], v[55:56]
	v_fma_f64 v[51:52], v[55:56], v[53:54], -v[61:62]
	v_fma_f64 v[51:52], v[55:56], v[49:50], v[51:52]
	v_add_f64 v[63:64], v[61:62], v[51:52]
	v_add_f64 v[67:68], v[59:60], -v[63:64]
	v_add_f64 v[57:58], v[63:64], -v[61:62]
	;; [unrolled: 1-line block ×5, first 2 shown]
	v_add_f64 v[45:46], v[45:46], v[59:60]
	v_add_f64 v[45:46], v[51:52], v[45:46]
	;; [unrolled: 1-line block ×3, first 2 shown]
	v_mul_f64 v[57:58], v[47:48], v[51:52]
	v_add_f64 v[63:64], v[67:68], -v[51:52]
	v_mul_f64 v[59:60], v[53:54], v[57:58]
	v_add_f64 v[45:46], v[45:46], v[63:64]
	v_fma_f64 v[53:54], v[57:58], v[53:54], -v[59:60]
	v_fma_f64 v[49:50], v[57:58], v[49:50], v[53:54]
	v_add_f64 v[53:54], v[59:60], v[49:50]
	v_add_f64 v[61:62], v[51:52], -v[53:54]
	v_add_f64 v[59:60], v[53:54], -v[59:60]
	;; [unrolled: 1-line block ×5, first 2 shown]
	v_mov_b32_e32 v53, 0x6b47b09a
	v_mov_b32_e32 v54, 0x3fc38538
	v_add_f64 v[45:46], v[45:46], v[51:52]
	v_add_f64 v[51:52], v[55:56], v[57:58]
	;; [unrolled: 1-line block ×3, first 2 shown]
	v_add_f64 v[49:50], v[51:52], -v[55:56]
	v_add_f64 v[45:46], v[61:62], v[45:46]
	v_add_f64 v[49:50], v[57:58], -v[49:50]
	v_mul_f64 v[45:46], v[47:48], v[45:46]
	v_add_f64 v[45:46], v[49:50], v[45:46]
	v_add_f64 v[47:48], v[51:52], v[45:46]
	v_mul_f64 v[49:50], v[47:48], v[47:48]
	v_fma_f64 v[53:54], v[49:50], s[0:1], v[53:54]
	s_mov_b32 s0, 0xd7f4df2e
	s_mov_b32 s1, 0x3fc7474d
	v_mul_f64 v[55:56], v[47:48], v[49:50]
	v_fma_f64 v[53:54], v[49:50], v[53:54], s[0:1]
	s_mov_b32 s0, 0x16291751
	s_mov_b32 s1, 0x3fcc71c0
	v_fma_f64 v[53:54], v[49:50], v[53:54], s[0:1]
	s_mov_b32 s0, 0x9b27acf1
	s_mov_b32 s1, 0x3fd24924
	v_fma_f64 v[53:54], v[49:50], v[53:54], s[0:1]
	s_mov_b32 s0, 0x998ef7b6
	s_mov_b32 s1, 0x3fd99999
	v_fma_f64 v[53:54], v[49:50], v[53:54], s[0:1]
	s_mov_b32 s0, 0
	s_mov_b32 s1, 0x7ff00000
	v_fma_f64 v[49:50], v[49:50], v[53:54], s[4:5]
	v_ldexp_f64 v[53:54], v[47:48], 1
	v_add_f64 v[47:48], v[47:48], -v[51:52]
	v_cmp_neq_f64_e64 s[4:5], s[0:1], v[39:40]
	v_mul_f64 v[49:50], v[55:56], v[49:50]
	v_cvt_f64_i32_e32 v[55:56], v70
	v_add_f64 v[45:46], v[45:46], -v[47:48]
	s_and_b64 vcc, vcc, s[4:5]
	v_mul_f64 v[57:58], v[55:56], s[8:9]
	v_add_f64 v[51:52], v[53:54], v[49:50]
	v_ldexp_f64 v[45:46], v[45:46], 1
	v_add_f64 v[47:48], v[51:52], -v[53:54]
	v_fma_f64 v[53:54], v[55:56], s[8:9], -v[57:58]
	v_add_f64 v[47:48], v[49:50], -v[47:48]
	v_fma_f64 v[49:50], v[55:56], s[10:11], v[53:54]
	v_add_f64 v[45:46], v[45:46], v[47:48]
	v_add_f64 v[47:48], v[57:58], v[49:50]
	;; [unrolled: 1-line block ×3, first 2 shown]
	v_add_f64 v[57:58], v[47:48], -v[57:58]
	v_add_f64 v[55:56], v[47:48], v[53:54]
	v_add_f64 v[51:52], v[53:54], -v[51:52]
	v_add_f64 v[49:50], v[49:50], -v[57:58]
	;; [unrolled: 1-line block ×6, first 2 shown]
	v_add_f64 v[53:54], v[49:50], v[45:46]
	v_add_f64 v[47:48], v[47:48], -v[61:62]
	v_add_f64 v[47:48], v[51:52], v[47:48]
	v_add_f64 v[51:52], v[53:54], -v[49:50]
	;; [unrolled: 2-line block ×3, first 2 shown]
	v_add_f64 v[45:46], v[45:46], -v[51:52]
	v_add_f64 v[57:58], v[55:56], v[47:48]
	v_add_f64 v[49:50], v[49:50], -v[53:54]
	v_add_f64 v[51:52], v[57:58], -v[55:56]
	v_add_f64 v[45:46], v[45:46], v[49:50]
	v_add_f64 v[47:48], v[47:48], -v[51:52]
	v_add_f64 v[45:46], v[45:46], v[47:48]
	v_mov_b32_e32 v47, 0x7ff80000
	v_mov_b32_e32 v48, 0xfff00000
	v_add_f64 v[45:46], v[57:58], v[45:46]
	v_cndmask_b32_e32 v45, 0, v45, vcc
	v_cmp_ngt_f64_e32 vcc, -1.0, v[39:40]
	v_cndmask_b32_e64 v46, v69, v46, s[4:5]
	v_cndmask_b32_e32 v46, v47, v46, vcc
	v_cmp_neq_f64_e32 vcc, -1.0, v[39:40]
	v_cndmask_b32_e32 v46, v48, v46, vcc
	v_add_f64 v[39:40], v[43:44], v[45:46]
.LBB70_177:
	s_or_b64 exec, exec, s[6:7]
	s_branch .LBB70_257
.LBB70_178:
	v_readlane_b32 s4, v102, 0
	v_readlane_b32 s8, v102, 4
	;; [unrolled: 1-line block ×3, first 2 shown]
	s_cmp_lg_u64 s[8:9], 0
	s_cselect_b64 s[0:1], -1, 0
	v_readlane_b32 s6, v102, 2
	v_readlane_b32 s7, v102, 3
	s_and_b64 s[0:1], s[28:29], s[0:1]
	v_readlane_b32 s5, v102, 1
	v_readlane_b32 s10, v102, 6
	;; [unrolled: 1-line block ×3, first 2 shown]
	s_and_saveexec_b64 s[6:7], s[0:1]
	s_cbranch_execz .LBB70_182
; %bb.179:
	v_readlane_b32 s8, v102, 0
	v_mov_b32_e32 v21, 0
	v_readlane_b32 s9, v102, 1
	v_max_f64 v[23:24], v[1:2], v[1:2]
	v_cmp_u_f64_e64 s[4:5], v[1:2], v[1:2]
	s_movk_i32 s0, 0x1f8
	v_readlane_b32 s10, v102, 2
	v_readlane_b32 s11, v102, 3
	global_load_dwordx2 v[21:22], v21, s[8:9]
	v_readlane_b32 s12, v102, 4
	v_readlane_b32 s13, v102, 5
	;; [unrolled: 1-line block ×4, first 2 shown]
	s_waitcnt vmcnt(0)
	v_max_f64 v[25:26], v[21:22], v[21:22]
	v_cmp_u_f64_e32 vcc, v[21:22], v[21:22]
	v_min_f64 v[27:28], v[25:26], v[23:24]
	v_max_f64 v[23:24], v[25:26], v[23:24]
	v_cndmask_b32_e32 v25, v27, v21, vcc
	v_cndmask_b32_e32 v26, v28, v22, vcc
	;; [unrolled: 1-line block ×4, first 2 shown]
	v_cndmask_b32_e64 v24, v26, v2, s[4:5]
	v_cndmask_b32_e64 v23, v25, v1, s[4:5]
	;; [unrolled: 1-line block ×4, first 2 shown]
	v_cmp_neq_f64_e32 vcc, v[23:24], v[1:2]
	v_cmp_class_f64_e64 s[0:1], v[23:24], s0
	s_or_b64 s[0:1], vcc, s[0:1]
	s_and_saveexec_b64 s[8:9], s[0:1]
	s_cbranch_execz .LBB70_181
; %bb.180:
	v_add_f64 v[21:22], v[23:24], -v[1:2]
	s_mov_b32 s0, 0x652b82fe
	s_mov_b32 s1, 0x3ff71547
	;; [unrolled: 1-line block ×6, first 2 shown]
	v_mov_b32_e32 v27, 0xfca7ab0c
	v_mul_f64 v[23:24], v[21:22], s[0:1]
	s_mov_b32 s0, 0x6a5dcb37
	v_mov_b32_e32 v28, 0x3e928af3
	s_mov_b32 s1, 0x3e5ade15
	s_mov_b32 s4, 0
	;; [unrolled: 1-line block ×3, first 2 shown]
	v_cmp_ngt_f64_e64 s[4:5], s[4:5], v[21:22]
	v_mov_b32_e32 v47, 0x7ff00000
	v_rndne_f64_e32 v[23:24], v[23:24]
	v_fma_f64 v[25:26], v[23:24], s[10:11], v[21:22]
	s_mov_b32 s11, 0x3fe62e42
	v_fma_f64 v[25:26], v[23:24], s[12:13], v[25:26]
	v_cvt_i32_f64_e32 v23, v[23:24]
	s_mov_b32 s13, 0x3c7abc9e
	v_fma_f64 v[27:28], v[25:26], s[0:1], v[27:28]
	s_mov_b32 s0, 0x623fde64
	s_mov_b32 s1, 0x3ec71dee
	v_fma_f64 v[27:28], v[25:26], v[27:28], s[0:1]
	s_mov_b32 s0, 0x7c89e6b0
	;; [unrolled: 3-line block ×9, first 2 shown]
	s_mov_b32 s1, 0x40900000
	v_cmp_nlt_f64_e32 vcc, s[0:1], v[21:22]
	s_mov_b32 s0, 0xbf559e2b
	s_mov_b32 s1, 0x3fc3ab76
	v_fma_f64 v[27:28], v[25:26], v[27:28], 1.0
	v_fma_f64 v[25:26], v[25:26], v[27:28], 1.0
	v_ldexp_f64 v[23:24], v[25:26], v23
	v_cndmask_b32_e32 v24, v47, v24, vcc
	s_and_b64 vcc, s[4:5], vcc
	v_cndmask_b32_e64 v22, 0, v24, s[4:5]
	v_cndmask_b32_e32 v21, 0, v23, vcc
	v_add_f64 v[23:24], v[21:22], 1.0
	s_mov_b32 s5, 0x3fe55555
	s_mov_b32 s4, 0x55555555
	v_frexp_mant_f64_e32 v[27:28], v[23:24]
	v_frexp_exp_i32_f64_e32 v31, v[23:24]
	v_add_f64 v[25:26], v[23:24], -1.0
	v_cmp_gt_f64_e32 vcc, s[4:5], v[27:28]
	s_mov_b32 s4, 0x55555780
	v_add_f64 v[29:30], v[25:26], -v[23:24]
	v_add_f64 v[25:26], v[21:22], -v[25:26]
	v_subbrev_co_u32_e32 v48, vcc, 0, v31, vcc
	v_sub_u32_e32 v31, 0, v48
	v_ldexp_f64 v[23:24], v[23:24], v31
	v_add_f64 v[27:28], v[29:30], 1.0
	v_cmp_nge_f64_e32 vcc, -1.0, v[21:22]
	v_add_f64 v[29:30], v[23:24], 1.0
	v_add_f64 v[25:26], v[25:26], v[27:28]
	v_add_f64 v[35:36], v[23:24], -1.0
	v_add_f64 v[27:28], v[29:30], -1.0
	v_ldexp_f64 v[25:26], v[25:26], v31
	v_add_f64 v[37:38], v[35:36], 1.0
	v_add_f64 v[27:28], v[23:24], -v[27:28]
	v_add_f64 v[23:24], v[23:24], -v[37:38]
	v_add_f64 v[27:28], v[25:26], v[27:28]
	v_add_f64 v[23:24], v[25:26], v[23:24]
	;; [unrolled: 1-line block ×4, first 2 shown]
	v_rcp_f64_e32 v[33:34], v[31:32]
	v_add_f64 v[29:30], v[31:32], -v[29:30]
	v_add_f64 v[35:36], v[37:38], -v[35:36]
	;; [unrolled: 1-line block ×4, first 2 shown]
	v_fma_f64 v[39:40], -v[31:32], v[33:34], 1.0
	v_fma_f64 v[33:34], v[39:40], v[33:34], v[33:34]
	v_fma_f64 v[25:26], -v[31:32], v[33:34], 1.0
	v_fma_f64 v[25:26], v[25:26], v[33:34], v[33:34]
	v_mul_f64 v[33:34], v[37:38], v[25:26]
	v_mul_f64 v[39:40], v[31:32], v[33:34]
	v_fma_f64 v[29:30], v[33:34], v[31:32], -v[39:40]
	v_fma_f64 v[29:30], v[33:34], v[27:28], v[29:30]
	v_add_f64 v[43:44], v[39:40], v[29:30]
	v_add_f64 v[45:46], v[37:38], -v[43:44]
	v_add_f64 v[35:36], v[43:44], -v[39:40]
	v_add_f64 v[37:38], v[37:38], -v[45:46]
	v_add_f64 v[29:30], v[35:36], -v[29:30]
	v_add_f64 v[37:38], v[37:38], -v[43:44]
	v_add_f64 v[23:24], v[23:24], v[37:38]
	v_add_f64 v[23:24], v[29:30], v[23:24]
	;; [unrolled: 1-line block ×3, first 2 shown]
	v_mul_f64 v[35:36], v[25:26], v[29:30]
	v_add_f64 v[43:44], v[45:46], -v[29:30]
	v_mul_f64 v[37:38], v[31:32], v[35:36]
	v_add_f64 v[23:24], v[23:24], v[43:44]
	v_fma_f64 v[31:32], v[35:36], v[31:32], -v[37:38]
	v_fma_f64 v[27:28], v[35:36], v[27:28], v[31:32]
	v_add_f64 v[31:32], v[37:38], v[27:28]
	v_add_f64 v[39:40], v[29:30], -v[31:32]
	v_add_f64 v[37:38], v[31:32], -v[37:38]
	;; [unrolled: 1-line block ×5, first 2 shown]
	v_mov_b32_e32 v31, 0x6b47b09a
	v_mov_b32_e32 v32, 0x3fc38538
	v_add_f64 v[23:24], v[23:24], v[29:30]
	v_add_f64 v[29:30], v[33:34], v[35:36]
	;; [unrolled: 1-line block ×3, first 2 shown]
	v_add_f64 v[27:28], v[29:30], -v[33:34]
	v_add_f64 v[23:24], v[39:40], v[23:24]
	v_add_f64 v[27:28], v[35:36], -v[27:28]
	v_mul_f64 v[23:24], v[25:26], v[23:24]
	v_add_f64 v[23:24], v[27:28], v[23:24]
	v_add_f64 v[25:26], v[29:30], v[23:24]
	v_mul_f64 v[27:28], v[25:26], v[25:26]
	v_fma_f64 v[31:32], v[27:28], s[0:1], v[31:32]
	s_mov_b32 s0, 0xd7f4df2e
	s_mov_b32 s1, 0x3fc7474d
	v_mul_f64 v[33:34], v[25:26], v[27:28]
	v_fma_f64 v[31:32], v[27:28], v[31:32], s[0:1]
	s_mov_b32 s0, 0x16291751
	s_mov_b32 s1, 0x3fcc71c0
	v_fma_f64 v[31:32], v[27:28], v[31:32], s[0:1]
	s_mov_b32 s0, 0x9b27acf1
	s_mov_b32 s1, 0x3fd24924
	;; [unrolled: 3-line block ×4, first 2 shown]
	v_fma_f64 v[27:28], v[27:28], v[31:32], s[4:5]
	v_ldexp_f64 v[31:32], v[25:26], 1
	v_add_f64 v[25:26], v[25:26], -v[29:30]
	v_cmp_neq_f64_e64 s[4:5], s[0:1], v[21:22]
	v_mul_f64 v[27:28], v[33:34], v[27:28]
	v_cvt_f64_i32_e32 v[33:34], v48
	v_add_f64 v[23:24], v[23:24], -v[25:26]
	s_and_b64 vcc, vcc, s[4:5]
	v_mul_f64 v[35:36], v[33:34], s[10:11]
	v_add_f64 v[29:30], v[31:32], v[27:28]
	v_ldexp_f64 v[23:24], v[23:24], 1
	v_add_f64 v[25:26], v[29:30], -v[31:32]
	v_fma_f64 v[31:32], v[33:34], s[10:11], -v[35:36]
	v_add_f64 v[25:26], v[27:28], -v[25:26]
	v_fma_f64 v[27:28], v[33:34], s[12:13], v[31:32]
	v_add_f64 v[23:24], v[23:24], v[25:26]
	v_add_f64 v[25:26], v[35:36], v[27:28]
	;; [unrolled: 1-line block ×3, first 2 shown]
	v_add_f64 v[35:36], v[25:26], -v[35:36]
	v_add_f64 v[33:34], v[25:26], v[31:32]
	v_add_f64 v[29:30], v[31:32], -v[29:30]
	v_add_f64 v[27:28], v[27:28], -v[35:36]
	v_add_f64 v[37:38], v[33:34], -v[25:26]
	v_add_f64 v[23:24], v[23:24], -v[29:30]
	v_add_f64 v[39:40], v[33:34], -v[37:38]
	v_add_f64 v[29:30], v[31:32], -v[37:38]
	v_add_f64 v[31:32], v[27:28], v[23:24]
	v_add_f64 v[25:26], v[25:26], -v[39:40]
	v_add_f64 v[25:26], v[29:30], v[25:26]
	v_add_f64 v[29:30], v[31:32], -v[27:28]
	;; [unrolled: 2-line block ×3, first 2 shown]
	v_add_f64 v[23:24], v[23:24], -v[29:30]
	v_add_f64 v[35:36], v[33:34], v[25:26]
	v_add_f64 v[27:28], v[27:28], -v[31:32]
	v_add_f64 v[29:30], v[35:36], -v[33:34]
	v_add_f64 v[23:24], v[23:24], v[27:28]
	v_add_f64 v[25:26], v[25:26], -v[29:30]
	v_add_f64 v[23:24], v[23:24], v[25:26]
	v_mov_b32_e32 v25, 0x7ff80000
	v_mov_b32_e32 v26, 0xfff00000
	v_add_f64 v[23:24], v[35:36], v[23:24]
	v_cndmask_b32_e32 v23, 0, v23, vcc
	v_cmp_ngt_f64_e32 vcc, -1.0, v[21:22]
	v_cndmask_b32_e64 v24, v47, v24, s[4:5]
	v_cndmask_b32_e32 v24, v25, v24, vcc
	v_cmp_neq_f64_e32 vcc, -1.0, v[21:22]
	v_cndmask_b32_e32 v24, v26, v24, vcc
	v_add_f64 v[21:22], v[1:2], v[23:24]
.LBB70_181:
	s_or_b64 exec, exec, s[8:9]
	v_mov_b32_e32 v1, v21
	v_mov_b32_e32 v2, v22
.LBB70_182:
	s_or_b64 exec, exec, s[6:7]
	v_max_f64 v[45:46], v[1:2], v[1:2]
	v_cmp_u_f64_e64 s[22:23], v[1:2], v[1:2]
	v_cmp_u_f64_e32 vcc, v[3:4], v[3:4]
	s_movk_i32 s0, 0x1f8
	v_mov_b32_e32 v50, v2
	v_mov_b32_e32 v49, v1
	v_min_f64 v[43:44], v[45:46], v[41:42]
	v_max_f64 v[47:48], v[45:46], v[41:42]
	v_cndmask_b32_e64 v21, v43, v1, s[22:23]
	v_cndmask_b32_e64 v22, v44, v2, s[22:23]
	;; [unrolled: 1-line block ×4, first 2 shown]
	v_cndmask_b32_e32 v24, v22, v4, vcc
	v_cndmask_b32_e32 v23, v21, v3, vcc
	;; [unrolled: 1-line block ×4, first 2 shown]
	v_cmp_neq_f64_e64 s[4:5], v[23:24], v[21:22]
	v_cmp_class_f64_e64 s[6:7], v[23:24], s0
	s_or_b64 s[4:5], s[4:5], s[6:7]
	s_and_saveexec_b64 s[8:9], s[4:5]
	s_cbranch_execz .LBB70_184
; %bb.183:
	v_add_f64 v[23:24], v[23:24], -v[21:22]
	s_mov_b32 s4, 0x652b82fe
	s_mov_b32 s5, 0x3ff71547
	;; [unrolled: 1-line block ×6, first 2 shown]
	v_mov_b32_e32 v29, 0xfca7ab0c
	v_mul_f64 v[25:26], v[23:24], s[4:5]
	s_mov_b32 s4, 0x6a5dcb37
	v_mov_b32_e32 v30, 0x3e928af3
	s_mov_b32 s5, 0x3e5ade15
	s_mov_b32 s6, 0
	;; [unrolled: 1-line block ×3, first 2 shown]
	v_cmp_ngt_f64_e64 s[6:7], s[6:7], v[23:24]
	v_mov_b32_e32 v55, 0x7ff00000
	v_rndne_f64_e32 v[25:26], v[25:26]
	v_fma_f64 v[27:28], v[25:26], s[10:11], v[23:24]
	s_mov_b32 s11, 0x3fe62e42
	v_fma_f64 v[27:28], v[25:26], s[12:13], v[27:28]
	v_cvt_i32_f64_e32 v25, v[25:26]
	s_mov_b32 s13, 0x3c7abc9e
	v_fma_f64 v[29:30], v[27:28], s[4:5], v[29:30]
	s_mov_b32 s4, 0x623fde64
	s_mov_b32 s5, 0x3ec71dee
	v_fma_f64 v[29:30], v[27:28], v[29:30], s[4:5]
	s_mov_b32 s4, 0x7c89e6b0
	;; [unrolled: 3-line block ×9, first 2 shown]
	s_mov_b32 s5, 0x40900000
	v_cmp_nlt_f64_e64 s[4:5], s[4:5], v[23:24]
	v_fma_f64 v[29:30], v[27:28], v[29:30], 1.0
	v_fma_f64 v[27:28], v[27:28], v[29:30], 1.0
	v_ldexp_f64 v[25:26], v[27:28], v25
	v_cndmask_b32_e64 v26, v55, v26, s[4:5]
	s_and_b64 s[4:5], s[6:7], s[4:5]
	v_cndmask_b32_e64 v24, 0, v26, s[6:7]
	v_cndmask_b32_e64 v23, 0, v25, s[4:5]
	v_add_f64 v[25:26], v[23:24], 1.0
	s_mov_b32 s7, 0x3fe55555
	s_mov_b32 s6, 0x55555555
	v_frexp_mant_f64_e32 v[29:30], v[25:26]
	v_frexp_exp_i32_f64_e32 v33, v[25:26]
	v_add_f64 v[27:28], v[25:26], -1.0
	v_cmp_gt_f64_e64 s[4:5], s[6:7], v[29:30]
	s_mov_b32 s6, 0x55555780
	v_add_f64 v[31:32], v[27:28], -v[25:26]
	v_add_f64 v[27:28], v[23:24], -v[27:28]
	v_subbrev_co_u32_e64 v56, s[4:5], 0, v33, s[4:5]
	v_sub_u32_e32 v33, 0, v56
	v_ldexp_f64 v[25:26], v[25:26], v33
	v_add_f64 v[29:30], v[31:32], 1.0
	s_mov_b32 s4, 0xbf559e2b
	s_mov_b32 s5, 0x3fc3ab76
	v_add_f64 v[31:32], v[25:26], 1.0
	v_add_f64 v[27:28], v[27:28], v[29:30]
	v_add_f64 v[37:38], v[25:26], -1.0
	v_add_f64 v[29:30], v[31:32], -1.0
	v_ldexp_f64 v[27:28], v[27:28], v33
	v_add_f64 v[39:40], v[37:38], 1.0
	v_add_f64 v[29:30], v[25:26], -v[29:30]
	v_add_f64 v[25:26], v[25:26], -v[39:40]
	v_add_f64 v[29:30], v[27:28], v[29:30]
	v_add_f64 v[25:26], v[27:28], v[25:26]
	;; [unrolled: 1-line block ×4, first 2 shown]
	v_rcp_f64_e32 v[35:36], v[33:34]
	v_add_f64 v[31:32], v[33:34], -v[31:32]
	v_add_f64 v[37:38], v[39:40], -v[37:38]
	;; [unrolled: 1-line block ×4, first 2 shown]
	v_fma_f64 v[49:50], -v[33:34], v[35:36], 1.0
	v_fma_f64 v[35:36], v[49:50], v[35:36], v[35:36]
	v_fma_f64 v[27:28], -v[33:34], v[35:36], 1.0
	v_fma_f64 v[27:28], v[27:28], v[35:36], v[35:36]
	v_mul_f64 v[35:36], v[39:40], v[27:28]
	v_mul_f64 v[49:50], v[33:34], v[35:36]
	v_fma_f64 v[31:32], v[35:36], v[33:34], -v[49:50]
	v_fma_f64 v[31:32], v[35:36], v[29:30], v[31:32]
	v_add_f64 v[51:52], v[49:50], v[31:32]
	v_add_f64 v[53:54], v[39:40], -v[51:52]
	v_add_f64 v[37:38], v[51:52], -v[49:50]
	;; [unrolled: 1-line block ×5, first 2 shown]
	v_add_f64 v[25:26], v[25:26], v[39:40]
	v_add_f64 v[25:26], v[31:32], v[25:26]
	v_add_f64 v[31:32], v[53:54], v[25:26]
	v_mul_f64 v[37:38], v[27:28], v[31:32]
	v_add_f64 v[51:52], v[53:54], -v[31:32]
	v_mul_f64 v[39:40], v[33:34], v[37:38]
	v_add_f64 v[25:26], v[25:26], v[51:52]
	v_fma_f64 v[33:34], v[37:38], v[33:34], -v[39:40]
	v_fma_f64 v[29:30], v[37:38], v[29:30], v[33:34]
	v_add_f64 v[33:34], v[39:40], v[29:30]
	v_add_f64 v[49:50], v[31:32], -v[33:34]
	v_add_f64 v[39:40], v[33:34], -v[39:40]
	;; [unrolled: 1-line block ×5, first 2 shown]
	v_mov_b32_e32 v33, 0x6b47b09a
	v_mov_b32_e32 v34, 0x3fc38538
	v_add_f64 v[25:26], v[25:26], v[31:32]
	v_add_f64 v[31:32], v[35:36], v[37:38]
	;; [unrolled: 1-line block ×3, first 2 shown]
	v_add_f64 v[29:30], v[31:32], -v[35:36]
	v_add_f64 v[25:26], v[49:50], v[25:26]
	v_add_f64 v[29:30], v[37:38], -v[29:30]
	v_mul_f64 v[25:26], v[27:28], v[25:26]
	v_add_f64 v[25:26], v[29:30], v[25:26]
	v_add_f64 v[27:28], v[31:32], v[25:26]
	v_mul_f64 v[29:30], v[27:28], v[27:28]
	v_fma_f64 v[33:34], v[29:30], s[4:5], v[33:34]
	s_mov_b32 s4, 0xd7f4df2e
	s_mov_b32 s5, 0x3fc7474d
	v_mul_f64 v[35:36], v[27:28], v[29:30]
	v_fma_f64 v[33:34], v[29:30], v[33:34], s[4:5]
	s_mov_b32 s4, 0x16291751
	s_mov_b32 s5, 0x3fcc71c0
	v_fma_f64 v[33:34], v[29:30], v[33:34], s[4:5]
	s_mov_b32 s4, 0x9b27acf1
	s_mov_b32 s5, 0x3fd24924
	;; [unrolled: 3-line block ×3, first 2 shown]
	v_fma_f64 v[33:34], v[29:30], v[33:34], s[4:5]
	v_cmp_nge_f64_e64 s[4:5], -1.0, v[23:24]
	v_fma_f64 v[29:30], v[29:30], v[33:34], s[6:7]
	v_ldexp_f64 v[33:34], v[27:28], 1
	v_add_f64 v[27:28], v[27:28], -v[31:32]
	s_mov_b32 s6, 0
	s_mov_b32 s7, 0x7ff00000
	v_cmp_neq_f64_e64 s[6:7], s[6:7], v[23:24]
	v_mul_f64 v[29:30], v[35:36], v[29:30]
	v_cvt_f64_i32_e32 v[35:36], v56
	v_add_f64 v[25:26], v[25:26], -v[27:28]
	v_mul_f64 v[37:38], v[35:36], s[10:11]
	s_and_b64 s[4:5], s[4:5], s[6:7]
	v_add_f64 v[31:32], v[33:34], v[29:30]
	v_ldexp_f64 v[25:26], v[25:26], 1
	v_add_f64 v[27:28], v[31:32], -v[33:34]
	v_fma_f64 v[33:34], v[35:36], s[10:11], -v[37:38]
	v_add_f64 v[27:28], v[29:30], -v[27:28]
	v_fma_f64 v[29:30], v[35:36], s[12:13], v[33:34]
	v_add_f64 v[25:26], v[25:26], v[27:28]
	v_add_f64 v[27:28], v[37:38], v[29:30]
	;; [unrolled: 1-line block ×3, first 2 shown]
	v_add_f64 v[37:38], v[27:28], -v[37:38]
	v_add_f64 v[35:36], v[27:28], v[33:34]
	v_add_f64 v[31:32], v[33:34], -v[31:32]
	v_add_f64 v[29:30], v[29:30], -v[37:38]
	;; [unrolled: 1-line block ×6, first 2 shown]
	v_add_f64 v[33:34], v[29:30], v[25:26]
	v_add_f64 v[27:28], v[27:28], -v[49:50]
	v_add_f64 v[27:28], v[31:32], v[27:28]
	v_add_f64 v[31:32], v[33:34], -v[29:30]
	;; [unrolled: 2-line block ×3, first 2 shown]
	v_add_f64 v[25:26], v[25:26], -v[31:32]
	v_add_f64 v[37:38], v[35:36], v[27:28]
	v_add_f64 v[29:30], v[29:30], -v[33:34]
	v_add_f64 v[31:32], v[37:38], -v[35:36]
	v_add_f64 v[25:26], v[25:26], v[29:30]
	v_add_f64 v[27:28], v[27:28], -v[31:32]
	v_add_f64 v[25:26], v[25:26], v[27:28]
	v_mov_b32_e32 v27, 0x7ff80000
	v_mov_b32_e32 v28, 0xfff00000
	v_add_f64 v[25:26], v[37:38], v[25:26]
	v_cndmask_b32_e64 v25, 0, v25, s[4:5]
	v_cmp_ngt_f64_e64 s[4:5], -1.0, v[23:24]
	v_cndmask_b32_e64 v26, v55, v26, s[6:7]
	v_cndmask_b32_e64 v26, v27, v26, s[4:5]
	v_cmp_neq_f64_e64 s[4:5], -1.0, v[23:24]
	v_cndmask_b32_e64 v26, v28, v26, s[4:5]
	v_add_f64 v[49:50], v[21:22], v[25:26]
.LBB70_184:
	s_or_b64 exec, exec, s[8:9]
	v_max_f64 v[25:26], v[17:18], v[17:18]
	v_max_f64 v[21:22], v[49:50], v[49:50]
	v_cmp_u_f64_e64 s[4:5], v[49:50], v[49:50]
	v_cmp_u_f64_e64 s[10:11], v[17:18], v[17:18]
	v_min_f64 v[23:24], v[21:22], v[25:26]
	v_max_f64 v[21:22], v[21:22], v[25:26]
	v_cndmask_b32_e64 v23, v23, v49, s[4:5]
	v_cndmask_b32_e64 v24, v24, v50, s[4:5]
	;; [unrolled: 1-line block ×8, first 2 shown]
	v_cmp_neq_f64_e64 s[4:5], v[23:24], v[21:22]
	v_cmp_class_f64_e64 s[0:1], v[23:24], s0
	s_or_b64 s[0:1], s[4:5], s[0:1]
	s_and_saveexec_b64 s[8:9], s[0:1]
	s_cbranch_execz .LBB70_186
; %bb.185:
	v_add_f64 v[23:24], v[23:24], -v[21:22]
	s_mov_b32 s0, 0x652b82fe
	s_mov_b32 s1, 0x3ff71547
	s_mov_b32 s13, 0xbfe62e42
	s_mov_b32 s12, 0xfefa39ef
	s_mov_b32 s15, 0xbc7abc9e
	s_mov_b32 s14, 0x3b39803f
	v_mov_b32_e32 v31, 0xfca7ab0c
	v_mul_f64 v[27:28], v[23:24], s[0:1]
	s_mov_b32 s0, 0x6a5dcb37
	v_mov_b32_e32 v32, 0x3e928af3
	s_mov_b32 s1, 0x3e5ade15
	s_mov_b32 s6, 0
	;; [unrolled: 1-line block ×3, first 2 shown]
	v_cmp_ngt_f64_e64 s[6:7], s[6:7], v[23:24]
	v_mov_b32_e32 v57, 0x7ff00000
	v_rndne_f64_e32 v[27:28], v[27:28]
	v_fma_f64 v[29:30], v[27:28], s[12:13], v[23:24]
	s_mov_b32 s13, 0x3fe62e42
	v_fma_f64 v[29:30], v[27:28], s[14:15], v[29:30]
	v_cvt_i32_f64_e32 v27, v[27:28]
	s_mov_b32 s15, 0x3c7abc9e
	v_fma_f64 v[31:32], v[29:30], s[0:1], v[31:32]
	s_mov_b32 s0, 0x623fde64
	s_mov_b32 s1, 0x3ec71dee
	v_fma_f64 v[31:32], v[29:30], v[31:32], s[0:1]
	s_mov_b32 s0, 0x7c89e6b0
	;; [unrolled: 3-line block ×9, first 2 shown]
	s_mov_b32 s1, 0x40900000
	v_cmp_nlt_f64_e64 s[4:5], s[0:1], v[23:24]
	s_mov_b32 s0, 0xbf559e2b
	s_mov_b32 s1, 0x3fc3ab76
	v_fma_f64 v[31:32], v[29:30], v[31:32], 1.0
	v_fma_f64 v[29:30], v[29:30], v[31:32], 1.0
	v_ldexp_f64 v[27:28], v[29:30], v27
	v_cndmask_b32_e64 v28, v57, v28, s[4:5]
	s_and_b64 s[4:5], s[6:7], s[4:5]
	v_cndmask_b32_e64 v24, 0, v28, s[6:7]
	v_cndmask_b32_e64 v23, 0, v27, s[4:5]
	v_add_f64 v[27:28], v[23:24], 1.0
	s_mov_b32 s7, 0x3fe55555
	s_mov_b32 s6, 0x55555555
	v_frexp_mant_f64_e32 v[31:32], v[27:28]
	v_frexp_exp_i32_f64_e32 v35, v[27:28]
	v_add_f64 v[29:30], v[27:28], -1.0
	v_cmp_gt_f64_e64 s[4:5], s[6:7], v[31:32]
	s_mov_b32 s6, 0x55555780
	v_add_f64 v[33:34], v[29:30], -v[27:28]
	v_add_f64 v[29:30], v[23:24], -v[29:30]
	v_subbrev_co_u32_e64 v58, s[4:5], 0, v35, s[4:5]
	v_sub_u32_e32 v35, 0, v58
	v_ldexp_f64 v[27:28], v[27:28], v35
	v_add_f64 v[31:32], v[33:34], 1.0
	v_cmp_nge_f64_e64 s[4:5], -1.0, v[23:24]
	v_add_f64 v[33:34], v[27:28], 1.0
	v_add_f64 v[29:30], v[29:30], v[31:32]
	v_add_f64 v[39:40], v[27:28], -1.0
	v_add_f64 v[31:32], v[33:34], -1.0
	v_ldexp_f64 v[29:30], v[29:30], v35
	v_add_f64 v[49:50], v[39:40], 1.0
	v_add_f64 v[31:32], v[27:28], -v[31:32]
	v_add_f64 v[27:28], v[27:28], -v[49:50]
	v_add_f64 v[31:32], v[29:30], v[31:32]
	v_add_f64 v[27:28], v[29:30], v[27:28]
	;; [unrolled: 1-line block ×4, first 2 shown]
	v_rcp_f64_e32 v[37:38], v[35:36]
	v_add_f64 v[33:34], v[35:36], -v[33:34]
	v_add_f64 v[39:40], v[49:50], -v[39:40]
	;; [unrolled: 1-line block ×4, first 2 shown]
	v_fma_f64 v[51:52], -v[35:36], v[37:38], 1.0
	v_fma_f64 v[37:38], v[51:52], v[37:38], v[37:38]
	v_fma_f64 v[29:30], -v[35:36], v[37:38], 1.0
	v_fma_f64 v[29:30], v[29:30], v[37:38], v[37:38]
	v_mul_f64 v[37:38], v[49:50], v[29:30]
	v_mul_f64 v[51:52], v[35:36], v[37:38]
	v_fma_f64 v[33:34], v[37:38], v[35:36], -v[51:52]
	v_fma_f64 v[33:34], v[37:38], v[31:32], v[33:34]
	v_add_f64 v[53:54], v[51:52], v[33:34]
	v_add_f64 v[55:56], v[49:50], -v[53:54]
	v_add_f64 v[39:40], v[53:54], -v[51:52]
	v_add_f64 v[49:50], v[49:50], -v[55:56]
	v_add_f64 v[33:34], v[39:40], -v[33:34]
	v_add_f64 v[49:50], v[49:50], -v[53:54]
	v_add_f64 v[27:28], v[27:28], v[49:50]
	v_add_f64 v[27:28], v[33:34], v[27:28]
	;; [unrolled: 1-line block ×3, first 2 shown]
	v_mul_f64 v[39:40], v[29:30], v[33:34]
	v_add_f64 v[53:54], v[55:56], -v[33:34]
	v_mul_f64 v[49:50], v[35:36], v[39:40]
	v_add_f64 v[27:28], v[27:28], v[53:54]
	v_fma_f64 v[35:36], v[39:40], v[35:36], -v[49:50]
	v_fma_f64 v[31:32], v[39:40], v[31:32], v[35:36]
	v_add_f64 v[35:36], v[49:50], v[31:32]
	v_add_f64 v[51:52], v[33:34], -v[35:36]
	v_add_f64 v[49:50], v[35:36], -v[49:50]
	;; [unrolled: 1-line block ×5, first 2 shown]
	v_mov_b32_e32 v35, 0x6b47b09a
	v_mov_b32_e32 v36, 0x3fc38538
	v_add_f64 v[27:28], v[27:28], v[33:34]
	v_add_f64 v[33:34], v[37:38], v[39:40]
	;; [unrolled: 1-line block ×3, first 2 shown]
	v_add_f64 v[31:32], v[33:34], -v[37:38]
	v_add_f64 v[27:28], v[51:52], v[27:28]
	v_add_f64 v[31:32], v[39:40], -v[31:32]
	v_mul_f64 v[27:28], v[29:30], v[27:28]
	v_add_f64 v[27:28], v[31:32], v[27:28]
	v_add_f64 v[29:30], v[33:34], v[27:28]
	v_mul_f64 v[31:32], v[29:30], v[29:30]
	v_fma_f64 v[35:36], v[31:32], s[0:1], v[35:36]
	s_mov_b32 s0, 0xd7f4df2e
	s_mov_b32 s1, 0x3fc7474d
	v_mul_f64 v[37:38], v[29:30], v[31:32]
	v_fma_f64 v[35:36], v[31:32], v[35:36], s[0:1]
	s_mov_b32 s0, 0x16291751
	s_mov_b32 s1, 0x3fcc71c0
	v_fma_f64 v[35:36], v[31:32], v[35:36], s[0:1]
	s_mov_b32 s0, 0x9b27acf1
	s_mov_b32 s1, 0x3fd24924
	;; [unrolled: 3-line block ×4, first 2 shown]
	v_fma_f64 v[31:32], v[31:32], v[35:36], s[6:7]
	v_ldexp_f64 v[35:36], v[29:30], 1
	v_add_f64 v[29:30], v[29:30], -v[33:34]
	v_cmp_neq_f64_e64 s[6:7], s[0:1], v[23:24]
	v_mul_f64 v[31:32], v[37:38], v[31:32]
	v_cvt_f64_i32_e32 v[37:38], v58
	v_add_f64 v[27:28], v[27:28], -v[29:30]
	s_and_b64 s[4:5], s[4:5], s[6:7]
	v_mul_f64 v[39:40], v[37:38], s[12:13]
	v_add_f64 v[33:34], v[35:36], v[31:32]
	v_ldexp_f64 v[27:28], v[27:28], 1
	v_add_f64 v[29:30], v[33:34], -v[35:36]
	v_fma_f64 v[35:36], v[37:38], s[12:13], -v[39:40]
	v_add_f64 v[29:30], v[31:32], -v[29:30]
	v_fma_f64 v[31:32], v[37:38], s[14:15], v[35:36]
	v_add_f64 v[27:28], v[27:28], v[29:30]
	v_add_f64 v[29:30], v[39:40], v[31:32]
	;; [unrolled: 1-line block ×3, first 2 shown]
	v_add_f64 v[39:40], v[29:30], -v[39:40]
	v_add_f64 v[37:38], v[29:30], v[35:36]
	v_add_f64 v[33:34], v[35:36], -v[33:34]
	v_add_f64 v[31:32], v[31:32], -v[39:40]
	;; [unrolled: 1-line block ×6, first 2 shown]
	v_add_f64 v[35:36], v[31:32], v[27:28]
	v_add_f64 v[29:30], v[29:30], -v[51:52]
	v_add_f64 v[29:30], v[33:34], v[29:30]
	v_add_f64 v[33:34], v[35:36], -v[31:32]
	;; [unrolled: 2-line block ×3, first 2 shown]
	v_add_f64 v[27:28], v[27:28], -v[33:34]
	v_add_f64 v[39:40], v[37:38], v[29:30]
	v_add_f64 v[31:32], v[31:32], -v[35:36]
	v_add_f64 v[33:34], v[39:40], -v[37:38]
	v_add_f64 v[27:28], v[27:28], v[31:32]
	v_add_f64 v[29:30], v[29:30], -v[33:34]
	v_add_f64 v[27:28], v[27:28], v[29:30]
	v_mov_b32_e32 v29, 0x7ff80000
	v_mov_b32_e32 v30, 0xfff00000
	v_add_f64 v[27:28], v[39:40], v[27:28]
	v_cndmask_b32_e64 v27, 0, v27, s[4:5]
	v_cmp_ngt_f64_e64 s[4:5], -1.0, v[23:24]
	v_cndmask_b32_e64 v28, v57, v28, s[6:7]
	v_cndmask_b32_e64 v28, v29, v28, s[4:5]
	v_cmp_neq_f64_e64 s[4:5], -1.0, v[23:24]
	v_cndmask_b32_e64 v28, v30, v28, s[4:5]
	v_add_f64 v[49:50], v[21:22], v[27:28]
.LBB70_186:
	s_or_b64 exec, exec, s[8:9]
	v_max_f64 v[27:28], v[19:20], v[19:20]
	v_max_f64 v[21:22], v[49:50], v[49:50]
	v_cmp_u_f64_e64 s[4:5], v[49:50], v[49:50]
	v_cmp_u_f64_e64 s[6:7], v[19:20], v[19:20]
	s_movk_i32 s0, 0x1f8
	v_min_f64 v[23:24], v[21:22], v[27:28]
	v_max_f64 v[21:22], v[21:22], v[27:28]
	v_cndmask_b32_e64 v23, v23, v49, s[4:5]
	v_cndmask_b32_e64 v24, v24, v50, s[4:5]
	v_cndmask_b32_e64 v21, v21, v49, s[4:5]
	v_cndmask_b32_e64 v22, v22, v50, s[4:5]
	v_cndmask_b32_e64 v24, v24, v20, s[6:7]
	v_cndmask_b32_e64 v23, v23, v19, s[6:7]
	v_cndmask_b32_e64 v22, v22, v20, s[6:7]
	v_cndmask_b32_e64 v21, v21, v19, s[6:7]
	v_cmp_neq_f64_e64 s[4:5], v[23:24], v[21:22]
	v_cmp_class_f64_e64 s[8:9], v[23:24], s0
	s_or_b64 s[4:5], s[4:5], s[8:9]
	s_and_saveexec_b64 s[12:13], s[4:5]
	s_cbranch_execz .LBB70_188
; %bb.187:
	v_add_f64 v[23:24], v[23:24], -v[21:22]
	s_mov_b32 s4, 0x652b82fe
	s_mov_b32 s5, 0x3ff71547
	;; [unrolled: 1-line block ×6, first 2 shown]
	v_mov_b32_e32 v33, 0xfca7ab0c
	v_mul_f64 v[29:30], v[23:24], s[4:5]
	s_mov_b32 s4, 0x6a5dcb37
	v_mov_b32_e32 v34, 0x3e928af3
	s_mov_b32 s5, 0x3e5ade15
	s_mov_b32 s8, 0
	s_mov_b32 s9, 0xc090cc00
	v_cmp_ngt_f64_e64 s[8:9], s[8:9], v[23:24]
	v_mov_b32_e32 v59, 0x7ff00000
	v_rndne_f64_e32 v[29:30], v[29:30]
	v_fma_f64 v[31:32], v[29:30], s[14:15], v[23:24]
	s_mov_b32 s15, 0x3fe62e42
	v_fma_f64 v[31:32], v[29:30], s[16:17], v[31:32]
	v_cvt_i32_f64_e32 v29, v[29:30]
	s_mov_b32 s17, 0x3c7abc9e
	v_fma_f64 v[33:34], v[31:32], s[4:5], v[33:34]
	s_mov_b32 s4, 0x623fde64
	s_mov_b32 s5, 0x3ec71dee
	v_fma_f64 v[33:34], v[31:32], v[33:34], s[4:5]
	s_mov_b32 s4, 0x7c89e6b0
	s_mov_b32 s5, 0x3efa0199
	v_fma_f64 v[33:34], v[31:32], v[33:34], s[4:5]
	s_mov_b32 s4, 0x14761f6e
	s_mov_b32 s5, 0x3f2a01a0
	v_fma_f64 v[33:34], v[31:32], v[33:34], s[4:5]
	s_mov_b32 s4, 0x1852b7b0
	s_mov_b32 s5, 0x3f56c16c
	v_fma_f64 v[33:34], v[31:32], v[33:34], s[4:5]
	s_mov_b32 s4, 0x11122322
	s_mov_b32 s5, 0x3f811111
	v_fma_f64 v[33:34], v[31:32], v[33:34], s[4:5]
	s_mov_b32 s4, 0x555502a1
	s_mov_b32 s5, 0x3fa55555
	v_fma_f64 v[33:34], v[31:32], v[33:34], s[4:5]
	s_mov_b32 s4, 0x55555511
	s_mov_b32 s5, 0x3fc55555
	v_fma_f64 v[33:34], v[31:32], v[33:34], s[4:5]
	s_mov_b32 s4, 11
	s_mov_b32 s5, 0x3fe00000
	v_fma_f64 v[33:34], v[31:32], v[33:34], s[4:5]
	s_mov_b32 s4, 0
	s_mov_b32 s5, 0x40900000
	v_cmp_nlt_f64_e64 s[4:5], s[4:5], v[23:24]
	v_fma_f64 v[33:34], v[31:32], v[33:34], 1.0
	v_fma_f64 v[31:32], v[31:32], v[33:34], 1.0
	v_ldexp_f64 v[29:30], v[31:32], v29
	v_cndmask_b32_e64 v30, v59, v30, s[4:5]
	s_and_b64 s[4:5], s[8:9], s[4:5]
	v_cndmask_b32_e64 v24, 0, v30, s[8:9]
	v_cndmask_b32_e64 v23, 0, v29, s[4:5]
	v_add_f64 v[29:30], v[23:24], 1.0
	s_mov_b32 s9, 0x3fe55555
	s_mov_b32 s8, 0x55555555
	v_frexp_mant_f64_e32 v[33:34], v[29:30]
	v_frexp_exp_i32_f64_e32 v37, v[29:30]
	v_add_f64 v[31:32], v[29:30], -1.0
	v_cmp_gt_f64_e64 s[4:5], s[8:9], v[33:34]
	s_mov_b32 s8, 0x55555780
	v_add_f64 v[35:36], v[31:32], -v[29:30]
	v_add_f64 v[31:32], v[23:24], -v[31:32]
	v_subbrev_co_u32_e64 v60, s[4:5], 0, v37, s[4:5]
	v_sub_u32_e32 v37, 0, v60
	v_ldexp_f64 v[29:30], v[29:30], v37
	v_add_f64 v[33:34], v[35:36], 1.0
	s_mov_b32 s4, 0xbf559e2b
	s_mov_b32 s5, 0x3fc3ab76
	v_add_f64 v[35:36], v[29:30], 1.0
	v_add_f64 v[31:32], v[31:32], v[33:34]
	v_add_f64 v[49:50], v[29:30], -1.0
	v_add_f64 v[33:34], v[35:36], -1.0
	v_ldexp_f64 v[31:32], v[31:32], v37
	v_add_f64 v[51:52], v[49:50], 1.0
	v_add_f64 v[33:34], v[29:30], -v[33:34]
	v_add_f64 v[29:30], v[29:30], -v[51:52]
	v_add_f64 v[33:34], v[31:32], v[33:34]
	v_add_f64 v[29:30], v[31:32], v[29:30]
	;; [unrolled: 1-line block ×4, first 2 shown]
	v_rcp_f64_e32 v[39:40], v[37:38]
	v_add_f64 v[35:36], v[37:38], -v[35:36]
	v_add_f64 v[49:50], v[51:52], -v[49:50]
	;; [unrolled: 1-line block ×4, first 2 shown]
	v_fma_f64 v[53:54], -v[37:38], v[39:40], 1.0
	v_fma_f64 v[39:40], v[53:54], v[39:40], v[39:40]
	v_fma_f64 v[31:32], -v[37:38], v[39:40], 1.0
	v_fma_f64 v[31:32], v[31:32], v[39:40], v[39:40]
	v_mul_f64 v[39:40], v[51:52], v[31:32]
	v_mul_f64 v[53:54], v[37:38], v[39:40]
	v_fma_f64 v[35:36], v[39:40], v[37:38], -v[53:54]
	v_fma_f64 v[35:36], v[39:40], v[33:34], v[35:36]
	v_add_f64 v[55:56], v[53:54], v[35:36]
	v_add_f64 v[57:58], v[51:52], -v[55:56]
	v_add_f64 v[49:50], v[55:56], -v[53:54]
	;; [unrolled: 1-line block ×5, first 2 shown]
	v_add_f64 v[29:30], v[29:30], v[51:52]
	v_add_f64 v[29:30], v[35:36], v[29:30]
	;; [unrolled: 1-line block ×3, first 2 shown]
	v_mul_f64 v[49:50], v[31:32], v[35:36]
	v_add_f64 v[55:56], v[57:58], -v[35:36]
	v_mul_f64 v[51:52], v[37:38], v[49:50]
	v_add_f64 v[29:30], v[29:30], v[55:56]
	v_fma_f64 v[37:38], v[49:50], v[37:38], -v[51:52]
	v_fma_f64 v[33:34], v[49:50], v[33:34], v[37:38]
	v_add_f64 v[37:38], v[51:52], v[33:34]
	v_add_f64 v[53:54], v[35:36], -v[37:38]
	v_add_f64 v[51:52], v[37:38], -v[51:52]
	;; [unrolled: 1-line block ×5, first 2 shown]
	v_mov_b32_e32 v37, 0x6b47b09a
	v_mov_b32_e32 v38, 0x3fc38538
	v_add_f64 v[29:30], v[29:30], v[35:36]
	v_add_f64 v[35:36], v[39:40], v[49:50]
	;; [unrolled: 1-line block ×3, first 2 shown]
	v_add_f64 v[33:34], v[35:36], -v[39:40]
	v_add_f64 v[29:30], v[53:54], v[29:30]
	v_add_f64 v[33:34], v[49:50], -v[33:34]
	v_mul_f64 v[29:30], v[31:32], v[29:30]
	v_add_f64 v[29:30], v[33:34], v[29:30]
	v_add_f64 v[31:32], v[35:36], v[29:30]
	v_mul_f64 v[33:34], v[31:32], v[31:32]
	v_fma_f64 v[37:38], v[33:34], s[4:5], v[37:38]
	s_mov_b32 s4, 0xd7f4df2e
	s_mov_b32 s5, 0x3fc7474d
	v_mul_f64 v[39:40], v[31:32], v[33:34]
	v_fma_f64 v[37:38], v[33:34], v[37:38], s[4:5]
	s_mov_b32 s4, 0x16291751
	s_mov_b32 s5, 0x3fcc71c0
	v_fma_f64 v[37:38], v[33:34], v[37:38], s[4:5]
	s_mov_b32 s4, 0x9b27acf1
	s_mov_b32 s5, 0x3fd24924
	;; [unrolled: 3-line block ×3, first 2 shown]
	v_fma_f64 v[37:38], v[33:34], v[37:38], s[4:5]
	v_cmp_nge_f64_e64 s[4:5], -1.0, v[23:24]
	v_fma_f64 v[33:34], v[33:34], v[37:38], s[8:9]
	v_ldexp_f64 v[37:38], v[31:32], 1
	v_add_f64 v[31:32], v[31:32], -v[35:36]
	s_mov_b32 s8, 0
	s_mov_b32 s9, 0x7ff00000
	v_cmp_neq_f64_e64 s[8:9], s[8:9], v[23:24]
	v_mul_f64 v[33:34], v[39:40], v[33:34]
	v_cvt_f64_i32_e32 v[39:40], v60
	v_add_f64 v[29:30], v[29:30], -v[31:32]
	v_mul_f64 v[49:50], v[39:40], s[14:15]
	s_and_b64 s[4:5], s[4:5], s[8:9]
	v_add_f64 v[35:36], v[37:38], v[33:34]
	v_ldexp_f64 v[29:30], v[29:30], 1
	v_add_f64 v[31:32], v[35:36], -v[37:38]
	v_fma_f64 v[37:38], v[39:40], s[14:15], -v[49:50]
	v_add_f64 v[31:32], v[33:34], -v[31:32]
	v_fma_f64 v[33:34], v[39:40], s[16:17], v[37:38]
	v_add_f64 v[29:30], v[29:30], v[31:32]
	v_add_f64 v[31:32], v[49:50], v[33:34]
	;; [unrolled: 1-line block ×3, first 2 shown]
	v_add_f64 v[49:50], v[31:32], -v[49:50]
	v_add_f64 v[39:40], v[31:32], v[37:38]
	v_add_f64 v[35:36], v[37:38], -v[35:36]
	v_add_f64 v[33:34], v[33:34], -v[49:50]
	;; [unrolled: 1-line block ×6, first 2 shown]
	v_add_f64 v[37:38], v[33:34], v[29:30]
	v_add_f64 v[31:32], v[31:32], -v[53:54]
	v_add_f64 v[31:32], v[35:36], v[31:32]
	v_add_f64 v[35:36], v[37:38], -v[33:34]
	;; [unrolled: 2-line block ×3, first 2 shown]
	v_add_f64 v[29:30], v[29:30], -v[35:36]
	v_add_f64 v[49:50], v[39:40], v[31:32]
	v_add_f64 v[33:34], v[33:34], -v[37:38]
	v_add_f64 v[35:36], v[49:50], -v[39:40]
	v_add_f64 v[29:30], v[29:30], v[33:34]
	v_add_f64 v[31:32], v[31:32], -v[35:36]
	v_add_f64 v[29:30], v[29:30], v[31:32]
	v_mov_b32_e32 v31, 0x7ff80000
	v_mov_b32_e32 v32, 0xfff00000
	v_add_f64 v[29:30], v[49:50], v[29:30]
	v_cndmask_b32_e64 v29, 0, v29, s[4:5]
	v_cmp_ngt_f64_e64 s[4:5], -1.0, v[23:24]
	v_cndmask_b32_e64 v30, v59, v30, s[8:9]
	v_cndmask_b32_e64 v30, v31, v30, s[4:5]
	v_cmp_neq_f64_e64 s[4:5], -1.0, v[23:24]
	v_cndmask_b32_e64 v30, v32, v30, s[4:5]
	v_add_f64 v[49:50], v[21:22], v[29:30]
.LBB70_188:
	s_or_b64 exec, exec, s[12:13]
	v_max_f64 v[29:30], v[13:14], v[13:14]
	v_max_f64 v[21:22], v[49:50], v[49:50]
	v_cmp_u_f64_e64 s[4:5], v[49:50], v[49:50]
	v_cmp_u_f64_e64 s[14:15], v[13:14], v[13:14]
	v_min_f64 v[23:24], v[21:22], v[29:30]
	v_max_f64 v[21:22], v[21:22], v[29:30]
	v_cndmask_b32_e64 v23, v23, v49, s[4:5]
	v_cndmask_b32_e64 v24, v24, v50, s[4:5]
	;; [unrolled: 1-line block ×8, first 2 shown]
	v_cmp_neq_f64_e64 s[4:5], v[23:24], v[21:22]
	v_cmp_class_f64_e64 s[0:1], v[23:24], s0
	s_or_b64 s[0:1], s[4:5], s[0:1]
	s_and_saveexec_b64 s[12:13], s[0:1]
	s_cbranch_execz .LBB70_190
; %bb.189:
	v_add_f64 v[23:24], v[23:24], -v[21:22]
	s_mov_b32 s0, 0x652b82fe
	s_mov_b32 s1, 0x3ff71547
	;; [unrolled: 1-line block ×6, first 2 shown]
	v_mov_b32_e32 v35, 0xfca7ab0c
	v_mul_f64 v[31:32], v[23:24], s[0:1]
	s_mov_b32 s0, 0x6a5dcb37
	v_mov_b32_e32 v36, 0x3e928af3
	s_mov_b32 s1, 0x3e5ade15
	s_mov_b32 s8, 0
	;; [unrolled: 1-line block ×3, first 2 shown]
	v_cmp_ngt_f64_e64 s[8:9], s[8:9], v[23:24]
	v_mov_b32_e32 v61, 0x7ff00000
	v_rndne_f64_e32 v[31:32], v[31:32]
	v_fma_f64 v[33:34], v[31:32], s[16:17], v[23:24]
	s_mov_b32 s17, 0x3fe62e42
	v_fma_f64 v[33:34], v[31:32], s[18:19], v[33:34]
	v_cvt_i32_f64_e32 v31, v[31:32]
	s_mov_b32 s19, 0x3c7abc9e
	v_fma_f64 v[35:36], v[33:34], s[0:1], v[35:36]
	s_mov_b32 s0, 0x623fde64
	s_mov_b32 s1, 0x3ec71dee
	v_fma_f64 v[35:36], v[33:34], v[35:36], s[0:1]
	s_mov_b32 s0, 0x7c89e6b0
	;; [unrolled: 3-line block ×9, first 2 shown]
	s_mov_b32 s1, 0x40900000
	v_cmp_nlt_f64_e64 s[4:5], s[0:1], v[23:24]
	s_mov_b32 s0, 0xbf559e2b
	s_mov_b32 s1, 0x3fc3ab76
	v_fma_f64 v[35:36], v[33:34], v[35:36], 1.0
	v_fma_f64 v[33:34], v[33:34], v[35:36], 1.0
	v_ldexp_f64 v[31:32], v[33:34], v31
	v_cndmask_b32_e64 v32, v61, v32, s[4:5]
	s_and_b64 s[4:5], s[8:9], s[4:5]
	v_cndmask_b32_e64 v24, 0, v32, s[8:9]
	v_cndmask_b32_e64 v23, 0, v31, s[4:5]
	v_add_f64 v[31:32], v[23:24], 1.0
	s_mov_b32 s9, 0x3fe55555
	s_mov_b32 s8, 0x55555555
	v_frexp_mant_f64_e32 v[35:36], v[31:32]
	v_frexp_exp_i32_f64_e32 v39, v[31:32]
	v_add_f64 v[33:34], v[31:32], -1.0
	v_cmp_gt_f64_e64 s[4:5], s[8:9], v[35:36]
	s_mov_b32 s8, 0x55555780
	v_add_f64 v[37:38], v[33:34], -v[31:32]
	v_add_f64 v[33:34], v[23:24], -v[33:34]
	v_subbrev_co_u32_e64 v62, s[4:5], 0, v39, s[4:5]
	v_sub_u32_e32 v39, 0, v62
	v_ldexp_f64 v[31:32], v[31:32], v39
	v_add_f64 v[35:36], v[37:38], 1.0
	v_cmp_nge_f64_e64 s[4:5], -1.0, v[23:24]
	v_add_f64 v[37:38], v[31:32], 1.0
	v_add_f64 v[33:34], v[33:34], v[35:36]
	v_add_f64 v[51:52], v[31:32], -1.0
	v_add_f64 v[35:36], v[37:38], -1.0
	v_ldexp_f64 v[33:34], v[33:34], v39
	v_add_f64 v[53:54], v[51:52], 1.0
	v_add_f64 v[35:36], v[31:32], -v[35:36]
	v_add_f64 v[31:32], v[31:32], -v[53:54]
	v_add_f64 v[35:36], v[33:34], v[35:36]
	v_add_f64 v[31:32], v[33:34], v[31:32]
	;; [unrolled: 1-line block ×4, first 2 shown]
	v_rcp_f64_e32 v[49:50], v[39:40]
	v_add_f64 v[37:38], v[39:40], -v[37:38]
	v_add_f64 v[51:52], v[53:54], -v[51:52]
	;; [unrolled: 1-line block ×4, first 2 shown]
	v_fma_f64 v[55:56], -v[39:40], v[49:50], 1.0
	v_fma_f64 v[49:50], v[55:56], v[49:50], v[49:50]
	v_fma_f64 v[33:34], -v[39:40], v[49:50], 1.0
	v_fma_f64 v[33:34], v[33:34], v[49:50], v[49:50]
	v_mul_f64 v[49:50], v[53:54], v[33:34]
	v_mul_f64 v[55:56], v[39:40], v[49:50]
	v_fma_f64 v[37:38], v[49:50], v[39:40], -v[55:56]
	v_fma_f64 v[37:38], v[49:50], v[35:36], v[37:38]
	v_add_f64 v[57:58], v[55:56], v[37:38]
	v_add_f64 v[59:60], v[53:54], -v[57:58]
	v_add_f64 v[51:52], v[57:58], -v[55:56]
	;; [unrolled: 1-line block ×5, first 2 shown]
	v_add_f64 v[31:32], v[31:32], v[53:54]
	v_add_f64 v[31:32], v[37:38], v[31:32]
	;; [unrolled: 1-line block ×3, first 2 shown]
	v_mul_f64 v[51:52], v[33:34], v[37:38]
	v_add_f64 v[57:58], v[59:60], -v[37:38]
	v_mul_f64 v[53:54], v[39:40], v[51:52]
	v_add_f64 v[31:32], v[31:32], v[57:58]
	v_fma_f64 v[39:40], v[51:52], v[39:40], -v[53:54]
	v_fma_f64 v[35:36], v[51:52], v[35:36], v[39:40]
	v_add_f64 v[39:40], v[53:54], v[35:36]
	v_add_f64 v[55:56], v[37:38], -v[39:40]
	v_add_f64 v[53:54], v[39:40], -v[53:54]
	;; [unrolled: 1-line block ×5, first 2 shown]
	v_mov_b32_e32 v39, 0x6b47b09a
	v_mov_b32_e32 v40, 0x3fc38538
	v_add_f64 v[31:32], v[31:32], v[37:38]
	v_add_f64 v[37:38], v[49:50], v[51:52]
	;; [unrolled: 1-line block ×3, first 2 shown]
	v_add_f64 v[35:36], v[37:38], -v[49:50]
	v_add_f64 v[31:32], v[55:56], v[31:32]
	v_add_f64 v[35:36], v[51:52], -v[35:36]
	v_mul_f64 v[31:32], v[33:34], v[31:32]
	v_add_f64 v[31:32], v[35:36], v[31:32]
	v_add_f64 v[33:34], v[37:38], v[31:32]
	v_mul_f64 v[35:36], v[33:34], v[33:34]
	v_fma_f64 v[39:40], v[35:36], s[0:1], v[39:40]
	s_mov_b32 s0, 0xd7f4df2e
	s_mov_b32 s1, 0x3fc7474d
	v_mul_f64 v[49:50], v[33:34], v[35:36]
	v_fma_f64 v[39:40], v[35:36], v[39:40], s[0:1]
	s_mov_b32 s0, 0x16291751
	s_mov_b32 s1, 0x3fcc71c0
	v_fma_f64 v[39:40], v[35:36], v[39:40], s[0:1]
	s_mov_b32 s0, 0x9b27acf1
	s_mov_b32 s1, 0x3fd24924
	;; [unrolled: 3-line block ×4, first 2 shown]
	v_fma_f64 v[35:36], v[35:36], v[39:40], s[8:9]
	v_ldexp_f64 v[39:40], v[33:34], 1
	v_add_f64 v[33:34], v[33:34], -v[37:38]
	v_cmp_neq_f64_e64 s[8:9], s[0:1], v[23:24]
	v_mul_f64 v[35:36], v[49:50], v[35:36]
	v_cvt_f64_i32_e32 v[49:50], v62
	v_add_f64 v[31:32], v[31:32], -v[33:34]
	s_and_b64 s[4:5], s[4:5], s[8:9]
	v_mul_f64 v[51:52], v[49:50], s[16:17]
	v_add_f64 v[37:38], v[39:40], v[35:36]
	v_ldexp_f64 v[31:32], v[31:32], 1
	v_add_f64 v[33:34], v[37:38], -v[39:40]
	v_fma_f64 v[39:40], v[49:50], s[16:17], -v[51:52]
	v_add_f64 v[33:34], v[35:36], -v[33:34]
	v_fma_f64 v[35:36], v[49:50], s[18:19], v[39:40]
	v_add_f64 v[31:32], v[31:32], v[33:34]
	v_add_f64 v[33:34], v[51:52], v[35:36]
	;; [unrolled: 1-line block ×3, first 2 shown]
	v_add_f64 v[51:52], v[33:34], -v[51:52]
	v_add_f64 v[49:50], v[33:34], v[39:40]
	v_add_f64 v[37:38], v[39:40], -v[37:38]
	v_add_f64 v[35:36], v[35:36], -v[51:52]
	;; [unrolled: 1-line block ×6, first 2 shown]
	v_add_f64 v[39:40], v[35:36], v[31:32]
	v_add_f64 v[33:34], v[33:34], -v[55:56]
	v_add_f64 v[33:34], v[37:38], v[33:34]
	v_add_f64 v[37:38], v[39:40], -v[35:36]
	;; [unrolled: 2-line block ×3, first 2 shown]
	v_add_f64 v[31:32], v[31:32], -v[37:38]
	v_add_f64 v[51:52], v[49:50], v[33:34]
	v_add_f64 v[35:36], v[35:36], -v[39:40]
	v_add_f64 v[37:38], v[51:52], -v[49:50]
	v_add_f64 v[31:32], v[31:32], v[35:36]
	v_add_f64 v[33:34], v[33:34], -v[37:38]
	v_add_f64 v[31:32], v[31:32], v[33:34]
	v_mov_b32_e32 v33, 0x7ff80000
	v_mov_b32_e32 v34, 0xfff00000
	v_add_f64 v[31:32], v[51:52], v[31:32]
	v_cndmask_b32_e64 v31, 0, v31, s[4:5]
	v_cmp_ngt_f64_e64 s[4:5], -1.0, v[23:24]
	v_cndmask_b32_e64 v32, v61, v32, s[8:9]
	v_cndmask_b32_e64 v32, v33, v32, s[4:5]
	v_cmp_neq_f64_e64 s[4:5], -1.0, v[23:24]
	v_cndmask_b32_e64 v32, v34, v32, s[4:5]
	v_add_f64 v[49:50], v[21:22], v[31:32]
.LBB70_190:
	s_or_b64 exec, exec, s[12:13]
	v_max_f64 v[31:32], v[15:16], v[15:16]
	v_max_f64 v[21:22], v[49:50], v[49:50]
	v_cmp_u_f64_e64 s[4:5], v[49:50], v[49:50]
	v_cmp_u_f64_e64 s[8:9], v[15:16], v[15:16]
	s_movk_i32 s0, 0x1f8
	v_min_f64 v[23:24], v[21:22], v[31:32]
	v_max_f64 v[21:22], v[21:22], v[31:32]
	v_cndmask_b32_e64 v23, v23, v49, s[4:5]
	v_cndmask_b32_e64 v24, v24, v50, s[4:5]
	;; [unrolled: 1-line block ×8, first 2 shown]
	v_cmp_neq_f64_e64 s[4:5], v[23:24], v[21:22]
	v_cmp_class_f64_e64 s[12:13], v[23:24], s0
	s_or_b64 s[4:5], s[4:5], s[12:13]
	s_and_saveexec_b64 s[16:17], s[4:5]
	s_cbranch_execz .LBB70_192
; %bb.191:
	v_add_f64 v[23:24], v[23:24], -v[21:22]
	s_mov_b32 s4, 0x652b82fe
	s_mov_b32 s5, 0x3ff71547
	;; [unrolled: 1-line block ×6, first 2 shown]
	v_mov_b32_e32 v37, 0xfca7ab0c
	v_mul_f64 v[33:34], v[23:24], s[4:5]
	s_mov_b32 s4, 0x6a5dcb37
	v_mov_b32_e32 v38, 0x3e928af3
	s_mov_b32 s5, 0x3e5ade15
	s_mov_b32 s12, 0
	;; [unrolled: 1-line block ×3, first 2 shown]
	v_cmp_ngt_f64_e64 s[12:13], s[12:13], v[23:24]
	v_mov_b32_e32 v63, 0x7ff00000
	v_rndne_f64_e32 v[33:34], v[33:34]
	v_fma_f64 v[35:36], v[33:34], s[18:19], v[23:24]
	s_mov_b32 s19, 0x3fe62e42
	v_fma_f64 v[35:36], v[33:34], s[20:21], v[35:36]
	v_cvt_i32_f64_e32 v33, v[33:34]
	s_mov_b32 s21, 0x3c7abc9e
	v_fma_f64 v[37:38], v[35:36], s[4:5], v[37:38]
	s_mov_b32 s4, 0x623fde64
	s_mov_b32 s5, 0x3ec71dee
	v_fma_f64 v[37:38], v[35:36], v[37:38], s[4:5]
	s_mov_b32 s4, 0x7c89e6b0
	s_mov_b32 s5, 0x3efa0199
	v_fma_f64 v[37:38], v[35:36], v[37:38], s[4:5]
	s_mov_b32 s4, 0x14761f6e
	s_mov_b32 s5, 0x3f2a01a0
	v_fma_f64 v[37:38], v[35:36], v[37:38], s[4:5]
	s_mov_b32 s4, 0x1852b7b0
	s_mov_b32 s5, 0x3f56c16c
	v_fma_f64 v[37:38], v[35:36], v[37:38], s[4:5]
	s_mov_b32 s4, 0x11122322
	s_mov_b32 s5, 0x3f811111
	v_fma_f64 v[37:38], v[35:36], v[37:38], s[4:5]
	s_mov_b32 s4, 0x555502a1
	s_mov_b32 s5, 0x3fa55555
	v_fma_f64 v[37:38], v[35:36], v[37:38], s[4:5]
	s_mov_b32 s4, 0x55555511
	s_mov_b32 s5, 0x3fc55555
	v_fma_f64 v[37:38], v[35:36], v[37:38], s[4:5]
	s_mov_b32 s4, 11
	s_mov_b32 s5, 0x3fe00000
	v_fma_f64 v[37:38], v[35:36], v[37:38], s[4:5]
	s_mov_b32 s4, 0
	s_mov_b32 s5, 0x40900000
	v_cmp_nlt_f64_e64 s[4:5], s[4:5], v[23:24]
	v_fma_f64 v[37:38], v[35:36], v[37:38], 1.0
	v_fma_f64 v[35:36], v[35:36], v[37:38], 1.0
	v_ldexp_f64 v[33:34], v[35:36], v33
	v_cndmask_b32_e64 v34, v63, v34, s[4:5]
	s_and_b64 s[4:5], s[12:13], s[4:5]
	v_cndmask_b32_e64 v24, 0, v34, s[12:13]
	v_cndmask_b32_e64 v23, 0, v33, s[4:5]
	v_add_f64 v[33:34], v[23:24], 1.0
	s_mov_b32 s13, 0x3fe55555
	s_mov_b32 s12, 0x55555555
	v_frexp_mant_f64_e32 v[37:38], v[33:34]
	v_frexp_exp_i32_f64_e32 v49, v[33:34]
	v_add_f64 v[35:36], v[33:34], -1.0
	v_cmp_gt_f64_e64 s[4:5], s[12:13], v[37:38]
	s_mov_b32 s12, 0x55555780
	v_add_f64 v[39:40], v[35:36], -v[33:34]
	v_add_f64 v[35:36], v[23:24], -v[35:36]
	v_subbrev_co_u32_e64 v64, s[4:5], 0, v49, s[4:5]
	v_sub_u32_e32 v49, 0, v64
	v_ldexp_f64 v[33:34], v[33:34], v49
	v_add_f64 v[37:38], v[39:40], 1.0
	s_mov_b32 s4, 0xbf559e2b
	s_mov_b32 s5, 0x3fc3ab76
	v_add_f64 v[39:40], v[33:34], 1.0
	v_add_f64 v[35:36], v[35:36], v[37:38]
	v_add_f64 v[53:54], v[33:34], -1.0
	v_add_f64 v[37:38], v[39:40], -1.0
	v_ldexp_f64 v[35:36], v[35:36], v49
	v_add_f64 v[55:56], v[53:54], 1.0
	v_add_f64 v[37:38], v[33:34], -v[37:38]
	v_add_f64 v[33:34], v[33:34], -v[55:56]
	v_add_f64 v[37:38], v[35:36], v[37:38]
	v_add_f64 v[33:34], v[35:36], v[33:34]
	v_add_f64 v[49:50], v[39:40], v[37:38]
	v_add_f64 v[55:56], v[53:54], v[33:34]
	v_rcp_f64_e32 v[51:52], v[49:50]
	v_add_f64 v[39:40], v[49:50], -v[39:40]
	v_add_f64 v[53:54], v[55:56], -v[53:54]
	;; [unrolled: 1-line block ×4, first 2 shown]
	v_fma_f64 v[57:58], -v[49:50], v[51:52], 1.0
	v_fma_f64 v[51:52], v[57:58], v[51:52], v[51:52]
	v_fma_f64 v[35:36], -v[49:50], v[51:52], 1.0
	v_fma_f64 v[35:36], v[35:36], v[51:52], v[51:52]
	v_mul_f64 v[51:52], v[55:56], v[35:36]
	v_mul_f64 v[57:58], v[49:50], v[51:52]
	v_fma_f64 v[39:40], v[51:52], v[49:50], -v[57:58]
	v_fma_f64 v[39:40], v[51:52], v[37:38], v[39:40]
	v_add_f64 v[59:60], v[57:58], v[39:40]
	v_add_f64 v[61:62], v[55:56], -v[59:60]
	v_add_f64 v[53:54], v[59:60], -v[57:58]
	;; [unrolled: 1-line block ×5, first 2 shown]
	v_add_f64 v[33:34], v[33:34], v[55:56]
	v_add_f64 v[33:34], v[39:40], v[33:34]
	;; [unrolled: 1-line block ×3, first 2 shown]
	v_mul_f64 v[53:54], v[35:36], v[39:40]
	v_add_f64 v[59:60], v[61:62], -v[39:40]
	v_mul_f64 v[55:56], v[49:50], v[53:54]
	v_add_f64 v[33:34], v[33:34], v[59:60]
	v_fma_f64 v[49:50], v[53:54], v[49:50], -v[55:56]
	v_fma_f64 v[37:38], v[53:54], v[37:38], v[49:50]
	v_add_f64 v[49:50], v[55:56], v[37:38]
	v_add_f64 v[57:58], v[39:40], -v[49:50]
	v_add_f64 v[55:56], v[49:50], -v[55:56]
	;; [unrolled: 1-line block ×5, first 2 shown]
	v_mov_b32_e32 v49, 0x6b47b09a
	v_mov_b32_e32 v50, 0x3fc38538
	v_add_f64 v[33:34], v[33:34], v[39:40]
	v_add_f64 v[39:40], v[51:52], v[53:54]
	;; [unrolled: 1-line block ×3, first 2 shown]
	v_add_f64 v[37:38], v[39:40], -v[51:52]
	v_add_f64 v[33:34], v[57:58], v[33:34]
	v_add_f64 v[37:38], v[53:54], -v[37:38]
	v_mul_f64 v[33:34], v[35:36], v[33:34]
	v_add_f64 v[33:34], v[37:38], v[33:34]
	v_add_f64 v[35:36], v[39:40], v[33:34]
	v_mul_f64 v[37:38], v[35:36], v[35:36]
	v_fma_f64 v[49:50], v[37:38], s[4:5], v[49:50]
	s_mov_b32 s4, 0xd7f4df2e
	s_mov_b32 s5, 0x3fc7474d
	v_mul_f64 v[51:52], v[35:36], v[37:38]
	v_fma_f64 v[49:50], v[37:38], v[49:50], s[4:5]
	s_mov_b32 s4, 0x16291751
	s_mov_b32 s5, 0x3fcc71c0
	v_fma_f64 v[49:50], v[37:38], v[49:50], s[4:5]
	s_mov_b32 s4, 0x9b27acf1
	s_mov_b32 s5, 0x3fd24924
	;; [unrolled: 3-line block ×3, first 2 shown]
	v_fma_f64 v[49:50], v[37:38], v[49:50], s[4:5]
	v_cmp_nge_f64_e64 s[4:5], -1.0, v[23:24]
	v_fma_f64 v[37:38], v[37:38], v[49:50], s[12:13]
	v_ldexp_f64 v[49:50], v[35:36], 1
	v_add_f64 v[35:36], v[35:36], -v[39:40]
	s_mov_b32 s12, 0
	s_mov_b32 s13, 0x7ff00000
	v_cmp_neq_f64_e64 s[12:13], s[12:13], v[23:24]
	v_mul_f64 v[37:38], v[51:52], v[37:38]
	v_cvt_f64_i32_e32 v[51:52], v64
	v_add_f64 v[33:34], v[33:34], -v[35:36]
	v_mul_f64 v[53:54], v[51:52], s[18:19]
	s_and_b64 s[4:5], s[4:5], s[12:13]
	v_add_f64 v[39:40], v[49:50], v[37:38]
	v_ldexp_f64 v[33:34], v[33:34], 1
	v_add_f64 v[35:36], v[39:40], -v[49:50]
	v_fma_f64 v[49:50], v[51:52], s[18:19], -v[53:54]
	v_add_f64 v[35:36], v[37:38], -v[35:36]
	v_fma_f64 v[37:38], v[51:52], s[20:21], v[49:50]
	v_add_f64 v[33:34], v[33:34], v[35:36]
	v_add_f64 v[35:36], v[53:54], v[37:38]
	;; [unrolled: 1-line block ×3, first 2 shown]
	v_add_f64 v[53:54], v[35:36], -v[53:54]
	v_add_f64 v[51:52], v[35:36], v[49:50]
	v_add_f64 v[39:40], v[49:50], -v[39:40]
	v_add_f64 v[37:38], v[37:38], -v[53:54]
	;; [unrolled: 1-line block ×6, first 2 shown]
	v_add_f64 v[49:50], v[37:38], v[33:34]
	v_add_f64 v[35:36], v[35:36], -v[57:58]
	v_add_f64 v[35:36], v[39:40], v[35:36]
	v_add_f64 v[39:40], v[49:50], -v[37:38]
	;; [unrolled: 2-line block ×3, first 2 shown]
	v_add_f64 v[33:34], v[33:34], -v[39:40]
	v_add_f64 v[53:54], v[51:52], v[35:36]
	v_add_f64 v[37:38], v[37:38], -v[49:50]
	v_add_f64 v[39:40], v[53:54], -v[51:52]
	v_add_f64 v[33:34], v[33:34], v[37:38]
	v_add_f64 v[35:36], v[35:36], -v[39:40]
	v_add_f64 v[33:34], v[33:34], v[35:36]
	v_mov_b32_e32 v35, 0x7ff80000
	v_mov_b32_e32 v36, 0xfff00000
	v_add_f64 v[33:34], v[53:54], v[33:34]
	v_cndmask_b32_e64 v33, 0, v33, s[4:5]
	v_cmp_ngt_f64_e64 s[4:5], -1.0, v[23:24]
	v_cndmask_b32_e64 v34, v63, v34, s[12:13]
	v_cndmask_b32_e64 v34, v35, v34, s[4:5]
	v_cmp_neq_f64_e64 s[4:5], -1.0, v[23:24]
	v_cndmask_b32_e64 v34, v36, v34, s[4:5]
	v_add_f64 v[49:50], v[21:22], v[33:34]
.LBB70_192:
	s_or_b64 exec, exec, s[16:17]
	v_max_f64 v[33:34], v[9:10], v[9:10]
	v_max_f64 v[21:22], v[49:50], v[49:50]
	v_cmp_u_f64_e64 s[4:5], v[49:50], v[49:50]
	v_cmp_u_f64_e64 s[18:19], v[9:10], v[9:10]
	v_min_f64 v[23:24], v[21:22], v[33:34]
	v_max_f64 v[21:22], v[21:22], v[33:34]
	v_cndmask_b32_e64 v23, v23, v49, s[4:5]
	v_cndmask_b32_e64 v24, v24, v50, s[4:5]
	;; [unrolled: 1-line block ×8, first 2 shown]
	v_cmp_neq_f64_e64 s[4:5], v[23:24], v[21:22]
	v_cmp_class_f64_e64 s[0:1], v[23:24], s0
	s_or_b64 s[0:1], s[4:5], s[0:1]
	s_and_saveexec_b64 s[16:17], s[0:1]
	s_cbranch_execz .LBB70_194
; %bb.193:
	v_add_f64 v[23:24], v[23:24], -v[21:22]
	s_mov_b32 s0, 0x652b82fe
	s_mov_b32 s1, 0x3ff71547
	;; [unrolled: 1-line block ×6, first 2 shown]
	v_mov_b32_e32 v39, 0xfca7ab0c
	v_mul_f64 v[35:36], v[23:24], s[0:1]
	s_mov_b32 s0, 0x6a5dcb37
	v_mov_b32_e32 v40, 0x3e928af3
	s_mov_b32 s1, 0x3e5ade15
	s_mov_b32 s12, 0
	;; [unrolled: 1-line block ×3, first 2 shown]
	v_cmp_ngt_f64_e64 s[12:13], s[12:13], v[23:24]
	v_mov_b32_e32 v67, 0x7ff00000
	v_rndne_f64_e32 v[35:36], v[35:36]
	v_fma_f64 v[37:38], v[35:36], s[20:21], v[23:24]
	s_mov_b32 s21, 0x3fe62e42
	v_fma_f64 v[37:38], v[35:36], s[24:25], v[37:38]
	v_cvt_i32_f64_e32 v35, v[35:36]
	s_mov_b32 s25, 0x3c7abc9e
	v_fma_f64 v[39:40], v[37:38], s[0:1], v[39:40]
	s_mov_b32 s0, 0x623fde64
	s_mov_b32 s1, 0x3ec71dee
	v_fma_f64 v[39:40], v[37:38], v[39:40], s[0:1]
	s_mov_b32 s0, 0x7c89e6b0
	;; [unrolled: 3-line block ×9, first 2 shown]
	s_mov_b32 s1, 0x40900000
	v_cmp_nlt_f64_e64 s[4:5], s[0:1], v[23:24]
	s_mov_b32 s0, 0xbf559e2b
	s_mov_b32 s1, 0x3fc3ab76
	v_fma_f64 v[39:40], v[37:38], v[39:40], 1.0
	v_fma_f64 v[37:38], v[37:38], v[39:40], 1.0
	v_ldexp_f64 v[35:36], v[37:38], v35
	v_cndmask_b32_e64 v36, v67, v36, s[4:5]
	s_and_b64 s[4:5], s[12:13], s[4:5]
	v_cndmask_b32_e64 v24, 0, v36, s[12:13]
	v_cndmask_b32_e64 v23, 0, v35, s[4:5]
	v_add_f64 v[35:36], v[23:24], 1.0
	s_mov_b32 s13, 0x3fe55555
	s_mov_b32 s12, 0x55555555
	v_frexp_mant_f64_e32 v[39:40], v[35:36]
	v_frexp_exp_i32_f64_e32 v51, v[35:36]
	v_add_f64 v[37:38], v[35:36], -1.0
	v_cmp_gt_f64_e64 s[4:5], s[12:13], v[39:40]
	s_mov_b32 s12, 0x55555780
	v_add_f64 v[49:50], v[37:38], -v[35:36]
	v_add_f64 v[37:38], v[23:24], -v[37:38]
	v_subbrev_co_u32_e64 v68, s[4:5], 0, v51, s[4:5]
	v_sub_u32_e32 v51, 0, v68
	v_ldexp_f64 v[35:36], v[35:36], v51
	v_add_f64 v[39:40], v[49:50], 1.0
	v_cmp_nge_f64_e64 s[4:5], -1.0, v[23:24]
	v_add_f64 v[49:50], v[35:36], 1.0
	v_add_f64 v[37:38], v[37:38], v[39:40]
	v_add_f64 v[55:56], v[35:36], -1.0
	v_add_f64 v[39:40], v[49:50], -1.0
	v_ldexp_f64 v[37:38], v[37:38], v51
	v_add_f64 v[57:58], v[55:56], 1.0
	v_add_f64 v[39:40], v[35:36], -v[39:40]
	v_add_f64 v[35:36], v[35:36], -v[57:58]
	v_add_f64 v[39:40], v[37:38], v[39:40]
	v_add_f64 v[35:36], v[37:38], v[35:36]
	;; [unrolled: 1-line block ×4, first 2 shown]
	v_rcp_f64_e32 v[53:54], v[51:52]
	v_add_f64 v[49:50], v[51:52], -v[49:50]
	v_add_f64 v[55:56], v[57:58], -v[55:56]
	;; [unrolled: 1-line block ×4, first 2 shown]
	v_fma_f64 v[59:60], -v[51:52], v[53:54], 1.0
	v_fma_f64 v[53:54], v[59:60], v[53:54], v[53:54]
	v_fma_f64 v[37:38], -v[51:52], v[53:54], 1.0
	v_fma_f64 v[37:38], v[37:38], v[53:54], v[53:54]
	v_mul_f64 v[53:54], v[57:58], v[37:38]
	v_mul_f64 v[59:60], v[51:52], v[53:54]
	v_fma_f64 v[49:50], v[53:54], v[51:52], -v[59:60]
	v_fma_f64 v[49:50], v[53:54], v[39:40], v[49:50]
	v_add_f64 v[61:62], v[59:60], v[49:50]
	v_add_f64 v[63:64], v[57:58], -v[61:62]
	v_add_f64 v[55:56], v[61:62], -v[59:60]
	;; [unrolled: 1-line block ×5, first 2 shown]
	v_add_f64 v[35:36], v[35:36], v[57:58]
	v_add_f64 v[35:36], v[49:50], v[35:36]
	;; [unrolled: 1-line block ×3, first 2 shown]
	v_mul_f64 v[55:56], v[37:38], v[49:50]
	v_add_f64 v[61:62], v[63:64], -v[49:50]
	v_mul_f64 v[57:58], v[51:52], v[55:56]
	v_add_f64 v[35:36], v[35:36], v[61:62]
	v_fma_f64 v[51:52], v[55:56], v[51:52], -v[57:58]
	v_fma_f64 v[39:40], v[55:56], v[39:40], v[51:52]
	v_add_f64 v[51:52], v[57:58], v[39:40]
	v_add_f64 v[59:60], v[49:50], -v[51:52]
	v_add_f64 v[57:58], v[51:52], -v[57:58]
	;; [unrolled: 1-line block ×5, first 2 shown]
	v_mov_b32_e32 v51, 0x6b47b09a
	v_mov_b32_e32 v52, 0x3fc38538
	v_add_f64 v[35:36], v[35:36], v[49:50]
	v_add_f64 v[49:50], v[53:54], v[55:56]
	;; [unrolled: 1-line block ×3, first 2 shown]
	v_add_f64 v[39:40], v[49:50], -v[53:54]
	v_add_f64 v[35:36], v[59:60], v[35:36]
	v_add_f64 v[39:40], v[55:56], -v[39:40]
	v_mul_f64 v[35:36], v[37:38], v[35:36]
	v_add_f64 v[35:36], v[39:40], v[35:36]
	v_add_f64 v[37:38], v[49:50], v[35:36]
	v_mul_f64 v[39:40], v[37:38], v[37:38]
	v_fma_f64 v[51:52], v[39:40], s[0:1], v[51:52]
	s_mov_b32 s0, 0xd7f4df2e
	s_mov_b32 s1, 0x3fc7474d
	v_mul_f64 v[53:54], v[37:38], v[39:40]
	v_fma_f64 v[51:52], v[39:40], v[51:52], s[0:1]
	s_mov_b32 s0, 0x16291751
	s_mov_b32 s1, 0x3fcc71c0
	v_fma_f64 v[51:52], v[39:40], v[51:52], s[0:1]
	s_mov_b32 s0, 0x9b27acf1
	s_mov_b32 s1, 0x3fd24924
	;; [unrolled: 3-line block ×4, first 2 shown]
	v_fma_f64 v[39:40], v[39:40], v[51:52], s[12:13]
	v_ldexp_f64 v[51:52], v[37:38], 1
	v_add_f64 v[37:38], v[37:38], -v[49:50]
	v_cmp_neq_f64_e64 s[12:13], s[0:1], v[23:24]
	v_mul_f64 v[39:40], v[53:54], v[39:40]
	v_cvt_f64_i32_e32 v[53:54], v68
	v_add_f64 v[35:36], v[35:36], -v[37:38]
	s_and_b64 s[4:5], s[4:5], s[12:13]
	v_mul_f64 v[55:56], v[53:54], s[20:21]
	v_add_f64 v[49:50], v[51:52], v[39:40]
	v_ldexp_f64 v[35:36], v[35:36], 1
	v_add_f64 v[37:38], v[49:50], -v[51:52]
	v_fma_f64 v[51:52], v[53:54], s[20:21], -v[55:56]
	v_add_f64 v[37:38], v[39:40], -v[37:38]
	v_fma_f64 v[39:40], v[53:54], s[24:25], v[51:52]
	v_add_f64 v[35:36], v[35:36], v[37:38]
	v_add_f64 v[37:38], v[55:56], v[39:40]
	;; [unrolled: 1-line block ×3, first 2 shown]
	v_add_f64 v[55:56], v[37:38], -v[55:56]
	v_add_f64 v[53:54], v[37:38], v[51:52]
	v_add_f64 v[49:50], v[51:52], -v[49:50]
	v_add_f64 v[39:40], v[39:40], -v[55:56]
	;; [unrolled: 1-line block ×6, first 2 shown]
	v_add_f64 v[51:52], v[39:40], v[35:36]
	v_add_f64 v[37:38], v[37:38], -v[59:60]
	v_add_f64 v[37:38], v[49:50], v[37:38]
	v_add_f64 v[49:50], v[51:52], -v[39:40]
	;; [unrolled: 2-line block ×3, first 2 shown]
	v_add_f64 v[35:36], v[35:36], -v[49:50]
	v_add_f64 v[55:56], v[53:54], v[37:38]
	v_add_f64 v[39:40], v[39:40], -v[51:52]
	v_add_f64 v[49:50], v[55:56], -v[53:54]
	v_add_f64 v[35:36], v[35:36], v[39:40]
	v_add_f64 v[37:38], v[37:38], -v[49:50]
	v_add_f64 v[35:36], v[35:36], v[37:38]
	v_mov_b32_e32 v37, 0x7ff80000
	v_mov_b32_e32 v38, 0xfff00000
	v_add_f64 v[35:36], v[55:56], v[35:36]
	v_cndmask_b32_e64 v35, 0, v35, s[4:5]
	v_cmp_ngt_f64_e64 s[4:5], -1.0, v[23:24]
	v_cndmask_b32_e64 v36, v67, v36, s[12:13]
	v_cndmask_b32_e64 v36, v37, v36, s[4:5]
	v_cmp_neq_f64_e64 s[4:5], -1.0, v[23:24]
	v_cndmask_b32_e64 v36, v38, v36, s[4:5]
	v_add_f64 v[49:50], v[21:22], v[35:36]
.LBB70_194:
	s_or_b64 exec, exec, s[16:17]
	v_max_f64 v[35:36], v[11:12], v[11:12]
	v_max_f64 v[21:22], v[49:50], v[49:50]
	v_cmp_u_f64_e64 s[4:5], v[49:50], v[49:50]
	v_cmp_u_f64_e64 s[12:13], v[11:12], v[11:12]
	s_movk_i32 s0, 0x1f8
	v_min_f64 v[23:24], v[21:22], v[35:36]
	v_max_f64 v[21:22], v[21:22], v[35:36]
	v_cndmask_b32_e64 v23, v23, v49, s[4:5]
	v_cndmask_b32_e64 v24, v24, v50, s[4:5]
	;; [unrolled: 1-line block ×8, first 2 shown]
	v_cmp_neq_f64_e64 s[4:5], v[23:24], v[21:22]
	v_cmp_class_f64_e64 s[16:17], v[23:24], s0
	s_or_b64 s[4:5], s[4:5], s[16:17]
	s_and_saveexec_b64 s[20:21], s[4:5]
	s_cbranch_execz .LBB70_196
; %bb.195:
	v_add_f64 v[23:24], v[23:24], -v[21:22]
	s_mov_b32 s4, 0x652b82fe
	s_mov_b32 s5, 0x3ff71547
	;; [unrolled: 1-line block ×6, first 2 shown]
	v_mov_b32_e32 v49, 0xfca7ab0c
	v_mul_f64 v[37:38], v[23:24], s[4:5]
	s_mov_b32 s4, 0x6a5dcb37
	v_mov_b32_e32 v50, 0x3e928af3
	s_mov_b32 s5, 0x3e5ade15
	s_mov_b32 s16, 0
	;; [unrolled: 1-line block ×3, first 2 shown]
	v_cmp_ngt_f64_e64 s[16:17], s[16:17], v[23:24]
	v_mov_b32_e32 v69, 0x7ff00000
	v_rndne_f64_e32 v[37:38], v[37:38]
	v_fma_f64 v[39:40], v[37:38], s[24:25], v[23:24]
	s_mov_b32 s25, 0x3fe62e42
	v_fma_f64 v[39:40], v[37:38], s[26:27], v[39:40]
	v_cvt_i32_f64_e32 v37, v[37:38]
	s_mov_b32 s27, 0x3c7abc9e
	v_fma_f64 v[49:50], v[39:40], s[4:5], v[49:50]
	s_mov_b32 s4, 0x623fde64
	s_mov_b32 s5, 0x3ec71dee
	v_fma_f64 v[49:50], v[39:40], v[49:50], s[4:5]
	s_mov_b32 s4, 0x7c89e6b0
	;; [unrolled: 3-line block ×9, first 2 shown]
	s_mov_b32 s5, 0x40900000
	v_cmp_nlt_f64_e64 s[4:5], s[4:5], v[23:24]
	v_fma_f64 v[49:50], v[39:40], v[49:50], 1.0
	v_fma_f64 v[39:40], v[39:40], v[49:50], 1.0
	v_ldexp_f64 v[37:38], v[39:40], v37
	v_cndmask_b32_e64 v38, v69, v38, s[4:5]
	s_and_b64 s[4:5], s[16:17], s[4:5]
	v_cndmask_b32_e64 v24, 0, v38, s[16:17]
	v_cndmask_b32_e64 v23, 0, v37, s[4:5]
	v_add_f64 v[37:38], v[23:24], 1.0
	s_mov_b32 s17, 0x3fe55555
	s_mov_b32 s16, 0x55555555
	v_frexp_mant_f64_e32 v[49:50], v[37:38]
	v_frexp_exp_i32_f64_e32 v53, v[37:38]
	v_add_f64 v[39:40], v[37:38], -1.0
	v_cmp_gt_f64_e64 s[4:5], s[16:17], v[49:50]
	s_mov_b32 s16, 0x55555780
	v_add_f64 v[51:52], v[39:40], -v[37:38]
	v_add_f64 v[39:40], v[23:24], -v[39:40]
	v_subbrev_co_u32_e64 v70, s[4:5], 0, v53, s[4:5]
	v_sub_u32_e32 v53, 0, v70
	v_ldexp_f64 v[37:38], v[37:38], v53
	v_add_f64 v[49:50], v[51:52], 1.0
	s_mov_b32 s4, 0xbf559e2b
	s_mov_b32 s5, 0x3fc3ab76
	v_add_f64 v[51:52], v[37:38], 1.0
	v_add_f64 v[39:40], v[39:40], v[49:50]
	v_add_f64 v[57:58], v[37:38], -1.0
	v_add_f64 v[49:50], v[51:52], -1.0
	v_ldexp_f64 v[39:40], v[39:40], v53
	v_add_f64 v[59:60], v[57:58], 1.0
	v_add_f64 v[49:50], v[37:38], -v[49:50]
	v_add_f64 v[37:38], v[37:38], -v[59:60]
	v_add_f64 v[49:50], v[39:40], v[49:50]
	v_add_f64 v[37:38], v[39:40], v[37:38]
	;; [unrolled: 1-line block ×4, first 2 shown]
	v_rcp_f64_e32 v[55:56], v[53:54]
	v_add_f64 v[51:52], v[53:54], -v[51:52]
	v_add_f64 v[57:58], v[59:60], -v[57:58]
	;; [unrolled: 1-line block ×4, first 2 shown]
	v_fma_f64 v[61:62], -v[53:54], v[55:56], 1.0
	v_fma_f64 v[55:56], v[61:62], v[55:56], v[55:56]
	v_fma_f64 v[39:40], -v[53:54], v[55:56], 1.0
	v_fma_f64 v[39:40], v[39:40], v[55:56], v[55:56]
	v_mul_f64 v[55:56], v[59:60], v[39:40]
	v_mul_f64 v[61:62], v[53:54], v[55:56]
	v_fma_f64 v[51:52], v[55:56], v[53:54], -v[61:62]
	v_fma_f64 v[51:52], v[55:56], v[49:50], v[51:52]
	v_add_f64 v[63:64], v[61:62], v[51:52]
	v_add_f64 v[67:68], v[59:60], -v[63:64]
	v_add_f64 v[57:58], v[63:64], -v[61:62]
	;; [unrolled: 1-line block ×5, first 2 shown]
	v_add_f64 v[37:38], v[37:38], v[59:60]
	v_add_f64 v[37:38], v[51:52], v[37:38]
	;; [unrolled: 1-line block ×3, first 2 shown]
	v_mul_f64 v[57:58], v[39:40], v[51:52]
	v_add_f64 v[63:64], v[67:68], -v[51:52]
	v_mul_f64 v[59:60], v[53:54], v[57:58]
	v_add_f64 v[37:38], v[37:38], v[63:64]
	v_fma_f64 v[53:54], v[57:58], v[53:54], -v[59:60]
	v_fma_f64 v[49:50], v[57:58], v[49:50], v[53:54]
	v_add_f64 v[53:54], v[59:60], v[49:50]
	v_add_f64 v[61:62], v[51:52], -v[53:54]
	v_add_f64 v[59:60], v[53:54], -v[59:60]
	;; [unrolled: 1-line block ×5, first 2 shown]
	v_mov_b32_e32 v53, 0x6b47b09a
	v_mov_b32_e32 v54, 0x3fc38538
	v_add_f64 v[37:38], v[37:38], v[51:52]
	v_add_f64 v[51:52], v[55:56], v[57:58]
	;; [unrolled: 1-line block ×3, first 2 shown]
	v_add_f64 v[49:50], v[51:52], -v[55:56]
	v_add_f64 v[37:38], v[61:62], v[37:38]
	v_add_f64 v[49:50], v[57:58], -v[49:50]
	v_mul_f64 v[37:38], v[39:40], v[37:38]
	v_add_f64 v[37:38], v[49:50], v[37:38]
	v_add_f64 v[39:40], v[51:52], v[37:38]
	v_mul_f64 v[49:50], v[39:40], v[39:40]
	v_fma_f64 v[53:54], v[49:50], s[4:5], v[53:54]
	s_mov_b32 s4, 0xd7f4df2e
	s_mov_b32 s5, 0x3fc7474d
	v_mul_f64 v[55:56], v[39:40], v[49:50]
	v_fma_f64 v[53:54], v[49:50], v[53:54], s[4:5]
	s_mov_b32 s4, 0x16291751
	s_mov_b32 s5, 0x3fcc71c0
	v_fma_f64 v[53:54], v[49:50], v[53:54], s[4:5]
	s_mov_b32 s4, 0x9b27acf1
	s_mov_b32 s5, 0x3fd24924
	v_fma_f64 v[53:54], v[49:50], v[53:54], s[4:5]
	s_mov_b32 s4, 0x998ef7b6
	s_mov_b32 s5, 0x3fd99999
	v_fma_f64 v[53:54], v[49:50], v[53:54], s[4:5]
	v_cmp_nge_f64_e64 s[4:5], -1.0, v[23:24]
	v_fma_f64 v[49:50], v[49:50], v[53:54], s[16:17]
	v_ldexp_f64 v[53:54], v[39:40], 1
	v_add_f64 v[39:40], v[39:40], -v[51:52]
	s_mov_b32 s16, 0
	s_mov_b32 s17, 0x7ff00000
	v_cmp_neq_f64_e64 s[16:17], s[16:17], v[23:24]
	v_mul_f64 v[49:50], v[55:56], v[49:50]
	v_cvt_f64_i32_e32 v[55:56], v70
	v_add_f64 v[37:38], v[37:38], -v[39:40]
	v_mul_f64 v[57:58], v[55:56], s[24:25]
	s_and_b64 s[4:5], s[4:5], s[16:17]
	v_add_f64 v[51:52], v[53:54], v[49:50]
	v_ldexp_f64 v[37:38], v[37:38], 1
	v_add_f64 v[39:40], v[51:52], -v[53:54]
	v_fma_f64 v[53:54], v[55:56], s[24:25], -v[57:58]
	v_add_f64 v[39:40], v[49:50], -v[39:40]
	v_fma_f64 v[49:50], v[55:56], s[26:27], v[53:54]
	v_add_f64 v[37:38], v[37:38], v[39:40]
	v_add_f64 v[39:40], v[57:58], v[49:50]
	;; [unrolled: 1-line block ×3, first 2 shown]
	v_add_f64 v[57:58], v[39:40], -v[57:58]
	v_add_f64 v[55:56], v[39:40], v[53:54]
	v_add_f64 v[51:52], v[53:54], -v[51:52]
	v_add_f64 v[49:50], v[49:50], -v[57:58]
	;; [unrolled: 1-line block ×6, first 2 shown]
	v_add_f64 v[53:54], v[49:50], v[37:38]
	v_add_f64 v[39:40], v[39:40], -v[61:62]
	v_add_f64 v[39:40], v[51:52], v[39:40]
	v_add_f64 v[51:52], v[53:54], -v[49:50]
	v_add_f64 v[39:40], v[53:54], v[39:40]
	v_add_f64 v[53:54], v[53:54], -v[51:52]
	v_add_f64 v[37:38], v[37:38], -v[51:52]
	v_add_f64 v[57:58], v[55:56], v[39:40]
	v_add_f64 v[49:50], v[49:50], -v[53:54]
	v_add_f64 v[51:52], v[57:58], -v[55:56]
	v_add_f64 v[37:38], v[37:38], v[49:50]
	v_add_f64 v[39:40], v[39:40], -v[51:52]
	v_add_f64 v[37:38], v[37:38], v[39:40]
	v_mov_b32_e32 v39, 0x7ff80000
	v_mov_b32_e32 v40, 0xfff00000
	v_add_f64 v[37:38], v[57:58], v[37:38]
	v_cndmask_b32_e64 v37, 0, v37, s[4:5]
	v_cmp_ngt_f64_e64 s[4:5], -1.0, v[23:24]
	v_cndmask_b32_e64 v38, v69, v38, s[16:17]
	v_cndmask_b32_e64 v38, v39, v38, s[4:5]
	v_cmp_neq_f64_e64 s[4:5], -1.0, v[23:24]
	v_cndmask_b32_e64 v38, v40, v38, s[4:5]
	v_add_f64 v[49:50], v[21:22], v[37:38]
.LBB70_196:
	s_or_b64 exec, exec, s[20:21]
	v_max_f64 v[37:38], v[5:6], v[5:6]
	v_max_f64 v[21:22], v[49:50], v[49:50]
	v_cmp_u_f64_e64 s[4:5], v[49:50], v[49:50]
	v_cmp_u_f64_e64 s[20:21], v[5:6], v[5:6]
	v_min_f64 v[23:24], v[21:22], v[37:38]
	v_max_f64 v[21:22], v[21:22], v[37:38]
	v_cndmask_b32_e64 v23, v23, v49, s[4:5]
	v_cndmask_b32_e64 v24, v24, v50, s[4:5]
	v_cndmask_b32_e64 v21, v21, v49, s[4:5]
	v_cndmask_b32_e64 v22, v22, v50, s[4:5]
	v_cndmask_b32_e64 v24, v24, v6, s[20:21]
	v_cndmask_b32_e64 v23, v23, v5, s[20:21]
	v_cndmask_b32_e64 v22, v22, v6, s[20:21]
	v_cndmask_b32_e64 v21, v21, v5, s[20:21]
	v_cmp_neq_f64_e64 s[4:5], v[23:24], v[21:22]
	v_cmp_class_f64_e64 s[0:1], v[23:24], s0
	s_or_b64 s[0:1], s[4:5], s[0:1]
	s_and_saveexec_b64 s[24:25], s[0:1]
	s_cbranch_execz .LBB70_198
; %bb.197:
	v_add_f64 v[23:24], v[23:24], -v[21:22]
	s_mov_b32 s0, 0x652b82fe
	s_mov_b32 s1, 0x3ff71547
	;; [unrolled: 1-line block ×6, first 2 shown]
	v_mov_b32_e32 v51, 0xfca7ab0c
	v_mul_f64 v[39:40], v[23:24], s[0:1]
	s_mov_b32 s0, 0x6a5dcb37
	v_mov_b32_e32 v52, 0x3e928af3
	s_mov_b32 s1, 0x3e5ade15
	s_mov_b32 s16, 0
	;; [unrolled: 1-line block ×3, first 2 shown]
	v_cmp_ngt_f64_e64 s[16:17], s[16:17], v[23:24]
	v_mov_b32_e32 v71, 0x7ff00000
	v_rndne_f64_e32 v[39:40], v[39:40]
	v_fma_f64 v[49:50], v[39:40], s[26:27], v[23:24]
	s_mov_b32 s27, 0x3fe62e42
	v_fma_f64 v[49:50], v[39:40], s[30:31], v[49:50]
	v_cvt_i32_f64_e32 v39, v[39:40]
	s_mov_b32 s31, 0x3c7abc9e
	v_fma_f64 v[51:52], v[49:50], s[0:1], v[51:52]
	s_mov_b32 s0, 0x623fde64
	s_mov_b32 s1, 0x3ec71dee
	v_fma_f64 v[51:52], v[49:50], v[51:52], s[0:1]
	s_mov_b32 s0, 0x7c89e6b0
	;; [unrolled: 3-line block ×9, first 2 shown]
	s_mov_b32 s1, 0x40900000
	v_cmp_nlt_f64_e64 s[4:5], s[0:1], v[23:24]
	s_mov_b32 s0, 0xbf559e2b
	s_mov_b32 s1, 0x3fc3ab76
	v_fma_f64 v[51:52], v[49:50], v[51:52], 1.0
	v_fma_f64 v[49:50], v[49:50], v[51:52], 1.0
	v_ldexp_f64 v[39:40], v[49:50], v39
	v_cndmask_b32_e64 v40, v71, v40, s[4:5]
	s_and_b64 s[4:5], s[16:17], s[4:5]
	v_cndmask_b32_e64 v24, 0, v40, s[16:17]
	v_cndmask_b32_e64 v23, 0, v39, s[4:5]
	v_add_f64 v[39:40], v[23:24], 1.0
	s_mov_b32 s17, 0x3fe55555
	s_mov_b32 s16, 0x55555555
	v_frexp_mant_f64_e32 v[51:52], v[39:40]
	v_frexp_exp_i32_f64_e32 v55, v[39:40]
	v_add_f64 v[49:50], v[39:40], -1.0
	v_cmp_gt_f64_e64 s[4:5], s[16:17], v[51:52]
	s_mov_b32 s16, 0x55555780
	v_add_f64 v[53:54], v[49:50], -v[39:40]
	v_add_f64 v[49:50], v[23:24], -v[49:50]
	v_subbrev_co_u32_e64 v72, s[4:5], 0, v55, s[4:5]
	v_sub_u32_e32 v55, 0, v72
	v_ldexp_f64 v[39:40], v[39:40], v55
	v_add_f64 v[51:52], v[53:54], 1.0
	v_cmp_nge_f64_e64 s[4:5], -1.0, v[23:24]
	v_add_f64 v[53:54], v[39:40], 1.0
	v_add_f64 v[49:50], v[49:50], v[51:52]
	v_add_f64 v[59:60], v[39:40], -1.0
	v_add_f64 v[51:52], v[53:54], -1.0
	v_ldexp_f64 v[49:50], v[49:50], v55
	v_add_f64 v[61:62], v[59:60], 1.0
	v_add_f64 v[51:52], v[39:40], -v[51:52]
	v_add_f64 v[39:40], v[39:40], -v[61:62]
	v_add_f64 v[51:52], v[49:50], v[51:52]
	v_add_f64 v[39:40], v[49:50], v[39:40]
	;; [unrolled: 1-line block ×4, first 2 shown]
	v_rcp_f64_e32 v[57:58], v[55:56]
	v_add_f64 v[53:54], v[55:56], -v[53:54]
	v_add_f64 v[59:60], v[61:62], -v[59:60]
	;; [unrolled: 1-line block ×4, first 2 shown]
	v_fma_f64 v[63:64], -v[55:56], v[57:58], 1.0
	v_fma_f64 v[57:58], v[63:64], v[57:58], v[57:58]
	v_fma_f64 v[49:50], -v[55:56], v[57:58], 1.0
	v_fma_f64 v[49:50], v[49:50], v[57:58], v[57:58]
	v_mul_f64 v[57:58], v[61:62], v[49:50]
	v_mul_f64 v[63:64], v[55:56], v[57:58]
	v_fma_f64 v[53:54], v[57:58], v[55:56], -v[63:64]
	v_fma_f64 v[53:54], v[57:58], v[51:52], v[53:54]
	v_add_f64 v[67:68], v[63:64], v[53:54]
	v_add_f64 v[69:70], v[61:62], -v[67:68]
	v_add_f64 v[59:60], v[67:68], -v[63:64]
	;; [unrolled: 1-line block ×5, first 2 shown]
	v_add_f64 v[39:40], v[39:40], v[61:62]
	v_add_f64 v[39:40], v[53:54], v[39:40]
	;; [unrolled: 1-line block ×3, first 2 shown]
	v_mul_f64 v[59:60], v[49:50], v[53:54]
	v_add_f64 v[67:68], v[69:70], -v[53:54]
	v_mul_f64 v[61:62], v[55:56], v[59:60]
	v_add_f64 v[39:40], v[39:40], v[67:68]
	v_fma_f64 v[55:56], v[59:60], v[55:56], -v[61:62]
	v_fma_f64 v[51:52], v[59:60], v[51:52], v[55:56]
	v_add_f64 v[55:56], v[61:62], v[51:52]
	v_add_f64 v[63:64], v[53:54], -v[55:56]
	v_add_f64 v[61:62], v[55:56], -v[61:62]
	;; [unrolled: 1-line block ×5, first 2 shown]
	v_mov_b32_e32 v55, 0x6b47b09a
	v_mov_b32_e32 v56, 0x3fc38538
	v_add_f64 v[39:40], v[39:40], v[53:54]
	v_add_f64 v[53:54], v[57:58], v[59:60]
	;; [unrolled: 1-line block ×3, first 2 shown]
	v_add_f64 v[51:52], v[53:54], -v[57:58]
	v_add_f64 v[39:40], v[63:64], v[39:40]
	v_add_f64 v[51:52], v[59:60], -v[51:52]
	v_mul_f64 v[39:40], v[49:50], v[39:40]
	v_add_f64 v[39:40], v[51:52], v[39:40]
	v_add_f64 v[49:50], v[53:54], v[39:40]
	v_mul_f64 v[51:52], v[49:50], v[49:50]
	v_fma_f64 v[55:56], v[51:52], s[0:1], v[55:56]
	s_mov_b32 s0, 0xd7f4df2e
	s_mov_b32 s1, 0x3fc7474d
	v_mul_f64 v[57:58], v[49:50], v[51:52]
	v_fma_f64 v[55:56], v[51:52], v[55:56], s[0:1]
	s_mov_b32 s0, 0x16291751
	s_mov_b32 s1, 0x3fcc71c0
	v_fma_f64 v[55:56], v[51:52], v[55:56], s[0:1]
	s_mov_b32 s0, 0x9b27acf1
	s_mov_b32 s1, 0x3fd24924
	;; [unrolled: 3-line block ×4, first 2 shown]
	v_fma_f64 v[51:52], v[51:52], v[55:56], s[16:17]
	v_ldexp_f64 v[55:56], v[49:50], 1
	v_add_f64 v[49:50], v[49:50], -v[53:54]
	v_cmp_neq_f64_e64 s[16:17], s[0:1], v[23:24]
	v_mul_f64 v[51:52], v[57:58], v[51:52]
	v_cvt_f64_i32_e32 v[57:58], v72
	v_add_f64 v[39:40], v[39:40], -v[49:50]
	s_and_b64 s[4:5], s[4:5], s[16:17]
	v_mul_f64 v[59:60], v[57:58], s[26:27]
	v_add_f64 v[53:54], v[55:56], v[51:52]
	v_ldexp_f64 v[39:40], v[39:40], 1
	v_add_f64 v[49:50], v[53:54], -v[55:56]
	v_fma_f64 v[55:56], v[57:58], s[26:27], -v[59:60]
	v_add_f64 v[49:50], v[51:52], -v[49:50]
	v_fma_f64 v[51:52], v[57:58], s[30:31], v[55:56]
	v_add_f64 v[39:40], v[39:40], v[49:50]
	v_add_f64 v[49:50], v[59:60], v[51:52]
	;; [unrolled: 1-line block ×3, first 2 shown]
	v_add_f64 v[59:60], v[49:50], -v[59:60]
	v_add_f64 v[57:58], v[49:50], v[55:56]
	v_add_f64 v[53:54], v[55:56], -v[53:54]
	v_add_f64 v[51:52], v[51:52], -v[59:60]
	;; [unrolled: 1-line block ×6, first 2 shown]
	v_add_f64 v[55:56], v[51:52], v[39:40]
	v_add_f64 v[49:50], v[49:50], -v[63:64]
	v_add_f64 v[49:50], v[53:54], v[49:50]
	v_add_f64 v[53:54], v[55:56], -v[51:52]
	;; [unrolled: 2-line block ×3, first 2 shown]
	v_add_f64 v[39:40], v[39:40], -v[53:54]
	v_add_f64 v[59:60], v[57:58], v[49:50]
	v_add_f64 v[51:52], v[51:52], -v[55:56]
	v_add_f64 v[53:54], v[59:60], -v[57:58]
	v_add_f64 v[39:40], v[39:40], v[51:52]
	v_add_f64 v[49:50], v[49:50], -v[53:54]
	v_add_f64 v[39:40], v[39:40], v[49:50]
	v_mov_b32_e32 v49, 0x7ff80000
	v_mov_b32_e32 v50, 0xfff00000
	v_add_f64 v[39:40], v[59:60], v[39:40]
	v_cndmask_b32_e64 v39, 0, v39, s[4:5]
	v_cmp_ngt_f64_e64 s[4:5], -1.0, v[23:24]
	v_cndmask_b32_e64 v40, v71, v40, s[16:17]
	v_cndmask_b32_e64 v40, v49, v40, s[4:5]
	v_cmp_neq_f64_e64 s[4:5], -1.0, v[23:24]
	v_cndmask_b32_e64 v40, v50, v40, s[4:5]
	v_add_f64 v[49:50], v[21:22], v[39:40]
.LBB70_198:
	s_or_b64 exec, exec, s[24:25]
	v_max_f64 v[39:40], v[7:8], v[7:8]
	v_max_f64 v[21:22], v[49:50], v[49:50]
	v_cmp_u_f64_e64 s[4:5], v[49:50], v[49:50]
	v_cmp_u_f64_e64 s[16:17], v[7:8], v[7:8]
	s_movk_i32 s0, 0x1f8
	v_min_f64 v[23:24], v[21:22], v[39:40]
	v_max_f64 v[21:22], v[21:22], v[39:40]
	v_cndmask_b32_e64 v23, v23, v49, s[4:5]
	v_cndmask_b32_e64 v24, v24, v50, s[4:5]
	;; [unrolled: 1-line block ×8, first 2 shown]
	v_cmp_neq_f64_e64 s[4:5], v[23:24], v[21:22]
	v_cmp_class_f64_e64 s[0:1], v[23:24], s0
	s_or_b64 s[0:1], s[4:5], s[0:1]
	s_and_saveexec_b64 s[26:27], s[0:1]
	s_cbranch_execz .LBB70_200
; %bb.199:
	v_add_f64 v[23:24], v[23:24], -v[21:22]
	s_mov_b32 s0, 0x652b82fe
	s_mov_b32 s1, 0x3ff71547
	;; [unrolled: 1-line block ×6, first 2 shown]
	v_mov_b32_e32 v53, 0xfca7ab0c
	v_mul_f64 v[49:50], v[23:24], s[0:1]
	s_mov_b32 s0, 0x6a5dcb37
	v_mov_b32_e32 v54, 0x3e928af3
	s_mov_b32 s1, 0x3e5ade15
	s_mov_b32 s24, 0
	;; [unrolled: 1-line block ×3, first 2 shown]
	v_cmp_ngt_f64_e64 s[24:25], s[24:25], v[23:24]
	v_mov_b32_e32 v73, 0x7ff00000
	v_rndne_f64_e32 v[49:50], v[49:50]
	v_fma_f64 v[51:52], v[49:50], s[30:31], v[23:24]
	s_mov_b32 s31, 0x3fe62e42
	v_fma_f64 v[51:52], v[49:50], s[34:35], v[51:52]
	v_cvt_i32_f64_e32 v49, v[49:50]
	s_mov_b32 s35, 0x3c7abc9e
	v_fma_f64 v[53:54], v[51:52], s[0:1], v[53:54]
	s_mov_b32 s0, 0x623fde64
	s_mov_b32 s1, 0x3ec71dee
	v_fma_f64 v[53:54], v[51:52], v[53:54], s[0:1]
	s_mov_b32 s0, 0x7c89e6b0
	;; [unrolled: 3-line block ×9, first 2 shown]
	s_mov_b32 s1, 0x40900000
	v_cmp_nlt_f64_e64 s[4:5], s[0:1], v[23:24]
	s_mov_b32 s0, 0xbf559e2b
	s_mov_b32 s1, 0x3fc3ab76
	v_fma_f64 v[53:54], v[51:52], v[53:54], 1.0
	v_fma_f64 v[51:52], v[51:52], v[53:54], 1.0
	v_ldexp_f64 v[49:50], v[51:52], v49
	v_cndmask_b32_e64 v50, v73, v50, s[4:5]
	s_and_b64 s[4:5], s[24:25], s[4:5]
	v_cndmask_b32_e64 v24, 0, v50, s[24:25]
	v_cndmask_b32_e64 v23, 0, v49, s[4:5]
	v_add_f64 v[49:50], v[23:24], 1.0
	s_mov_b32 s25, 0x3fe55555
	s_mov_b32 s24, 0x55555555
	v_frexp_mant_f64_e32 v[53:54], v[49:50]
	v_frexp_exp_i32_f64_e32 v57, v[49:50]
	v_add_f64 v[51:52], v[49:50], -1.0
	v_cmp_gt_f64_e64 s[4:5], s[24:25], v[53:54]
	s_mov_b32 s24, 0x55555780
	v_add_f64 v[55:56], v[51:52], -v[49:50]
	v_add_f64 v[51:52], v[23:24], -v[51:52]
	v_subbrev_co_u32_e64 v74, s[4:5], 0, v57, s[4:5]
	v_sub_u32_e32 v57, 0, v74
	v_ldexp_f64 v[49:50], v[49:50], v57
	v_add_f64 v[53:54], v[55:56], 1.0
	v_cmp_nge_f64_e64 s[4:5], -1.0, v[23:24]
	v_add_f64 v[55:56], v[49:50], 1.0
	v_add_f64 v[51:52], v[51:52], v[53:54]
	v_add_f64 v[61:62], v[49:50], -1.0
	v_add_f64 v[53:54], v[55:56], -1.0
	v_ldexp_f64 v[51:52], v[51:52], v57
	v_add_f64 v[63:64], v[61:62], 1.0
	v_add_f64 v[53:54], v[49:50], -v[53:54]
	v_add_f64 v[49:50], v[49:50], -v[63:64]
	v_add_f64 v[53:54], v[51:52], v[53:54]
	v_add_f64 v[49:50], v[51:52], v[49:50]
	;; [unrolled: 1-line block ×4, first 2 shown]
	v_rcp_f64_e32 v[59:60], v[57:58]
	v_add_f64 v[55:56], v[57:58], -v[55:56]
	v_add_f64 v[61:62], v[63:64], -v[61:62]
	;; [unrolled: 1-line block ×4, first 2 shown]
	v_fma_f64 v[67:68], -v[57:58], v[59:60], 1.0
	v_fma_f64 v[59:60], v[67:68], v[59:60], v[59:60]
	v_fma_f64 v[51:52], -v[57:58], v[59:60], 1.0
	v_fma_f64 v[51:52], v[51:52], v[59:60], v[59:60]
	v_mul_f64 v[59:60], v[63:64], v[51:52]
	v_mul_f64 v[67:68], v[57:58], v[59:60]
	v_fma_f64 v[55:56], v[59:60], v[57:58], -v[67:68]
	v_fma_f64 v[55:56], v[59:60], v[53:54], v[55:56]
	v_add_f64 v[69:70], v[67:68], v[55:56]
	v_add_f64 v[71:72], v[63:64], -v[69:70]
	v_add_f64 v[61:62], v[69:70], -v[67:68]
	;; [unrolled: 1-line block ×5, first 2 shown]
	v_add_f64 v[49:50], v[49:50], v[63:64]
	v_add_f64 v[49:50], v[55:56], v[49:50]
	;; [unrolled: 1-line block ×3, first 2 shown]
	v_mul_f64 v[61:62], v[51:52], v[55:56]
	v_add_f64 v[69:70], v[71:72], -v[55:56]
	v_mul_f64 v[63:64], v[57:58], v[61:62]
	v_add_f64 v[49:50], v[49:50], v[69:70]
	v_fma_f64 v[57:58], v[61:62], v[57:58], -v[63:64]
	v_fma_f64 v[53:54], v[61:62], v[53:54], v[57:58]
	v_add_f64 v[57:58], v[63:64], v[53:54]
	v_add_f64 v[67:68], v[55:56], -v[57:58]
	v_add_f64 v[63:64], v[57:58], -v[63:64]
	v_add_f64 v[55:56], v[55:56], -v[67:68]
	v_add_f64 v[53:54], v[63:64], -v[53:54]
	v_add_f64 v[55:56], v[55:56], -v[57:58]
	v_mov_b32_e32 v57, 0x6b47b09a
	v_mov_b32_e32 v58, 0x3fc38538
	v_add_f64 v[49:50], v[49:50], v[55:56]
	v_add_f64 v[55:56], v[59:60], v[61:62]
	;; [unrolled: 1-line block ×3, first 2 shown]
	v_add_f64 v[53:54], v[55:56], -v[59:60]
	v_add_f64 v[49:50], v[67:68], v[49:50]
	v_add_f64 v[53:54], v[61:62], -v[53:54]
	v_mul_f64 v[49:50], v[51:52], v[49:50]
	v_add_f64 v[49:50], v[53:54], v[49:50]
	v_add_f64 v[51:52], v[55:56], v[49:50]
	v_mul_f64 v[53:54], v[51:52], v[51:52]
	v_fma_f64 v[57:58], v[53:54], s[0:1], v[57:58]
	s_mov_b32 s0, 0xd7f4df2e
	s_mov_b32 s1, 0x3fc7474d
	v_mul_f64 v[59:60], v[51:52], v[53:54]
	v_fma_f64 v[57:58], v[53:54], v[57:58], s[0:1]
	s_mov_b32 s0, 0x16291751
	s_mov_b32 s1, 0x3fcc71c0
	v_fma_f64 v[57:58], v[53:54], v[57:58], s[0:1]
	s_mov_b32 s0, 0x9b27acf1
	s_mov_b32 s1, 0x3fd24924
	;; [unrolled: 3-line block ×4, first 2 shown]
	v_fma_f64 v[53:54], v[53:54], v[57:58], s[24:25]
	v_ldexp_f64 v[57:58], v[51:52], 1
	v_add_f64 v[51:52], v[51:52], -v[55:56]
	v_cmp_neq_f64_e64 s[24:25], s[0:1], v[23:24]
	v_mul_f64 v[53:54], v[59:60], v[53:54]
	v_cvt_f64_i32_e32 v[59:60], v74
	v_add_f64 v[49:50], v[49:50], -v[51:52]
	s_and_b64 s[4:5], s[4:5], s[24:25]
	v_mul_f64 v[61:62], v[59:60], s[30:31]
	v_add_f64 v[55:56], v[57:58], v[53:54]
	v_ldexp_f64 v[49:50], v[49:50], 1
	v_add_f64 v[51:52], v[55:56], -v[57:58]
	v_fma_f64 v[57:58], v[59:60], s[30:31], -v[61:62]
	v_add_f64 v[51:52], v[53:54], -v[51:52]
	v_fma_f64 v[53:54], v[59:60], s[34:35], v[57:58]
	v_add_f64 v[49:50], v[49:50], v[51:52]
	v_add_f64 v[51:52], v[61:62], v[53:54]
	;; [unrolled: 1-line block ×3, first 2 shown]
	v_add_f64 v[61:62], v[51:52], -v[61:62]
	v_add_f64 v[59:60], v[51:52], v[57:58]
	v_add_f64 v[55:56], v[57:58], -v[55:56]
	v_add_f64 v[53:54], v[53:54], -v[61:62]
	;; [unrolled: 1-line block ×6, first 2 shown]
	v_add_f64 v[57:58], v[53:54], v[49:50]
	v_add_f64 v[51:52], v[51:52], -v[67:68]
	v_add_f64 v[51:52], v[55:56], v[51:52]
	v_add_f64 v[55:56], v[57:58], -v[53:54]
	;; [unrolled: 2-line block ×3, first 2 shown]
	v_add_f64 v[49:50], v[49:50], -v[55:56]
	v_add_f64 v[61:62], v[59:60], v[51:52]
	v_add_f64 v[53:54], v[53:54], -v[57:58]
	v_add_f64 v[55:56], v[61:62], -v[59:60]
	v_add_f64 v[49:50], v[49:50], v[53:54]
	v_add_f64 v[51:52], v[51:52], -v[55:56]
	v_add_f64 v[49:50], v[49:50], v[51:52]
	v_mov_b32_e32 v51, 0x7ff80000
	v_mov_b32_e32 v52, 0xfff00000
	v_add_f64 v[49:50], v[61:62], v[49:50]
	v_cndmask_b32_e64 v49, 0, v49, s[4:5]
	v_cmp_ngt_f64_e64 s[4:5], -1.0, v[23:24]
	v_cndmask_b32_e64 v50, v73, v50, s[24:25]
	v_cndmask_b32_e64 v50, v51, v50, s[4:5]
	v_cmp_neq_f64_e64 s[4:5], -1.0, v[23:24]
	v_cndmask_b32_e64 v50, v52, v50, s[4:5]
	v_add_f64 v[49:50], v[21:22], v[49:50]
.LBB70_200:
	s_or_b64 exec, exec, s[26:27]
	v_lshrrev_b32_e32 v21, 2, v0
	v_and_b32_e32 v21, 24, v21
	v_lshl_add_u32 v21, v0, 3, v21
	v_cmp_gt_u32_e64 s[4:5], 64, v0
	ds_write_b64 v21, v[49:50]
	s_waitcnt lgkmcnt(0)
	s_barrier
	s_and_saveexec_b64 s[30:31], s[4:5]
	s_cbranch_execz .LBB70_232
; %bb.201:
	v_lshrrev_b32_e32 v21, 1, v0
	v_and_b32_e32 v21, 56, v21
	v_lshlrev_b32_e32 v22, 4, v0
	v_add_u32_e32 v57, v21, v22
	ds_read2_b64 v[21:24], v57 offset1:1
	s_movk_i32 s0, 0x1f8
	s_waitcnt lgkmcnt(0)
	v_max_f64 v[53:54], v[23:24], v[23:24]
	v_max_f64 v[51:52], v[21:22], v[21:22]
	v_cmp_u_f64_e64 s[24:25], v[21:22], v[21:22]
	v_cmp_u_f64_e64 s[4:5], v[23:24], v[23:24]
	v_min_f64 v[55:56], v[51:52], v[53:54]
	v_max_f64 v[53:54], v[51:52], v[53:54]
	v_cndmask_b32_e64 v55, v55, v21, s[24:25]
	v_cndmask_b32_e64 v56, v56, v22, s[24:25]
	;; [unrolled: 1-line block ×8, first 2 shown]
	v_cmp_neq_f64_e64 s[4:5], v[55:56], v[53:54]
	v_cmp_class_f64_e64 s[0:1], v[55:56], s0
	v_mov_b32_e32 v24, v22
	v_mov_b32_e32 v23, v21
	s_or_b64 s[0:1], s[4:5], s[0:1]
	s_and_saveexec_b64 s[34:35], s[0:1]
	s_cbranch_execz .LBB70_203
; %bb.202:
	v_add_f64 v[23:24], v[55:56], -v[53:54]
	s_mov_b32 s0, 0x652b82fe
	s_mov_b32 s1, 0x3ff71547
	;; [unrolled: 1-line block ×6, first 2 shown]
	v_mov_b32_e32 v60, 0xfca7ab0c
	v_mul_f64 v[55:56], v[23:24], s[0:1]
	s_mov_b32 s0, 0x6a5dcb37
	v_mov_b32_e32 v61, 0x3e928af3
	s_mov_b32 s1, 0x3e5ade15
	s_mov_b32 s26, 0
	;; [unrolled: 1-line block ×3, first 2 shown]
	v_cmp_ngt_f64_e64 s[26:27], s[26:27], v[23:24]
	v_mov_b32_e32 v64, 0x7ff00000
	v_rndne_f64_e32 v[55:56], v[55:56]
	v_fma_f64 v[58:59], v[55:56], s[36:37], v[23:24]
	s_mov_b32 s37, 0x3fe62e42
	v_fma_f64 v[58:59], v[55:56], s[38:39], v[58:59]
	v_cvt_i32_f64_e32 v55, v[55:56]
	s_mov_b32 s39, 0x3c7abc9e
	v_fma_f64 v[60:61], v[58:59], s[0:1], v[60:61]
	s_mov_b32 s0, 0x623fde64
	s_mov_b32 s1, 0x3ec71dee
	v_fma_f64 v[60:61], v[58:59], v[60:61], s[0:1]
	s_mov_b32 s0, 0x7c89e6b0
	;; [unrolled: 3-line block ×9, first 2 shown]
	s_mov_b32 s1, 0x40900000
	v_cmp_nlt_f64_e64 s[4:5], s[0:1], v[23:24]
	s_mov_b32 s0, 0xbf559e2b
	s_mov_b32 s1, 0x3fc3ab76
	v_fma_f64 v[60:61], v[58:59], v[60:61], 1.0
	v_fma_f64 v[58:59], v[58:59], v[60:61], 1.0
	v_ldexp_f64 v[55:56], v[58:59], v55
	v_cndmask_b32_e64 v56, v64, v56, s[4:5]
	s_and_b64 s[4:5], s[26:27], s[4:5]
	v_cndmask_b32_e64 v24, 0, v56, s[26:27]
	v_cndmask_b32_e64 v23, 0, v55, s[4:5]
	v_add_f64 v[55:56], v[23:24], 1.0
	s_mov_b32 s27, 0x3fe55555
	s_mov_b32 s26, 0x55555555
	v_frexp_mant_f64_e32 v[60:61], v[55:56]
	v_frexp_exp_i32_f64_e32 v67, v[55:56]
	v_add_f64 v[58:59], v[55:56], -1.0
	v_cmp_gt_f64_e64 s[4:5], s[26:27], v[60:61]
	s_mov_b32 s26, 0x55555780
	v_add_f64 v[62:63], v[58:59], -v[55:56]
	v_add_f64 v[58:59], v[23:24], -v[58:59]
	v_subbrev_co_u32_e64 v81, s[4:5], 0, v67, s[4:5]
	v_sub_u32_e32 v67, 0, v81
	v_ldexp_f64 v[55:56], v[55:56], v67
	v_add_f64 v[60:61], v[62:63], 1.0
	v_cmp_nge_f64_e64 s[4:5], -1.0, v[23:24]
	v_add_f64 v[62:63], v[55:56], 1.0
	v_add_f64 v[58:59], v[58:59], v[60:61]
	v_add_f64 v[71:72], v[55:56], -1.0
	v_add_f64 v[60:61], v[62:63], -1.0
	v_ldexp_f64 v[58:59], v[58:59], v67
	v_add_f64 v[73:74], v[71:72], 1.0
	v_add_f64 v[60:61], v[55:56], -v[60:61]
	v_add_f64 v[55:56], v[55:56], -v[73:74]
	v_add_f64 v[60:61], v[58:59], v[60:61]
	v_add_f64 v[55:56], v[58:59], v[55:56]
	;; [unrolled: 1-line block ×4, first 2 shown]
	v_rcp_f64_e32 v[69:70], v[67:68]
	v_add_f64 v[62:63], v[67:68], -v[62:63]
	v_add_f64 v[71:72], v[73:74], -v[71:72]
	;; [unrolled: 1-line block ×4, first 2 shown]
	v_fma_f64 v[75:76], -v[67:68], v[69:70], 1.0
	v_fma_f64 v[69:70], v[75:76], v[69:70], v[69:70]
	v_fma_f64 v[58:59], -v[67:68], v[69:70], 1.0
	v_fma_f64 v[58:59], v[58:59], v[69:70], v[69:70]
	v_mul_f64 v[69:70], v[73:74], v[58:59]
	v_mul_f64 v[75:76], v[67:68], v[69:70]
	v_fma_f64 v[62:63], v[69:70], v[67:68], -v[75:76]
	v_fma_f64 v[62:63], v[69:70], v[60:61], v[62:63]
	v_add_f64 v[77:78], v[75:76], v[62:63]
	v_add_f64 v[79:80], v[73:74], -v[77:78]
	v_add_f64 v[71:72], v[77:78], -v[75:76]
	v_add_f64 v[73:74], v[73:74], -v[79:80]
	v_add_f64 v[62:63], v[71:72], -v[62:63]
	v_add_f64 v[73:74], v[73:74], -v[77:78]
	v_add_f64 v[55:56], v[55:56], v[73:74]
	v_add_f64 v[55:56], v[62:63], v[55:56]
	;; [unrolled: 1-line block ×3, first 2 shown]
	v_mul_f64 v[71:72], v[58:59], v[62:63]
	v_add_f64 v[77:78], v[79:80], -v[62:63]
	v_mul_f64 v[73:74], v[67:68], v[71:72]
	v_add_f64 v[55:56], v[55:56], v[77:78]
	v_fma_f64 v[67:68], v[71:72], v[67:68], -v[73:74]
	v_fma_f64 v[60:61], v[71:72], v[60:61], v[67:68]
	v_add_f64 v[67:68], v[73:74], v[60:61]
	v_add_f64 v[75:76], v[62:63], -v[67:68]
	v_add_f64 v[73:74], v[67:68], -v[73:74]
	;; [unrolled: 1-line block ×5, first 2 shown]
	v_mov_b32_e32 v67, 0x6b47b09a
	v_mov_b32_e32 v68, 0x3fc38538
	v_add_f64 v[55:56], v[55:56], v[62:63]
	v_add_f64 v[62:63], v[69:70], v[71:72]
	;; [unrolled: 1-line block ×3, first 2 shown]
	v_add_f64 v[60:61], v[62:63], -v[69:70]
	v_add_f64 v[55:56], v[75:76], v[55:56]
	v_add_f64 v[60:61], v[71:72], -v[60:61]
	v_mul_f64 v[55:56], v[58:59], v[55:56]
	v_add_f64 v[55:56], v[60:61], v[55:56]
	v_add_f64 v[58:59], v[62:63], v[55:56]
	v_mul_f64 v[60:61], v[58:59], v[58:59]
	v_fma_f64 v[67:68], v[60:61], s[0:1], v[67:68]
	s_mov_b32 s0, 0xd7f4df2e
	s_mov_b32 s1, 0x3fc7474d
	v_mul_f64 v[69:70], v[58:59], v[60:61]
	v_fma_f64 v[67:68], v[60:61], v[67:68], s[0:1]
	s_mov_b32 s0, 0x16291751
	s_mov_b32 s1, 0x3fcc71c0
	v_fma_f64 v[67:68], v[60:61], v[67:68], s[0:1]
	s_mov_b32 s0, 0x9b27acf1
	s_mov_b32 s1, 0x3fd24924
	;; [unrolled: 3-line block ×4, first 2 shown]
	v_fma_f64 v[60:61], v[60:61], v[67:68], s[26:27]
	v_ldexp_f64 v[67:68], v[58:59], 1
	v_add_f64 v[58:59], v[58:59], -v[62:63]
	v_cmp_neq_f64_e64 s[26:27], s[0:1], v[23:24]
	v_mul_f64 v[60:61], v[69:70], v[60:61]
	v_cvt_f64_i32_e32 v[69:70], v81
	v_add_f64 v[55:56], v[55:56], -v[58:59]
	s_and_b64 s[4:5], s[4:5], s[26:27]
	v_mul_f64 v[71:72], v[69:70], s[36:37]
	v_add_f64 v[62:63], v[67:68], v[60:61]
	v_ldexp_f64 v[55:56], v[55:56], 1
	v_add_f64 v[58:59], v[62:63], -v[67:68]
	v_fma_f64 v[67:68], v[69:70], s[36:37], -v[71:72]
	v_add_f64 v[58:59], v[60:61], -v[58:59]
	v_fma_f64 v[60:61], v[69:70], s[38:39], v[67:68]
	v_add_f64 v[55:56], v[55:56], v[58:59]
	v_add_f64 v[58:59], v[71:72], v[60:61]
	;; [unrolled: 1-line block ×3, first 2 shown]
	v_add_f64 v[71:72], v[58:59], -v[71:72]
	v_add_f64 v[69:70], v[58:59], v[67:68]
	v_add_f64 v[62:63], v[67:68], -v[62:63]
	v_add_f64 v[60:61], v[60:61], -v[71:72]
	v_add_f64 v[73:74], v[69:70], -v[58:59]
	v_add_f64 v[55:56], v[55:56], -v[62:63]
	v_add_f64 v[75:76], v[69:70], -v[73:74]
	v_add_f64 v[62:63], v[67:68], -v[73:74]
	v_add_f64 v[67:68], v[60:61], v[55:56]
	v_add_f64 v[58:59], v[58:59], -v[75:76]
	v_add_f64 v[58:59], v[62:63], v[58:59]
	v_add_f64 v[62:63], v[67:68], -v[60:61]
	;; [unrolled: 2-line block ×3, first 2 shown]
	v_add_f64 v[55:56], v[55:56], -v[62:63]
	v_add_f64 v[71:72], v[69:70], v[58:59]
	v_add_f64 v[60:61], v[60:61], -v[67:68]
	v_add_f64 v[62:63], v[71:72], -v[69:70]
	v_add_f64 v[55:56], v[55:56], v[60:61]
	v_add_f64 v[58:59], v[58:59], -v[62:63]
	v_add_f64 v[55:56], v[55:56], v[58:59]
	v_mov_b32_e32 v58, 0x7ff80000
	v_mov_b32_e32 v59, 0xfff00000
	v_add_f64 v[55:56], v[71:72], v[55:56]
	v_cndmask_b32_e64 v55, 0, v55, s[4:5]
	v_cmp_ngt_f64_e64 s[4:5], -1.0, v[23:24]
	v_cndmask_b32_e64 v56, v64, v56, s[26:27]
	v_cndmask_b32_e64 v56, v58, v56, s[4:5]
	v_cmp_neq_f64_e64 s[4:5], -1.0, v[23:24]
	v_cndmask_b32_e64 v56, v59, v56, s[4:5]
	v_add_f64 v[23:24], v[53:54], v[55:56]
.LBB70_203:
	s_or_b64 exec, exec, s[34:35]
	v_mbcnt_lo_u32_b32 v53, -1, 0
	v_mbcnt_hi_u32_b32 v58, -1, v53
	v_and_b32_e32 v59, 15, v58
	v_mov_b32_dpp v53, v23 row_shr:1 row_mask:0xf bank_mask:0xf
	v_mov_b32_dpp v54, v24 row_shr:1 row_mask:0xf bank_mask:0xf
	v_cmp_ne_u32_e64 s[4:5], 0, v59
	v_mov_b32_e32 v55, v23
	v_mov_b32_e32 v56, v24
	s_and_saveexec_b64 s[0:1], s[4:5]
	s_xor_b64 s[34:35], exec, s[0:1]
	s_cbranch_execz .LBB70_207
; %bb.204:
	v_max_f64 v[55:56], v[53:54], v[53:54]
	v_max_f64 v[60:61], v[23:24], v[23:24]
	v_cmp_u_f64_e64 s[4:5], v[53:54], v[53:54]
	v_cmp_u_f64_e64 s[26:27], v[23:24], v[23:24]
	s_movk_i32 s0, 0x1f8
	v_min_f64 v[62:63], v[55:56], v[60:61]
	v_max_f64 v[55:56], v[55:56], v[60:61]
	v_cndmask_b32_e64 v60, v63, v54, s[4:5]
	v_cndmask_b32_e64 v61, v62, v53, s[4:5]
	;; [unrolled: 1-line block ×8, first 2 shown]
	v_cmp_neq_f64_e64 s[4:5], v[55:56], v[23:24]
	v_cmp_class_f64_e64 s[0:1], v[55:56], s0
	s_or_b64 s[0:1], s[4:5], s[0:1]
	s_and_saveexec_b64 s[36:37], s[0:1]
	s_cbranch_execz .LBB70_206
; %bb.205:
	v_add_f64 v[53:54], v[55:56], -v[23:24]
	s_mov_b32 s0, 0x652b82fe
	s_mov_b32 s1, 0x3ff71547
	;; [unrolled: 1-line block ×6, first 2 shown]
	v_mov_b32_e32 v62, 0xfca7ab0c
	v_mul_f64 v[55:56], v[53:54], s[0:1]
	s_mov_b32 s0, 0x6a5dcb37
	v_mov_b32_e32 v63, 0x3e928af3
	s_mov_b32 s1, 0x3e5ade15
	v_mov_b32_e32 v64, 0x7ff00000
	v_rndne_f64_e32 v[55:56], v[55:56]
	v_fma_f64 v[60:61], v[55:56], s[38:39], v[53:54]
	s_mov_b32 s39, 0x3fe62e42
	v_fma_f64 v[60:61], v[55:56], s[40:41], v[60:61]
	v_cvt_i32_f64_e32 v55, v[55:56]
	s_mov_b32 s41, 0x3c7abc9e
	v_fma_f64 v[62:63], v[60:61], s[0:1], v[62:63]
	s_mov_b32 s0, 0x623fde64
	s_mov_b32 s1, 0x3ec71dee
	v_fma_f64 v[62:63], v[60:61], v[62:63], s[0:1]
	s_mov_b32 s0, 0x7c89e6b0
	;; [unrolled: 3-line block ×9, first 2 shown]
	s_mov_b32 s1, 0x40900000
	v_cmp_nlt_f64_e64 s[4:5], s[0:1], v[53:54]
	s_mov_b32 s0, 0
	s_mov_b32 s1, 0xc090cc00
	v_cmp_ngt_f64_e64 s[26:27], s[0:1], v[53:54]
	s_mov_b32 s0, 0xbf559e2b
	v_fma_f64 v[62:63], v[60:61], v[62:63], 1.0
	s_mov_b32 s1, 0x3fc3ab76
	v_fma_f64 v[60:61], v[60:61], v[62:63], 1.0
	v_ldexp_f64 v[55:56], v[60:61], v55
	v_cndmask_b32_e64 v56, v64, v56, s[4:5]
	s_and_b64 s[4:5], s[26:27], s[4:5]
	v_cndmask_b32_e64 v53, 0, v55, s[4:5]
	v_cndmask_b32_e64 v54, 0, v56, s[26:27]
	v_add_f64 v[55:56], v[53:54], 1.0
	s_mov_b32 s27, 0x3fe55555
	s_mov_b32 s26, 0x55555555
	v_add_f64 v[60:61], v[55:56], -1.0
	v_frexp_exp_i32_f64_e32 v67, v[55:56]
	v_add_f64 v[62:63], v[60:61], -v[55:56]
	v_add_f64 v[60:61], v[53:54], -v[60:61]
	v_add_f64 v[62:63], v[62:63], 1.0
	v_add_f64 v[60:61], v[60:61], v[62:63]
	v_frexp_mant_f64_e32 v[62:63], v[55:56]
	v_cmp_gt_f64_e64 s[4:5], s[26:27], v[62:63]
	s_mov_b32 s26, 0x55555780
	v_subbrev_co_u32_e64 v81, s[4:5], 0, v67, s[4:5]
	v_sub_u32_e32 v62, 0, v81
	v_ldexp_f64 v[55:56], v[55:56], v62
	v_ldexp_f64 v[60:61], v[60:61], v62
	v_add_f64 v[62:63], v[55:56], -1.0
	v_add_f64 v[67:68], v[62:63], 1.0
	v_add_f64 v[67:68], v[55:56], -v[67:68]
	v_add_f64 v[67:68], v[60:61], v[67:68]
	v_add_f64 v[69:70], v[62:63], v[67:68]
	v_add_f64 v[62:63], v[69:70], -v[62:63]
	v_add_f64 v[62:63], v[67:68], -v[62:63]
	v_add_f64 v[67:68], v[55:56], 1.0
	v_add_f64 v[71:72], v[67:68], -1.0
	v_add_f64 v[55:56], v[55:56], -v[71:72]
	v_add_f64 v[55:56], v[60:61], v[55:56]
	v_add_f64 v[60:61], v[67:68], v[55:56]
	v_add_f64 v[67:68], v[60:61], -v[67:68]
	v_add_f64 v[55:56], v[55:56], -v[67:68]
	v_rcp_f64_e32 v[67:68], v[60:61]
	v_fma_f64 v[71:72], -v[60:61], v[67:68], 1.0
	v_fma_f64 v[67:68], v[71:72], v[67:68], v[67:68]
	v_fma_f64 v[71:72], -v[60:61], v[67:68], 1.0
	v_fma_f64 v[67:68], v[71:72], v[67:68], v[67:68]
	v_mul_f64 v[71:72], v[69:70], v[67:68]
	v_mul_f64 v[73:74], v[60:61], v[71:72]
	v_fma_f64 v[75:76], v[71:72], v[60:61], -v[73:74]
	v_fma_f64 v[75:76], v[71:72], v[55:56], v[75:76]
	v_add_f64 v[77:78], v[73:74], v[75:76]
	v_add_f64 v[79:80], v[69:70], -v[77:78]
	v_add_f64 v[73:74], v[77:78], -v[73:74]
	;; [unrolled: 1-line block ×4, first 2 shown]
	v_add_f64 v[62:63], v[62:63], v[69:70]
	v_add_f64 v[69:70], v[73:74], -v[75:76]
	v_add_f64 v[62:63], v[69:70], v[62:63]
	v_add_f64 v[69:70], v[79:80], v[62:63]
	v_add_f64 v[73:74], v[79:80], -v[69:70]
	v_add_f64 v[62:63], v[62:63], v[73:74]
	v_mul_f64 v[73:74], v[67:68], v[69:70]
	v_mul_f64 v[75:76], v[60:61], v[73:74]
	v_fma_f64 v[60:61], v[73:74], v[60:61], -v[75:76]
	v_fma_f64 v[55:56], v[73:74], v[55:56], v[60:61]
	v_add_f64 v[60:61], v[75:76], v[55:56]
	v_add_f64 v[77:78], v[69:70], -v[60:61]
	v_add_f64 v[75:76], v[60:61], -v[75:76]
	v_add_f64 v[69:70], v[69:70], -v[77:78]
	v_add_f64 v[55:56], v[75:76], -v[55:56]
	v_add_f64 v[60:61], v[69:70], -v[60:61]
	v_cvt_f64_i32_e32 v[69:70], v81
	v_add_f64 v[60:61], v[62:63], v[60:61]
	v_add_f64 v[55:56], v[55:56], v[60:61]
	;; [unrolled: 1-line block ×4, first 2 shown]
	v_add_f64 v[62:63], v[60:61], -v[71:72]
	v_mul_f64 v[71:72], v[69:70], s[38:39]
	v_mul_f64 v[55:56], v[67:68], v[55:56]
	v_add_f64 v[62:63], v[73:74], -v[62:63]
	v_mov_b32_e32 v67, 0x6b47b09a
	v_mov_b32_e32 v68, 0x3fc38538
	v_fma_f64 v[73:74], v[69:70], s[38:39], -v[71:72]
	v_add_f64 v[55:56], v[62:63], v[55:56]
	v_fma_f64 v[69:70], v[69:70], s[40:41], v[73:74]
	v_add_f64 v[62:63], v[60:61], v[55:56]
	v_add_f64 v[73:74], v[71:72], v[69:70]
	v_add_f64 v[60:61], v[62:63], -v[60:61]
	v_add_f64 v[71:72], v[73:74], -v[71:72]
	;; [unrolled: 1-line block ×3, first 2 shown]
	v_mul_f64 v[60:61], v[62:63], v[62:63]
	v_add_f64 v[69:70], v[69:70], -v[71:72]
	v_ldexp_f64 v[71:72], v[62:63], 1
	v_ldexp_f64 v[55:56], v[55:56], 1
	v_fma_f64 v[67:68], v[60:61], s[0:1], v[67:68]
	s_mov_b32 s0, 0xd7f4df2e
	s_mov_b32 s1, 0x3fc7474d
	v_fma_f64 v[67:68], v[60:61], v[67:68], s[0:1]
	s_mov_b32 s0, 0x16291751
	s_mov_b32 s1, 0x3fcc71c0
	;; [unrolled: 3-line block ×5, first 2 shown]
	v_cmp_neq_f64_e64 s[4:5], s[0:1], v[53:54]
	v_fma_f64 v[67:68], v[60:61], v[67:68], s[26:27]
	v_mul_f64 v[60:61], v[62:63], v[60:61]
	v_cmp_ngt_f64_e64 s[26:27], -1.0, v[53:54]
	v_mul_f64 v[60:61], v[60:61], v[67:68]
	v_add_f64 v[62:63], v[71:72], v[60:61]
	v_add_f64 v[67:68], v[62:63], -v[71:72]
	v_add_f64 v[60:61], v[60:61], -v[67:68]
	v_add_f64 v[55:56], v[55:56], v[60:61]
	v_add_f64 v[60:61], v[62:63], v[55:56]
	v_add_f64 v[62:63], v[60:61], -v[62:63]
	v_add_f64 v[55:56], v[55:56], -v[62:63]
	v_add_f64 v[62:63], v[73:74], v[60:61]
	v_add_f64 v[67:68], v[62:63], -v[73:74]
	v_add_f64 v[71:72], v[62:63], -v[67:68]
	;; [unrolled: 1-line block ×3, first 2 shown]
	v_add_f64 v[67:68], v[69:70], v[55:56]
	v_add_f64 v[71:72], v[73:74], -v[71:72]
	v_add_f64 v[60:61], v[60:61], v[71:72]
	v_add_f64 v[71:72], v[67:68], -v[69:70]
	;; [unrolled: 2-line block ×3, first 2 shown]
	v_add_f64 v[55:56], v[55:56], -v[71:72]
	v_add_f64 v[67:68], v[62:63], v[60:61]
	v_add_f64 v[69:70], v[69:70], -v[73:74]
	v_add_f64 v[62:63], v[67:68], -v[62:63]
	v_add_f64 v[55:56], v[55:56], v[69:70]
	v_add_f64 v[60:61], v[60:61], -v[62:63]
	v_add_f64 v[55:56], v[55:56], v[60:61]
	v_mov_b32_e32 v60, 0x7ff80000
	v_add_f64 v[55:56], v[67:68], v[55:56]
	v_cndmask_b32_e64 v56, v64, v56, s[4:5]
	v_cndmask_b32_e64 v56, v60, v56, s[26:27]
	v_cmp_nge_f64_e64 s[26:27], -1.0, v[53:54]
	s_and_b64 s[4:5], s[26:27], s[4:5]
	v_cndmask_b32_e64 v55, 0, v55, s[4:5]
	v_cmp_neq_f64_e64 s[4:5], -1.0, v[53:54]
	v_mov_b32_e32 v53, 0xfff00000
	v_cndmask_b32_e64 v56, v53, v56, s[4:5]
	v_add_f64 v[53:54], v[23:24], v[55:56]
.LBB70_206:
	s_or_b64 exec, exec, s[36:37]
	v_mov_b32_e32 v23, v53
	v_mov_b32_e32 v55, v53
	;; [unrolled: 1-line block ×4, first 2 shown]
.LBB70_207:
	s_or_b64 exec, exec, s[34:35]
	v_mov_b32_dpp v53, v55 row_shr:2 row_mask:0xf bank_mask:0xf
	v_mov_b32_dpp v54, v56 row_shr:2 row_mask:0xf bank_mask:0xf
	v_cmp_lt_u32_e64 s[4:5], 1, v59
	s_and_saveexec_b64 s[34:35], s[4:5]
	s_cbranch_execz .LBB70_211
; %bb.208:
	v_max_f64 v[55:56], v[53:54], v[53:54]
	v_max_f64 v[60:61], v[23:24], v[23:24]
	v_cmp_u_f64_e64 s[4:5], v[53:54], v[53:54]
	v_cmp_u_f64_e64 s[26:27], v[23:24], v[23:24]
	s_movk_i32 s0, 0x1f8
	v_min_f64 v[62:63], v[55:56], v[60:61]
	v_max_f64 v[55:56], v[55:56], v[60:61]
	v_cndmask_b32_e64 v60, v63, v54, s[4:5]
	v_cndmask_b32_e64 v61, v62, v53, s[4:5]
	;; [unrolled: 1-line block ×8, first 2 shown]
	v_cmp_neq_f64_e64 s[4:5], v[55:56], v[23:24]
	v_cmp_class_f64_e64 s[0:1], v[55:56], s0
	s_or_b64 s[0:1], s[4:5], s[0:1]
	s_and_saveexec_b64 s[36:37], s[0:1]
	s_cbranch_execz .LBB70_210
; %bb.209:
	v_add_f64 v[53:54], v[55:56], -v[23:24]
	s_mov_b32 s0, 0x652b82fe
	s_mov_b32 s1, 0x3ff71547
	;; [unrolled: 1-line block ×6, first 2 shown]
	v_mov_b32_e32 v62, 0xfca7ab0c
	v_mul_f64 v[55:56], v[53:54], s[0:1]
	s_mov_b32 s0, 0x6a5dcb37
	v_mov_b32_e32 v63, 0x3e928af3
	s_mov_b32 s1, 0x3e5ade15
	v_mov_b32_e32 v64, 0x7ff00000
	v_rndne_f64_e32 v[55:56], v[55:56]
	v_fma_f64 v[60:61], v[55:56], s[38:39], v[53:54]
	s_mov_b32 s39, 0x3fe62e42
	v_fma_f64 v[60:61], v[55:56], s[40:41], v[60:61]
	v_cvt_i32_f64_e32 v55, v[55:56]
	s_mov_b32 s41, 0x3c7abc9e
	v_fma_f64 v[62:63], v[60:61], s[0:1], v[62:63]
	s_mov_b32 s0, 0x623fde64
	s_mov_b32 s1, 0x3ec71dee
	v_fma_f64 v[62:63], v[60:61], v[62:63], s[0:1]
	s_mov_b32 s0, 0x7c89e6b0
	;; [unrolled: 3-line block ×9, first 2 shown]
	s_mov_b32 s1, 0x40900000
	v_cmp_nlt_f64_e64 s[4:5], s[0:1], v[53:54]
	s_mov_b32 s0, 0
	s_mov_b32 s1, 0xc090cc00
	v_cmp_ngt_f64_e64 s[26:27], s[0:1], v[53:54]
	s_mov_b32 s0, 0xbf559e2b
	v_fma_f64 v[62:63], v[60:61], v[62:63], 1.0
	s_mov_b32 s1, 0x3fc3ab76
	v_fma_f64 v[60:61], v[60:61], v[62:63], 1.0
	v_ldexp_f64 v[55:56], v[60:61], v55
	v_cndmask_b32_e64 v56, v64, v56, s[4:5]
	s_and_b64 s[4:5], s[26:27], s[4:5]
	v_cndmask_b32_e64 v53, 0, v55, s[4:5]
	v_cndmask_b32_e64 v54, 0, v56, s[26:27]
	v_add_f64 v[55:56], v[53:54], 1.0
	s_mov_b32 s27, 0x3fe55555
	s_mov_b32 s26, 0x55555555
	v_add_f64 v[60:61], v[55:56], -1.0
	v_frexp_exp_i32_f64_e32 v67, v[55:56]
	v_add_f64 v[62:63], v[60:61], -v[55:56]
	v_add_f64 v[60:61], v[53:54], -v[60:61]
	v_add_f64 v[62:63], v[62:63], 1.0
	v_add_f64 v[60:61], v[60:61], v[62:63]
	v_frexp_mant_f64_e32 v[62:63], v[55:56]
	v_cmp_gt_f64_e64 s[4:5], s[26:27], v[62:63]
	s_mov_b32 s26, 0x55555780
	v_subbrev_co_u32_e64 v81, s[4:5], 0, v67, s[4:5]
	v_sub_u32_e32 v62, 0, v81
	v_ldexp_f64 v[55:56], v[55:56], v62
	v_ldexp_f64 v[60:61], v[60:61], v62
	v_add_f64 v[62:63], v[55:56], -1.0
	v_add_f64 v[67:68], v[62:63], 1.0
	v_add_f64 v[67:68], v[55:56], -v[67:68]
	v_add_f64 v[67:68], v[60:61], v[67:68]
	v_add_f64 v[69:70], v[62:63], v[67:68]
	v_add_f64 v[62:63], v[69:70], -v[62:63]
	v_add_f64 v[62:63], v[67:68], -v[62:63]
	v_add_f64 v[67:68], v[55:56], 1.0
	v_add_f64 v[71:72], v[67:68], -1.0
	v_add_f64 v[55:56], v[55:56], -v[71:72]
	v_add_f64 v[55:56], v[60:61], v[55:56]
	v_add_f64 v[60:61], v[67:68], v[55:56]
	v_add_f64 v[67:68], v[60:61], -v[67:68]
	v_add_f64 v[55:56], v[55:56], -v[67:68]
	v_rcp_f64_e32 v[67:68], v[60:61]
	v_fma_f64 v[71:72], -v[60:61], v[67:68], 1.0
	v_fma_f64 v[67:68], v[71:72], v[67:68], v[67:68]
	v_fma_f64 v[71:72], -v[60:61], v[67:68], 1.0
	v_fma_f64 v[67:68], v[71:72], v[67:68], v[67:68]
	v_mul_f64 v[71:72], v[69:70], v[67:68]
	v_mul_f64 v[73:74], v[60:61], v[71:72]
	v_fma_f64 v[75:76], v[71:72], v[60:61], -v[73:74]
	v_fma_f64 v[75:76], v[71:72], v[55:56], v[75:76]
	v_add_f64 v[77:78], v[73:74], v[75:76]
	v_add_f64 v[79:80], v[69:70], -v[77:78]
	v_add_f64 v[73:74], v[77:78], -v[73:74]
	;; [unrolled: 1-line block ×4, first 2 shown]
	v_add_f64 v[62:63], v[62:63], v[69:70]
	v_add_f64 v[69:70], v[73:74], -v[75:76]
	v_add_f64 v[62:63], v[69:70], v[62:63]
	v_add_f64 v[69:70], v[79:80], v[62:63]
	v_add_f64 v[73:74], v[79:80], -v[69:70]
	v_add_f64 v[62:63], v[62:63], v[73:74]
	v_mul_f64 v[73:74], v[67:68], v[69:70]
	v_mul_f64 v[75:76], v[60:61], v[73:74]
	v_fma_f64 v[60:61], v[73:74], v[60:61], -v[75:76]
	v_fma_f64 v[55:56], v[73:74], v[55:56], v[60:61]
	v_add_f64 v[60:61], v[75:76], v[55:56]
	v_add_f64 v[77:78], v[69:70], -v[60:61]
	v_add_f64 v[75:76], v[60:61], -v[75:76]
	;; [unrolled: 1-line block ×5, first 2 shown]
	v_cvt_f64_i32_e32 v[69:70], v81
	v_add_f64 v[60:61], v[62:63], v[60:61]
	v_add_f64 v[55:56], v[55:56], v[60:61]
	;; [unrolled: 1-line block ×4, first 2 shown]
	v_add_f64 v[62:63], v[60:61], -v[71:72]
	v_mul_f64 v[71:72], v[69:70], s[38:39]
	v_mul_f64 v[55:56], v[67:68], v[55:56]
	v_add_f64 v[62:63], v[73:74], -v[62:63]
	v_mov_b32_e32 v67, 0x6b47b09a
	v_mov_b32_e32 v68, 0x3fc38538
	v_fma_f64 v[73:74], v[69:70], s[38:39], -v[71:72]
	v_add_f64 v[55:56], v[62:63], v[55:56]
	v_fma_f64 v[69:70], v[69:70], s[40:41], v[73:74]
	v_add_f64 v[62:63], v[60:61], v[55:56]
	v_add_f64 v[73:74], v[71:72], v[69:70]
	v_add_f64 v[60:61], v[62:63], -v[60:61]
	v_add_f64 v[71:72], v[73:74], -v[71:72]
	;; [unrolled: 1-line block ×3, first 2 shown]
	v_mul_f64 v[60:61], v[62:63], v[62:63]
	v_add_f64 v[69:70], v[69:70], -v[71:72]
	v_ldexp_f64 v[71:72], v[62:63], 1
	v_ldexp_f64 v[55:56], v[55:56], 1
	v_fma_f64 v[67:68], v[60:61], s[0:1], v[67:68]
	s_mov_b32 s0, 0xd7f4df2e
	s_mov_b32 s1, 0x3fc7474d
	v_fma_f64 v[67:68], v[60:61], v[67:68], s[0:1]
	s_mov_b32 s0, 0x16291751
	s_mov_b32 s1, 0x3fcc71c0
	;; [unrolled: 3-line block ×5, first 2 shown]
	v_cmp_neq_f64_e64 s[4:5], s[0:1], v[53:54]
	v_fma_f64 v[67:68], v[60:61], v[67:68], s[26:27]
	v_mul_f64 v[60:61], v[62:63], v[60:61]
	v_cmp_ngt_f64_e64 s[26:27], -1.0, v[53:54]
	v_mul_f64 v[60:61], v[60:61], v[67:68]
	v_add_f64 v[62:63], v[71:72], v[60:61]
	v_add_f64 v[67:68], v[62:63], -v[71:72]
	v_add_f64 v[60:61], v[60:61], -v[67:68]
	v_add_f64 v[55:56], v[55:56], v[60:61]
	v_add_f64 v[60:61], v[62:63], v[55:56]
	v_add_f64 v[62:63], v[60:61], -v[62:63]
	v_add_f64 v[55:56], v[55:56], -v[62:63]
	v_add_f64 v[62:63], v[73:74], v[60:61]
	v_add_f64 v[67:68], v[62:63], -v[73:74]
	v_add_f64 v[71:72], v[62:63], -v[67:68]
	;; [unrolled: 1-line block ×3, first 2 shown]
	v_add_f64 v[67:68], v[69:70], v[55:56]
	v_add_f64 v[71:72], v[73:74], -v[71:72]
	v_add_f64 v[60:61], v[60:61], v[71:72]
	v_add_f64 v[71:72], v[67:68], -v[69:70]
	;; [unrolled: 2-line block ×3, first 2 shown]
	v_add_f64 v[55:56], v[55:56], -v[71:72]
	v_add_f64 v[67:68], v[62:63], v[60:61]
	v_add_f64 v[69:70], v[69:70], -v[73:74]
	v_add_f64 v[62:63], v[67:68], -v[62:63]
	v_add_f64 v[55:56], v[55:56], v[69:70]
	v_add_f64 v[60:61], v[60:61], -v[62:63]
	v_add_f64 v[55:56], v[55:56], v[60:61]
	v_mov_b32_e32 v60, 0x7ff80000
	v_add_f64 v[55:56], v[67:68], v[55:56]
	v_cndmask_b32_e64 v56, v64, v56, s[4:5]
	v_cndmask_b32_e64 v56, v60, v56, s[26:27]
	v_cmp_nge_f64_e64 s[26:27], -1.0, v[53:54]
	s_and_b64 s[4:5], s[26:27], s[4:5]
	v_cndmask_b32_e64 v55, 0, v55, s[4:5]
	v_cmp_neq_f64_e64 s[4:5], -1.0, v[53:54]
	v_mov_b32_e32 v53, 0xfff00000
	v_cndmask_b32_e64 v56, v53, v56, s[4:5]
	v_add_f64 v[53:54], v[23:24], v[55:56]
.LBB70_210:
	s_or_b64 exec, exec, s[36:37]
	v_mov_b32_e32 v23, v53
	v_mov_b32_e32 v24, v54
	;; [unrolled: 1-line block ×4, first 2 shown]
.LBB70_211:
	s_or_b64 exec, exec, s[34:35]
	v_mov_b32_dpp v53, v55 row_shr:4 row_mask:0xf bank_mask:0xf
	v_mov_b32_dpp v54, v56 row_shr:4 row_mask:0xf bank_mask:0xf
	v_cmp_lt_u32_e64 s[4:5], 3, v59
	s_and_saveexec_b64 s[34:35], s[4:5]
	s_cbranch_execz .LBB70_215
; %bb.212:
	v_max_f64 v[55:56], v[53:54], v[53:54]
	v_max_f64 v[60:61], v[23:24], v[23:24]
	v_cmp_u_f64_e64 s[4:5], v[53:54], v[53:54]
	v_cmp_u_f64_e64 s[26:27], v[23:24], v[23:24]
	s_movk_i32 s0, 0x1f8
	v_min_f64 v[62:63], v[55:56], v[60:61]
	v_max_f64 v[55:56], v[55:56], v[60:61]
	v_cndmask_b32_e64 v60, v63, v54, s[4:5]
	v_cndmask_b32_e64 v61, v62, v53, s[4:5]
	v_cndmask_b32_e64 v62, v56, v54, s[4:5]
	v_cndmask_b32_e64 v63, v55, v53, s[4:5]
	v_cndmask_b32_e64 v56, v60, v24, s[26:27]
	v_cndmask_b32_e64 v55, v61, v23, s[26:27]
	v_cndmask_b32_e64 v24, v62, v24, s[26:27]
	v_cndmask_b32_e64 v23, v63, v23, s[26:27]
	v_cmp_neq_f64_e64 s[4:5], v[55:56], v[23:24]
	v_cmp_class_f64_e64 s[0:1], v[55:56], s0
	s_or_b64 s[0:1], s[4:5], s[0:1]
	s_and_saveexec_b64 s[36:37], s[0:1]
	s_cbranch_execz .LBB70_214
; %bb.213:
	v_add_f64 v[53:54], v[55:56], -v[23:24]
	s_mov_b32 s0, 0x652b82fe
	s_mov_b32 s1, 0x3ff71547
	;; [unrolled: 1-line block ×6, first 2 shown]
	v_mov_b32_e32 v62, 0xfca7ab0c
	v_mul_f64 v[55:56], v[53:54], s[0:1]
	s_mov_b32 s0, 0x6a5dcb37
	v_mov_b32_e32 v63, 0x3e928af3
	s_mov_b32 s1, 0x3e5ade15
	v_mov_b32_e32 v64, 0x7ff00000
	v_rndne_f64_e32 v[55:56], v[55:56]
	v_fma_f64 v[60:61], v[55:56], s[38:39], v[53:54]
	s_mov_b32 s39, 0x3fe62e42
	v_fma_f64 v[60:61], v[55:56], s[40:41], v[60:61]
	v_cvt_i32_f64_e32 v55, v[55:56]
	s_mov_b32 s41, 0x3c7abc9e
	v_fma_f64 v[62:63], v[60:61], s[0:1], v[62:63]
	s_mov_b32 s0, 0x623fde64
	s_mov_b32 s1, 0x3ec71dee
	v_fma_f64 v[62:63], v[60:61], v[62:63], s[0:1]
	s_mov_b32 s0, 0x7c89e6b0
	;; [unrolled: 3-line block ×9, first 2 shown]
	s_mov_b32 s1, 0x40900000
	v_cmp_nlt_f64_e64 s[4:5], s[0:1], v[53:54]
	s_mov_b32 s0, 0
	s_mov_b32 s1, 0xc090cc00
	v_cmp_ngt_f64_e64 s[26:27], s[0:1], v[53:54]
	s_mov_b32 s0, 0xbf559e2b
	v_fma_f64 v[62:63], v[60:61], v[62:63], 1.0
	s_mov_b32 s1, 0x3fc3ab76
	v_fma_f64 v[60:61], v[60:61], v[62:63], 1.0
	v_ldexp_f64 v[55:56], v[60:61], v55
	v_cndmask_b32_e64 v56, v64, v56, s[4:5]
	s_and_b64 s[4:5], s[26:27], s[4:5]
	v_cndmask_b32_e64 v53, 0, v55, s[4:5]
	v_cndmask_b32_e64 v54, 0, v56, s[26:27]
	v_add_f64 v[55:56], v[53:54], 1.0
	s_mov_b32 s27, 0x3fe55555
	s_mov_b32 s26, 0x55555555
	v_add_f64 v[60:61], v[55:56], -1.0
	v_frexp_exp_i32_f64_e32 v67, v[55:56]
	v_add_f64 v[62:63], v[60:61], -v[55:56]
	v_add_f64 v[60:61], v[53:54], -v[60:61]
	v_add_f64 v[62:63], v[62:63], 1.0
	v_add_f64 v[60:61], v[60:61], v[62:63]
	v_frexp_mant_f64_e32 v[62:63], v[55:56]
	v_cmp_gt_f64_e64 s[4:5], s[26:27], v[62:63]
	s_mov_b32 s26, 0x55555780
	v_subbrev_co_u32_e64 v81, s[4:5], 0, v67, s[4:5]
	v_sub_u32_e32 v62, 0, v81
	v_ldexp_f64 v[55:56], v[55:56], v62
	v_ldexp_f64 v[60:61], v[60:61], v62
	v_add_f64 v[62:63], v[55:56], -1.0
	v_add_f64 v[67:68], v[62:63], 1.0
	v_add_f64 v[67:68], v[55:56], -v[67:68]
	v_add_f64 v[67:68], v[60:61], v[67:68]
	v_add_f64 v[69:70], v[62:63], v[67:68]
	v_add_f64 v[62:63], v[69:70], -v[62:63]
	v_add_f64 v[62:63], v[67:68], -v[62:63]
	v_add_f64 v[67:68], v[55:56], 1.0
	v_add_f64 v[71:72], v[67:68], -1.0
	v_add_f64 v[55:56], v[55:56], -v[71:72]
	v_add_f64 v[55:56], v[60:61], v[55:56]
	v_add_f64 v[60:61], v[67:68], v[55:56]
	v_add_f64 v[67:68], v[60:61], -v[67:68]
	v_add_f64 v[55:56], v[55:56], -v[67:68]
	v_rcp_f64_e32 v[67:68], v[60:61]
	v_fma_f64 v[71:72], -v[60:61], v[67:68], 1.0
	v_fma_f64 v[67:68], v[71:72], v[67:68], v[67:68]
	v_fma_f64 v[71:72], -v[60:61], v[67:68], 1.0
	v_fma_f64 v[67:68], v[71:72], v[67:68], v[67:68]
	v_mul_f64 v[71:72], v[69:70], v[67:68]
	v_mul_f64 v[73:74], v[60:61], v[71:72]
	v_fma_f64 v[75:76], v[71:72], v[60:61], -v[73:74]
	v_fma_f64 v[75:76], v[71:72], v[55:56], v[75:76]
	v_add_f64 v[77:78], v[73:74], v[75:76]
	v_add_f64 v[79:80], v[69:70], -v[77:78]
	v_add_f64 v[73:74], v[77:78], -v[73:74]
	;; [unrolled: 1-line block ×4, first 2 shown]
	v_add_f64 v[62:63], v[62:63], v[69:70]
	v_add_f64 v[69:70], v[73:74], -v[75:76]
	v_add_f64 v[62:63], v[69:70], v[62:63]
	v_add_f64 v[69:70], v[79:80], v[62:63]
	v_add_f64 v[73:74], v[79:80], -v[69:70]
	v_add_f64 v[62:63], v[62:63], v[73:74]
	v_mul_f64 v[73:74], v[67:68], v[69:70]
	v_mul_f64 v[75:76], v[60:61], v[73:74]
	v_fma_f64 v[60:61], v[73:74], v[60:61], -v[75:76]
	v_fma_f64 v[55:56], v[73:74], v[55:56], v[60:61]
	v_add_f64 v[60:61], v[75:76], v[55:56]
	v_add_f64 v[77:78], v[69:70], -v[60:61]
	v_add_f64 v[75:76], v[60:61], -v[75:76]
	;; [unrolled: 1-line block ×5, first 2 shown]
	v_cvt_f64_i32_e32 v[69:70], v81
	v_add_f64 v[60:61], v[62:63], v[60:61]
	v_add_f64 v[55:56], v[55:56], v[60:61]
	;; [unrolled: 1-line block ×4, first 2 shown]
	v_add_f64 v[62:63], v[60:61], -v[71:72]
	v_mul_f64 v[71:72], v[69:70], s[38:39]
	v_mul_f64 v[55:56], v[67:68], v[55:56]
	v_add_f64 v[62:63], v[73:74], -v[62:63]
	v_mov_b32_e32 v67, 0x6b47b09a
	v_mov_b32_e32 v68, 0x3fc38538
	v_fma_f64 v[73:74], v[69:70], s[38:39], -v[71:72]
	v_add_f64 v[55:56], v[62:63], v[55:56]
	v_fma_f64 v[69:70], v[69:70], s[40:41], v[73:74]
	v_add_f64 v[62:63], v[60:61], v[55:56]
	v_add_f64 v[73:74], v[71:72], v[69:70]
	v_add_f64 v[60:61], v[62:63], -v[60:61]
	v_add_f64 v[71:72], v[73:74], -v[71:72]
	;; [unrolled: 1-line block ×3, first 2 shown]
	v_mul_f64 v[60:61], v[62:63], v[62:63]
	v_add_f64 v[69:70], v[69:70], -v[71:72]
	v_ldexp_f64 v[71:72], v[62:63], 1
	v_ldexp_f64 v[55:56], v[55:56], 1
	v_fma_f64 v[67:68], v[60:61], s[0:1], v[67:68]
	s_mov_b32 s0, 0xd7f4df2e
	s_mov_b32 s1, 0x3fc7474d
	v_fma_f64 v[67:68], v[60:61], v[67:68], s[0:1]
	s_mov_b32 s0, 0x16291751
	s_mov_b32 s1, 0x3fcc71c0
	;; [unrolled: 3-line block ×5, first 2 shown]
	v_cmp_neq_f64_e64 s[4:5], s[0:1], v[53:54]
	v_fma_f64 v[67:68], v[60:61], v[67:68], s[26:27]
	v_mul_f64 v[60:61], v[62:63], v[60:61]
	v_cmp_ngt_f64_e64 s[26:27], -1.0, v[53:54]
	v_mul_f64 v[60:61], v[60:61], v[67:68]
	v_add_f64 v[62:63], v[71:72], v[60:61]
	v_add_f64 v[67:68], v[62:63], -v[71:72]
	v_add_f64 v[60:61], v[60:61], -v[67:68]
	v_add_f64 v[55:56], v[55:56], v[60:61]
	v_add_f64 v[60:61], v[62:63], v[55:56]
	v_add_f64 v[62:63], v[60:61], -v[62:63]
	v_add_f64 v[55:56], v[55:56], -v[62:63]
	v_add_f64 v[62:63], v[73:74], v[60:61]
	v_add_f64 v[67:68], v[62:63], -v[73:74]
	v_add_f64 v[71:72], v[62:63], -v[67:68]
	;; [unrolled: 1-line block ×3, first 2 shown]
	v_add_f64 v[67:68], v[69:70], v[55:56]
	v_add_f64 v[71:72], v[73:74], -v[71:72]
	v_add_f64 v[60:61], v[60:61], v[71:72]
	v_add_f64 v[71:72], v[67:68], -v[69:70]
	v_add_f64 v[60:61], v[67:68], v[60:61]
	v_add_f64 v[73:74], v[67:68], -v[71:72]
	v_add_f64 v[55:56], v[55:56], -v[71:72]
	v_add_f64 v[67:68], v[62:63], v[60:61]
	v_add_f64 v[69:70], v[69:70], -v[73:74]
	v_add_f64 v[62:63], v[67:68], -v[62:63]
	v_add_f64 v[55:56], v[55:56], v[69:70]
	v_add_f64 v[60:61], v[60:61], -v[62:63]
	v_add_f64 v[55:56], v[55:56], v[60:61]
	v_mov_b32_e32 v60, 0x7ff80000
	v_add_f64 v[55:56], v[67:68], v[55:56]
	v_cndmask_b32_e64 v56, v64, v56, s[4:5]
	v_cndmask_b32_e64 v56, v60, v56, s[26:27]
	v_cmp_nge_f64_e64 s[26:27], -1.0, v[53:54]
	s_and_b64 s[4:5], s[26:27], s[4:5]
	v_cndmask_b32_e64 v55, 0, v55, s[4:5]
	v_cmp_neq_f64_e64 s[4:5], -1.0, v[53:54]
	v_mov_b32_e32 v53, 0xfff00000
	v_cndmask_b32_e64 v56, v53, v56, s[4:5]
	v_add_f64 v[53:54], v[23:24], v[55:56]
.LBB70_214:
	s_or_b64 exec, exec, s[36:37]
	v_mov_b32_e32 v23, v53
	v_mov_b32_e32 v24, v54
	;; [unrolled: 1-line block ×4, first 2 shown]
.LBB70_215:
	s_or_b64 exec, exec, s[34:35]
	v_mov_b32_dpp v53, v55 row_shr:8 row_mask:0xf bank_mask:0xf
	v_mov_b32_dpp v54, v56 row_shr:8 row_mask:0xf bank_mask:0xf
	v_cmp_lt_u32_e64 s[4:5], 7, v59
	s_and_saveexec_b64 s[34:35], s[4:5]
	s_cbranch_execz .LBB70_219
; %bb.216:
	v_max_f64 v[55:56], v[53:54], v[53:54]
	v_max_f64 v[59:60], v[23:24], v[23:24]
	v_cmp_u_f64_e64 s[4:5], v[53:54], v[53:54]
	v_cmp_u_f64_e64 s[26:27], v[23:24], v[23:24]
	s_movk_i32 s0, 0x1f8
	v_min_f64 v[61:62], v[55:56], v[59:60]
	v_max_f64 v[55:56], v[55:56], v[59:60]
	v_cndmask_b32_e64 v59, v62, v54, s[4:5]
	v_cndmask_b32_e64 v60, v61, v53, s[4:5]
	;; [unrolled: 1-line block ×8, first 2 shown]
	v_cmp_neq_f64_e64 s[4:5], v[55:56], v[23:24]
	v_cmp_class_f64_e64 s[0:1], v[55:56], s0
	s_or_b64 s[0:1], s[4:5], s[0:1]
	s_and_saveexec_b64 s[36:37], s[0:1]
	s_cbranch_execz .LBB70_218
; %bb.217:
	v_add_f64 v[53:54], v[55:56], -v[23:24]
	s_mov_b32 s0, 0x652b82fe
	s_mov_b32 s1, 0x3ff71547
	;; [unrolled: 1-line block ×6, first 2 shown]
	v_mov_b32_e32 v61, 0xfca7ab0c
	v_mul_f64 v[55:56], v[53:54], s[0:1]
	s_mov_b32 s0, 0x6a5dcb37
	v_mov_b32_e32 v62, 0x3e928af3
	s_mov_b32 s1, 0x3e5ade15
	v_mov_b32_e32 v79, 0x7ff00000
	v_rndne_f64_e32 v[55:56], v[55:56]
	v_fma_f64 v[59:60], v[55:56], s[38:39], v[53:54]
	s_mov_b32 s39, 0x3fe62e42
	v_fma_f64 v[59:60], v[55:56], s[40:41], v[59:60]
	v_cvt_i32_f64_e32 v55, v[55:56]
	s_mov_b32 s41, 0x3c7abc9e
	v_fma_f64 v[61:62], v[59:60], s[0:1], v[61:62]
	s_mov_b32 s0, 0x623fde64
	s_mov_b32 s1, 0x3ec71dee
	v_fma_f64 v[61:62], v[59:60], v[61:62], s[0:1]
	s_mov_b32 s0, 0x7c89e6b0
	;; [unrolled: 3-line block ×9, first 2 shown]
	s_mov_b32 s1, 0x40900000
	v_cmp_nlt_f64_e64 s[4:5], s[0:1], v[53:54]
	s_mov_b32 s0, 0
	s_mov_b32 s1, 0xc090cc00
	v_cmp_ngt_f64_e64 s[26:27], s[0:1], v[53:54]
	s_mov_b32 s0, 0xbf559e2b
	v_fma_f64 v[61:62], v[59:60], v[61:62], 1.0
	s_mov_b32 s1, 0x3fc3ab76
	v_fma_f64 v[59:60], v[59:60], v[61:62], 1.0
	v_ldexp_f64 v[55:56], v[59:60], v55
	v_cndmask_b32_e64 v56, v79, v56, s[4:5]
	s_and_b64 s[4:5], s[26:27], s[4:5]
	v_cndmask_b32_e64 v53, 0, v55, s[4:5]
	v_cndmask_b32_e64 v54, 0, v56, s[26:27]
	v_add_f64 v[55:56], v[53:54], 1.0
	s_mov_b32 s27, 0x3fe55555
	s_mov_b32 s26, 0x55555555
	v_add_f64 v[59:60], v[55:56], -1.0
	v_frexp_exp_i32_f64_e32 v63, v[55:56]
	v_add_f64 v[61:62], v[59:60], -v[55:56]
	v_add_f64 v[59:60], v[53:54], -v[59:60]
	v_add_f64 v[61:62], v[61:62], 1.0
	v_add_f64 v[59:60], v[59:60], v[61:62]
	v_frexp_mant_f64_e32 v[61:62], v[55:56]
	v_cmp_gt_f64_e64 s[4:5], s[26:27], v[61:62]
	s_mov_b32 s26, 0x55555780
	v_subbrev_co_u32_e64 v80, s[4:5], 0, v63, s[4:5]
	v_sub_u32_e32 v61, 0, v80
	v_ldexp_f64 v[55:56], v[55:56], v61
	v_ldexp_f64 v[59:60], v[59:60], v61
	v_add_f64 v[61:62], v[55:56], -1.0
	v_add_f64 v[63:64], v[61:62], 1.0
	v_add_f64 v[63:64], v[55:56], -v[63:64]
	v_add_f64 v[63:64], v[59:60], v[63:64]
	v_add_f64 v[67:68], v[61:62], v[63:64]
	v_add_f64 v[61:62], v[67:68], -v[61:62]
	v_add_f64 v[61:62], v[63:64], -v[61:62]
	v_add_f64 v[63:64], v[55:56], 1.0
	v_add_f64 v[69:70], v[63:64], -1.0
	v_add_f64 v[55:56], v[55:56], -v[69:70]
	v_add_f64 v[55:56], v[59:60], v[55:56]
	v_add_f64 v[59:60], v[63:64], v[55:56]
	v_add_f64 v[63:64], v[59:60], -v[63:64]
	v_add_f64 v[55:56], v[55:56], -v[63:64]
	v_rcp_f64_e32 v[63:64], v[59:60]
	v_fma_f64 v[69:70], -v[59:60], v[63:64], 1.0
	v_fma_f64 v[63:64], v[69:70], v[63:64], v[63:64]
	v_fma_f64 v[69:70], -v[59:60], v[63:64], 1.0
	v_fma_f64 v[63:64], v[69:70], v[63:64], v[63:64]
	v_mul_f64 v[69:70], v[67:68], v[63:64]
	v_mul_f64 v[71:72], v[59:60], v[69:70]
	v_fma_f64 v[73:74], v[69:70], v[59:60], -v[71:72]
	v_fma_f64 v[73:74], v[69:70], v[55:56], v[73:74]
	v_add_f64 v[75:76], v[71:72], v[73:74]
	v_add_f64 v[77:78], v[67:68], -v[75:76]
	v_add_f64 v[71:72], v[75:76], -v[71:72]
	;; [unrolled: 1-line block ×4, first 2 shown]
	v_add_f64 v[61:62], v[61:62], v[67:68]
	v_add_f64 v[67:68], v[71:72], -v[73:74]
	v_add_f64 v[61:62], v[67:68], v[61:62]
	v_add_f64 v[67:68], v[77:78], v[61:62]
	v_add_f64 v[71:72], v[77:78], -v[67:68]
	v_add_f64 v[61:62], v[61:62], v[71:72]
	v_mul_f64 v[71:72], v[63:64], v[67:68]
	v_mul_f64 v[73:74], v[59:60], v[71:72]
	v_fma_f64 v[59:60], v[71:72], v[59:60], -v[73:74]
	v_fma_f64 v[55:56], v[71:72], v[55:56], v[59:60]
	v_add_f64 v[59:60], v[73:74], v[55:56]
	v_add_f64 v[75:76], v[67:68], -v[59:60]
	v_add_f64 v[73:74], v[59:60], -v[73:74]
	;; [unrolled: 1-line block ×5, first 2 shown]
	v_cvt_f64_i32_e32 v[67:68], v80
	v_add_f64 v[59:60], v[61:62], v[59:60]
	v_add_f64 v[55:56], v[55:56], v[59:60]
	;; [unrolled: 1-line block ×4, first 2 shown]
	v_add_f64 v[61:62], v[59:60], -v[69:70]
	v_mul_f64 v[69:70], v[67:68], s[38:39]
	v_mul_f64 v[55:56], v[63:64], v[55:56]
	v_add_f64 v[61:62], v[71:72], -v[61:62]
	v_mov_b32_e32 v63, 0x6b47b09a
	v_mov_b32_e32 v64, 0x3fc38538
	v_fma_f64 v[71:72], v[67:68], s[38:39], -v[69:70]
	v_add_f64 v[55:56], v[61:62], v[55:56]
	v_fma_f64 v[67:68], v[67:68], s[40:41], v[71:72]
	v_add_f64 v[61:62], v[59:60], v[55:56]
	v_add_f64 v[71:72], v[69:70], v[67:68]
	v_add_f64 v[59:60], v[61:62], -v[59:60]
	v_add_f64 v[69:70], v[71:72], -v[69:70]
	;; [unrolled: 1-line block ×3, first 2 shown]
	v_mul_f64 v[59:60], v[61:62], v[61:62]
	v_add_f64 v[67:68], v[67:68], -v[69:70]
	v_ldexp_f64 v[69:70], v[61:62], 1
	v_ldexp_f64 v[55:56], v[55:56], 1
	v_fma_f64 v[63:64], v[59:60], s[0:1], v[63:64]
	s_mov_b32 s0, 0xd7f4df2e
	s_mov_b32 s1, 0x3fc7474d
	v_fma_f64 v[63:64], v[59:60], v[63:64], s[0:1]
	s_mov_b32 s0, 0x16291751
	s_mov_b32 s1, 0x3fcc71c0
	;; [unrolled: 3-line block ×5, first 2 shown]
	v_cmp_neq_f64_e64 s[4:5], s[0:1], v[53:54]
	v_fma_f64 v[63:64], v[59:60], v[63:64], s[26:27]
	v_mul_f64 v[59:60], v[61:62], v[59:60]
	v_cmp_ngt_f64_e64 s[26:27], -1.0, v[53:54]
	v_mul_f64 v[59:60], v[59:60], v[63:64]
	v_add_f64 v[61:62], v[69:70], v[59:60]
	v_add_f64 v[63:64], v[61:62], -v[69:70]
	v_add_f64 v[59:60], v[59:60], -v[63:64]
	v_add_f64 v[55:56], v[55:56], v[59:60]
	v_add_f64 v[59:60], v[61:62], v[55:56]
	v_add_f64 v[61:62], v[59:60], -v[61:62]
	v_add_f64 v[55:56], v[55:56], -v[61:62]
	v_add_f64 v[61:62], v[71:72], v[59:60]
	v_add_f64 v[63:64], v[61:62], -v[71:72]
	v_add_f64 v[69:70], v[61:62], -v[63:64]
	;; [unrolled: 1-line block ×3, first 2 shown]
	v_add_f64 v[63:64], v[67:68], v[55:56]
	v_add_f64 v[69:70], v[71:72], -v[69:70]
	v_add_f64 v[59:60], v[59:60], v[69:70]
	v_add_f64 v[69:70], v[63:64], -v[67:68]
	;; [unrolled: 2-line block ×3, first 2 shown]
	v_add_f64 v[55:56], v[55:56], -v[69:70]
	v_add_f64 v[63:64], v[61:62], v[59:60]
	v_add_f64 v[67:68], v[67:68], -v[71:72]
	v_add_f64 v[61:62], v[63:64], -v[61:62]
	v_add_f64 v[55:56], v[55:56], v[67:68]
	v_add_f64 v[59:60], v[59:60], -v[61:62]
	v_add_f64 v[55:56], v[55:56], v[59:60]
	v_mov_b32_e32 v59, 0x7ff80000
	v_add_f64 v[55:56], v[63:64], v[55:56]
	v_cndmask_b32_e64 v56, v79, v56, s[4:5]
	v_cndmask_b32_e64 v56, v59, v56, s[26:27]
	v_cmp_nge_f64_e64 s[26:27], -1.0, v[53:54]
	s_and_b64 s[4:5], s[26:27], s[4:5]
	v_cndmask_b32_e64 v55, 0, v55, s[4:5]
	v_cmp_neq_f64_e64 s[4:5], -1.0, v[53:54]
	v_mov_b32_e32 v53, 0xfff00000
	v_cndmask_b32_e64 v56, v53, v56, s[4:5]
	v_add_f64 v[53:54], v[23:24], v[55:56]
.LBB70_218:
	s_or_b64 exec, exec, s[36:37]
	v_mov_b32_e32 v23, v53
	v_mov_b32_e32 v24, v54
	;; [unrolled: 1-line block ×4, first 2 shown]
.LBB70_219:
	s_or_b64 exec, exec, s[34:35]
	v_and_b32_e32 v59, 16, v58
	v_mov_b32_dpp v53, v55 row_bcast:15 row_mask:0xf bank_mask:0xf
	v_mov_b32_dpp v54, v56 row_bcast:15 row_mask:0xf bank_mask:0xf
	v_cmp_ne_u32_e64 s[4:5], 0, v59
	s_and_saveexec_b64 s[34:35], s[4:5]
	s_cbranch_execz .LBB70_223
; %bb.220:
	v_max_f64 v[55:56], v[53:54], v[53:54]
	v_max_f64 v[59:60], v[23:24], v[23:24]
	v_cmp_u_f64_e64 s[4:5], v[53:54], v[53:54]
	v_cmp_u_f64_e64 s[26:27], v[23:24], v[23:24]
	s_movk_i32 s0, 0x1f8
	v_min_f64 v[61:62], v[55:56], v[59:60]
	v_max_f64 v[55:56], v[55:56], v[59:60]
	v_cndmask_b32_e64 v59, v62, v54, s[4:5]
	v_cndmask_b32_e64 v60, v61, v53, s[4:5]
	;; [unrolled: 1-line block ×8, first 2 shown]
	v_cmp_neq_f64_e64 s[4:5], v[55:56], v[23:24]
	v_cmp_class_f64_e64 s[0:1], v[55:56], s0
	s_or_b64 s[0:1], s[4:5], s[0:1]
	s_and_saveexec_b64 s[36:37], s[0:1]
	s_cbranch_execz .LBB70_222
; %bb.221:
	v_add_f64 v[53:54], v[55:56], -v[23:24]
	s_mov_b32 s0, 0x652b82fe
	s_mov_b32 s1, 0x3ff71547
	;; [unrolled: 1-line block ×6, first 2 shown]
	v_mov_b32_e32 v61, 0xfca7ab0c
	v_mul_f64 v[55:56], v[53:54], s[0:1]
	s_mov_b32 s0, 0x6a5dcb37
	v_mov_b32_e32 v62, 0x3e928af3
	s_mov_b32 s1, 0x3e5ade15
	v_mov_b32_e32 v79, 0x7ff00000
	v_rndne_f64_e32 v[55:56], v[55:56]
	v_fma_f64 v[59:60], v[55:56], s[38:39], v[53:54]
	s_mov_b32 s39, 0x3fe62e42
	v_fma_f64 v[59:60], v[55:56], s[40:41], v[59:60]
	v_cvt_i32_f64_e32 v55, v[55:56]
	s_mov_b32 s41, 0x3c7abc9e
	v_fma_f64 v[61:62], v[59:60], s[0:1], v[61:62]
	s_mov_b32 s0, 0x623fde64
	s_mov_b32 s1, 0x3ec71dee
	v_fma_f64 v[61:62], v[59:60], v[61:62], s[0:1]
	s_mov_b32 s0, 0x7c89e6b0
	;; [unrolled: 3-line block ×9, first 2 shown]
	s_mov_b32 s1, 0x40900000
	v_cmp_nlt_f64_e64 s[4:5], s[0:1], v[53:54]
	s_mov_b32 s0, 0
	s_mov_b32 s1, 0xc090cc00
	v_cmp_ngt_f64_e64 s[26:27], s[0:1], v[53:54]
	s_mov_b32 s0, 0xbf559e2b
	v_fma_f64 v[61:62], v[59:60], v[61:62], 1.0
	s_mov_b32 s1, 0x3fc3ab76
	v_fma_f64 v[59:60], v[59:60], v[61:62], 1.0
	v_ldexp_f64 v[55:56], v[59:60], v55
	v_cndmask_b32_e64 v56, v79, v56, s[4:5]
	s_and_b64 s[4:5], s[26:27], s[4:5]
	v_cndmask_b32_e64 v53, 0, v55, s[4:5]
	v_cndmask_b32_e64 v54, 0, v56, s[26:27]
	v_add_f64 v[55:56], v[53:54], 1.0
	s_mov_b32 s27, 0x3fe55555
	s_mov_b32 s26, 0x55555555
	v_add_f64 v[59:60], v[55:56], -1.0
	v_frexp_exp_i32_f64_e32 v63, v[55:56]
	v_add_f64 v[61:62], v[59:60], -v[55:56]
	v_add_f64 v[59:60], v[53:54], -v[59:60]
	v_add_f64 v[61:62], v[61:62], 1.0
	v_add_f64 v[59:60], v[59:60], v[61:62]
	v_frexp_mant_f64_e32 v[61:62], v[55:56]
	v_cmp_gt_f64_e64 s[4:5], s[26:27], v[61:62]
	s_mov_b32 s26, 0x55555780
	v_subbrev_co_u32_e64 v80, s[4:5], 0, v63, s[4:5]
	v_sub_u32_e32 v61, 0, v80
	v_ldexp_f64 v[55:56], v[55:56], v61
	v_ldexp_f64 v[59:60], v[59:60], v61
	v_add_f64 v[61:62], v[55:56], -1.0
	v_add_f64 v[63:64], v[61:62], 1.0
	v_add_f64 v[63:64], v[55:56], -v[63:64]
	v_add_f64 v[63:64], v[59:60], v[63:64]
	v_add_f64 v[67:68], v[61:62], v[63:64]
	v_add_f64 v[61:62], v[67:68], -v[61:62]
	v_add_f64 v[61:62], v[63:64], -v[61:62]
	v_add_f64 v[63:64], v[55:56], 1.0
	v_add_f64 v[69:70], v[63:64], -1.0
	v_add_f64 v[55:56], v[55:56], -v[69:70]
	v_add_f64 v[55:56], v[59:60], v[55:56]
	v_add_f64 v[59:60], v[63:64], v[55:56]
	v_add_f64 v[63:64], v[59:60], -v[63:64]
	v_add_f64 v[55:56], v[55:56], -v[63:64]
	v_rcp_f64_e32 v[63:64], v[59:60]
	v_fma_f64 v[69:70], -v[59:60], v[63:64], 1.0
	v_fma_f64 v[63:64], v[69:70], v[63:64], v[63:64]
	v_fma_f64 v[69:70], -v[59:60], v[63:64], 1.0
	v_fma_f64 v[63:64], v[69:70], v[63:64], v[63:64]
	v_mul_f64 v[69:70], v[67:68], v[63:64]
	v_mul_f64 v[71:72], v[59:60], v[69:70]
	v_fma_f64 v[73:74], v[69:70], v[59:60], -v[71:72]
	v_fma_f64 v[73:74], v[69:70], v[55:56], v[73:74]
	v_add_f64 v[75:76], v[71:72], v[73:74]
	v_add_f64 v[77:78], v[67:68], -v[75:76]
	v_add_f64 v[71:72], v[75:76], -v[71:72]
	;; [unrolled: 1-line block ×4, first 2 shown]
	v_add_f64 v[61:62], v[61:62], v[67:68]
	v_add_f64 v[67:68], v[71:72], -v[73:74]
	v_add_f64 v[61:62], v[67:68], v[61:62]
	v_add_f64 v[67:68], v[77:78], v[61:62]
	v_add_f64 v[71:72], v[77:78], -v[67:68]
	v_add_f64 v[61:62], v[61:62], v[71:72]
	v_mul_f64 v[71:72], v[63:64], v[67:68]
	v_mul_f64 v[73:74], v[59:60], v[71:72]
	v_fma_f64 v[59:60], v[71:72], v[59:60], -v[73:74]
	v_fma_f64 v[55:56], v[71:72], v[55:56], v[59:60]
	v_add_f64 v[59:60], v[73:74], v[55:56]
	v_add_f64 v[75:76], v[67:68], -v[59:60]
	v_add_f64 v[73:74], v[59:60], -v[73:74]
	;; [unrolled: 1-line block ×5, first 2 shown]
	v_cvt_f64_i32_e32 v[67:68], v80
	v_add_f64 v[59:60], v[61:62], v[59:60]
	v_add_f64 v[55:56], v[55:56], v[59:60]
	;; [unrolled: 1-line block ×4, first 2 shown]
	v_add_f64 v[61:62], v[59:60], -v[69:70]
	v_mul_f64 v[69:70], v[67:68], s[38:39]
	v_mul_f64 v[55:56], v[63:64], v[55:56]
	v_add_f64 v[61:62], v[71:72], -v[61:62]
	v_mov_b32_e32 v63, 0x6b47b09a
	v_mov_b32_e32 v64, 0x3fc38538
	v_fma_f64 v[71:72], v[67:68], s[38:39], -v[69:70]
	v_add_f64 v[55:56], v[61:62], v[55:56]
	v_fma_f64 v[67:68], v[67:68], s[40:41], v[71:72]
	v_add_f64 v[61:62], v[59:60], v[55:56]
	v_add_f64 v[71:72], v[69:70], v[67:68]
	v_add_f64 v[59:60], v[61:62], -v[59:60]
	v_add_f64 v[69:70], v[71:72], -v[69:70]
	;; [unrolled: 1-line block ×3, first 2 shown]
	v_mul_f64 v[59:60], v[61:62], v[61:62]
	v_add_f64 v[67:68], v[67:68], -v[69:70]
	v_ldexp_f64 v[69:70], v[61:62], 1
	v_ldexp_f64 v[55:56], v[55:56], 1
	v_fma_f64 v[63:64], v[59:60], s[0:1], v[63:64]
	s_mov_b32 s0, 0xd7f4df2e
	s_mov_b32 s1, 0x3fc7474d
	v_fma_f64 v[63:64], v[59:60], v[63:64], s[0:1]
	s_mov_b32 s0, 0x16291751
	s_mov_b32 s1, 0x3fcc71c0
	;; [unrolled: 3-line block ×5, first 2 shown]
	v_cmp_neq_f64_e64 s[4:5], s[0:1], v[53:54]
	v_fma_f64 v[63:64], v[59:60], v[63:64], s[26:27]
	v_mul_f64 v[59:60], v[61:62], v[59:60]
	v_cmp_ngt_f64_e64 s[26:27], -1.0, v[53:54]
	v_mul_f64 v[59:60], v[59:60], v[63:64]
	v_add_f64 v[61:62], v[69:70], v[59:60]
	v_add_f64 v[63:64], v[61:62], -v[69:70]
	v_add_f64 v[59:60], v[59:60], -v[63:64]
	v_add_f64 v[55:56], v[55:56], v[59:60]
	v_add_f64 v[59:60], v[61:62], v[55:56]
	v_add_f64 v[61:62], v[59:60], -v[61:62]
	v_add_f64 v[55:56], v[55:56], -v[61:62]
	v_add_f64 v[61:62], v[71:72], v[59:60]
	v_add_f64 v[63:64], v[61:62], -v[71:72]
	v_add_f64 v[69:70], v[61:62], -v[63:64]
	;; [unrolled: 1-line block ×3, first 2 shown]
	v_add_f64 v[63:64], v[67:68], v[55:56]
	v_add_f64 v[69:70], v[71:72], -v[69:70]
	v_add_f64 v[59:60], v[59:60], v[69:70]
	v_add_f64 v[69:70], v[63:64], -v[67:68]
	;; [unrolled: 2-line block ×3, first 2 shown]
	v_add_f64 v[55:56], v[55:56], -v[69:70]
	v_add_f64 v[63:64], v[61:62], v[59:60]
	v_add_f64 v[67:68], v[67:68], -v[71:72]
	v_add_f64 v[61:62], v[63:64], -v[61:62]
	v_add_f64 v[55:56], v[55:56], v[67:68]
	v_add_f64 v[59:60], v[59:60], -v[61:62]
	v_add_f64 v[55:56], v[55:56], v[59:60]
	v_mov_b32_e32 v59, 0x7ff80000
	v_add_f64 v[55:56], v[63:64], v[55:56]
	v_cndmask_b32_e64 v56, v79, v56, s[4:5]
	v_cndmask_b32_e64 v56, v59, v56, s[26:27]
	v_cmp_nge_f64_e64 s[26:27], -1.0, v[53:54]
	s_and_b64 s[4:5], s[26:27], s[4:5]
	v_cndmask_b32_e64 v55, 0, v55, s[4:5]
	v_cmp_neq_f64_e64 s[4:5], -1.0, v[53:54]
	v_mov_b32_e32 v53, 0xfff00000
	v_cndmask_b32_e64 v56, v53, v56, s[4:5]
	v_add_f64 v[53:54], v[23:24], v[55:56]
.LBB70_222:
	s_or_b64 exec, exec, s[36:37]
	v_mov_b32_e32 v23, v53
	v_mov_b32_e32 v55, v53
	;; [unrolled: 1-line block ×4, first 2 shown]
.LBB70_223:
	s_or_b64 exec, exec, s[34:35]
	v_mov_b32_dpp v53, v55 row_bcast:31 row_mask:0xf bank_mask:0xf
	v_mov_b32_dpp v54, v56 row_bcast:31 row_mask:0xf bank_mask:0xf
	v_cmp_lt_u32_e64 s[4:5], 31, v58
	s_and_saveexec_b64 s[34:35], s[4:5]
	s_cbranch_execz .LBB70_227
; %bb.224:
	v_max_f64 v[55:56], v[53:54], v[53:54]
	v_max_f64 v[59:60], v[23:24], v[23:24]
	v_cmp_u_f64_e64 s[4:5], v[53:54], v[53:54]
	v_cmp_u_f64_e64 s[26:27], v[23:24], v[23:24]
	s_movk_i32 s0, 0x1f8
	v_min_f64 v[61:62], v[55:56], v[59:60]
	v_max_f64 v[55:56], v[55:56], v[59:60]
	v_cndmask_b32_e64 v59, v62, v54, s[4:5]
	v_cndmask_b32_e64 v60, v61, v53, s[4:5]
	;; [unrolled: 1-line block ×8, first 2 shown]
	v_cmp_neq_f64_e64 s[4:5], v[55:56], v[23:24]
	v_cmp_class_f64_e64 s[0:1], v[55:56], s0
	s_or_b64 s[0:1], s[4:5], s[0:1]
	s_and_saveexec_b64 s[36:37], s[0:1]
	s_cbranch_execz .LBB70_226
; %bb.225:
	v_add_f64 v[53:54], v[55:56], -v[23:24]
	s_mov_b32 s0, 0x652b82fe
	s_mov_b32 s1, 0x3ff71547
	;; [unrolled: 1-line block ×6, first 2 shown]
	v_mov_b32_e32 v61, 0xfca7ab0c
	v_mul_f64 v[55:56], v[53:54], s[0:1]
	s_mov_b32 s0, 0x6a5dcb37
	v_mov_b32_e32 v62, 0x3e928af3
	s_mov_b32 s1, 0x3e5ade15
	v_mov_b32_e32 v79, 0x7ff00000
	v_rndne_f64_e32 v[55:56], v[55:56]
	v_fma_f64 v[59:60], v[55:56], s[38:39], v[53:54]
	s_mov_b32 s39, 0x3fe62e42
	v_fma_f64 v[59:60], v[55:56], s[40:41], v[59:60]
	v_cvt_i32_f64_e32 v55, v[55:56]
	s_mov_b32 s41, 0x3c7abc9e
	v_fma_f64 v[61:62], v[59:60], s[0:1], v[61:62]
	s_mov_b32 s0, 0x623fde64
	s_mov_b32 s1, 0x3ec71dee
	v_fma_f64 v[61:62], v[59:60], v[61:62], s[0:1]
	s_mov_b32 s0, 0x7c89e6b0
	;; [unrolled: 3-line block ×9, first 2 shown]
	s_mov_b32 s1, 0x40900000
	v_cmp_nlt_f64_e64 s[4:5], s[0:1], v[53:54]
	s_mov_b32 s0, 0
	s_mov_b32 s1, 0xc090cc00
	v_cmp_ngt_f64_e64 s[26:27], s[0:1], v[53:54]
	s_mov_b32 s0, 0xbf559e2b
	v_fma_f64 v[61:62], v[59:60], v[61:62], 1.0
	s_mov_b32 s1, 0x3fc3ab76
	v_fma_f64 v[59:60], v[59:60], v[61:62], 1.0
	v_ldexp_f64 v[55:56], v[59:60], v55
	v_cndmask_b32_e64 v56, v79, v56, s[4:5]
	s_and_b64 s[4:5], s[26:27], s[4:5]
	v_cndmask_b32_e64 v53, 0, v55, s[4:5]
	v_cndmask_b32_e64 v54, 0, v56, s[26:27]
	v_add_f64 v[55:56], v[53:54], 1.0
	s_mov_b32 s27, 0x3fe55555
	s_mov_b32 s26, 0x55555555
	v_add_f64 v[59:60], v[55:56], -1.0
	v_frexp_exp_i32_f64_e32 v63, v[55:56]
	v_add_f64 v[61:62], v[59:60], -v[55:56]
	v_add_f64 v[59:60], v[53:54], -v[59:60]
	v_add_f64 v[61:62], v[61:62], 1.0
	v_add_f64 v[59:60], v[59:60], v[61:62]
	v_frexp_mant_f64_e32 v[61:62], v[55:56]
	v_cmp_gt_f64_e64 s[4:5], s[26:27], v[61:62]
	s_mov_b32 s26, 0x55555780
	v_subbrev_co_u32_e64 v80, s[4:5], 0, v63, s[4:5]
	v_sub_u32_e32 v61, 0, v80
	v_ldexp_f64 v[55:56], v[55:56], v61
	v_ldexp_f64 v[59:60], v[59:60], v61
	v_add_f64 v[61:62], v[55:56], -1.0
	v_add_f64 v[63:64], v[61:62], 1.0
	v_add_f64 v[63:64], v[55:56], -v[63:64]
	v_add_f64 v[63:64], v[59:60], v[63:64]
	v_add_f64 v[67:68], v[61:62], v[63:64]
	v_add_f64 v[61:62], v[67:68], -v[61:62]
	v_add_f64 v[61:62], v[63:64], -v[61:62]
	v_add_f64 v[63:64], v[55:56], 1.0
	v_add_f64 v[69:70], v[63:64], -1.0
	v_add_f64 v[55:56], v[55:56], -v[69:70]
	v_add_f64 v[55:56], v[59:60], v[55:56]
	v_add_f64 v[59:60], v[63:64], v[55:56]
	v_add_f64 v[63:64], v[59:60], -v[63:64]
	v_add_f64 v[55:56], v[55:56], -v[63:64]
	v_rcp_f64_e32 v[63:64], v[59:60]
	v_fma_f64 v[69:70], -v[59:60], v[63:64], 1.0
	v_fma_f64 v[63:64], v[69:70], v[63:64], v[63:64]
	v_fma_f64 v[69:70], -v[59:60], v[63:64], 1.0
	v_fma_f64 v[63:64], v[69:70], v[63:64], v[63:64]
	v_mul_f64 v[69:70], v[67:68], v[63:64]
	v_mul_f64 v[71:72], v[59:60], v[69:70]
	v_fma_f64 v[73:74], v[69:70], v[59:60], -v[71:72]
	v_fma_f64 v[73:74], v[69:70], v[55:56], v[73:74]
	v_add_f64 v[75:76], v[71:72], v[73:74]
	v_add_f64 v[77:78], v[67:68], -v[75:76]
	v_add_f64 v[71:72], v[75:76], -v[71:72]
	;; [unrolled: 1-line block ×4, first 2 shown]
	v_add_f64 v[61:62], v[61:62], v[67:68]
	v_add_f64 v[67:68], v[71:72], -v[73:74]
	v_add_f64 v[61:62], v[67:68], v[61:62]
	v_add_f64 v[67:68], v[77:78], v[61:62]
	v_add_f64 v[71:72], v[77:78], -v[67:68]
	v_add_f64 v[61:62], v[61:62], v[71:72]
	v_mul_f64 v[71:72], v[63:64], v[67:68]
	v_mul_f64 v[73:74], v[59:60], v[71:72]
	v_fma_f64 v[59:60], v[71:72], v[59:60], -v[73:74]
	v_fma_f64 v[55:56], v[71:72], v[55:56], v[59:60]
	v_add_f64 v[59:60], v[73:74], v[55:56]
	v_add_f64 v[75:76], v[67:68], -v[59:60]
	v_add_f64 v[73:74], v[59:60], -v[73:74]
	;; [unrolled: 1-line block ×5, first 2 shown]
	v_cvt_f64_i32_e32 v[67:68], v80
	v_add_f64 v[59:60], v[61:62], v[59:60]
	v_add_f64 v[55:56], v[55:56], v[59:60]
	;; [unrolled: 1-line block ×4, first 2 shown]
	v_add_f64 v[61:62], v[59:60], -v[69:70]
	v_mul_f64 v[69:70], v[67:68], s[38:39]
	v_mul_f64 v[55:56], v[63:64], v[55:56]
	v_add_f64 v[61:62], v[71:72], -v[61:62]
	v_mov_b32_e32 v63, 0x6b47b09a
	v_mov_b32_e32 v64, 0x3fc38538
	v_fma_f64 v[71:72], v[67:68], s[38:39], -v[69:70]
	v_add_f64 v[55:56], v[61:62], v[55:56]
	v_fma_f64 v[67:68], v[67:68], s[40:41], v[71:72]
	v_add_f64 v[61:62], v[59:60], v[55:56]
	v_add_f64 v[71:72], v[69:70], v[67:68]
	v_add_f64 v[59:60], v[61:62], -v[59:60]
	v_add_f64 v[69:70], v[71:72], -v[69:70]
	;; [unrolled: 1-line block ×3, first 2 shown]
	v_mul_f64 v[59:60], v[61:62], v[61:62]
	v_add_f64 v[67:68], v[67:68], -v[69:70]
	v_ldexp_f64 v[69:70], v[61:62], 1
	v_ldexp_f64 v[55:56], v[55:56], 1
	v_fma_f64 v[63:64], v[59:60], s[0:1], v[63:64]
	s_mov_b32 s0, 0xd7f4df2e
	s_mov_b32 s1, 0x3fc7474d
	v_fma_f64 v[63:64], v[59:60], v[63:64], s[0:1]
	s_mov_b32 s0, 0x16291751
	s_mov_b32 s1, 0x3fcc71c0
	;; [unrolled: 3-line block ×5, first 2 shown]
	v_cmp_neq_f64_e64 s[4:5], s[0:1], v[53:54]
	v_fma_f64 v[63:64], v[59:60], v[63:64], s[26:27]
	v_mul_f64 v[59:60], v[61:62], v[59:60]
	v_cmp_ngt_f64_e64 s[26:27], -1.0, v[53:54]
	v_mul_f64 v[59:60], v[59:60], v[63:64]
	v_add_f64 v[61:62], v[69:70], v[59:60]
	v_add_f64 v[63:64], v[61:62], -v[69:70]
	v_add_f64 v[59:60], v[59:60], -v[63:64]
	v_add_f64 v[55:56], v[55:56], v[59:60]
	v_add_f64 v[59:60], v[61:62], v[55:56]
	v_add_f64 v[61:62], v[59:60], -v[61:62]
	v_add_f64 v[55:56], v[55:56], -v[61:62]
	v_add_f64 v[61:62], v[71:72], v[59:60]
	v_add_f64 v[63:64], v[61:62], -v[71:72]
	v_add_f64 v[69:70], v[61:62], -v[63:64]
	;; [unrolled: 1-line block ×3, first 2 shown]
	v_add_f64 v[63:64], v[67:68], v[55:56]
	v_add_f64 v[69:70], v[71:72], -v[69:70]
	v_add_f64 v[59:60], v[59:60], v[69:70]
	v_add_f64 v[69:70], v[63:64], -v[67:68]
	;; [unrolled: 2-line block ×3, first 2 shown]
	v_add_f64 v[55:56], v[55:56], -v[69:70]
	v_add_f64 v[63:64], v[61:62], v[59:60]
	v_add_f64 v[67:68], v[67:68], -v[71:72]
	v_add_f64 v[61:62], v[63:64], -v[61:62]
	v_add_f64 v[55:56], v[55:56], v[67:68]
	v_add_f64 v[59:60], v[59:60], -v[61:62]
	v_add_f64 v[55:56], v[55:56], v[59:60]
	v_mov_b32_e32 v59, 0x7ff80000
	v_add_f64 v[55:56], v[63:64], v[55:56]
	v_cndmask_b32_e64 v56, v79, v56, s[4:5]
	v_cndmask_b32_e64 v56, v59, v56, s[26:27]
	v_cmp_nge_f64_e64 s[26:27], -1.0, v[53:54]
	s_and_b64 s[4:5], s[26:27], s[4:5]
	v_cndmask_b32_e64 v55, 0, v55, s[4:5]
	v_cmp_neq_f64_e64 s[4:5], -1.0, v[53:54]
	v_mov_b32_e32 v53, 0xfff00000
	v_cndmask_b32_e64 v56, v53, v56, s[4:5]
	v_add_f64 v[53:54], v[23:24], v[55:56]
.LBB70_226:
	s_or_b64 exec, exec, s[36:37]
	v_mov_b32_e32 v23, v53
	v_mov_b32_e32 v24, v54
.LBB70_227:
	s_or_b64 exec, exec, s[34:35]
	v_add_u32_e32 v53, -1, v58
	v_and_b32_e32 v54, 64, v58
	v_cmp_lt_i32_e64 s[4:5], v53, v54
	v_cndmask_b32_e64 v53, v53, v58, s[4:5]
	v_lshlrev_b32_e32 v53, 2, v53
	ds_bpermute_b32 v23, v53, v23
	ds_bpermute_b32 v24, v53, v24
	s_movk_i32 s0, 0x1f8
	s_waitcnt lgkmcnt(0)
	v_max_f64 v[53:54], v[23:24], v[23:24]
	v_cmp_u_f64_e64 s[4:5], v[23:24], v[23:24]
	v_min_f64 v[55:56], v[53:54], v[51:52]
	v_max_f64 v[51:52], v[53:54], v[51:52]
	v_cndmask_b32_e64 v53, v55, v23, s[4:5]
	v_cndmask_b32_e64 v54, v56, v24, s[4:5]
	;; [unrolled: 1-line block ×8, first 2 shown]
	v_cmp_neq_f64_e64 s[4:5], v[51:52], v[21:22]
	v_cmp_class_f64_e64 s[24:25], v[51:52], s0
	s_or_b64 s[4:5], s[4:5], s[24:25]
	s_and_saveexec_b64 s[26:27], s[4:5]
	s_cbranch_execz .LBB70_229
; %bb.228:
	v_add_f64 v[23:24], v[51:52], -v[21:22]
	s_mov_b32 s4, 0x652b82fe
	s_mov_b32 s5, 0x3ff71547
	;; [unrolled: 1-line block ×6, first 2 shown]
	v_mov_b32_e32 v55, 0xfca7ab0c
	v_mul_f64 v[51:52], v[23:24], s[4:5]
	s_mov_b32 s4, 0x6a5dcb37
	v_mov_b32_e32 v56, 0x3e928af3
	s_mov_b32 s5, 0x3e5ade15
	s_mov_b32 s24, 0
	;; [unrolled: 1-line block ×3, first 2 shown]
	v_cmp_ngt_f64_e64 s[24:25], s[24:25], v[23:24]
	v_mov_b32_e32 v64, 0x7ff00000
	v_rndne_f64_e32 v[51:52], v[51:52]
	v_fma_f64 v[53:54], v[51:52], s[34:35], v[23:24]
	s_mov_b32 s35, 0x3fe62e42
	v_fma_f64 v[53:54], v[51:52], s[36:37], v[53:54]
	v_cvt_i32_f64_e32 v51, v[51:52]
	s_mov_b32 s37, 0x3c7abc9e
	v_fma_f64 v[55:56], v[53:54], s[4:5], v[55:56]
	s_mov_b32 s4, 0x623fde64
	s_mov_b32 s5, 0x3ec71dee
	v_fma_f64 v[55:56], v[53:54], v[55:56], s[4:5]
	s_mov_b32 s4, 0x7c89e6b0
	;; [unrolled: 3-line block ×9, first 2 shown]
	s_mov_b32 s5, 0x40900000
	v_cmp_nlt_f64_e64 s[4:5], s[4:5], v[23:24]
	v_fma_f64 v[55:56], v[53:54], v[55:56], 1.0
	v_fma_f64 v[53:54], v[53:54], v[55:56], 1.0
	v_ldexp_f64 v[51:52], v[53:54], v51
	v_cndmask_b32_e64 v52, v64, v52, s[4:5]
	s_and_b64 s[4:5], s[24:25], s[4:5]
	v_cndmask_b32_e64 v24, 0, v52, s[24:25]
	v_cndmask_b32_e64 v23, 0, v51, s[4:5]
	v_add_f64 v[51:52], v[23:24], 1.0
	s_mov_b32 s25, 0x3fe55555
	s_mov_b32 s24, 0x55555555
	v_frexp_mant_f64_e32 v[55:56], v[51:52]
	v_frexp_exp_i32_f64_e32 v60, v[51:52]
	v_add_f64 v[53:54], v[51:52], -1.0
	v_cmp_gt_f64_e64 s[4:5], s[24:25], v[55:56]
	s_mov_b32 s24, 0x55555780
	v_add_f64 v[58:59], v[53:54], -v[51:52]
	v_add_f64 v[53:54], v[23:24], -v[53:54]
	v_subbrev_co_u32_e64 v77, s[4:5], 0, v60, s[4:5]
	v_sub_u32_e32 v60, 0, v77
	v_ldexp_f64 v[51:52], v[51:52], v60
	v_add_f64 v[55:56], v[58:59], 1.0
	s_mov_b32 s4, 0xbf559e2b
	s_mov_b32 s5, 0x3fc3ab76
	v_add_f64 v[58:59], v[51:52], 1.0
	v_add_f64 v[53:54], v[53:54], v[55:56]
	v_add_f64 v[67:68], v[51:52], -1.0
	v_add_f64 v[55:56], v[58:59], -1.0
	v_ldexp_f64 v[53:54], v[53:54], v60
	v_add_f64 v[69:70], v[67:68], 1.0
	v_add_f64 v[55:56], v[51:52], -v[55:56]
	v_add_f64 v[51:52], v[51:52], -v[69:70]
	v_add_f64 v[55:56], v[53:54], v[55:56]
	v_add_f64 v[51:52], v[53:54], v[51:52]
	;; [unrolled: 1-line block ×4, first 2 shown]
	v_rcp_f64_e32 v[62:63], v[60:61]
	v_add_f64 v[58:59], v[60:61], -v[58:59]
	v_add_f64 v[67:68], v[69:70], -v[67:68]
	;; [unrolled: 1-line block ×4, first 2 shown]
	v_fma_f64 v[71:72], -v[60:61], v[62:63], 1.0
	v_fma_f64 v[62:63], v[71:72], v[62:63], v[62:63]
	v_fma_f64 v[53:54], -v[60:61], v[62:63], 1.0
	v_fma_f64 v[53:54], v[53:54], v[62:63], v[62:63]
	v_mul_f64 v[62:63], v[69:70], v[53:54]
	v_mul_f64 v[71:72], v[60:61], v[62:63]
	v_fma_f64 v[58:59], v[62:63], v[60:61], -v[71:72]
	v_fma_f64 v[58:59], v[62:63], v[55:56], v[58:59]
	v_add_f64 v[73:74], v[71:72], v[58:59]
	v_add_f64 v[75:76], v[69:70], -v[73:74]
	v_add_f64 v[67:68], v[73:74], -v[71:72]
	;; [unrolled: 1-line block ×5, first 2 shown]
	v_add_f64 v[51:52], v[51:52], v[69:70]
	v_add_f64 v[51:52], v[58:59], v[51:52]
	;; [unrolled: 1-line block ×3, first 2 shown]
	v_mul_f64 v[67:68], v[53:54], v[58:59]
	v_add_f64 v[73:74], v[75:76], -v[58:59]
	v_mul_f64 v[69:70], v[60:61], v[67:68]
	v_add_f64 v[51:52], v[51:52], v[73:74]
	v_fma_f64 v[60:61], v[67:68], v[60:61], -v[69:70]
	v_fma_f64 v[55:56], v[67:68], v[55:56], v[60:61]
	v_add_f64 v[60:61], v[69:70], v[55:56]
	v_add_f64 v[71:72], v[58:59], -v[60:61]
	v_add_f64 v[69:70], v[60:61], -v[69:70]
	;; [unrolled: 1-line block ×5, first 2 shown]
	v_mov_b32_e32 v60, 0x6b47b09a
	v_mov_b32_e32 v61, 0x3fc38538
	v_add_f64 v[51:52], v[51:52], v[58:59]
	v_add_f64 v[58:59], v[62:63], v[67:68]
	;; [unrolled: 1-line block ×3, first 2 shown]
	v_add_f64 v[55:56], v[58:59], -v[62:63]
	v_add_f64 v[51:52], v[71:72], v[51:52]
	v_add_f64 v[55:56], v[67:68], -v[55:56]
	v_mul_f64 v[51:52], v[53:54], v[51:52]
	v_add_f64 v[51:52], v[55:56], v[51:52]
	v_add_f64 v[53:54], v[58:59], v[51:52]
	v_mul_f64 v[55:56], v[53:54], v[53:54]
	v_fma_f64 v[60:61], v[55:56], s[4:5], v[60:61]
	s_mov_b32 s4, 0xd7f4df2e
	s_mov_b32 s5, 0x3fc7474d
	v_mul_f64 v[62:63], v[53:54], v[55:56]
	v_fma_f64 v[60:61], v[55:56], v[60:61], s[4:5]
	s_mov_b32 s4, 0x16291751
	s_mov_b32 s5, 0x3fcc71c0
	v_fma_f64 v[60:61], v[55:56], v[60:61], s[4:5]
	s_mov_b32 s4, 0x9b27acf1
	s_mov_b32 s5, 0x3fd24924
	;; [unrolled: 3-line block ×3, first 2 shown]
	v_fma_f64 v[60:61], v[55:56], v[60:61], s[4:5]
	v_cmp_nge_f64_e64 s[4:5], -1.0, v[23:24]
	v_fma_f64 v[55:56], v[55:56], v[60:61], s[24:25]
	v_ldexp_f64 v[60:61], v[53:54], 1
	v_add_f64 v[53:54], v[53:54], -v[58:59]
	s_mov_b32 s24, 0
	s_mov_b32 s25, 0x7ff00000
	v_cmp_neq_f64_e64 s[24:25], s[24:25], v[23:24]
	v_mul_f64 v[55:56], v[62:63], v[55:56]
	v_cvt_f64_i32_e32 v[62:63], v77
	v_add_f64 v[51:52], v[51:52], -v[53:54]
	v_mul_f64 v[67:68], v[62:63], s[34:35]
	s_and_b64 s[4:5], s[4:5], s[24:25]
	v_add_f64 v[58:59], v[60:61], v[55:56]
	v_ldexp_f64 v[51:52], v[51:52], 1
	v_add_f64 v[53:54], v[58:59], -v[60:61]
	v_fma_f64 v[60:61], v[62:63], s[34:35], -v[67:68]
	v_add_f64 v[53:54], v[55:56], -v[53:54]
	v_fma_f64 v[55:56], v[62:63], s[36:37], v[60:61]
	v_add_f64 v[51:52], v[51:52], v[53:54]
	v_add_f64 v[53:54], v[67:68], v[55:56]
	v_add_f64 v[60:61], v[58:59], v[51:52]
	v_add_f64 v[67:68], v[53:54], -v[67:68]
	v_add_f64 v[62:63], v[53:54], v[60:61]
	v_add_f64 v[58:59], v[60:61], -v[58:59]
	v_add_f64 v[55:56], v[55:56], -v[67:68]
	;; [unrolled: 1-line block ×6, first 2 shown]
	v_add_f64 v[60:61], v[55:56], v[51:52]
	v_add_f64 v[53:54], v[53:54], -v[71:72]
	v_add_f64 v[53:54], v[58:59], v[53:54]
	v_add_f64 v[58:59], v[60:61], -v[55:56]
	;; [unrolled: 2-line block ×3, first 2 shown]
	v_add_f64 v[51:52], v[51:52], -v[58:59]
	v_add_f64 v[67:68], v[62:63], v[53:54]
	v_add_f64 v[55:56], v[55:56], -v[60:61]
	v_add_f64 v[58:59], v[67:68], -v[62:63]
	v_add_f64 v[51:52], v[51:52], v[55:56]
	v_add_f64 v[53:54], v[53:54], -v[58:59]
	v_add_f64 v[51:52], v[51:52], v[53:54]
	v_mov_b32_e32 v53, 0x7ff80000
	v_mov_b32_e32 v54, 0xfff00000
	v_add_f64 v[51:52], v[67:68], v[51:52]
	v_cndmask_b32_e64 v51, 0, v51, s[4:5]
	v_cmp_ngt_f64_e64 s[4:5], -1.0, v[23:24]
	v_cndmask_b32_e64 v52, v64, v52, s[24:25]
	v_cndmask_b32_e64 v52, v53, v52, s[4:5]
	v_cmp_neq_f64_e64 s[4:5], -1.0, v[23:24]
	v_cndmask_b32_e64 v52, v54, v52, s[4:5]
	v_add_f64 v[23:24], v[21:22], v[51:52]
.LBB70_229:
	s_or_b64 exec, exec, s[26:27]
	v_cndmask_b32_e64 v24, v24, v50, s[28:29]
	v_cndmask_b32_e64 v23, v23, v49, s[28:29]
	; wave barrier
	ds_write_b64 v57, v[23:24]
	; wave barrier
	ds_read_b64 v[21:22], v57 offset:8
	v_max_f64 v[49:50], v[23:24], v[23:24]
	v_cmp_u_f64_e64 s[4:5], v[23:24], v[23:24]
	s_waitcnt lgkmcnt(0)
	v_max_f64 v[51:52], v[21:22], v[21:22]
	v_cmp_u_f64_e64 s[24:25], v[21:22], v[21:22]
	v_min_f64 v[53:54], v[49:50], v[51:52]
	v_max_f64 v[49:50], v[49:50], v[51:52]
	v_cndmask_b32_e64 v51, v53, v23, s[4:5]
	v_cndmask_b32_e64 v52, v54, v24, s[4:5]
	;; [unrolled: 1-line block ×8, first 2 shown]
	v_cmp_neq_f64_e64 s[4:5], v[49:50], v[21:22]
	v_cmp_class_f64_e64 s[0:1], v[49:50], s0
	s_or_b64 s[0:1], s[4:5], s[0:1]
	s_and_saveexec_b64 s[26:27], s[0:1]
	s_cbranch_execz .LBB70_231
; %bb.230:
	v_add_f64 v[23:24], v[49:50], -v[21:22]
	s_mov_b32 s0, 0x652b82fe
	s_mov_b32 s1, 0x3ff71547
	;; [unrolled: 1-line block ×6, first 2 shown]
	v_mov_b32_e32 v53, 0xfca7ab0c
	v_mul_f64 v[49:50], v[23:24], s[0:1]
	s_mov_b32 s0, 0x6a5dcb37
	v_mov_b32_e32 v54, 0x3e928af3
	s_mov_b32 s1, 0x3e5ade15
	s_mov_b32 s24, 0
	;; [unrolled: 1-line block ×3, first 2 shown]
	v_cmp_ngt_f64_e64 s[24:25], s[24:25], v[23:24]
	v_mov_b32_e32 v64, 0x7ff00000
	v_rndne_f64_e32 v[49:50], v[49:50]
	v_fma_f64 v[51:52], v[49:50], s[28:29], v[23:24]
	s_mov_b32 s29, 0x3fe62e42
	v_fma_f64 v[51:52], v[49:50], s[34:35], v[51:52]
	v_cvt_i32_f64_e32 v49, v[49:50]
	s_mov_b32 s35, 0x3c7abc9e
	v_fma_f64 v[53:54], v[51:52], s[0:1], v[53:54]
	s_mov_b32 s0, 0x623fde64
	s_mov_b32 s1, 0x3ec71dee
	v_fma_f64 v[53:54], v[51:52], v[53:54], s[0:1]
	s_mov_b32 s0, 0x7c89e6b0
	;; [unrolled: 3-line block ×9, first 2 shown]
	s_mov_b32 s1, 0x40900000
	v_cmp_nlt_f64_e64 s[4:5], s[0:1], v[23:24]
	s_mov_b32 s0, 0xbf559e2b
	s_mov_b32 s1, 0x3fc3ab76
	v_fma_f64 v[53:54], v[51:52], v[53:54], 1.0
	v_fma_f64 v[51:52], v[51:52], v[53:54], 1.0
	v_ldexp_f64 v[49:50], v[51:52], v49
	v_cndmask_b32_e64 v50, v64, v50, s[4:5]
	s_and_b64 s[4:5], s[24:25], s[4:5]
	v_cndmask_b32_e64 v24, 0, v50, s[24:25]
	v_cndmask_b32_e64 v23, 0, v49, s[4:5]
	v_add_f64 v[49:50], v[23:24], 1.0
	s_mov_b32 s25, 0x3fe55555
	s_mov_b32 s24, 0x55555555
	v_frexp_mant_f64_e32 v[53:54], v[49:50]
	v_frexp_exp_i32_f64_e32 v58, v[49:50]
	v_add_f64 v[51:52], v[49:50], -1.0
	v_cmp_gt_f64_e64 s[4:5], s[24:25], v[53:54]
	s_mov_b32 s24, 0x55555780
	v_add_f64 v[55:56], v[51:52], -v[49:50]
	v_add_f64 v[51:52], v[23:24], -v[51:52]
	v_subbrev_co_u32_e64 v75, s[4:5], 0, v58, s[4:5]
	v_sub_u32_e32 v58, 0, v75
	v_ldexp_f64 v[49:50], v[49:50], v58
	v_add_f64 v[53:54], v[55:56], 1.0
	v_cmp_nge_f64_e64 s[4:5], -1.0, v[23:24]
	v_add_f64 v[55:56], v[49:50], 1.0
	v_add_f64 v[51:52], v[51:52], v[53:54]
	v_add_f64 v[62:63], v[49:50], -1.0
	v_add_f64 v[53:54], v[55:56], -1.0
	v_ldexp_f64 v[51:52], v[51:52], v58
	v_add_f64 v[67:68], v[62:63], 1.0
	v_add_f64 v[53:54], v[49:50], -v[53:54]
	v_add_f64 v[49:50], v[49:50], -v[67:68]
	v_add_f64 v[53:54], v[51:52], v[53:54]
	v_add_f64 v[49:50], v[51:52], v[49:50]
	;; [unrolled: 1-line block ×4, first 2 shown]
	v_rcp_f64_e32 v[60:61], v[58:59]
	v_add_f64 v[55:56], v[58:59], -v[55:56]
	v_add_f64 v[62:63], v[67:68], -v[62:63]
	;; [unrolled: 1-line block ×4, first 2 shown]
	v_fma_f64 v[69:70], -v[58:59], v[60:61], 1.0
	v_fma_f64 v[60:61], v[69:70], v[60:61], v[60:61]
	v_fma_f64 v[51:52], -v[58:59], v[60:61], 1.0
	v_fma_f64 v[51:52], v[51:52], v[60:61], v[60:61]
	v_mul_f64 v[60:61], v[67:68], v[51:52]
	v_mul_f64 v[69:70], v[58:59], v[60:61]
	v_fma_f64 v[55:56], v[60:61], v[58:59], -v[69:70]
	v_fma_f64 v[55:56], v[60:61], v[53:54], v[55:56]
	v_add_f64 v[71:72], v[69:70], v[55:56]
	v_add_f64 v[73:74], v[67:68], -v[71:72]
	v_add_f64 v[62:63], v[71:72], -v[69:70]
	;; [unrolled: 1-line block ×5, first 2 shown]
	v_add_f64 v[49:50], v[49:50], v[67:68]
	v_add_f64 v[49:50], v[55:56], v[49:50]
	;; [unrolled: 1-line block ×3, first 2 shown]
	v_mul_f64 v[62:63], v[51:52], v[55:56]
	v_add_f64 v[71:72], v[73:74], -v[55:56]
	v_mul_f64 v[67:68], v[58:59], v[62:63]
	v_add_f64 v[49:50], v[49:50], v[71:72]
	v_fma_f64 v[58:59], v[62:63], v[58:59], -v[67:68]
	v_fma_f64 v[53:54], v[62:63], v[53:54], v[58:59]
	v_add_f64 v[58:59], v[67:68], v[53:54]
	v_add_f64 v[69:70], v[55:56], -v[58:59]
	v_add_f64 v[67:68], v[58:59], -v[67:68]
	v_add_f64 v[55:56], v[55:56], -v[69:70]
	v_add_f64 v[53:54], v[67:68], -v[53:54]
	v_add_f64 v[55:56], v[55:56], -v[58:59]
	v_mov_b32_e32 v58, 0x6b47b09a
	v_mov_b32_e32 v59, 0x3fc38538
	v_add_f64 v[49:50], v[49:50], v[55:56]
	v_add_f64 v[55:56], v[60:61], v[62:63]
	;; [unrolled: 1-line block ×3, first 2 shown]
	v_add_f64 v[53:54], v[55:56], -v[60:61]
	v_add_f64 v[49:50], v[69:70], v[49:50]
	v_add_f64 v[53:54], v[62:63], -v[53:54]
	v_mul_f64 v[49:50], v[51:52], v[49:50]
	v_add_f64 v[49:50], v[53:54], v[49:50]
	v_add_f64 v[51:52], v[55:56], v[49:50]
	v_mul_f64 v[53:54], v[51:52], v[51:52]
	v_fma_f64 v[58:59], v[53:54], s[0:1], v[58:59]
	s_mov_b32 s0, 0xd7f4df2e
	s_mov_b32 s1, 0x3fc7474d
	v_mul_f64 v[60:61], v[51:52], v[53:54]
	v_fma_f64 v[58:59], v[53:54], v[58:59], s[0:1]
	s_mov_b32 s0, 0x16291751
	s_mov_b32 s1, 0x3fcc71c0
	v_fma_f64 v[58:59], v[53:54], v[58:59], s[0:1]
	s_mov_b32 s0, 0x9b27acf1
	s_mov_b32 s1, 0x3fd24924
	;; [unrolled: 3-line block ×4, first 2 shown]
	v_fma_f64 v[53:54], v[53:54], v[58:59], s[24:25]
	v_ldexp_f64 v[58:59], v[51:52], 1
	v_add_f64 v[51:52], v[51:52], -v[55:56]
	v_cmp_neq_f64_e64 s[24:25], s[0:1], v[23:24]
	v_mul_f64 v[53:54], v[60:61], v[53:54]
	v_cvt_f64_i32_e32 v[60:61], v75
	v_add_f64 v[49:50], v[49:50], -v[51:52]
	s_and_b64 s[4:5], s[4:5], s[24:25]
	v_mul_f64 v[62:63], v[60:61], s[28:29]
	v_add_f64 v[55:56], v[58:59], v[53:54]
	v_ldexp_f64 v[49:50], v[49:50], 1
	v_add_f64 v[51:52], v[55:56], -v[58:59]
	v_fma_f64 v[58:59], v[60:61], s[28:29], -v[62:63]
	v_add_f64 v[51:52], v[53:54], -v[51:52]
	v_fma_f64 v[53:54], v[60:61], s[34:35], v[58:59]
	v_add_f64 v[49:50], v[49:50], v[51:52]
	v_add_f64 v[51:52], v[62:63], v[53:54]
	;; [unrolled: 1-line block ×3, first 2 shown]
	v_add_f64 v[62:63], v[51:52], -v[62:63]
	v_add_f64 v[60:61], v[51:52], v[58:59]
	v_add_f64 v[55:56], v[58:59], -v[55:56]
	v_add_f64 v[53:54], v[53:54], -v[62:63]
	;; [unrolled: 1-line block ×6, first 2 shown]
	v_add_f64 v[58:59], v[53:54], v[49:50]
	v_add_f64 v[51:52], v[51:52], -v[69:70]
	v_add_f64 v[51:52], v[55:56], v[51:52]
	v_add_f64 v[55:56], v[58:59], -v[53:54]
	;; [unrolled: 2-line block ×3, first 2 shown]
	v_add_f64 v[49:50], v[49:50], -v[55:56]
	v_add_f64 v[62:63], v[60:61], v[51:52]
	v_add_f64 v[53:54], v[53:54], -v[58:59]
	v_add_f64 v[55:56], v[62:63], -v[60:61]
	v_add_f64 v[49:50], v[49:50], v[53:54]
	v_add_f64 v[51:52], v[51:52], -v[55:56]
	v_add_f64 v[49:50], v[49:50], v[51:52]
	v_mov_b32_e32 v51, 0x7ff80000
	v_mov_b32_e32 v52, 0xfff00000
	v_add_f64 v[49:50], v[62:63], v[49:50]
	v_cndmask_b32_e64 v49, 0, v49, s[4:5]
	v_cmp_ngt_f64_e64 s[4:5], -1.0, v[23:24]
	v_cndmask_b32_e64 v50, v64, v50, s[24:25]
	v_cndmask_b32_e64 v50, v51, v50, s[4:5]
	v_cmp_neq_f64_e64 s[4:5], -1.0, v[23:24]
	v_cndmask_b32_e64 v50, v52, v50, s[4:5]
	v_add_f64 v[23:24], v[21:22], v[49:50]
.LBB70_231:
	s_or_b64 exec, exec, s[26:27]
	ds_write_b64 v57, v[23:24] offset:8
.LBB70_232:
	s_or_b64 exec, exec, s[30:31]
	s_waitcnt lgkmcnt(0)
	s_barrier
	s_and_saveexec_b64 s[24:25], s[2:3]
	s_cbranch_execz .LBB70_236
; %bb.233:
	v_add_u32_e32 v21, -1, v0
	v_lshrrev_b32_e32 v22, 2, v21
	v_and_b32_e32 v22, 0x3ffffff8, v22
	v_lshl_add_u32 v21, v21, 3, v22
	ds_read_b64 v[21:22], v21
	s_movk_i32 s0, 0x1f8
	s_waitcnt lgkmcnt(0)
	v_max_f64 v[23:24], v[21:22], v[21:22]
	v_cmp_u_f64_e64 s[2:3], v[21:22], v[21:22]
	v_min_f64 v[43:44], v[23:24], v[45:46]
	v_max_f64 v[23:24], v[23:24], v[45:46]
	v_cndmask_b32_e64 v43, v43, v21, s[2:3]
	v_cndmask_b32_e64 v44, v44, v22, s[2:3]
	;; [unrolled: 1-line block ×8, first 2 shown]
	v_cmp_neq_f64_e64 s[2:3], v[23:24], v[1:2]
	v_cmp_class_f64_e64 s[0:1], v[23:24], s0
	s_or_b64 s[0:1], s[2:3], s[0:1]
	s_and_saveexec_b64 s[22:23], s[0:1]
	s_cbranch_execz .LBB70_235
; %bb.234:
	v_add_f64 v[21:22], v[23:24], -v[1:2]
	s_mov_b32 s0, 0x652b82fe
	s_mov_b32 s1, 0x3ff71547
	;; [unrolled: 1-line block ×6, first 2 shown]
	v_mov_b32_e32 v45, 0xfca7ab0c
	v_mul_f64 v[23:24], v[21:22], s[0:1]
	s_mov_b32 s0, 0x6a5dcb37
	v_mov_b32_e32 v46, 0x3e928af3
	s_mov_b32 s1, 0x3e5ade15
	s_mov_b32 s4, 0
	;; [unrolled: 1-line block ×3, first 2 shown]
	v_cmp_ngt_f64_e64 s[4:5], s[4:5], v[21:22]
	v_mov_b32_e32 v63, 0x7ff00000
	v_rndne_f64_e32 v[23:24], v[23:24]
	v_fma_f64 v[43:44], v[23:24], s[26:27], v[21:22]
	s_mov_b32 s27, 0x3fe62e42
	v_fma_f64 v[43:44], v[23:24], s[28:29], v[43:44]
	v_cvt_i32_f64_e32 v23, v[23:24]
	s_mov_b32 s29, 0x3c7abc9e
	v_fma_f64 v[45:46], v[43:44], s[0:1], v[45:46]
	s_mov_b32 s0, 0x623fde64
	s_mov_b32 s1, 0x3ec71dee
	v_fma_f64 v[45:46], v[43:44], v[45:46], s[0:1]
	s_mov_b32 s0, 0x7c89e6b0
	;; [unrolled: 3-line block ×9, first 2 shown]
	s_mov_b32 s1, 0x40900000
	v_cmp_nlt_f64_e64 s[2:3], s[0:1], v[21:22]
	s_mov_b32 s0, 0xbf559e2b
	s_mov_b32 s1, 0x3fc3ab76
	v_fma_f64 v[45:46], v[43:44], v[45:46], 1.0
	v_fma_f64 v[43:44], v[43:44], v[45:46], 1.0
	v_ldexp_f64 v[23:24], v[43:44], v23
	v_cndmask_b32_e64 v24, v63, v24, s[2:3]
	s_and_b64 s[2:3], s[4:5], s[2:3]
	v_cndmask_b32_e64 v22, 0, v24, s[4:5]
	v_cndmask_b32_e64 v21, 0, v23, s[2:3]
	v_add_f64 v[23:24], v[21:22], 1.0
	s_mov_b32 s5, 0x3fe55555
	s_mov_b32 s4, 0x55555555
	v_frexp_mant_f64_e32 v[45:46], v[23:24]
	v_frexp_exp_i32_f64_e32 v49, v[23:24]
	v_add_f64 v[43:44], v[23:24], -1.0
	v_cmp_gt_f64_e64 s[2:3], s[4:5], v[45:46]
	s_mov_b32 s4, 0x55555780
	v_add_f64 v[47:48], v[43:44], -v[23:24]
	v_add_f64 v[43:44], v[21:22], -v[43:44]
	v_subbrev_co_u32_e64 v64, s[2:3], 0, v49, s[2:3]
	v_sub_u32_e32 v49, 0, v64
	v_ldexp_f64 v[23:24], v[23:24], v49
	v_add_f64 v[45:46], v[47:48], 1.0
	v_cmp_nge_f64_e64 s[2:3], -1.0, v[21:22]
	v_add_f64 v[47:48], v[23:24], 1.0
	v_add_f64 v[43:44], v[43:44], v[45:46]
	v_add_f64 v[53:54], v[23:24], -1.0
	v_add_f64 v[45:46], v[47:48], -1.0
	v_ldexp_f64 v[43:44], v[43:44], v49
	v_add_f64 v[55:56], v[53:54], 1.0
	v_add_f64 v[45:46], v[23:24], -v[45:46]
	v_add_f64 v[23:24], v[23:24], -v[55:56]
	v_add_f64 v[45:46], v[43:44], v[45:46]
	v_add_f64 v[23:24], v[43:44], v[23:24]
	v_add_f64 v[49:50], v[47:48], v[45:46]
	v_add_f64 v[55:56], v[53:54], v[23:24]
	v_rcp_f64_e32 v[51:52], v[49:50]
	v_add_f64 v[47:48], v[49:50], -v[47:48]
	v_add_f64 v[53:54], v[55:56], -v[53:54]
	;; [unrolled: 1-line block ×4, first 2 shown]
	v_fma_f64 v[57:58], -v[49:50], v[51:52], 1.0
	v_fma_f64 v[51:52], v[57:58], v[51:52], v[51:52]
	v_fma_f64 v[43:44], -v[49:50], v[51:52], 1.0
	v_fma_f64 v[43:44], v[43:44], v[51:52], v[51:52]
	v_mul_f64 v[51:52], v[55:56], v[43:44]
	v_mul_f64 v[57:58], v[49:50], v[51:52]
	v_fma_f64 v[47:48], v[51:52], v[49:50], -v[57:58]
	v_fma_f64 v[47:48], v[51:52], v[45:46], v[47:48]
	v_add_f64 v[59:60], v[57:58], v[47:48]
	v_add_f64 v[61:62], v[55:56], -v[59:60]
	v_add_f64 v[53:54], v[59:60], -v[57:58]
	v_add_f64 v[55:56], v[55:56], -v[61:62]
	v_add_f64 v[47:48], v[53:54], -v[47:48]
	v_add_f64 v[55:56], v[55:56], -v[59:60]
	v_add_f64 v[23:24], v[23:24], v[55:56]
	v_add_f64 v[23:24], v[47:48], v[23:24]
	;; [unrolled: 1-line block ×3, first 2 shown]
	v_mul_f64 v[53:54], v[43:44], v[47:48]
	v_add_f64 v[59:60], v[61:62], -v[47:48]
	v_mul_f64 v[55:56], v[49:50], v[53:54]
	v_add_f64 v[23:24], v[23:24], v[59:60]
	v_fma_f64 v[49:50], v[53:54], v[49:50], -v[55:56]
	v_fma_f64 v[45:46], v[53:54], v[45:46], v[49:50]
	v_add_f64 v[49:50], v[55:56], v[45:46]
	v_add_f64 v[57:58], v[47:48], -v[49:50]
	v_add_f64 v[55:56], v[49:50], -v[55:56]
	;; [unrolled: 1-line block ×5, first 2 shown]
	v_mov_b32_e32 v49, 0x6b47b09a
	v_mov_b32_e32 v50, 0x3fc38538
	v_add_f64 v[23:24], v[23:24], v[47:48]
	v_add_f64 v[47:48], v[51:52], v[53:54]
	v_add_f64 v[23:24], v[45:46], v[23:24]
	v_add_f64 v[45:46], v[47:48], -v[51:52]
	v_add_f64 v[23:24], v[57:58], v[23:24]
	v_add_f64 v[45:46], v[53:54], -v[45:46]
	v_mul_f64 v[23:24], v[43:44], v[23:24]
	v_add_f64 v[23:24], v[45:46], v[23:24]
	v_add_f64 v[43:44], v[47:48], v[23:24]
	v_mul_f64 v[45:46], v[43:44], v[43:44]
	v_fma_f64 v[49:50], v[45:46], s[0:1], v[49:50]
	s_mov_b32 s0, 0xd7f4df2e
	s_mov_b32 s1, 0x3fc7474d
	v_mul_f64 v[51:52], v[43:44], v[45:46]
	v_fma_f64 v[49:50], v[45:46], v[49:50], s[0:1]
	s_mov_b32 s0, 0x16291751
	s_mov_b32 s1, 0x3fcc71c0
	v_fma_f64 v[49:50], v[45:46], v[49:50], s[0:1]
	s_mov_b32 s0, 0x9b27acf1
	s_mov_b32 s1, 0x3fd24924
	;; [unrolled: 3-line block ×4, first 2 shown]
	v_fma_f64 v[45:46], v[45:46], v[49:50], s[4:5]
	v_ldexp_f64 v[49:50], v[43:44], 1
	v_add_f64 v[43:44], v[43:44], -v[47:48]
	v_cmp_neq_f64_e64 s[4:5], s[0:1], v[21:22]
	v_mul_f64 v[45:46], v[51:52], v[45:46]
	v_cvt_f64_i32_e32 v[51:52], v64
	v_add_f64 v[23:24], v[23:24], -v[43:44]
	s_and_b64 s[2:3], s[2:3], s[4:5]
	v_mul_f64 v[53:54], v[51:52], s[26:27]
	v_add_f64 v[47:48], v[49:50], v[45:46]
	v_ldexp_f64 v[23:24], v[23:24], 1
	v_add_f64 v[43:44], v[47:48], -v[49:50]
	v_fma_f64 v[49:50], v[51:52], s[26:27], -v[53:54]
	v_add_f64 v[43:44], v[45:46], -v[43:44]
	v_fma_f64 v[45:46], v[51:52], s[28:29], v[49:50]
	v_add_f64 v[23:24], v[23:24], v[43:44]
	v_add_f64 v[43:44], v[53:54], v[45:46]
	v_add_f64 v[49:50], v[47:48], v[23:24]
	v_add_f64 v[53:54], v[43:44], -v[53:54]
	v_add_f64 v[51:52], v[43:44], v[49:50]
	v_add_f64 v[47:48], v[49:50], -v[47:48]
	v_add_f64 v[45:46], v[45:46], -v[53:54]
	;; [unrolled: 1-line block ×6, first 2 shown]
	v_add_f64 v[49:50], v[45:46], v[23:24]
	v_add_f64 v[43:44], v[43:44], -v[57:58]
	v_add_f64 v[43:44], v[47:48], v[43:44]
	v_add_f64 v[47:48], v[49:50], -v[45:46]
	;; [unrolled: 2-line block ×3, first 2 shown]
	v_add_f64 v[23:24], v[23:24], -v[47:48]
	v_add_f64 v[53:54], v[51:52], v[43:44]
	v_add_f64 v[45:46], v[45:46], -v[49:50]
	v_add_f64 v[47:48], v[53:54], -v[51:52]
	v_add_f64 v[23:24], v[23:24], v[45:46]
	v_add_f64 v[43:44], v[43:44], -v[47:48]
	v_add_f64 v[23:24], v[23:24], v[43:44]
	v_mov_b32_e32 v43, 0x7ff80000
	v_mov_b32_e32 v44, 0xfff00000
	v_add_f64 v[23:24], v[53:54], v[23:24]
	v_cndmask_b32_e64 v23, 0, v23, s[2:3]
	v_cmp_ngt_f64_e64 s[2:3], -1.0, v[21:22]
	v_cndmask_b32_e64 v24, v63, v24, s[4:5]
	v_cndmask_b32_e64 v24, v43, v24, s[2:3]
	v_cmp_neq_f64_e64 s[2:3], -1.0, v[21:22]
	v_cndmask_b32_e64 v24, v44, v24, s[2:3]
	v_add_f64 v[21:22], v[1:2], v[23:24]
.LBB70_235:
	s_or_b64 exec, exec, s[22:23]
	v_max_f64 v[1:2], v[21:22], v[21:22]
	;;#ASMSTART
	;;#ASMEND
	v_min_f64 v[43:44], v[1:2], v[41:42]
	v_max_f64 v[47:48], v[1:2], v[41:42]
	v_mov_b32_e32 v1, v21
	v_mov_b32_e32 v2, v22
.LBB70_236:
	s_or_b64 exec, exec, s[24:25]
	v_cmp_u_f64_e64 s[2:3], v[1:2], v[1:2]
	s_movk_i32 s0, 0x1f8
	v_cndmask_b32_e64 v21, v43, v1, s[2:3]
	v_cndmask_b32_e64 v22, v44, v2, s[2:3]
	;; [unrolled: 1-line block ×4, first 2 shown]
	v_cndmask_b32_e32 v21, v21, v3, vcc
	v_cndmask_b32_e32 v22, v22, v4, vcc
	;; [unrolled: 1-line block ×4, first 2 shown]
	v_cmp_neq_f64_e32 vcc, v[21:22], v[3:4]
	v_cmp_class_f64_e64 s[2:3], v[21:22], s0
	v_mov_b32_e32 v24, v2
	v_mov_b32_e32 v23, v1
	s_or_b64 s[2:3], vcc, s[2:3]
	s_and_saveexec_b64 s[4:5], s[2:3]
	s_cbranch_execz .LBB70_238
; %bb.237:
	v_add_f64 v[21:22], v[21:22], -v[3:4]
	s_mov_b32 s2, 0x652b82fe
	s_mov_b32 s3, 0x3ff71547
	;; [unrolled: 1-line block ×6, first 2 shown]
	v_mov_b32_e32 v43, 0xfca7ab0c
	v_mul_f64 v[23:24], v[21:22], s[2:3]
	s_mov_b32 s2, 0x6a5dcb37
	v_mov_b32_e32 v44, 0x3e928af3
	s_mov_b32 s3, 0x3e5ade15
	s_mov_b32 s26, 0
	;; [unrolled: 1-line block ×3, first 2 shown]
	v_mov_b32_e32 v61, 0x7ff00000
	v_rndne_f64_e32 v[23:24], v[23:24]
	v_fma_f64 v[41:42], v[23:24], s[22:23], v[21:22]
	s_mov_b32 s23, 0x3fe62e42
	v_fma_f64 v[41:42], v[23:24], s[24:25], v[41:42]
	v_cvt_i32_f64_e32 v23, v[23:24]
	s_mov_b32 s25, 0x3c7abc9e
	v_fma_f64 v[43:44], v[41:42], s[2:3], v[43:44]
	s_mov_b32 s2, 0x623fde64
	s_mov_b32 s3, 0x3ec71dee
	v_fma_f64 v[43:44], v[41:42], v[43:44], s[2:3]
	s_mov_b32 s2, 0x7c89e6b0
	s_mov_b32 s3, 0x3efa0199
	v_fma_f64 v[43:44], v[41:42], v[43:44], s[2:3]
	s_mov_b32 s2, 0x14761f6e
	s_mov_b32 s3, 0x3f2a01a0
	v_fma_f64 v[43:44], v[41:42], v[43:44], s[2:3]
	s_mov_b32 s2, 0x1852b7b0
	s_mov_b32 s3, 0x3f56c16c
	v_fma_f64 v[43:44], v[41:42], v[43:44], s[2:3]
	s_mov_b32 s2, 0x11122322
	s_mov_b32 s3, 0x3f811111
	v_fma_f64 v[43:44], v[41:42], v[43:44], s[2:3]
	s_mov_b32 s2, 0x555502a1
	s_mov_b32 s3, 0x3fa55555
	v_fma_f64 v[43:44], v[41:42], v[43:44], s[2:3]
	s_mov_b32 s2, 0x55555511
	s_mov_b32 s3, 0x3fc55555
	v_fma_f64 v[43:44], v[41:42], v[43:44], s[2:3]
	s_mov_b32 s2, 11
	s_mov_b32 s3, 0x3fe00000
	v_fma_f64 v[43:44], v[41:42], v[43:44], s[2:3]
	s_mov_b32 s2, 0
	s_mov_b32 s3, 0x40900000
	v_cmp_nlt_f64_e32 vcc, s[2:3], v[21:22]
	v_cmp_ngt_f64_e64 s[2:3], s[26:27], v[21:22]
	s_mov_b32 s26, 0xbf559e2b
	s_mov_b32 s27, 0x3fc3ab76
	v_fma_f64 v[43:44], v[41:42], v[43:44], 1.0
	v_fma_f64 v[41:42], v[41:42], v[43:44], 1.0
	v_ldexp_f64 v[23:24], v[41:42], v23
	v_cndmask_b32_e32 v24, v61, v24, vcc
	s_and_b64 vcc, s[2:3], vcc
	v_cndmask_b32_e64 v22, 0, v24, s[2:3]
	v_cndmask_b32_e32 v21, 0, v23, vcc
	v_add_f64 v[23:24], v[21:22], 1.0
	s_mov_b32 s3, 0x3fe55555
	s_mov_b32 s2, 0x55555555
	v_frexp_mant_f64_e32 v[43:44], v[23:24]
	v_frexp_exp_i32_f64_e32 v47, v[23:24]
	v_add_f64 v[41:42], v[23:24], -1.0
	v_cmp_gt_f64_e32 vcc, s[2:3], v[43:44]
	s_mov_b32 s2, 0x55555780
	v_add_f64 v[45:46], v[41:42], -v[23:24]
	v_add_f64 v[41:42], v[21:22], -v[41:42]
	v_subbrev_co_u32_e32 v62, vcc, 0, v47, vcc
	v_sub_u32_e32 v47, 0, v62
	v_ldexp_f64 v[23:24], v[23:24], v47
	v_add_f64 v[43:44], v[45:46], 1.0
	v_cmp_nge_f64_e32 vcc, -1.0, v[21:22]
	v_add_f64 v[45:46], v[23:24], 1.0
	v_add_f64 v[41:42], v[41:42], v[43:44]
	v_add_f64 v[51:52], v[23:24], -1.0
	v_add_f64 v[43:44], v[45:46], -1.0
	v_ldexp_f64 v[41:42], v[41:42], v47
	v_add_f64 v[53:54], v[51:52], 1.0
	v_add_f64 v[43:44], v[23:24], -v[43:44]
	v_add_f64 v[23:24], v[23:24], -v[53:54]
	v_add_f64 v[43:44], v[41:42], v[43:44]
	v_add_f64 v[23:24], v[41:42], v[23:24]
	v_add_f64 v[47:48], v[45:46], v[43:44]
	v_add_f64 v[53:54], v[51:52], v[23:24]
	v_rcp_f64_e32 v[49:50], v[47:48]
	v_add_f64 v[45:46], v[47:48], -v[45:46]
	v_add_f64 v[51:52], v[53:54], -v[51:52]
	;; [unrolled: 1-line block ×4, first 2 shown]
	v_fma_f64 v[55:56], -v[47:48], v[49:50], 1.0
	v_fma_f64 v[49:50], v[55:56], v[49:50], v[49:50]
	v_fma_f64 v[41:42], -v[47:48], v[49:50], 1.0
	v_fma_f64 v[41:42], v[41:42], v[49:50], v[49:50]
	v_mul_f64 v[49:50], v[53:54], v[41:42]
	v_mul_f64 v[55:56], v[47:48], v[49:50]
	v_fma_f64 v[45:46], v[49:50], v[47:48], -v[55:56]
	v_fma_f64 v[45:46], v[49:50], v[43:44], v[45:46]
	v_add_f64 v[57:58], v[55:56], v[45:46]
	v_add_f64 v[59:60], v[53:54], -v[57:58]
	v_add_f64 v[51:52], v[57:58], -v[55:56]
	v_add_f64 v[53:54], v[53:54], -v[59:60]
	v_add_f64 v[45:46], v[51:52], -v[45:46]
	v_add_f64 v[53:54], v[53:54], -v[57:58]
	v_add_f64 v[23:24], v[23:24], v[53:54]
	v_add_f64 v[23:24], v[45:46], v[23:24]
	;; [unrolled: 1-line block ×3, first 2 shown]
	v_mul_f64 v[51:52], v[41:42], v[45:46]
	v_add_f64 v[57:58], v[59:60], -v[45:46]
	v_mul_f64 v[53:54], v[47:48], v[51:52]
	v_add_f64 v[23:24], v[23:24], v[57:58]
	v_fma_f64 v[47:48], v[51:52], v[47:48], -v[53:54]
	v_fma_f64 v[43:44], v[51:52], v[43:44], v[47:48]
	v_add_f64 v[47:48], v[53:54], v[43:44]
	v_add_f64 v[55:56], v[45:46], -v[47:48]
	v_add_f64 v[53:54], v[47:48], -v[53:54]
	;; [unrolled: 1-line block ×5, first 2 shown]
	v_mov_b32_e32 v47, 0x6b47b09a
	v_mov_b32_e32 v48, 0x3fc38538
	v_add_f64 v[23:24], v[23:24], v[45:46]
	v_add_f64 v[45:46], v[49:50], v[51:52]
	;; [unrolled: 1-line block ×3, first 2 shown]
	v_add_f64 v[43:44], v[45:46], -v[49:50]
	v_add_f64 v[23:24], v[55:56], v[23:24]
	v_add_f64 v[43:44], v[51:52], -v[43:44]
	v_mul_f64 v[23:24], v[41:42], v[23:24]
	v_add_f64 v[23:24], v[43:44], v[23:24]
	v_add_f64 v[41:42], v[45:46], v[23:24]
	v_mul_f64 v[43:44], v[41:42], v[41:42]
	v_fma_f64 v[47:48], v[43:44], s[26:27], v[47:48]
	s_mov_b32 s26, 0xd7f4df2e
	s_mov_b32 s27, 0x3fc7474d
	v_mul_f64 v[49:50], v[41:42], v[43:44]
	v_fma_f64 v[47:48], v[43:44], v[47:48], s[26:27]
	s_mov_b32 s26, 0x16291751
	s_mov_b32 s27, 0x3fcc71c0
	v_fma_f64 v[47:48], v[43:44], v[47:48], s[26:27]
	s_mov_b32 s26, 0x9b27acf1
	s_mov_b32 s27, 0x3fd24924
	;; [unrolled: 3-line block ×3, first 2 shown]
	v_fma_f64 v[47:48], v[43:44], v[47:48], s[26:27]
	v_fma_f64 v[43:44], v[43:44], v[47:48], s[2:3]
	v_ldexp_f64 v[47:48], v[41:42], 1
	v_add_f64 v[41:42], v[41:42], -v[45:46]
	s_mov_b32 s2, 0
	s_mov_b32 s3, 0x7ff00000
	v_cmp_neq_f64_e64 s[2:3], s[2:3], v[21:22]
	v_mul_f64 v[43:44], v[49:50], v[43:44]
	v_cvt_f64_i32_e32 v[49:50], v62
	v_add_f64 v[23:24], v[23:24], -v[41:42]
	v_mul_f64 v[51:52], v[49:50], s[22:23]
	s_and_b64 vcc, vcc, s[2:3]
	v_add_f64 v[45:46], v[47:48], v[43:44]
	v_ldexp_f64 v[23:24], v[23:24], 1
	v_add_f64 v[41:42], v[45:46], -v[47:48]
	v_fma_f64 v[47:48], v[49:50], s[22:23], -v[51:52]
	v_add_f64 v[41:42], v[43:44], -v[41:42]
	v_fma_f64 v[43:44], v[49:50], s[24:25], v[47:48]
	v_add_f64 v[23:24], v[23:24], v[41:42]
	v_add_f64 v[41:42], v[51:52], v[43:44]
	;; [unrolled: 1-line block ×3, first 2 shown]
	v_add_f64 v[51:52], v[41:42], -v[51:52]
	v_add_f64 v[49:50], v[41:42], v[47:48]
	v_add_f64 v[45:46], v[47:48], -v[45:46]
	v_add_f64 v[43:44], v[43:44], -v[51:52]
	;; [unrolled: 1-line block ×6, first 2 shown]
	v_add_f64 v[47:48], v[43:44], v[23:24]
	v_add_f64 v[41:42], v[41:42], -v[55:56]
	v_add_f64 v[41:42], v[45:46], v[41:42]
	v_add_f64 v[45:46], v[47:48], -v[43:44]
	;; [unrolled: 2-line block ×3, first 2 shown]
	v_add_f64 v[23:24], v[23:24], -v[45:46]
	v_add_f64 v[51:52], v[49:50], v[41:42]
	v_add_f64 v[43:44], v[43:44], -v[47:48]
	v_add_f64 v[45:46], v[51:52], -v[49:50]
	v_add_f64 v[23:24], v[23:24], v[43:44]
	v_add_f64 v[41:42], v[41:42], -v[45:46]
	v_add_f64 v[23:24], v[23:24], v[41:42]
	v_mov_b32_e32 v41, 0x7ff80000
	v_mov_b32_e32 v42, 0xfff00000
	v_add_f64 v[23:24], v[51:52], v[23:24]
	v_cndmask_b32_e32 v23, 0, v23, vcc
	v_cmp_ngt_f64_e32 vcc, -1.0, v[21:22]
	v_cndmask_b32_e64 v24, v61, v24, s[2:3]
	v_cndmask_b32_e32 v24, v41, v24, vcc
	v_cmp_neq_f64_e32 vcc, -1.0, v[21:22]
	v_cndmask_b32_e32 v24, v42, v24, vcc
	v_add_f64 v[23:24], v[3:4], v[23:24]
.LBB70_238:
	s_or_b64 exec, exec, s[4:5]
	v_max_f64 v[3:4], v[23:24], v[23:24]
	v_cmp_u_f64_e32 vcc, v[23:24], v[23:24]
	v_min_f64 v[21:22], v[3:4], v[25:26]
	v_max_f64 v[3:4], v[3:4], v[25:26]
	v_mov_b32_e32 v26, v24
	v_mov_b32_e32 v25, v23
	v_cndmask_b32_e32 v21, v21, v23, vcc
	v_cndmask_b32_e32 v22, v22, v24, vcc
	;; [unrolled: 1-line block ×4, first 2 shown]
	v_cndmask_b32_e64 v22, v22, v18, s[10:11]
	v_cndmask_b32_e64 v21, v21, v17, s[10:11]
	;; [unrolled: 1-line block ×4, first 2 shown]
	v_cmp_neq_f64_e32 vcc, v[21:22], v[3:4]
	v_cmp_class_f64_e64 s[0:1], v[21:22], s0
	s_or_b64 s[0:1], vcc, s[0:1]
	s_and_saveexec_b64 s[4:5], s[0:1]
	s_cbranch_execz .LBB70_240
; %bb.239:
	v_add_f64 v[17:18], v[21:22], -v[3:4]
	s_mov_b32 s0, 0x652b82fe
	s_mov_b32 s1, 0x3ff71547
	;; [unrolled: 1-line block ×6, first 2 shown]
	v_mov_b32_e32 v41, 0xfca7ab0c
	v_mul_f64 v[21:22], v[17:18], s[0:1]
	s_mov_b32 s0, 0x6a5dcb37
	v_mov_b32_e32 v42, 0x3e928af3
	s_mov_b32 s1, 0x3e5ade15
	s_mov_b32 s2, 0
	;; [unrolled: 1-line block ×3, first 2 shown]
	v_cmp_ngt_f64_e64 s[2:3], s[2:3], v[17:18]
	v_mov_b32_e32 v59, 0x7ff00000
	v_rndne_f64_e32 v[21:22], v[21:22]
	v_fma_f64 v[25:26], v[21:22], s[10:11], v[17:18]
	s_mov_b32 s11, 0x3fe62e42
	v_fma_f64 v[25:26], v[21:22], s[22:23], v[25:26]
	v_cvt_i32_f64_e32 v21, v[21:22]
	s_mov_b32 s23, 0x3c7abc9e
	v_fma_f64 v[41:42], v[25:26], s[0:1], v[41:42]
	s_mov_b32 s0, 0x623fde64
	s_mov_b32 s1, 0x3ec71dee
	v_fma_f64 v[41:42], v[25:26], v[41:42], s[0:1]
	s_mov_b32 s0, 0x7c89e6b0
	;; [unrolled: 3-line block ×9, first 2 shown]
	s_mov_b32 s1, 0x40900000
	v_cmp_nlt_f64_e32 vcc, s[0:1], v[17:18]
	s_mov_b32 s0, 0xbf559e2b
	s_mov_b32 s1, 0x3fc3ab76
	v_fma_f64 v[41:42], v[25:26], v[41:42], 1.0
	v_fma_f64 v[25:26], v[25:26], v[41:42], 1.0
	v_ldexp_f64 v[21:22], v[25:26], v21
	v_cndmask_b32_e32 v22, v59, v22, vcc
	s_and_b64 vcc, s[2:3], vcc
	v_cndmask_b32_e64 v18, 0, v22, s[2:3]
	v_cndmask_b32_e32 v17, 0, v21, vcc
	v_add_f64 v[21:22], v[17:18], 1.0
	s_mov_b32 s3, 0x3fe55555
	s_mov_b32 s2, 0x55555555
	v_frexp_mant_f64_e32 v[41:42], v[21:22]
	v_frexp_exp_i32_f64_e32 v45, v[21:22]
	v_add_f64 v[25:26], v[21:22], -1.0
	v_cmp_gt_f64_e32 vcc, s[2:3], v[41:42]
	s_mov_b32 s2, 0x55555780
	v_add_f64 v[43:44], v[25:26], -v[21:22]
	v_add_f64 v[25:26], v[17:18], -v[25:26]
	v_subbrev_co_u32_e32 v60, vcc, 0, v45, vcc
	v_sub_u32_e32 v45, 0, v60
	v_ldexp_f64 v[21:22], v[21:22], v45
	v_add_f64 v[41:42], v[43:44], 1.0
	v_cmp_nge_f64_e32 vcc, -1.0, v[17:18]
	v_add_f64 v[43:44], v[21:22], 1.0
	v_add_f64 v[25:26], v[25:26], v[41:42]
	v_add_f64 v[49:50], v[21:22], -1.0
	v_add_f64 v[41:42], v[43:44], -1.0
	v_ldexp_f64 v[25:26], v[25:26], v45
	v_add_f64 v[51:52], v[49:50], 1.0
	v_add_f64 v[41:42], v[21:22], -v[41:42]
	v_add_f64 v[21:22], v[21:22], -v[51:52]
	v_add_f64 v[41:42], v[25:26], v[41:42]
	v_add_f64 v[21:22], v[25:26], v[21:22]
	;; [unrolled: 1-line block ×4, first 2 shown]
	v_rcp_f64_e32 v[47:48], v[45:46]
	v_add_f64 v[43:44], v[45:46], -v[43:44]
	v_add_f64 v[49:50], v[51:52], -v[49:50]
	v_add_f64 v[41:42], v[41:42], -v[43:44]
	v_add_f64 v[21:22], v[21:22], -v[49:50]
	v_fma_f64 v[53:54], -v[45:46], v[47:48], 1.0
	v_fma_f64 v[47:48], v[53:54], v[47:48], v[47:48]
	v_fma_f64 v[25:26], -v[45:46], v[47:48], 1.0
	v_fma_f64 v[25:26], v[25:26], v[47:48], v[47:48]
	v_mul_f64 v[47:48], v[51:52], v[25:26]
	v_mul_f64 v[53:54], v[45:46], v[47:48]
	v_fma_f64 v[43:44], v[47:48], v[45:46], -v[53:54]
	v_fma_f64 v[43:44], v[47:48], v[41:42], v[43:44]
	v_add_f64 v[55:56], v[53:54], v[43:44]
	v_add_f64 v[57:58], v[51:52], -v[55:56]
	v_add_f64 v[49:50], v[55:56], -v[53:54]
	;; [unrolled: 1-line block ×5, first 2 shown]
	v_add_f64 v[21:22], v[21:22], v[51:52]
	v_add_f64 v[21:22], v[43:44], v[21:22]
	;; [unrolled: 1-line block ×3, first 2 shown]
	v_mul_f64 v[49:50], v[25:26], v[43:44]
	v_add_f64 v[55:56], v[57:58], -v[43:44]
	v_mul_f64 v[51:52], v[45:46], v[49:50]
	v_add_f64 v[21:22], v[21:22], v[55:56]
	v_fma_f64 v[45:46], v[49:50], v[45:46], -v[51:52]
	v_fma_f64 v[41:42], v[49:50], v[41:42], v[45:46]
	v_add_f64 v[45:46], v[51:52], v[41:42]
	v_add_f64 v[53:54], v[43:44], -v[45:46]
	v_add_f64 v[51:52], v[45:46], -v[51:52]
	v_add_f64 v[43:44], v[43:44], -v[53:54]
	v_add_f64 v[41:42], v[51:52], -v[41:42]
	v_add_f64 v[43:44], v[43:44], -v[45:46]
	v_mov_b32_e32 v45, 0x6b47b09a
	v_mov_b32_e32 v46, 0x3fc38538
	v_add_f64 v[21:22], v[21:22], v[43:44]
	v_add_f64 v[43:44], v[47:48], v[49:50]
	;; [unrolled: 1-line block ×3, first 2 shown]
	v_add_f64 v[41:42], v[43:44], -v[47:48]
	v_add_f64 v[21:22], v[53:54], v[21:22]
	v_add_f64 v[41:42], v[49:50], -v[41:42]
	v_mul_f64 v[21:22], v[25:26], v[21:22]
	v_add_f64 v[21:22], v[41:42], v[21:22]
	v_add_f64 v[25:26], v[43:44], v[21:22]
	v_mul_f64 v[41:42], v[25:26], v[25:26]
	v_fma_f64 v[45:46], v[41:42], s[0:1], v[45:46]
	s_mov_b32 s0, 0xd7f4df2e
	s_mov_b32 s1, 0x3fc7474d
	v_mul_f64 v[47:48], v[25:26], v[41:42]
	v_fma_f64 v[45:46], v[41:42], v[45:46], s[0:1]
	s_mov_b32 s0, 0x16291751
	s_mov_b32 s1, 0x3fcc71c0
	v_fma_f64 v[45:46], v[41:42], v[45:46], s[0:1]
	s_mov_b32 s0, 0x9b27acf1
	s_mov_b32 s1, 0x3fd24924
	;; [unrolled: 3-line block ×4, first 2 shown]
	v_fma_f64 v[41:42], v[41:42], v[45:46], s[2:3]
	v_ldexp_f64 v[45:46], v[25:26], 1
	v_add_f64 v[25:26], v[25:26], -v[43:44]
	v_cmp_neq_f64_e64 s[2:3], s[0:1], v[17:18]
	v_mul_f64 v[41:42], v[47:48], v[41:42]
	v_cvt_f64_i32_e32 v[47:48], v60
	v_add_f64 v[21:22], v[21:22], -v[25:26]
	s_and_b64 vcc, vcc, s[2:3]
	v_mul_f64 v[49:50], v[47:48], s[10:11]
	v_add_f64 v[43:44], v[45:46], v[41:42]
	v_ldexp_f64 v[21:22], v[21:22], 1
	v_add_f64 v[25:26], v[43:44], -v[45:46]
	v_fma_f64 v[45:46], v[47:48], s[10:11], -v[49:50]
	v_add_f64 v[25:26], v[41:42], -v[25:26]
	v_fma_f64 v[41:42], v[47:48], s[22:23], v[45:46]
	v_add_f64 v[21:22], v[21:22], v[25:26]
	v_add_f64 v[25:26], v[49:50], v[41:42]
	;; [unrolled: 1-line block ×3, first 2 shown]
	v_add_f64 v[49:50], v[25:26], -v[49:50]
	v_add_f64 v[47:48], v[25:26], v[45:46]
	v_add_f64 v[43:44], v[45:46], -v[43:44]
	v_add_f64 v[41:42], v[41:42], -v[49:50]
	;; [unrolled: 1-line block ×6, first 2 shown]
	v_add_f64 v[45:46], v[41:42], v[21:22]
	v_add_f64 v[25:26], v[25:26], -v[53:54]
	v_add_f64 v[25:26], v[43:44], v[25:26]
	v_add_f64 v[43:44], v[45:46], -v[41:42]
	;; [unrolled: 2-line block ×3, first 2 shown]
	v_add_f64 v[21:22], v[21:22], -v[43:44]
	v_add_f64 v[49:50], v[47:48], v[25:26]
	v_add_f64 v[41:42], v[41:42], -v[45:46]
	v_add_f64 v[43:44], v[49:50], -v[47:48]
	v_add_f64 v[21:22], v[21:22], v[41:42]
	v_add_f64 v[25:26], v[25:26], -v[43:44]
	v_add_f64 v[21:22], v[21:22], v[25:26]
	v_mov_b32_e32 v25, 0x7ff80000
	v_mov_b32_e32 v26, 0xfff00000
	v_add_f64 v[21:22], v[49:50], v[21:22]
	v_cndmask_b32_e32 v21, 0, v21, vcc
	v_cmp_ngt_f64_e32 vcc, -1.0, v[17:18]
	v_cndmask_b32_e64 v22, v59, v22, s[2:3]
	v_cndmask_b32_e32 v22, v25, v22, vcc
	v_cmp_neq_f64_e32 vcc, -1.0, v[17:18]
	v_cndmask_b32_e32 v22, v26, v22, vcc
	v_add_f64 v[25:26], v[3:4], v[21:22]
.LBB70_240:
	s_or_b64 exec, exec, s[4:5]
	v_max_f64 v[3:4], v[25:26], v[25:26]
	v_cmp_u_f64_e32 vcc, v[25:26], v[25:26]
	s_movk_i32 s0, 0x1f8
	v_min_f64 v[17:18], v[3:4], v[27:28]
	v_max_f64 v[3:4], v[3:4], v[27:28]
	v_mov_b32_e32 v28, v26
	v_mov_b32_e32 v27, v25
	v_cndmask_b32_e32 v17, v17, v25, vcc
	v_cndmask_b32_e32 v18, v18, v26, vcc
	;; [unrolled: 1-line block ×4, first 2 shown]
	v_cndmask_b32_e64 v18, v18, v20, s[6:7]
	v_cndmask_b32_e64 v17, v17, v19, s[6:7]
	;; [unrolled: 1-line block ×4, first 2 shown]
	v_cmp_neq_f64_e32 vcc, v[17:18], v[3:4]
	v_cmp_class_f64_e64 s[2:3], v[17:18], s0
	s_or_b64 s[2:3], vcc, s[2:3]
	s_and_saveexec_b64 s[4:5], s[2:3]
	s_cbranch_execz .LBB70_242
; %bb.241:
	v_add_f64 v[17:18], v[17:18], -v[3:4]
	s_mov_b32 s2, 0x652b82fe
	s_mov_b32 s3, 0x3ff71547
	;; [unrolled: 1-line block ×6, first 2 shown]
	v_mov_b32_e32 v27, 0xfca7ab0c
	v_mul_f64 v[19:20], v[17:18], s[2:3]
	s_mov_b32 s2, 0x6a5dcb37
	v_mov_b32_e32 v28, 0x3e928af3
	s_mov_b32 s3, 0x3e5ade15
	s_mov_b32 s22, 0
	;; [unrolled: 1-line block ×3, first 2 shown]
	v_mov_b32_e32 v57, 0x7ff00000
	v_rndne_f64_e32 v[19:20], v[19:20]
	v_fma_f64 v[21:22], v[19:20], s[6:7], v[17:18]
	s_mov_b32 s7, 0x3fe62e42
	v_fma_f64 v[21:22], v[19:20], s[10:11], v[21:22]
	v_cvt_i32_f64_e32 v19, v[19:20]
	s_mov_b32 s11, 0x3c7abc9e
	v_fma_f64 v[27:28], v[21:22], s[2:3], v[27:28]
	s_mov_b32 s2, 0x623fde64
	s_mov_b32 s3, 0x3ec71dee
	v_fma_f64 v[27:28], v[21:22], v[27:28], s[2:3]
	s_mov_b32 s2, 0x7c89e6b0
	;; [unrolled: 3-line block ×9, first 2 shown]
	s_mov_b32 s3, 0x40900000
	v_cmp_nlt_f64_e32 vcc, s[2:3], v[17:18]
	v_cmp_ngt_f64_e64 s[2:3], s[22:23], v[17:18]
	s_mov_b32 s22, 0xbf559e2b
	s_mov_b32 s23, 0x3fc3ab76
	v_fma_f64 v[27:28], v[21:22], v[27:28], 1.0
	v_fma_f64 v[21:22], v[21:22], v[27:28], 1.0
	v_ldexp_f64 v[19:20], v[21:22], v19
	v_cndmask_b32_e32 v20, v57, v20, vcc
	s_and_b64 vcc, s[2:3], vcc
	v_cndmask_b32_e64 v18, 0, v20, s[2:3]
	v_cndmask_b32_e32 v17, 0, v19, vcc
	v_add_f64 v[19:20], v[17:18], 1.0
	s_mov_b32 s3, 0x3fe55555
	s_mov_b32 s2, 0x55555555
	v_frexp_mant_f64_e32 v[27:28], v[19:20]
	v_frexp_exp_i32_f64_e32 v43, v[19:20]
	v_add_f64 v[21:22], v[19:20], -1.0
	v_cmp_gt_f64_e32 vcc, s[2:3], v[27:28]
	s_mov_b32 s2, 0x55555780
	v_add_f64 v[41:42], v[21:22], -v[19:20]
	v_add_f64 v[21:22], v[17:18], -v[21:22]
	v_subbrev_co_u32_e32 v58, vcc, 0, v43, vcc
	v_sub_u32_e32 v43, 0, v58
	v_ldexp_f64 v[19:20], v[19:20], v43
	v_add_f64 v[27:28], v[41:42], 1.0
	v_cmp_nge_f64_e32 vcc, -1.0, v[17:18]
	v_add_f64 v[41:42], v[19:20], 1.0
	v_add_f64 v[21:22], v[21:22], v[27:28]
	v_add_f64 v[47:48], v[19:20], -1.0
	v_add_f64 v[27:28], v[41:42], -1.0
	v_ldexp_f64 v[21:22], v[21:22], v43
	v_add_f64 v[49:50], v[47:48], 1.0
	v_add_f64 v[27:28], v[19:20], -v[27:28]
	v_add_f64 v[19:20], v[19:20], -v[49:50]
	v_add_f64 v[27:28], v[21:22], v[27:28]
	v_add_f64 v[19:20], v[21:22], v[19:20]
	;; [unrolled: 1-line block ×4, first 2 shown]
	v_rcp_f64_e32 v[45:46], v[43:44]
	v_add_f64 v[41:42], v[43:44], -v[41:42]
	v_add_f64 v[47:48], v[49:50], -v[47:48]
	;; [unrolled: 1-line block ×4, first 2 shown]
	v_fma_f64 v[51:52], -v[43:44], v[45:46], 1.0
	v_fma_f64 v[45:46], v[51:52], v[45:46], v[45:46]
	v_fma_f64 v[21:22], -v[43:44], v[45:46], 1.0
	v_fma_f64 v[21:22], v[21:22], v[45:46], v[45:46]
	v_mul_f64 v[45:46], v[49:50], v[21:22]
	v_mul_f64 v[51:52], v[43:44], v[45:46]
	v_fma_f64 v[41:42], v[45:46], v[43:44], -v[51:52]
	v_fma_f64 v[41:42], v[45:46], v[27:28], v[41:42]
	v_add_f64 v[53:54], v[51:52], v[41:42]
	v_add_f64 v[55:56], v[49:50], -v[53:54]
	v_add_f64 v[47:48], v[53:54], -v[51:52]
	;; [unrolled: 1-line block ×5, first 2 shown]
	v_add_f64 v[19:20], v[19:20], v[49:50]
	v_add_f64 v[19:20], v[41:42], v[19:20]
	;; [unrolled: 1-line block ×3, first 2 shown]
	v_mul_f64 v[47:48], v[21:22], v[41:42]
	v_add_f64 v[53:54], v[55:56], -v[41:42]
	v_mul_f64 v[49:50], v[43:44], v[47:48]
	v_add_f64 v[19:20], v[19:20], v[53:54]
	v_fma_f64 v[43:44], v[47:48], v[43:44], -v[49:50]
	v_fma_f64 v[27:28], v[47:48], v[27:28], v[43:44]
	v_add_f64 v[43:44], v[49:50], v[27:28]
	v_add_f64 v[51:52], v[41:42], -v[43:44]
	v_add_f64 v[49:50], v[43:44], -v[49:50]
	;; [unrolled: 1-line block ×5, first 2 shown]
	v_mov_b32_e32 v43, 0x6b47b09a
	v_mov_b32_e32 v44, 0x3fc38538
	v_add_f64 v[19:20], v[19:20], v[41:42]
	v_add_f64 v[41:42], v[45:46], v[47:48]
	;; [unrolled: 1-line block ×3, first 2 shown]
	v_add_f64 v[27:28], v[41:42], -v[45:46]
	v_add_f64 v[19:20], v[51:52], v[19:20]
	v_add_f64 v[27:28], v[47:48], -v[27:28]
	v_mul_f64 v[19:20], v[21:22], v[19:20]
	v_add_f64 v[19:20], v[27:28], v[19:20]
	v_add_f64 v[21:22], v[41:42], v[19:20]
	v_mul_f64 v[27:28], v[21:22], v[21:22]
	v_fma_f64 v[43:44], v[27:28], s[22:23], v[43:44]
	s_mov_b32 s22, 0xd7f4df2e
	s_mov_b32 s23, 0x3fc7474d
	v_mul_f64 v[45:46], v[21:22], v[27:28]
	v_fma_f64 v[43:44], v[27:28], v[43:44], s[22:23]
	s_mov_b32 s22, 0x16291751
	s_mov_b32 s23, 0x3fcc71c0
	v_fma_f64 v[43:44], v[27:28], v[43:44], s[22:23]
	s_mov_b32 s22, 0x9b27acf1
	s_mov_b32 s23, 0x3fd24924
	;; [unrolled: 3-line block ×3, first 2 shown]
	v_fma_f64 v[43:44], v[27:28], v[43:44], s[22:23]
	v_fma_f64 v[27:28], v[27:28], v[43:44], s[2:3]
	v_ldexp_f64 v[43:44], v[21:22], 1
	v_add_f64 v[21:22], v[21:22], -v[41:42]
	s_mov_b32 s2, 0
	s_mov_b32 s3, 0x7ff00000
	v_cmp_neq_f64_e64 s[2:3], s[2:3], v[17:18]
	v_mul_f64 v[27:28], v[45:46], v[27:28]
	v_cvt_f64_i32_e32 v[45:46], v58
	v_add_f64 v[19:20], v[19:20], -v[21:22]
	v_mul_f64 v[47:48], v[45:46], s[6:7]
	s_and_b64 vcc, vcc, s[2:3]
	v_add_f64 v[41:42], v[43:44], v[27:28]
	v_ldexp_f64 v[19:20], v[19:20], 1
	v_add_f64 v[21:22], v[41:42], -v[43:44]
	v_fma_f64 v[43:44], v[45:46], s[6:7], -v[47:48]
	v_add_f64 v[21:22], v[27:28], -v[21:22]
	v_fma_f64 v[27:28], v[45:46], s[10:11], v[43:44]
	v_add_f64 v[19:20], v[19:20], v[21:22]
	v_add_f64 v[21:22], v[47:48], v[27:28]
	;; [unrolled: 1-line block ×3, first 2 shown]
	v_add_f64 v[47:48], v[21:22], -v[47:48]
	v_add_f64 v[45:46], v[21:22], v[43:44]
	v_add_f64 v[41:42], v[43:44], -v[41:42]
	v_add_f64 v[27:28], v[27:28], -v[47:48]
	;; [unrolled: 1-line block ×6, first 2 shown]
	v_add_f64 v[43:44], v[27:28], v[19:20]
	v_add_f64 v[21:22], v[21:22], -v[51:52]
	v_add_f64 v[21:22], v[41:42], v[21:22]
	v_add_f64 v[41:42], v[43:44], -v[27:28]
	;; [unrolled: 2-line block ×3, first 2 shown]
	v_add_f64 v[19:20], v[19:20], -v[41:42]
	v_add_f64 v[47:48], v[45:46], v[21:22]
	v_add_f64 v[27:28], v[27:28], -v[43:44]
	v_add_f64 v[41:42], v[47:48], -v[45:46]
	v_add_f64 v[19:20], v[19:20], v[27:28]
	v_add_f64 v[21:22], v[21:22], -v[41:42]
	v_add_f64 v[19:20], v[19:20], v[21:22]
	v_mov_b32_e32 v21, 0x7ff80000
	v_mov_b32_e32 v22, 0xfff00000
	v_add_f64 v[19:20], v[47:48], v[19:20]
	v_cndmask_b32_e32 v19, 0, v19, vcc
	v_cmp_ngt_f64_e32 vcc, -1.0, v[17:18]
	v_cndmask_b32_e64 v20, v57, v20, s[2:3]
	v_cndmask_b32_e32 v20, v21, v20, vcc
	v_cmp_neq_f64_e32 vcc, -1.0, v[17:18]
	v_cndmask_b32_e32 v20, v22, v20, vcc
	v_add_f64 v[27:28], v[3:4], v[19:20]
.LBB70_242:
	s_or_b64 exec, exec, s[4:5]
	v_max_f64 v[3:4], v[27:28], v[27:28]
	v_cmp_u_f64_e32 vcc, v[27:28], v[27:28]
	v_min_f64 v[17:18], v[3:4], v[29:30]
	v_max_f64 v[3:4], v[3:4], v[29:30]
	v_mov_b32_e32 v30, v28
	v_mov_b32_e32 v29, v27
	v_cndmask_b32_e32 v17, v17, v27, vcc
	v_cndmask_b32_e32 v18, v18, v28, vcc
	;; [unrolled: 1-line block ×4, first 2 shown]
	v_cndmask_b32_e64 v18, v18, v14, s[14:15]
	v_cndmask_b32_e64 v17, v17, v13, s[14:15]
	;; [unrolled: 1-line block ×4, first 2 shown]
	v_cmp_neq_f64_e32 vcc, v[17:18], v[3:4]
	v_cmp_class_f64_e64 s[0:1], v[17:18], s0
	s_or_b64 s[0:1], vcc, s[0:1]
	s_and_saveexec_b64 s[4:5], s[0:1]
	s_cbranch_execz .LBB70_244
; %bb.243:
	v_add_f64 v[13:14], v[17:18], -v[3:4]
	s_mov_b32 s0, 0x652b82fe
	s_mov_b32 s1, 0x3ff71547
	;; [unrolled: 1-line block ×6, first 2 shown]
	v_mov_b32_e32 v21, 0xfca7ab0c
	v_mul_f64 v[17:18], v[13:14], s[0:1]
	s_mov_b32 s0, 0x6a5dcb37
	v_mov_b32_e32 v22, 0x3e928af3
	s_mov_b32 s1, 0x3e5ade15
	s_mov_b32 s2, 0
	;; [unrolled: 1-line block ×3, first 2 shown]
	v_cmp_ngt_f64_e64 s[2:3], s[2:3], v[13:14]
	v_mov_b32_e32 v55, 0x7ff00000
	v_rndne_f64_e32 v[17:18], v[17:18]
	v_fma_f64 v[19:20], v[17:18], s[6:7], v[13:14]
	s_mov_b32 s7, 0x3fe62e42
	v_fma_f64 v[19:20], v[17:18], s[10:11], v[19:20]
	v_cvt_i32_f64_e32 v17, v[17:18]
	s_mov_b32 s11, 0x3c7abc9e
	v_fma_f64 v[21:22], v[19:20], s[0:1], v[21:22]
	s_mov_b32 s0, 0x623fde64
	s_mov_b32 s1, 0x3ec71dee
	v_fma_f64 v[21:22], v[19:20], v[21:22], s[0:1]
	s_mov_b32 s0, 0x7c89e6b0
	;; [unrolled: 3-line block ×9, first 2 shown]
	s_mov_b32 s1, 0x40900000
	v_cmp_nlt_f64_e32 vcc, s[0:1], v[13:14]
	s_mov_b32 s0, 0xbf559e2b
	s_mov_b32 s1, 0x3fc3ab76
	v_fma_f64 v[21:22], v[19:20], v[21:22], 1.0
	v_fma_f64 v[19:20], v[19:20], v[21:22], 1.0
	v_ldexp_f64 v[17:18], v[19:20], v17
	v_cndmask_b32_e32 v18, v55, v18, vcc
	s_and_b64 vcc, s[2:3], vcc
	v_cndmask_b32_e64 v14, 0, v18, s[2:3]
	v_cndmask_b32_e32 v13, 0, v17, vcc
	v_add_f64 v[17:18], v[13:14], 1.0
	s_mov_b32 s3, 0x3fe55555
	s_mov_b32 s2, 0x55555555
	v_frexp_mant_f64_e32 v[21:22], v[17:18]
	v_frexp_exp_i32_f64_e32 v41, v[17:18]
	v_add_f64 v[19:20], v[17:18], -1.0
	v_cmp_gt_f64_e32 vcc, s[2:3], v[21:22]
	s_mov_b32 s2, 0x55555780
	v_add_f64 v[29:30], v[19:20], -v[17:18]
	v_add_f64 v[19:20], v[13:14], -v[19:20]
	v_subbrev_co_u32_e32 v56, vcc, 0, v41, vcc
	v_sub_u32_e32 v41, 0, v56
	v_ldexp_f64 v[17:18], v[17:18], v41
	v_add_f64 v[21:22], v[29:30], 1.0
	v_cmp_nge_f64_e32 vcc, -1.0, v[13:14]
	v_add_f64 v[29:30], v[17:18], 1.0
	v_add_f64 v[19:20], v[19:20], v[21:22]
	v_add_f64 v[45:46], v[17:18], -1.0
	v_add_f64 v[21:22], v[29:30], -1.0
	v_ldexp_f64 v[19:20], v[19:20], v41
	v_add_f64 v[47:48], v[45:46], 1.0
	v_add_f64 v[21:22], v[17:18], -v[21:22]
	v_add_f64 v[17:18], v[17:18], -v[47:48]
	v_add_f64 v[21:22], v[19:20], v[21:22]
	v_add_f64 v[17:18], v[19:20], v[17:18]
	;; [unrolled: 1-line block ×4, first 2 shown]
	v_rcp_f64_e32 v[43:44], v[41:42]
	v_add_f64 v[29:30], v[41:42], -v[29:30]
	v_add_f64 v[45:46], v[47:48], -v[45:46]
	;; [unrolled: 1-line block ×4, first 2 shown]
	v_fma_f64 v[49:50], -v[41:42], v[43:44], 1.0
	v_fma_f64 v[43:44], v[49:50], v[43:44], v[43:44]
	v_fma_f64 v[19:20], -v[41:42], v[43:44], 1.0
	v_fma_f64 v[19:20], v[19:20], v[43:44], v[43:44]
	v_mul_f64 v[43:44], v[47:48], v[19:20]
	v_mul_f64 v[49:50], v[41:42], v[43:44]
	v_fma_f64 v[29:30], v[43:44], v[41:42], -v[49:50]
	v_fma_f64 v[29:30], v[43:44], v[21:22], v[29:30]
	v_add_f64 v[51:52], v[49:50], v[29:30]
	v_add_f64 v[53:54], v[47:48], -v[51:52]
	v_add_f64 v[45:46], v[51:52], -v[49:50]
	;; [unrolled: 1-line block ×5, first 2 shown]
	v_add_f64 v[17:18], v[17:18], v[47:48]
	v_add_f64 v[17:18], v[29:30], v[17:18]
	;; [unrolled: 1-line block ×3, first 2 shown]
	v_mul_f64 v[45:46], v[19:20], v[29:30]
	v_add_f64 v[51:52], v[53:54], -v[29:30]
	v_mul_f64 v[47:48], v[41:42], v[45:46]
	v_add_f64 v[17:18], v[17:18], v[51:52]
	v_fma_f64 v[41:42], v[45:46], v[41:42], -v[47:48]
	v_fma_f64 v[21:22], v[45:46], v[21:22], v[41:42]
	v_add_f64 v[41:42], v[47:48], v[21:22]
	v_add_f64 v[49:50], v[29:30], -v[41:42]
	v_add_f64 v[47:48], v[41:42], -v[47:48]
	;; [unrolled: 1-line block ×5, first 2 shown]
	v_mov_b32_e32 v41, 0x6b47b09a
	v_mov_b32_e32 v42, 0x3fc38538
	v_add_f64 v[17:18], v[17:18], v[29:30]
	v_add_f64 v[29:30], v[43:44], v[45:46]
	;; [unrolled: 1-line block ×3, first 2 shown]
	v_add_f64 v[21:22], v[29:30], -v[43:44]
	v_add_f64 v[17:18], v[49:50], v[17:18]
	v_add_f64 v[21:22], v[45:46], -v[21:22]
	v_mul_f64 v[17:18], v[19:20], v[17:18]
	v_add_f64 v[17:18], v[21:22], v[17:18]
	v_add_f64 v[19:20], v[29:30], v[17:18]
	v_mul_f64 v[21:22], v[19:20], v[19:20]
	v_fma_f64 v[41:42], v[21:22], s[0:1], v[41:42]
	s_mov_b32 s0, 0xd7f4df2e
	s_mov_b32 s1, 0x3fc7474d
	v_mul_f64 v[43:44], v[19:20], v[21:22]
	v_fma_f64 v[41:42], v[21:22], v[41:42], s[0:1]
	s_mov_b32 s0, 0x16291751
	s_mov_b32 s1, 0x3fcc71c0
	v_fma_f64 v[41:42], v[21:22], v[41:42], s[0:1]
	s_mov_b32 s0, 0x9b27acf1
	s_mov_b32 s1, 0x3fd24924
	;; [unrolled: 3-line block ×4, first 2 shown]
	v_fma_f64 v[21:22], v[21:22], v[41:42], s[2:3]
	v_ldexp_f64 v[41:42], v[19:20], 1
	v_add_f64 v[19:20], v[19:20], -v[29:30]
	v_cmp_neq_f64_e64 s[2:3], s[0:1], v[13:14]
	v_mul_f64 v[21:22], v[43:44], v[21:22]
	v_cvt_f64_i32_e32 v[43:44], v56
	v_add_f64 v[17:18], v[17:18], -v[19:20]
	s_and_b64 vcc, vcc, s[2:3]
	v_mul_f64 v[45:46], v[43:44], s[6:7]
	v_add_f64 v[29:30], v[41:42], v[21:22]
	v_ldexp_f64 v[17:18], v[17:18], 1
	v_add_f64 v[19:20], v[29:30], -v[41:42]
	v_fma_f64 v[41:42], v[43:44], s[6:7], -v[45:46]
	v_add_f64 v[19:20], v[21:22], -v[19:20]
	v_fma_f64 v[21:22], v[43:44], s[10:11], v[41:42]
	v_add_f64 v[17:18], v[17:18], v[19:20]
	v_add_f64 v[19:20], v[45:46], v[21:22]
	;; [unrolled: 1-line block ×3, first 2 shown]
	v_add_f64 v[45:46], v[19:20], -v[45:46]
	v_add_f64 v[43:44], v[19:20], v[41:42]
	v_add_f64 v[29:30], v[41:42], -v[29:30]
	v_add_f64 v[21:22], v[21:22], -v[45:46]
	;; [unrolled: 1-line block ×6, first 2 shown]
	v_add_f64 v[41:42], v[21:22], v[17:18]
	v_add_f64 v[19:20], v[19:20], -v[49:50]
	v_add_f64 v[19:20], v[29:30], v[19:20]
	v_add_f64 v[29:30], v[41:42], -v[21:22]
	;; [unrolled: 2-line block ×3, first 2 shown]
	v_add_f64 v[17:18], v[17:18], -v[29:30]
	v_add_f64 v[45:46], v[43:44], v[19:20]
	v_add_f64 v[21:22], v[21:22], -v[41:42]
	v_add_f64 v[29:30], v[45:46], -v[43:44]
	v_add_f64 v[17:18], v[17:18], v[21:22]
	v_add_f64 v[19:20], v[19:20], -v[29:30]
	v_add_f64 v[17:18], v[17:18], v[19:20]
	v_mov_b32_e32 v19, 0x7ff80000
	v_mov_b32_e32 v20, 0xfff00000
	v_add_f64 v[17:18], v[45:46], v[17:18]
	v_cndmask_b32_e32 v17, 0, v17, vcc
	v_cmp_ngt_f64_e32 vcc, -1.0, v[13:14]
	v_cndmask_b32_e64 v18, v55, v18, s[2:3]
	v_cndmask_b32_e32 v18, v19, v18, vcc
	v_cmp_neq_f64_e32 vcc, -1.0, v[13:14]
	v_cndmask_b32_e32 v18, v20, v18, vcc
	v_add_f64 v[29:30], v[3:4], v[17:18]
.LBB70_244:
	s_or_b64 exec, exec, s[4:5]
	v_max_f64 v[3:4], v[29:30], v[29:30]
	v_cmp_u_f64_e32 vcc, v[29:30], v[29:30]
	s_movk_i32 s0, 0x1f8
	v_min_f64 v[13:14], v[3:4], v[31:32]
	v_max_f64 v[3:4], v[3:4], v[31:32]
	v_mov_b32_e32 v32, v30
	v_mov_b32_e32 v31, v29
	v_cndmask_b32_e32 v13, v13, v29, vcc
	v_cndmask_b32_e32 v14, v14, v30, vcc
	;; [unrolled: 1-line block ×4, first 2 shown]
	v_cndmask_b32_e64 v14, v14, v16, s[8:9]
	v_cndmask_b32_e64 v13, v13, v15, s[8:9]
	;; [unrolled: 1-line block ×4, first 2 shown]
	v_cmp_neq_f64_e32 vcc, v[13:14], v[3:4]
	v_cmp_class_f64_e64 s[2:3], v[13:14], s0
	s_or_b64 s[2:3], vcc, s[2:3]
	s_and_saveexec_b64 s[4:5], s[2:3]
	s_cbranch_execz .LBB70_246
; %bb.245:
	v_add_f64 v[13:14], v[13:14], -v[3:4]
	s_mov_b32 s2, 0x652b82fe
	s_mov_b32 s3, 0x3ff71547
	;; [unrolled: 1-line block ×6, first 2 shown]
	v_mov_b32_e32 v19, 0xfca7ab0c
	v_mul_f64 v[15:16], v[13:14], s[2:3]
	s_mov_b32 s2, 0x6a5dcb37
	v_mov_b32_e32 v20, 0x3e928af3
	s_mov_b32 s3, 0x3e5ade15
	s_mov_b32 s10, 0
	;; [unrolled: 1-line block ×3, first 2 shown]
	v_mov_b32_e32 v53, 0x7ff00000
	v_rndne_f64_e32 v[15:16], v[15:16]
	v_fma_f64 v[17:18], v[15:16], s[6:7], v[13:14]
	s_mov_b32 s7, 0x3fe62e42
	v_fma_f64 v[17:18], v[15:16], s[8:9], v[17:18]
	v_cvt_i32_f64_e32 v15, v[15:16]
	s_mov_b32 s9, 0x3c7abc9e
	v_fma_f64 v[19:20], v[17:18], s[2:3], v[19:20]
	s_mov_b32 s2, 0x623fde64
	s_mov_b32 s3, 0x3ec71dee
	v_fma_f64 v[19:20], v[17:18], v[19:20], s[2:3]
	s_mov_b32 s2, 0x7c89e6b0
	s_mov_b32 s3, 0x3efa0199
	v_fma_f64 v[19:20], v[17:18], v[19:20], s[2:3]
	s_mov_b32 s2, 0x14761f6e
	s_mov_b32 s3, 0x3f2a01a0
	v_fma_f64 v[19:20], v[17:18], v[19:20], s[2:3]
	s_mov_b32 s2, 0x1852b7b0
	s_mov_b32 s3, 0x3f56c16c
	v_fma_f64 v[19:20], v[17:18], v[19:20], s[2:3]
	s_mov_b32 s2, 0x11122322
	s_mov_b32 s3, 0x3f811111
	v_fma_f64 v[19:20], v[17:18], v[19:20], s[2:3]
	s_mov_b32 s2, 0x555502a1
	s_mov_b32 s3, 0x3fa55555
	v_fma_f64 v[19:20], v[17:18], v[19:20], s[2:3]
	s_mov_b32 s2, 0x55555511
	s_mov_b32 s3, 0x3fc55555
	v_fma_f64 v[19:20], v[17:18], v[19:20], s[2:3]
	s_mov_b32 s2, 11
	s_mov_b32 s3, 0x3fe00000
	v_fma_f64 v[19:20], v[17:18], v[19:20], s[2:3]
	s_mov_b32 s2, 0
	s_mov_b32 s3, 0x40900000
	v_cmp_nlt_f64_e32 vcc, s[2:3], v[13:14]
	v_cmp_ngt_f64_e64 s[2:3], s[10:11], v[13:14]
	s_mov_b32 s10, 0xbf559e2b
	s_mov_b32 s11, 0x3fc3ab76
	v_fma_f64 v[19:20], v[17:18], v[19:20], 1.0
	v_fma_f64 v[17:18], v[17:18], v[19:20], 1.0
	v_ldexp_f64 v[15:16], v[17:18], v15
	v_cndmask_b32_e32 v16, v53, v16, vcc
	s_and_b64 vcc, s[2:3], vcc
	v_cndmask_b32_e64 v14, 0, v16, s[2:3]
	v_cndmask_b32_e32 v13, 0, v15, vcc
	v_add_f64 v[15:16], v[13:14], 1.0
	s_mov_b32 s3, 0x3fe55555
	s_mov_b32 s2, 0x55555555
	v_frexp_mant_f64_e32 v[19:20], v[15:16]
	v_frexp_exp_i32_f64_e32 v31, v[15:16]
	v_add_f64 v[17:18], v[15:16], -1.0
	v_cmp_gt_f64_e32 vcc, s[2:3], v[19:20]
	s_mov_b32 s2, 0x55555780
	v_add_f64 v[21:22], v[17:18], -v[15:16]
	v_add_f64 v[17:18], v[13:14], -v[17:18]
	v_subbrev_co_u32_e32 v54, vcc, 0, v31, vcc
	v_sub_u32_e32 v31, 0, v54
	v_ldexp_f64 v[15:16], v[15:16], v31
	v_add_f64 v[19:20], v[21:22], 1.0
	v_cmp_nge_f64_e32 vcc, -1.0, v[13:14]
	v_add_f64 v[21:22], v[15:16], 1.0
	v_add_f64 v[17:18], v[17:18], v[19:20]
	v_add_f64 v[43:44], v[15:16], -1.0
	v_add_f64 v[19:20], v[21:22], -1.0
	v_ldexp_f64 v[17:18], v[17:18], v31
	v_add_f64 v[45:46], v[43:44], 1.0
	v_add_f64 v[19:20], v[15:16], -v[19:20]
	v_add_f64 v[15:16], v[15:16], -v[45:46]
	v_add_f64 v[19:20], v[17:18], v[19:20]
	v_add_f64 v[15:16], v[17:18], v[15:16]
	;; [unrolled: 1-line block ×4, first 2 shown]
	v_rcp_f64_e32 v[41:42], v[31:32]
	v_add_f64 v[21:22], v[31:32], -v[21:22]
	v_add_f64 v[43:44], v[45:46], -v[43:44]
	;; [unrolled: 1-line block ×4, first 2 shown]
	v_fma_f64 v[47:48], -v[31:32], v[41:42], 1.0
	v_fma_f64 v[41:42], v[47:48], v[41:42], v[41:42]
	v_fma_f64 v[17:18], -v[31:32], v[41:42], 1.0
	v_fma_f64 v[17:18], v[17:18], v[41:42], v[41:42]
	v_mul_f64 v[41:42], v[45:46], v[17:18]
	v_mul_f64 v[47:48], v[31:32], v[41:42]
	v_fma_f64 v[21:22], v[41:42], v[31:32], -v[47:48]
	v_fma_f64 v[21:22], v[41:42], v[19:20], v[21:22]
	v_add_f64 v[49:50], v[47:48], v[21:22]
	v_add_f64 v[51:52], v[45:46], -v[49:50]
	v_add_f64 v[43:44], v[49:50], -v[47:48]
	;; [unrolled: 1-line block ×5, first 2 shown]
	v_add_f64 v[15:16], v[15:16], v[45:46]
	v_add_f64 v[15:16], v[21:22], v[15:16]
	;; [unrolled: 1-line block ×3, first 2 shown]
	v_mul_f64 v[43:44], v[17:18], v[21:22]
	v_add_f64 v[49:50], v[51:52], -v[21:22]
	v_mul_f64 v[45:46], v[31:32], v[43:44]
	v_add_f64 v[15:16], v[15:16], v[49:50]
	v_fma_f64 v[31:32], v[43:44], v[31:32], -v[45:46]
	v_fma_f64 v[19:20], v[43:44], v[19:20], v[31:32]
	v_add_f64 v[31:32], v[45:46], v[19:20]
	v_add_f64 v[47:48], v[21:22], -v[31:32]
	v_add_f64 v[45:46], v[31:32], -v[45:46]
	;; [unrolled: 1-line block ×5, first 2 shown]
	v_mov_b32_e32 v31, 0x6b47b09a
	v_mov_b32_e32 v32, 0x3fc38538
	v_add_f64 v[15:16], v[15:16], v[21:22]
	v_add_f64 v[21:22], v[41:42], v[43:44]
	;; [unrolled: 1-line block ×3, first 2 shown]
	v_add_f64 v[19:20], v[21:22], -v[41:42]
	v_add_f64 v[15:16], v[47:48], v[15:16]
	v_add_f64 v[19:20], v[43:44], -v[19:20]
	v_mul_f64 v[15:16], v[17:18], v[15:16]
	v_add_f64 v[15:16], v[19:20], v[15:16]
	v_add_f64 v[17:18], v[21:22], v[15:16]
	v_mul_f64 v[19:20], v[17:18], v[17:18]
	v_fma_f64 v[31:32], v[19:20], s[10:11], v[31:32]
	s_mov_b32 s10, 0xd7f4df2e
	s_mov_b32 s11, 0x3fc7474d
	v_mul_f64 v[41:42], v[17:18], v[19:20]
	v_fma_f64 v[31:32], v[19:20], v[31:32], s[10:11]
	s_mov_b32 s10, 0x16291751
	s_mov_b32 s11, 0x3fcc71c0
	v_fma_f64 v[31:32], v[19:20], v[31:32], s[10:11]
	s_mov_b32 s10, 0x9b27acf1
	s_mov_b32 s11, 0x3fd24924
	;; [unrolled: 3-line block ×3, first 2 shown]
	v_fma_f64 v[31:32], v[19:20], v[31:32], s[10:11]
	v_fma_f64 v[19:20], v[19:20], v[31:32], s[2:3]
	v_ldexp_f64 v[31:32], v[17:18], 1
	v_add_f64 v[17:18], v[17:18], -v[21:22]
	s_mov_b32 s2, 0
	s_mov_b32 s3, 0x7ff00000
	v_cmp_neq_f64_e64 s[2:3], s[2:3], v[13:14]
	v_mul_f64 v[19:20], v[41:42], v[19:20]
	v_cvt_f64_i32_e32 v[41:42], v54
	v_add_f64 v[15:16], v[15:16], -v[17:18]
	v_mul_f64 v[43:44], v[41:42], s[6:7]
	s_and_b64 vcc, vcc, s[2:3]
	v_add_f64 v[21:22], v[31:32], v[19:20]
	v_ldexp_f64 v[15:16], v[15:16], 1
	v_add_f64 v[17:18], v[21:22], -v[31:32]
	v_fma_f64 v[31:32], v[41:42], s[6:7], -v[43:44]
	v_add_f64 v[17:18], v[19:20], -v[17:18]
	v_fma_f64 v[19:20], v[41:42], s[8:9], v[31:32]
	v_add_f64 v[15:16], v[15:16], v[17:18]
	v_add_f64 v[17:18], v[43:44], v[19:20]
	;; [unrolled: 1-line block ×3, first 2 shown]
	v_add_f64 v[43:44], v[17:18], -v[43:44]
	v_add_f64 v[41:42], v[17:18], v[31:32]
	v_add_f64 v[21:22], v[31:32], -v[21:22]
	v_add_f64 v[19:20], v[19:20], -v[43:44]
	;; [unrolled: 1-line block ×6, first 2 shown]
	v_add_f64 v[31:32], v[19:20], v[15:16]
	v_add_f64 v[17:18], v[17:18], -v[47:48]
	v_add_f64 v[17:18], v[21:22], v[17:18]
	v_add_f64 v[21:22], v[31:32], -v[19:20]
	;; [unrolled: 2-line block ×3, first 2 shown]
	v_add_f64 v[15:16], v[15:16], -v[21:22]
	v_add_f64 v[43:44], v[41:42], v[17:18]
	v_add_f64 v[19:20], v[19:20], -v[31:32]
	v_add_f64 v[21:22], v[43:44], -v[41:42]
	v_add_f64 v[15:16], v[15:16], v[19:20]
	v_add_f64 v[17:18], v[17:18], -v[21:22]
	v_add_f64 v[15:16], v[15:16], v[17:18]
	v_mov_b32_e32 v17, 0x7ff80000
	v_mov_b32_e32 v18, 0xfff00000
	v_add_f64 v[15:16], v[43:44], v[15:16]
	v_cndmask_b32_e32 v15, 0, v15, vcc
	v_cmp_ngt_f64_e32 vcc, -1.0, v[13:14]
	v_cndmask_b32_e64 v16, v53, v16, s[2:3]
	v_cndmask_b32_e32 v16, v17, v16, vcc
	v_cmp_neq_f64_e32 vcc, -1.0, v[13:14]
	v_cndmask_b32_e32 v16, v18, v16, vcc
	v_add_f64 v[31:32], v[3:4], v[15:16]
.LBB70_246:
	s_or_b64 exec, exec, s[4:5]
	v_max_f64 v[3:4], v[31:32], v[31:32]
	v_cmp_u_f64_e32 vcc, v[31:32], v[31:32]
	v_min_f64 v[13:14], v[3:4], v[33:34]
	v_max_f64 v[3:4], v[3:4], v[33:34]
	v_mov_b32_e32 v34, v32
	v_mov_b32_e32 v33, v31
	v_cndmask_b32_e32 v13, v13, v31, vcc
	v_cndmask_b32_e32 v14, v14, v32, vcc
	;; [unrolled: 1-line block ×4, first 2 shown]
	v_cndmask_b32_e64 v14, v14, v10, s[18:19]
	v_cndmask_b32_e64 v13, v13, v9, s[18:19]
	;; [unrolled: 1-line block ×4, first 2 shown]
	v_cmp_neq_f64_e32 vcc, v[13:14], v[3:4]
	v_cmp_class_f64_e64 s[0:1], v[13:14], s0
	s_or_b64 s[0:1], vcc, s[0:1]
	s_and_saveexec_b64 s[4:5], s[0:1]
	s_cbranch_execz .LBB70_248
; %bb.247:
	v_add_f64 v[9:10], v[13:14], -v[3:4]
	s_mov_b32 s0, 0x652b82fe
	s_mov_b32 s1, 0x3ff71547
	;; [unrolled: 1-line block ×6, first 2 shown]
	v_mov_b32_e32 v17, 0xfca7ab0c
	v_mul_f64 v[13:14], v[9:10], s[0:1]
	s_mov_b32 s0, 0x6a5dcb37
	v_mov_b32_e32 v18, 0x3e928af3
	s_mov_b32 s1, 0x3e5ade15
	s_mov_b32 s2, 0
	;; [unrolled: 1-line block ×3, first 2 shown]
	v_cmp_ngt_f64_e64 s[2:3], s[2:3], v[9:10]
	v_mov_b32_e32 v51, 0x7ff00000
	v_rndne_f64_e32 v[13:14], v[13:14]
	v_fma_f64 v[15:16], v[13:14], s[6:7], v[9:10]
	s_mov_b32 s7, 0x3fe62e42
	v_fma_f64 v[15:16], v[13:14], s[8:9], v[15:16]
	v_cvt_i32_f64_e32 v13, v[13:14]
	s_mov_b32 s9, 0x3c7abc9e
	v_fma_f64 v[17:18], v[15:16], s[0:1], v[17:18]
	s_mov_b32 s0, 0x623fde64
	s_mov_b32 s1, 0x3ec71dee
	v_fma_f64 v[17:18], v[15:16], v[17:18], s[0:1]
	s_mov_b32 s0, 0x7c89e6b0
	;; [unrolled: 3-line block ×9, first 2 shown]
	s_mov_b32 s1, 0x40900000
	v_cmp_nlt_f64_e32 vcc, s[0:1], v[9:10]
	s_mov_b32 s0, 0xbf559e2b
	s_mov_b32 s1, 0x3fc3ab76
	v_fma_f64 v[17:18], v[15:16], v[17:18], 1.0
	v_fma_f64 v[15:16], v[15:16], v[17:18], 1.0
	v_ldexp_f64 v[13:14], v[15:16], v13
	v_cndmask_b32_e32 v14, v51, v14, vcc
	s_and_b64 vcc, s[2:3], vcc
	v_cndmask_b32_e64 v10, 0, v14, s[2:3]
	v_cndmask_b32_e32 v9, 0, v13, vcc
	v_add_f64 v[13:14], v[9:10], 1.0
	s_mov_b32 s3, 0x3fe55555
	s_mov_b32 s2, 0x55555555
	v_frexp_mant_f64_e32 v[17:18], v[13:14]
	v_frexp_exp_i32_f64_e32 v21, v[13:14]
	v_add_f64 v[15:16], v[13:14], -1.0
	v_cmp_gt_f64_e32 vcc, s[2:3], v[17:18]
	s_mov_b32 s2, 0x55555780
	v_add_f64 v[19:20], v[15:16], -v[13:14]
	v_add_f64 v[15:16], v[9:10], -v[15:16]
	v_subbrev_co_u32_e32 v52, vcc, 0, v21, vcc
	v_sub_u32_e32 v21, 0, v52
	v_ldexp_f64 v[13:14], v[13:14], v21
	v_add_f64 v[17:18], v[19:20], 1.0
	v_cmp_nge_f64_e32 vcc, -1.0, v[9:10]
	v_add_f64 v[19:20], v[13:14], 1.0
	v_add_f64 v[15:16], v[15:16], v[17:18]
	v_add_f64 v[41:42], v[13:14], -1.0
	v_add_f64 v[17:18], v[19:20], -1.0
	v_ldexp_f64 v[15:16], v[15:16], v21
	v_add_f64 v[43:44], v[41:42], 1.0
	v_add_f64 v[17:18], v[13:14], -v[17:18]
	v_add_f64 v[13:14], v[13:14], -v[43:44]
	v_add_f64 v[17:18], v[15:16], v[17:18]
	v_add_f64 v[13:14], v[15:16], v[13:14]
	;; [unrolled: 1-line block ×4, first 2 shown]
	v_rcp_f64_e32 v[33:34], v[21:22]
	v_add_f64 v[19:20], v[21:22], -v[19:20]
	v_add_f64 v[41:42], v[43:44], -v[41:42]
	;; [unrolled: 1-line block ×4, first 2 shown]
	v_fma_f64 v[45:46], -v[21:22], v[33:34], 1.0
	v_fma_f64 v[33:34], v[45:46], v[33:34], v[33:34]
	v_fma_f64 v[15:16], -v[21:22], v[33:34], 1.0
	v_fma_f64 v[15:16], v[15:16], v[33:34], v[33:34]
	v_mul_f64 v[33:34], v[43:44], v[15:16]
	v_mul_f64 v[45:46], v[21:22], v[33:34]
	v_fma_f64 v[19:20], v[33:34], v[21:22], -v[45:46]
	v_fma_f64 v[19:20], v[33:34], v[17:18], v[19:20]
	v_add_f64 v[47:48], v[45:46], v[19:20]
	v_add_f64 v[49:50], v[43:44], -v[47:48]
	v_add_f64 v[41:42], v[47:48], -v[45:46]
	;; [unrolled: 1-line block ×5, first 2 shown]
	v_add_f64 v[13:14], v[13:14], v[43:44]
	v_add_f64 v[13:14], v[19:20], v[13:14]
	;; [unrolled: 1-line block ×3, first 2 shown]
	v_mul_f64 v[41:42], v[15:16], v[19:20]
	v_add_f64 v[47:48], v[49:50], -v[19:20]
	v_mul_f64 v[43:44], v[21:22], v[41:42]
	v_add_f64 v[13:14], v[13:14], v[47:48]
	v_fma_f64 v[21:22], v[41:42], v[21:22], -v[43:44]
	v_fma_f64 v[17:18], v[41:42], v[17:18], v[21:22]
	v_add_f64 v[21:22], v[43:44], v[17:18]
	v_add_f64 v[45:46], v[19:20], -v[21:22]
	v_add_f64 v[43:44], v[21:22], -v[43:44]
	;; [unrolled: 1-line block ×5, first 2 shown]
	v_mov_b32_e32 v21, 0x6b47b09a
	v_mov_b32_e32 v22, 0x3fc38538
	v_add_f64 v[13:14], v[13:14], v[19:20]
	v_add_f64 v[19:20], v[33:34], v[41:42]
	;; [unrolled: 1-line block ×3, first 2 shown]
	v_add_f64 v[17:18], v[19:20], -v[33:34]
	v_add_f64 v[13:14], v[45:46], v[13:14]
	v_add_f64 v[17:18], v[41:42], -v[17:18]
	v_mul_f64 v[13:14], v[15:16], v[13:14]
	v_add_f64 v[13:14], v[17:18], v[13:14]
	v_add_f64 v[15:16], v[19:20], v[13:14]
	v_mul_f64 v[17:18], v[15:16], v[15:16]
	v_fma_f64 v[21:22], v[17:18], s[0:1], v[21:22]
	s_mov_b32 s0, 0xd7f4df2e
	s_mov_b32 s1, 0x3fc7474d
	v_mul_f64 v[33:34], v[15:16], v[17:18]
	v_fma_f64 v[21:22], v[17:18], v[21:22], s[0:1]
	s_mov_b32 s0, 0x16291751
	s_mov_b32 s1, 0x3fcc71c0
	v_fma_f64 v[21:22], v[17:18], v[21:22], s[0:1]
	s_mov_b32 s0, 0x9b27acf1
	s_mov_b32 s1, 0x3fd24924
	;; [unrolled: 3-line block ×4, first 2 shown]
	v_fma_f64 v[17:18], v[17:18], v[21:22], s[2:3]
	v_ldexp_f64 v[21:22], v[15:16], 1
	v_add_f64 v[15:16], v[15:16], -v[19:20]
	v_cmp_neq_f64_e64 s[2:3], s[0:1], v[9:10]
	v_mul_f64 v[17:18], v[33:34], v[17:18]
	v_cvt_f64_i32_e32 v[33:34], v52
	v_add_f64 v[13:14], v[13:14], -v[15:16]
	s_and_b64 vcc, vcc, s[2:3]
	v_mul_f64 v[41:42], v[33:34], s[6:7]
	v_add_f64 v[19:20], v[21:22], v[17:18]
	v_ldexp_f64 v[13:14], v[13:14], 1
	v_add_f64 v[15:16], v[19:20], -v[21:22]
	v_fma_f64 v[21:22], v[33:34], s[6:7], -v[41:42]
	v_add_f64 v[15:16], v[17:18], -v[15:16]
	v_fma_f64 v[17:18], v[33:34], s[8:9], v[21:22]
	v_add_f64 v[13:14], v[13:14], v[15:16]
	v_add_f64 v[15:16], v[41:42], v[17:18]
	;; [unrolled: 1-line block ×3, first 2 shown]
	v_add_f64 v[41:42], v[15:16], -v[41:42]
	v_add_f64 v[33:34], v[15:16], v[21:22]
	v_add_f64 v[19:20], v[21:22], -v[19:20]
	v_add_f64 v[17:18], v[17:18], -v[41:42]
	;; [unrolled: 1-line block ×6, first 2 shown]
	v_add_f64 v[21:22], v[17:18], v[13:14]
	v_add_f64 v[15:16], v[15:16], -v[45:46]
	v_add_f64 v[15:16], v[19:20], v[15:16]
	v_add_f64 v[19:20], v[21:22], -v[17:18]
	;; [unrolled: 2-line block ×3, first 2 shown]
	v_add_f64 v[13:14], v[13:14], -v[19:20]
	v_add_f64 v[41:42], v[33:34], v[15:16]
	v_add_f64 v[17:18], v[17:18], -v[21:22]
	v_add_f64 v[19:20], v[41:42], -v[33:34]
	v_add_f64 v[13:14], v[13:14], v[17:18]
	v_add_f64 v[15:16], v[15:16], -v[19:20]
	v_add_f64 v[13:14], v[13:14], v[15:16]
	v_mov_b32_e32 v15, 0x7ff80000
	v_mov_b32_e32 v16, 0xfff00000
	v_add_f64 v[13:14], v[41:42], v[13:14]
	v_cndmask_b32_e32 v13, 0, v13, vcc
	v_cmp_ngt_f64_e32 vcc, -1.0, v[9:10]
	v_cndmask_b32_e64 v14, v51, v14, s[2:3]
	v_cndmask_b32_e32 v14, v15, v14, vcc
	v_cmp_neq_f64_e32 vcc, -1.0, v[9:10]
	v_cndmask_b32_e32 v14, v16, v14, vcc
	v_add_f64 v[33:34], v[3:4], v[13:14]
.LBB70_248:
	s_or_b64 exec, exec, s[4:5]
	v_max_f64 v[3:4], v[33:34], v[33:34]
	v_cmp_u_f64_e32 vcc, v[33:34], v[33:34]
	s_movk_i32 s0, 0x1f8
	v_min_f64 v[9:10], v[3:4], v[35:36]
	v_max_f64 v[3:4], v[3:4], v[35:36]
	v_mov_b32_e32 v36, v34
	v_mov_b32_e32 v35, v33
	v_cndmask_b32_e32 v9, v9, v33, vcc
	v_cndmask_b32_e32 v10, v10, v34, vcc
	v_cndmask_b32_e32 v3, v3, v33, vcc
	v_cndmask_b32_e32 v4, v4, v34, vcc
	v_cndmask_b32_e64 v10, v10, v12, s[12:13]
	v_cndmask_b32_e64 v9, v9, v11, s[12:13]
	;; [unrolled: 1-line block ×4, first 2 shown]
	v_cmp_neq_f64_e32 vcc, v[9:10], v[3:4]
	v_cmp_class_f64_e64 s[2:3], v[9:10], s0
	s_or_b64 s[2:3], vcc, s[2:3]
	s_and_saveexec_b64 s[4:5], s[2:3]
	s_cbranch_execz .LBB70_250
; %bb.249:
	v_add_f64 v[9:10], v[9:10], -v[3:4]
	s_mov_b32 s2, 0x652b82fe
	s_mov_b32 s3, 0x3ff71547
	;; [unrolled: 1-line block ×6, first 2 shown]
	v_mov_b32_e32 v15, 0xfca7ab0c
	v_mul_f64 v[11:12], v[9:10], s[2:3]
	s_mov_b32 s2, 0x6a5dcb37
	v_mov_b32_e32 v16, 0x3e928af3
	s_mov_b32 s3, 0x3e5ade15
	s_mov_b32 s10, 0
	;; [unrolled: 1-line block ×3, first 2 shown]
	v_mov_b32_e32 v49, 0x7ff00000
	v_rndne_f64_e32 v[11:12], v[11:12]
	v_fma_f64 v[13:14], v[11:12], s[6:7], v[9:10]
	s_mov_b32 s7, 0x3fe62e42
	v_fma_f64 v[13:14], v[11:12], s[8:9], v[13:14]
	v_cvt_i32_f64_e32 v11, v[11:12]
	s_mov_b32 s9, 0x3c7abc9e
	v_fma_f64 v[15:16], v[13:14], s[2:3], v[15:16]
	s_mov_b32 s2, 0x623fde64
	s_mov_b32 s3, 0x3ec71dee
	v_fma_f64 v[15:16], v[13:14], v[15:16], s[2:3]
	s_mov_b32 s2, 0x7c89e6b0
	s_mov_b32 s3, 0x3efa0199
	v_fma_f64 v[15:16], v[13:14], v[15:16], s[2:3]
	s_mov_b32 s2, 0x14761f6e
	s_mov_b32 s3, 0x3f2a01a0
	v_fma_f64 v[15:16], v[13:14], v[15:16], s[2:3]
	s_mov_b32 s2, 0x1852b7b0
	s_mov_b32 s3, 0x3f56c16c
	v_fma_f64 v[15:16], v[13:14], v[15:16], s[2:3]
	s_mov_b32 s2, 0x11122322
	s_mov_b32 s3, 0x3f811111
	v_fma_f64 v[15:16], v[13:14], v[15:16], s[2:3]
	s_mov_b32 s2, 0x555502a1
	s_mov_b32 s3, 0x3fa55555
	v_fma_f64 v[15:16], v[13:14], v[15:16], s[2:3]
	s_mov_b32 s2, 0x55555511
	s_mov_b32 s3, 0x3fc55555
	v_fma_f64 v[15:16], v[13:14], v[15:16], s[2:3]
	s_mov_b32 s2, 11
	s_mov_b32 s3, 0x3fe00000
	v_fma_f64 v[15:16], v[13:14], v[15:16], s[2:3]
	s_mov_b32 s2, 0
	s_mov_b32 s3, 0x40900000
	v_cmp_nlt_f64_e32 vcc, s[2:3], v[9:10]
	v_cmp_ngt_f64_e64 s[2:3], s[10:11], v[9:10]
	s_mov_b32 s10, 0xbf559e2b
	s_mov_b32 s11, 0x3fc3ab76
	v_fma_f64 v[15:16], v[13:14], v[15:16], 1.0
	v_fma_f64 v[13:14], v[13:14], v[15:16], 1.0
	v_ldexp_f64 v[11:12], v[13:14], v11
	v_cndmask_b32_e32 v12, v49, v12, vcc
	s_and_b64 vcc, s[2:3], vcc
	v_cndmask_b32_e64 v10, 0, v12, s[2:3]
	v_cndmask_b32_e32 v9, 0, v11, vcc
	v_add_f64 v[11:12], v[9:10], 1.0
	s_mov_b32 s3, 0x3fe55555
	s_mov_b32 s2, 0x55555555
	v_frexp_mant_f64_e32 v[15:16], v[11:12]
	v_frexp_exp_i32_f64_e32 v19, v[11:12]
	v_add_f64 v[13:14], v[11:12], -1.0
	v_cmp_gt_f64_e32 vcc, s[2:3], v[15:16]
	s_mov_b32 s2, 0x55555780
	v_add_f64 v[17:18], v[13:14], -v[11:12]
	v_add_f64 v[13:14], v[9:10], -v[13:14]
	v_subbrev_co_u32_e32 v50, vcc, 0, v19, vcc
	v_sub_u32_e32 v19, 0, v50
	v_ldexp_f64 v[11:12], v[11:12], v19
	v_add_f64 v[15:16], v[17:18], 1.0
	v_cmp_nge_f64_e32 vcc, -1.0, v[9:10]
	v_add_f64 v[17:18], v[11:12], 1.0
	v_add_f64 v[13:14], v[13:14], v[15:16]
	v_add_f64 v[35:36], v[11:12], -1.0
	v_add_f64 v[15:16], v[17:18], -1.0
	v_ldexp_f64 v[13:14], v[13:14], v19
	v_add_f64 v[41:42], v[35:36], 1.0
	v_add_f64 v[15:16], v[11:12], -v[15:16]
	v_add_f64 v[11:12], v[11:12], -v[41:42]
	v_add_f64 v[15:16], v[13:14], v[15:16]
	v_add_f64 v[11:12], v[13:14], v[11:12]
	;; [unrolled: 1-line block ×4, first 2 shown]
	v_rcp_f64_e32 v[21:22], v[19:20]
	v_add_f64 v[17:18], v[19:20], -v[17:18]
	v_add_f64 v[35:36], v[41:42], -v[35:36]
	;; [unrolled: 1-line block ×4, first 2 shown]
	v_fma_f64 v[43:44], -v[19:20], v[21:22], 1.0
	v_fma_f64 v[21:22], v[43:44], v[21:22], v[21:22]
	v_fma_f64 v[13:14], -v[19:20], v[21:22], 1.0
	v_fma_f64 v[13:14], v[13:14], v[21:22], v[21:22]
	v_mul_f64 v[21:22], v[41:42], v[13:14]
	v_mul_f64 v[43:44], v[19:20], v[21:22]
	v_fma_f64 v[17:18], v[21:22], v[19:20], -v[43:44]
	v_fma_f64 v[17:18], v[21:22], v[15:16], v[17:18]
	v_add_f64 v[45:46], v[43:44], v[17:18]
	v_add_f64 v[47:48], v[41:42], -v[45:46]
	v_add_f64 v[35:36], v[45:46], -v[43:44]
	;; [unrolled: 1-line block ×5, first 2 shown]
	v_add_f64 v[11:12], v[11:12], v[41:42]
	v_add_f64 v[11:12], v[17:18], v[11:12]
	;; [unrolled: 1-line block ×3, first 2 shown]
	v_mul_f64 v[35:36], v[13:14], v[17:18]
	v_add_f64 v[45:46], v[47:48], -v[17:18]
	v_mul_f64 v[41:42], v[19:20], v[35:36]
	v_add_f64 v[11:12], v[11:12], v[45:46]
	v_fma_f64 v[19:20], v[35:36], v[19:20], -v[41:42]
	v_fma_f64 v[15:16], v[35:36], v[15:16], v[19:20]
	v_add_f64 v[19:20], v[41:42], v[15:16]
	v_add_f64 v[43:44], v[17:18], -v[19:20]
	v_add_f64 v[41:42], v[19:20], -v[41:42]
	;; [unrolled: 1-line block ×5, first 2 shown]
	v_mov_b32_e32 v19, 0x6b47b09a
	v_mov_b32_e32 v20, 0x3fc38538
	v_add_f64 v[11:12], v[11:12], v[17:18]
	v_add_f64 v[17:18], v[21:22], v[35:36]
	;; [unrolled: 1-line block ×3, first 2 shown]
	v_add_f64 v[15:16], v[17:18], -v[21:22]
	v_add_f64 v[11:12], v[43:44], v[11:12]
	v_add_f64 v[15:16], v[35:36], -v[15:16]
	v_mul_f64 v[11:12], v[13:14], v[11:12]
	v_add_f64 v[11:12], v[15:16], v[11:12]
	v_add_f64 v[13:14], v[17:18], v[11:12]
	v_mul_f64 v[15:16], v[13:14], v[13:14]
	v_fma_f64 v[19:20], v[15:16], s[10:11], v[19:20]
	s_mov_b32 s10, 0xd7f4df2e
	s_mov_b32 s11, 0x3fc7474d
	v_mul_f64 v[21:22], v[13:14], v[15:16]
	v_fma_f64 v[19:20], v[15:16], v[19:20], s[10:11]
	s_mov_b32 s10, 0x16291751
	s_mov_b32 s11, 0x3fcc71c0
	v_fma_f64 v[19:20], v[15:16], v[19:20], s[10:11]
	s_mov_b32 s10, 0x9b27acf1
	s_mov_b32 s11, 0x3fd24924
	;; [unrolled: 3-line block ×3, first 2 shown]
	v_fma_f64 v[19:20], v[15:16], v[19:20], s[10:11]
	v_fma_f64 v[15:16], v[15:16], v[19:20], s[2:3]
	v_ldexp_f64 v[19:20], v[13:14], 1
	v_add_f64 v[13:14], v[13:14], -v[17:18]
	s_mov_b32 s2, 0
	s_mov_b32 s3, 0x7ff00000
	v_cmp_neq_f64_e64 s[2:3], s[2:3], v[9:10]
	v_mul_f64 v[15:16], v[21:22], v[15:16]
	v_cvt_f64_i32_e32 v[21:22], v50
	v_add_f64 v[11:12], v[11:12], -v[13:14]
	v_mul_f64 v[35:36], v[21:22], s[6:7]
	s_and_b64 vcc, vcc, s[2:3]
	v_add_f64 v[17:18], v[19:20], v[15:16]
	v_ldexp_f64 v[11:12], v[11:12], 1
	v_add_f64 v[13:14], v[17:18], -v[19:20]
	v_fma_f64 v[19:20], v[21:22], s[6:7], -v[35:36]
	v_add_f64 v[13:14], v[15:16], -v[13:14]
	v_fma_f64 v[15:16], v[21:22], s[8:9], v[19:20]
	v_add_f64 v[11:12], v[11:12], v[13:14]
	v_add_f64 v[13:14], v[35:36], v[15:16]
	;; [unrolled: 1-line block ×3, first 2 shown]
	v_add_f64 v[35:36], v[13:14], -v[35:36]
	v_add_f64 v[21:22], v[13:14], v[19:20]
	v_add_f64 v[17:18], v[19:20], -v[17:18]
	v_add_f64 v[15:16], v[15:16], -v[35:36]
	;; [unrolled: 1-line block ×6, first 2 shown]
	v_add_f64 v[19:20], v[15:16], v[11:12]
	v_add_f64 v[13:14], v[13:14], -v[43:44]
	v_add_f64 v[13:14], v[17:18], v[13:14]
	v_add_f64 v[17:18], v[19:20], -v[15:16]
	;; [unrolled: 2-line block ×3, first 2 shown]
	v_add_f64 v[11:12], v[11:12], -v[17:18]
	v_add_f64 v[35:36], v[21:22], v[13:14]
	v_add_f64 v[15:16], v[15:16], -v[19:20]
	v_add_f64 v[17:18], v[35:36], -v[21:22]
	v_add_f64 v[11:12], v[11:12], v[15:16]
	v_add_f64 v[13:14], v[13:14], -v[17:18]
	v_add_f64 v[11:12], v[11:12], v[13:14]
	v_mov_b32_e32 v13, 0x7ff80000
	v_mov_b32_e32 v14, 0xfff00000
	v_add_f64 v[11:12], v[35:36], v[11:12]
	v_cndmask_b32_e32 v11, 0, v11, vcc
	v_cmp_ngt_f64_e32 vcc, -1.0, v[9:10]
	v_cndmask_b32_e64 v12, v49, v12, s[2:3]
	v_cndmask_b32_e32 v12, v13, v12, vcc
	v_cmp_neq_f64_e32 vcc, -1.0, v[9:10]
	v_cndmask_b32_e32 v12, v14, v12, vcc
	v_add_f64 v[35:36], v[3:4], v[11:12]
.LBB70_250:
	s_or_b64 exec, exec, s[4:5]
	v_max_f64 v[3:4], v[35:36], v[35:36]
	v_cmp_u_f64_e32 vcc, v[35:36], v[35:36]
	v_min_f64 v[9:10], v[3:4], v[37:38]
	v_max_f64 v[3:4], v[3:4], v[37:38]
	v_mov_b32_e32 v38, v36
	v_mov_b32_e32 v37, v35
	v_cndmask_b32_e32 v9, v9, v35, vcc
	v_cndmask_b32_e32 v10, v10, v36, vcc
	v_cndmask_b32_e32 v3, v3, v35, vcc
	v_cndmask_b32_e32 v4, v4, v36, vcc
	v_cndmask_b32_e64 v10, v10, v6, s[20:21]
	v_cndmask_b32_e64 v9, v9, v5, s[20:21]
	;; [unrolled: 1-line block ×4, first 2 shown]
	v_cmp_neq_f64_e32 vcc, v[9:10], v[3:4]
	v_cmp_class_f64_e64 s[0:1], v[9:10], s0
	s_or_b64 s[0:1], vcc, s[0:1]
	s_and_saveexec_b64 s[4:5], s[0:1]
	s_cbranch_execz .LBB70_252
; %bb.251:
	v_add_f64 v[5:6], v[9:10], -v[3:4]
	s_mov_b32 s0, 0x652b82fe
	s_mov_b32 s1, 0x3ff71547
	;; [unrolled: 1-line block ×6, first 2 shown]
	v_mov_b32_e32 v13, 0xfca7ab0c
	v_mul_f64 v[9:10], v[5:6], s[0:1]
	s_mov_b32 s0, 0x6a5dcb37
	v_mov_b32_e32 v14, 0x3e928af3
	s_mov_b32 s1, 0x3e5ade15
	s_mov_b32 s2, 0
	s_mov_b32 s3, 0xc090cc00
	v_cmp_ngt_f64_e64 s[2:3], s[2:3], v[5:6]
	v_mov_b32_e32 v47, 0x7ff00000
	v_rndne_f64_e32 v[9:10], v[9:10]
	v_fma_f64 v[11:12], v[9:10], s[6:7], v[5:6]
	s_mov_b32 s7, 0x3fe62e42
	v_fma_f64 v[11:12], v[9:10], s[8:9], v[11:12]
	v_cvt_i32_f64_e32 v9, v[9:10]
	s_mov_b32 s9, 0x3c7abc9e
	v_fma_f64 v[13:14], v[11:12], s[0:1], v[13:14]
	s_mov_b32 s0, 0x623fde64
	s_mov_b32 s1, 0x3ec71dee
	v_fma_f64 v[13:14], v[11:12], v[13:14], s[0:1]
	s_mov_b32 s0, 0x7c89e6b0
	s_mov_b32 s1, 0x3efa0199
	v_fma_f64 v[13:14], v[11:12], v[13:14], s[0:1]
	s_mov_b32 s0, 0x14761f6e
	s_mov_b32 s1, 0x3f2a01a0
	v_fma_f64 v[13:14], v[11:12], v[13:14], s[0:1]
	s_mov_b32 s0, 0x1852b7b0
	s_mov_b32 s1, 0x3f56c16c
	v_fma_f64 v[13:14], v[11:12], v[13:14], s[0:1]
	s_mov_b32 s0, 0x11122322
	s_mov_b32 s1, 0x3f811111
	v_fma_f64 v[13:14], v[11:12], v[13:14], s[0:1]
	s_mov_b32 s0, 0x555502a1
	s_mov_b32 s1, 0x3fa55555
	v_fma_f64 v[13:14], v[11:12], v[13:14], s[0:1]
	s_mov_b32 s0, 0x55555511
	s_mov_b32 s1, 0x3fc55555
	v_fma_f64 v[13:14], v[11:12], v[13:14], s[0:1]
	s_mov_b32 s0, 11
	s_mov_b32 s1, 0x3fe00000
	v_fma_f64 v[13:14], v[11:12], v[13:14], s[0:1]
	s_mov_b32 s0, 0
	s_mov_b32 s1, 0x40900000
	v_cmp_nlt_f64_e32 vcc, s[0:1], v[5:6]
	s_mov_b32 s0, 0xbf559e2b
	s_mov_b32 s1, 0x3fc3ab76
	v_fma_f64 v[13:14], v[11:12], v[13:14], 1.0
	v_fma_f64 v[11:12], v[11:12], v[13:14], 1.0
	v_ldexp_f64 v[9:10], v[11:12], v9
	v_cndmask_b32_e32 v10, v47, v10, vcc
	s_and_b64 vcc, s[2:3], vcc
	v_cndmask_b32_e64 v6, 0, v10, s[2:3]
	v_cndmask_b32_e32 v5, 0, v9, vcc
	v_add_f64 v[9:10], v[5:6], 1.0
	s_mov_b32 s3, 0x3fe55555
	s_mov_b32 s2, 0x55555555
	v_frexp_mant_f64_e32 v[13:14], v[9:10]
	v_frexp_exp_i32_f64_e32 v17, v[9:10]
	v_add_f64 v[11:12], v[9:10], -1.0
	v_cmp_gt_f64_e32 vcc, s[2:3], v[13:14]
	s_mov_b32 s2, 0x55555780
	v_add_f64 v[15:16], v[11:12], -v[9:10]
	v_add_f64 v[11:12], v[5:6], -v[11:12]
	v_subbrev_co_u32_e32 v48, vcc, 0, v17, vcc
	v_sub_u32_e32 v17, 0, v48
	v_ldexp_f64 v[9:10], v[9:10], v17
	v_add_f64 v[13:14], v[15:16], 1.0
	v_cmp_nge_f64_e32 vcc, -1.0, v[5:6]
	v_add_f64 v[15:16], v[9:10], 1.0
	v_add_f64 v[11:12], v[11:12], v[13:14]
	v_add_f64 v[21:22], v[9:10], -1.0
	v_add_f64 v[13:14], v[15:16], -1.0
	v_ldexp_f64 v[11:12], v[11:12], v17
	v_add_f64 v[37:38], v[21:22], 1.0
	v_add_f64 v[13:14], v[9:10], -v[13:14]
	v_add_f64 v[9:10], v[9:10], -v[37:38]
	v_add_f64 v[13:14], v[11:12], v[13:14]
	v_add_f64 v[9:10], v[11:12], v[9:10]
	;; [unrolled: 1-line block ×4, first 2 shown]
	v_rcp_f64_e32 v[19:20], v[17:18]
	v_add_f64 v[15:16], v[17:18], -v[15:16]
	v_add_f64 v[21:22], v[37:38], -v[21:22]
	;; [unrolled: 1-line block ×4, first 2 shown]
	v_fma_f64 v[41:42], -v[17:18], v[19:20], 1.0
	v_fma_f64 v[19:20], v[41:42], v[19:20], v[19:20]
	v_fma_f64 v[11:12], -v[17:18], v[19:20], 1.0
	v_fma_f64 v[11:12], v[11:12], v[19:20], v[19:20]
	v_mul_f64 v[19:20], v[37:38], v[11:12]
	v_mul_f64 v[41:42], v[17:18], v[19:20]
	v_fma_f64 v[15:16], v[19:20], v[17:18], -v[41:42]
	v_fma_f64 v[15:16], v[19:20], v[13:14], v[15:16]
	v_add_f64 v[43:44], v[41:42], v[15:16]
	v_add_f64 v[45:46], v[37:38], -v[43:44]
	v_add_f64 v[21:22], v[43:44], -v[41:42]
	;; [unrolled: 1-line block ×5, first 2 shown]
	v_add_f64 v[9:10], v[9:10], v[37:38]
	v_add_f64 v[9:10], v[15:16], v[9:10]
	;; [unrolled: 1-line block ×3, first 2 shown]
	v_mul_f64 v[21:22], v[11:12], v[15:16]
	v_add_f64 v[43:44], v[45:46], -v[15:16]
	v_mul_f64 v[37:38], v[17:18], v[21:22]
	v_add_f64 v[9:10], v[9:10], v[43:44]
	v_fma_f64 v[17:18], v[21:22], v[17:18], -v[37:38]
	v_fma_f64 v[13:14], v[21:22], v[13:14], v[17:18]
	v_add_f64 v[17:18], v[37:38], v[13:14]
	v_add_f64 v[41:42], v[15:16], -v[17:18]
	v_add_f64 v[37:38], v[17:18], -v[37:38]
	;; [unrolled: 1-line block ×5, first 2 shown]
	v_mov_b32_e32 v17, 0x6b47b09a
	v_mov_b32_e32 v18, 0x3fc38538
	v_add_f64 v[9:10], v[9:10], v[15:16]
	v_add_f64 v[15:16], v[19:20], v[21:22]
	v_add_f64 v[9:10], v[13:14], v[9:10]
	v_add_f64 v[13:14], v[15:16], -v[19:20]
	v_add_f64 v[9:10], v[41:42], v[9:10]
	v_add_f64 v[13:14], v[21:22], -v[13:14]
	v_mul_f64 v[9:10], v[11:12], v[9:10]
	v_add_f64 v[9:10], v[13:14], v[9:10]
	v_add_f64 v[11:12], v[15:16], v[9:10]
	v_mul_f64 v[13:14], v[11:12], v[11:12]
	v_fma_f64 v[17:18], v[13:14], s[0:1], v[17:18]
	s_mov_b32 s0, 0xd7f4df2e
	s_mov_b32 s1, 0x3fc7474d
	v_mul_f64 v[19:20], v[11:12], v[13:14]
	v_fma_f64 v[17:18], v[13:14], v[17:18], s[0:1]
	s_mov_b32 s0, 0x16291751
	s_mov_b32 s1, 0x3fcc71c0
	v_fma_f64 v[17:18], v[13:14], v[17:18], s[0:1]
	s_mov_b32 s0, 0x9b27acf1
	s_mov_b32 s1, 0x3fd24924
	v_fma_f64 v[17:18], v[13:14], v[17:18], s[0:1]
	s_mov_b32 s0, 0x998ef7b6
	s_mov_b32 s1, 0x3fd99999
	v_fma_f64 v[17:18], v[13:14], v[17:18], s[0:1]
	s_mov_b32 s0, 0
	s_mov_b32 s1, 0x7ff00000
	v_fma_f64 v[13:14], v[13:14], v[17:18], s[2:3]
	v_ldexp_f64 v[17:18], v[11:12], 1
	v_add_f64 v[11:12], v[11:12], -v[15:16]
	v_cmp_neq_f64_e64 s[2:3], s[0:1], v[5:6]
	v_mul_f64 v[13:14], v[19:20], v[13:14]
	v_cvt_f64_i32_e32 v[19:20], v48
	v_add_f64 v[9:10], v[9:10], -v[11:12]
	s_and_b64 vcc, vcc, s[2:3]
	v_mul_f64 v[21:22], v[19:20], s[6:7]
	v_add_f64 v[15:16], v[17:18], v[13:14]
	v_ldexp_f64 v[9:10], v[9:10], 1
	v_add_f64 v[11:12], v[15:16], -v[17:18]
	v_fma_f64 v[17:18], v[19:20], s[6:7], -v[21:22]
	v_add_f64 v[11:12], v[13:14], -v[11:12]
	v_fma_f64 v[13:14], v[19:20], s[8:9], v[17:18]
	v_add_f64 v[9:10], v[9:10], v[11:12]
	v_add_f64 v[11:12], v[21:22], v[13:14]
	;; [unrolled: 1-line block ×3, first 2 shown]
	v_add_f64 v[21:22], v[11:12], -v[21:22]
	v_add_f64 v[19:20], v[11:12], v[17:18]
	v_add_f64 v[15:16], v[17:18], -v[15:16]
	v_add_f64 v[13:14], v[13:14], -v[21:22]
	;; [unrolled: 1-line block ×6, first 2 shown]
	v_add_f64 v[17:18], v[13:14], v[9:10]
	v_add_f64 v[11:12], v[11:12], -v[41:42]
	v_add_f64 v[11:12], v[15:16], v[11:12]
	v_add_f64 v[15:16], v[17:18], -v[13:14]
	;; [unrolled: 2-line block ×3, first 2 shown]
	v_add_f64 v[9:10], v[9:10], -v[15:16]
	v_add_f64 v[21:22], v[19:20], v[11:12]
	v_add_f64 v[13:14], v[13:14], -v[17:18]
	v_add_f64 v[15:16], v[21:22], -v[19:20]
	v_add_f64 v[9:10], v[9:10], v[13:14]
	v_add_f64 v[11:12], v[11:12], -v[15:16]
	v_add_f64 v[9:10], v[9:10], v[11:12]
	v_mov_b32_e32 v11, 0x7ff80000
	v_mov_b32_e32 v12, 0xfff00000
	v_add_f64 v[9:10], v[21:22], v[9:10]
	v_cndmask_b32_e32 v9, 0, v9, vcc
	v_cmp_ngt_f64_e32 vcc, -1.0, v[5:6]
	v_cndmask_b32_e64 v10, v47, v10, s[2:3]
	v_cndmask_b32_e32 v10, v11, v10, vcc
	v_cmp_neq_f64_e32 vcc, -1.0, v[5:6]
	v_cndmask_b32_e32 v10, v12, v10, vcc
	v_add_f64 v[37:38], v[3:4], v[9:10]
.LBB70_252:
	s_or_b64 exec, exec, s[4:5]
	v_max_f64 v[3:4], v[37:38], v[37:38]
	v_cmp_u_f64_e32 vcc, v[37:38], v[37:38]
	s_movk_i32 s0, 0x1f8
	v_min_f64 v[5:6], v[3:4], v[39:40]
	v_max_f64 v[3:4], v[3:4], v[39:40]
	v_mov_b32_e32 v40, v38
	v_mov_b32_e32 v39, v37
	v_cndmask_b32_e32 v5, v5, v37, vcc
	v_cndmask_b32_e32 v6, v6, v38, vcc
	;; [unrolled: 1-line block ×4, first 2 shown]
	v_cndmask_b32_e64 v6, v6, v8, s[16:17]
	v_cndmask_b32_e64 v5, v5, v7, s[16:17]
	;; [unrolled: 1-line block ×4, first 2 shown]
	v_cmp_neq_f64_e32 vcc, v[5:6], v[3:4]
	v_cmp_class_f64_e64 s[0:1], v[5:6], s0
	s_or_b64 s[0:1], vcc, s[0:1]
	s_and_saveexec_b64 s[4:5], s[0:1]
	s_cbranch_execz .LBB70_254
; %bb.253:
	v_add_f64 v[5:6], v[5:6], -v[3:4]
	s_mov_b32 s0, 0x652b82fe
	s_mov_b32 s1, 0x3ff71547
	;; [unrolled: 1-line block ×6, first 2 shown]
	v_mov_b32_e32 v11, 0xfca7ab0c
	v_mul_f64 v[7:8], v[5:6], s[0:1]
	s_mov_b32 s0, 0x6a5dcb37
	v_mov_b32_e32 v12, 0x3e928af3
	s_mov_b32 s1, 0x3e5ade15
	s_mov_b32 s2, 0
	;; [unrolled: 1-line block ×3, first 2 shown]
	v_cmp_ngt_f64_e64 s[2:3], s[2:3], v[5:6]
	v_mov_b32_e32 v45, 0x7ff00000
	v_rndne_f64_e32 v[7:8], v[7:8]
	v_fma_f64 v[9:10], v[7:8], s[6:7], v[5:6]
	s_mov_b32 s7, 0x3fe62e42
	v_fma_f64 v[9:10], v[7:8], s[8:9], v[9:10]
	v_cvt_i32_f64_e32 v7, v[7:8]
	s_mov_b32 s9, 0x3c7abc9e
	v_fma_f64 v[11:12], v[9:10], s[0:1], v[11:12]
	s_mov_b32 s0, 0x623fde64
	s_mov_b32 s1, 0x3ec71dee
	v_fma_f64 v[11:12], v[9:10], v[11:12], s[0:1]
	s_mov_b32 s0, 0x7c89e6b0
	;; [unrolled: 3-line block ×9, first 2 shown]
	s_mov_b32 s1, 0x40900000
	v_cmp_nlt_f64_e32 vcc, s[0:1], v[5:6]
	s_mov_b32 s0, 0xbf559e2b
	s_mov_b32 s1, 0x3fc3ab76
	v_fma_f64 v[11:12], v[9:10], v[11:12], 1.0
	v_fma_f64 v[9:10], v[9:10], v[11:12], 1.0
	v_ldexp_f64 v[7:8], v[9:10], v7
	v_cndmask_b32_e32 v8, v45, v8, vcc
	s_and_b64 vcc, s[2:3], vcc
	v_cndmask_b32_e64 v6, 0, v8, s[2:3]
	v_cndmask_b32_e32 v5, 0, v7, vcc
	v_add_f64 v[7:8], v[5:6], 1.0
	s_mov_b32 s3, 0x3fe55555
	s_mov_b32 s2, 0x55555555
	v_frexp_mant_f64_e32 v[11:12], v[7:8]
	v_frexp_exp_i32_f64_e32 v15, v[7:8]
	v_add_f64 v[9:10], v[7:8], -1.0
	v_cmp_gt_f64_e32 vcc, s[2:3], v[11:12]
	s_mov_b32 s2, 0x55555780
	v_add_f64 v[13:14], v[9:10], -v[7:8]
	v_add_f64 v[9:10], v[5:6], -v[9:10]
	v_subbrev_co_u32_e32 v46, vcc, 0, v15, vcc
	v_sub_u32_e32 v15, 0, v46
	v_ldexp_f64 v[7:8], v[7:8], v15
	v_add_f64 v[11:12], v[13:14], 1.0
	v_cmp_nge_f64_e32 vcc, -1.0, v[5:6]
	v_add_f64 v[13:14], v[7:8], 1.0
	v_add_f64 v[9:10], v[9:10], v[11:12]
	v_add_f64 v[19:20], v[7:8], -1.0
	v_add_f64 v[11:12], v[13:14], -1.0
	v_ldexp_f64 v[9:10], v[9:10], v15
	v_add_f64 v[21:22], v[19:20], 1.0
	v_add_f64 v[11:12], v[7:8], -v[11:12]
	v_add_f64 v[7:8], v[7:8], -v[21:22]
	v_add_f64 v[11:12], v[9:10], v[11:12]
	v_add_f64 v[7:8], v[9:10], v[7:8]
	;; [unrolled: 1-line block ×4, first 2 shown]
	v_rcp_f64_e32 v[17:18], v[15:16]
	v_add_f64 v[13:14], v[15:16], -v[13:14]
	v_add_f64 v[19:20], v[21:22], -v[19:20]
	;; [unrolled: 1-line block ×4, first 2 shown]
	v_fma_f64 v[39:40], -v[15:16], v[17:18], 1.0
	v_fma_f64 v[17:18], v[39:40], v[17:18], v[17:18]
	v_fma_f64 v[9:10], -v[15:16], v[17:18], 1.0
	v_fma_f64 v[9:10], v[9:10], v[17:18], v[17:18]
	v_mul_f64 v[17:18], v[21:22], v[9:10]
	v_mul_f64 v[39:40], v[15:16], v[17:18]
	v_fma_f64 v[13:14], v[17:18], v[15:16], -v[39:40]
	v_fma_f64 v[13:14], v[17:18], v[11:12], v[13:14]
	v_add_f64 v[41:42], v[39:40], v[13:14]
	v_add_f64 v[43:44], v[21:22], -v[41:42]
	v_add_f64 v[19:20], v[41:42], -v[39:40]
	;; [unrolled: 1-line block ×5, first 2 shown]
	v_add_f64 v[7:8], v[7:8], v[21:22]
	v_add_f64 v[7:8], v[13:14], v[7:8]
	;; [unrolled: 1-line block ×3, first 2 shown]
	v_mul_f64 v[19:20], v[9:10], v[13:14]
	v_add_f64 v[41:42], v[43:44], -v[13:14]
	v_mul_f64 v[21:22], v[15:16], v[19:20]
	v_add_f64 v[7:8], v[7:8], v[41:42]
	v_fma_f64 v[15:16], v[19:20], v[15:16], -v[21:22]
	v_fma_f64 v[11:12], v[19:20], v[11:12], v[15:16]
	v_add_f64 v[15:16], v[21:22], v[11:12]
	v_add_f64 v[39:40], v[13:14], -v[15:16]
	v_add_f64 v[21:22], v[15:16], -v[21:22]
	;; [unrolled: 1-line block ×5, first 2 shown]
	v_mov_b32_e32 v15, 0x6b47b09a
	v_mov_b32_e32 v16, 0x3fc38538
	v_add_f64 v[7:8], v[7:8], v[13:14]
	v_add_f64 v[13:14], v[17:18], v[19:20]
	;; [unrolled: 1-line block ×3, first 2 shown]
	v_add_f64 v[11:12], v[13:14], -v[17:18]
	v_add_f64 v[7:8], v[39:40], v[7:8]
	v_add_f64 v[11:12], v[19:20], -v[11:12]
	v_mul_f64 v[7:8], v[9:10], v[7:8]
	v_add_f64 v[7:8], v[11:12], v[7:8]
	v_add_f64 v[9:10], v[13:14], v[7:8]
	v_mul_f64 v[11:12], v[9:10], v[9:10]
	v_fma_f64 v[15:16], v[11:12], s[0:1], v[15:16]
	s_mov_b32 s0, 0xd7f4df2e
	s_mov_b32 s1, 0x3fc7474d
	v_mul_f64 v[17:18], v[9:10], v[11:12]
	v_fma_f64 v[15:16], v[11:12], v[15:16], s[0:1]
	s_mov_b32 s0, 0x16291751
	s_mov_b32 s1, 0x3fcc71c0
	v_fma_f64 v[15:16], v[11:12], v[15:16], s[0:1]
	s_mov_b32 s0, 0x9b27acf1
	s_mov_b32 s1, 0x3fd24924
	;; [unrolled: 3-line block ×4, first 2 shown]
	v_fma_f64 v[11:12], v[11:12], v[15:16], s[2:3]
	v_ldexp_f64 v[15:16], v[9:10], 1
	v_add_f64 v[9:10], v[9:10], -v[13:14]
	v_cmp_neq_f64_e64 s[2:3], s[0:1], v[5:6]
	v_mul_f64 v[11:12], v[17:18], v[11:12]
	v_cvt_f64_i32_e32 v[17:18], v46
	v_add_f64 v[7:8], v[7:8], -v[9:10]
	s_and_b64 vcc, vcc, s[2:3]
	v_mul_f64 v[19:20], v[17:18], s[6:7]
	v_add_f64 v[13:14], v[15:16], v[11:12]
	v_ldexp_f64 v[7:8], v[7:8], 1
	v_add_f64 v[9:10], v[13:14], -v[15:16]
	v_fma_f64 v[15:16], v[17:18], s[6:7], -v[19:20]
	v_add_f64 v[9:10], v[11:12], -v[9:10]
	v_fma_f64 v[11:12], v[17:18], s[8:9], v[15:16]
	v_add_f64 v[7:8], v[7:8], v[9:10]
	v_add_f64 v[9:10], v[19:20], v[11:12]
	;; [unrolled: 1-line block ×3, first 2 shown]
	v_add_f64 v[19:20], v[9:10], -v[19:20]
	v_add_f64 v[17:18], v[9:10], v[15:16]
	v_add_f64 v[13:14], v[15:16], -v[13:14]
	v_add_f64 v[11:12], v[11:12], -v[19:20]
	;; [unrolled: 1-line block ×6, first 2 shown]
	v_add_f64 v[15:16], v[11:12], v[7:8]
	v_add_f64 v[9:10], v[9:10], -v[39:40]
	v_add_f64 v[9:10], v[13:14], v[9:10]
	v_add_f64 v[13:14], v[15:16], -v[11:12]
	;; [unrolled: 2-line block ×3, first 2 shown]
	v_add_f64 v[7:8], v[7:8], -v[13:14]
	v_add_f64 v[19:20], v[17:18], v[9:10]
	v_add_f64 v[11:12], v[11:12], -v[15:16]
	v_add_f64 v[13:14], v[19:20], -v[17:18]
	v_add_f64 v[7:8], v[7:8], v[11:12]
	v_add_f64 v[9:10], v[9:10], -v[13:14]
	v_add_f64 v[7:8], v[7:8], v[9:10]
	v_mov_b32_e32 v9, 0x7ff80000
	v_mov_b32_e32 v10, 0xfff00000
	v_add_f64 v[7:8], v[19:20], v[7:8]
	v_cndmask_b32_e32 v7, 0, v7, vcc
	v_cmp_ngt_f64_e32 vcc, -1.0, v[5:6]
	v_cndmask_b32_e64 v8, v45, v8, s[2:3]
	v_cndmask_b32_e32 v8, v9, v8, vcc
	v_cmp_neq_f64_e32 vcc, -1.0, v[5:6]
	v_cndmask_b32_e32 v8, v10, v8, vcc
	v_add_f64 v[39:40], v[3:4], v[7:8]
.LBB70_254:
	s_or_b64 exec, exec, s[4:5]
	s_movk_i32 s0, 0x7f
	v_cmp_eq_u32_e32 vcc, s0, v0
	s_and_saveexec_b64 s[2:3], vcc
	s_cbranch_execz .LBB70_256
; %bb.255:
	s_add_u32 s0, s52, 0x400
	s_addc_u32 s1, s53, 0
	v_mov_b32_e32 v8, s1
	v_mov_b32_e32 v5, 2
	;; [unrolled: 1-line block ×6, first 2 shown]
	;;#ASMSTART
	global_store_dwordx4 v[7:8], v[3:6] off	
s_waitcnt vmcnt(0)
	;;#ASMEND
.LBB70_256:
	s_or_b64 exec, exec, s[2:3]
	v_mov_b32_e32 v22, v2
	v_mov_b32_e32 v21, v1
.LBB70_257:
	s_add_u32 s0, s48, s46
	s_addc_u32 s1, s49, s47
	s_add_u32 s2, s0, s44
	s_addc_u32 s3, s1, s45
	v_readlane_b32 s0, v102, 8
	v_readlane_b32 s1, v102, 9
	s_mov_b64 s[4:5], -1
	s_and_b64 vcc, exec, s[0:1]
	s_barrier
	s_cbranch_vccz .LBB70_259
; %bb.258:
	ds_write_b128 v66, v[21:24]
	ds_write_b128 v66, v[25:28] offset:16
	ds_write_b128 v66, v[29:32] offset:32
	;; [unrolled: 1-line block ×4, first 2 shown]
	s_waitcnt lgkmcnt(0)
	s_barrier
	ds_read2st64_b64 v[1:4], v65 offset1:2
	ds_read2st64_b64 v[5:8], v65 offset0:4 offset1:6
	ds_read2st64_b64 v[9:12], v65 offset0:8 offset1:10
	;; [unrolled: 1-line block ×4, first 2 shown]
	v_mov_b32_e32 v41, s3
	v_add_co_u32_e32 v42, vcc, s2, v65
	v_addc_co_u32_e32 v41, vcc, 0, v41, vcc
	s_movk_i32 s0, 0x1000
	s_waitcnt lgkmcnt(4)
	global_store_dwordx2 v65, v[1:2], s[2:3]
	global_store_dwordx2 v65, v[3:4], s[2:3] offset:1024
	s_waitcnt lgkmcnt(3)
	global_store_dwordx2 v65, v[5:6], s[2:3] offset:2048
	global_store_dwordx2 v65, v[7:8], s[2:3] offset:3072
	v_add_co_u32_e32 v1, vcc, s0, v42
	v_addc_co_u32_e32 v2, vcc, 0, v41, vcc
	s_waitcnt lgkmcnt(2)
	global_store_dwordx2 v[1:2], v[9:10], off
	global_store_dwordx2 v[1:2], v[11:12], off offset:1024
	s_waitcnt lgkmcnt(1)
	global_store_dwordx2 v[1:2], v[13:14], off offset:2048
	global_store_dwordx2 v[1:2], v[15:16], off offset:3072
	v_add_co_u32_e32 v1, vcc, 0x2000, v42
	v_addc_co_u32_e32 v2, vcc, 0, v41, vcc
	s_waitcnt lgkmcnt(0)
	global_store_dwordx2 v[1:2], v[17:18], off
	global_store_dwordx2 v[1:2], v[19:20], off offset:1024
	s_mov_b64 s[4:5], 0
.LBB70_259:
	s_andn2_b64 vcc, exec, s[4:5]
	s_cbranch_vccnz .LBB70_315
; %bb.260:
	ds_write_b128 v66, v[21:24]
	ds_write_b128 v66, v[25:28] offset:16
	ds_write_b128 v66, v[29:32] offset:32
	;; [unrolled: 1-line block ×4, first 2 shown]
	s_waitcnt vmcnt(0) lgkmcnt(0)
	s_barrier
	ds_read2st64_b64 v[2:5], v65 offset1:2
	ds_read2st64_b64 v[10:13], v65 offset0:4 offset1:6
	ds_read2st64_b64 v[6:9], v65 offset0:8 offset1:10
	ds_read2st64_b64 v[14:17], v65 offset0:12 offset1:14
	ds_read2st64_b64 v[18:21], v65 offset0:16 offset1:18
	v_mov_b32_e32 v23, s3
	v_add_co_u32_e32 v22, vcc, s2, v65
	v_addc_co_u32_e32 v23, vcc, 0, v23, vcc
	v_mov_b32_e32 v1, 0
	v_cmp_gt_u32_e32 vcc, s33, v0
	s_and_saveexec_b64 s[0:1], vcc
	s_cbranch_execz .LBB70_262
; %bb.261:
	s_waitcnt lgkmcnt(4)
	global_store_dwordx2 v[22:23], v[2:3], off
.LBB70_262:
	s_or_b64 exec, exec, s[0:1]
	v_or_b32_e32 v24, 0x80, v0
	v_cmp_gt_u32_e32 vcc, s33, v24
	s_and_saveexec_b64 s[0:1], vcc
	s_cbranch_execz .LBB70_264
; %bb.263:
	s_waitcnt lgkmcnt(4)
	global_store_dwordx2 v[22:23], v[4:5], off offset:1024
.LBB70_264:
	s_or_b64 exec, exec, s[0:1]
	v_or_b32_e32 v24, 0x100, v0
	v_cmp_gt_u32_e32 vcc, s33, v24
	s_and_saveexec_b64 s[0:1], vcc
	s_cbranch_execz .LBB70_266
; %bb.265:
	s_waitcnt lgkmcnt(3)
	global_store_dwordx2 v[22:23], v[10:11], off offset:2048
.LBB70_266:
	;; [unrolled: 9-line block ×3, first 2 shown]
	s_or_b64 exec, exec, s[0:1]
	v_or_b32_e32 v24, 0x200, v0
	v_cmp_gt_u32_e32 vcc, s33, v24
	s_and_saveexec_b64 s[0:1], vcc
	s_cbranch_execz .LBB70_270
; %bb.269:
	v_add_co_u32_e32 v24, vcc, 0x1000, v22
	v_addc_co_u32_e32 v25, vcc, 0, v23, vcc
	s_waitcnt lgkmcnt(2)
	global_store_dwordx2 v[24:25], v[6:7], off
.LBB70_270:
	s_or_b64 exec, exec, s[0:1]
	v_or_b32_e32 v24, 0x280, v0
	v_cmp_gt_u32_e32 vcc, s33, v24
	s_and_saveexec_b64 s[0:1], vcc
	s_cbranch_execz .LBB70_272
; %bb.271:
	v_add_co_u32_e32 v24, vcc, 0x1000, v22
	v_addc_co_u32_e32 v25, vcc, 0, v23, vcc
	s_waitcnt lgkmcnt(2)
	global_store_dwordx2 v[24:25], v[8:9], off offset:1024
.LBB70_272:
	s_or_b64 exec, exec, s[0:1]
	v_or_b32_e32 v24, 0x300, v0
	v_cmp_gt_u32_e32 vcc, s33, v24
	s_and_saveexec_b64 s[0:1], vcc
	s_cbranch_execz .LBB70_274
; %bb.273:
	v_add_co_u32_e32 v24, vcc, 0x1000, v22
	v_addc_co_u32_e32 v25, vcc, 0, v23, vcc
	s_waitcnt lgkmcnt(1)
	global_store_dwordx2 v[24:25], v[14:15], off offset:2048
.LBB70_274:
	;; [unrolled: 11-line block ×3, first 2 shown]
	s_or_b64 exec, exec, s[0:1]
	v_or_b32_e32 v24, 0x400, v0
	v_cmp_gt_u32_e32 vcc, s33, v24
	s_and_saveexec_b64 s[0:1], vcc
	s_cbranch_execz .LBB70_278
; %bb.277:
	v_add_co_u32_e32 v24, vcc, 0x2000, v22
	v_addc_co_u32_e32 v25, vcc, 0, v23, vcc
	s_waitcnt lgkmcnt(0)
	global_store_dwordx2 v[24:25], v[18:19], off
.LBB70_278:
	s_or_b64 exec, exec, s[0:1]
	v_or_b32_e32 v24, 0x480, v0
	v_cmp_gt_u32_e32 vcc, s33, v24
	s_and_saveexec_b64 s[0:1], vcc
	s_cbranch_execz .LBB70_280
; %bb.279:
	v_add_co_u32_e32 v22, vcc, 0x2000, v22
	v_addc_co_u32_e32 v23, vcc, 0, v23, vcc
	s_waitcnt lgkmcnt(0)
	global_store_dwordx2 v[22:23], v[20:21], off offset:1024
.LBB70_280:
	s_or_b64 exec, exec, s[0:1]
	v_readlane_b32 s0, v102, 0
	v_readlane_b32 s1, v102, 1
	;; [unrolled: 1-line block ×4, first 2 shown]
	v_cmp_lt_u64_e64 s[0:1], s[6:7], 2
	v_readlane_b32 s2, v102, 2
	s_and_b64 vcc, exec, s[0:1]
	v_readlane_b32 s3, v102, 3
	v_readlane_b32 s4, v102, 4
	;; [unrolled: 1-line block ×3, first 2 shown]
	s_cbranch_vccnz .LBB70_315
; %bb.281:
	s_add_u32 s0, s33, -1
	s_addc_u32 s1, s42, -1
	s_mul_i32 s5, s1, 0xcccccccd
	s_mul_hi_u32 s6, s0, 0xcccccccd
	s_mul_hi_u32 s4, s1, 0xcccccccd
	s_add_u32 s5, s5, s6
	s_mul_i32 s3, s0, 0xcccccccc
	s_addc_u32 s4, s4, 0
	s_mul_hi_u32 s2, s0, 0xcccccccc
	s_add_u32 s3, s3, s5
	s_addc_u32 s2, s2, 0
	s_add_u32 s2, s4, s2
	s_addc_u32 s3, 0, 0
	s_mul_i32 s5, s1, 0xcccccccc
	s_mul_hi_u32 s4, s1, 0xcccccccc
	s_add_u32 s2, s5, s2
	s_addc_u32 s3, s4, s3
	s_lshr_b64 s[2:3], s[2:3], 3
	v_cmp_eq_u64_e32 vcc, s[2:3], v[0:1]
	s_and_saveexec_b64 s[2:3], vcc
	s_cbranch_execz .LBB70_315
; %bb.282:
	v_mul_hi_u32_u24_e32 v1, 10, v0
	v_mul_u32_u24_e32 v0, 10, v0
	v_mov_b32_e32 v22, s1
	v_sub_co_u32_e32 v0, vcc, s0, v0
	v_subb_co_u32_e32 v1, vcc, v22, v1, vcc
	v_cmp_lt_i64_e32 vcc, 4, v[0:1]
	s_and_saveexec_b64 s[0:1], vcc
	s_xor_b64 s[0:1], exec, s[0:1]
	s_cbranch_execz .LBB70_300
; %bb.283:
	v_cmp_lt_i64_e32 vcc, 6, v[0:1]
	s_and_saveexec_b64 s[2:3], vcc
	s_xor_b64 s[2:3], exec, s[2:3]
	s_cbranch_execz .LBB70_293
; %bb.284:
	;; [unrolled: 5-line block ×4, first 2 shown]
	v_readlane_b32 s8, v102, 0
	v_mov_b32_e32 v0, 0
	v_readlane_b32 s10, v102, 2
	v_readlane_b32 s11, v102, 3
	;; [unrolled: 1-line block ×7, first 2 shown]
	s_waitcnt lgkmcnt(0)
	global_store_dwordx2 v0, v[20:21], s[10:11]
                                        ; implicit-def: $vgpr18_vgpr19_vgpr20_vgpr21
.LBB70_287:
	s_andn2_saveexec_b64 s[6:7], s[6:7]
	s_cbranch_execz .LBB70_289
; %bb.288:
	v_readlane_b32 s8, v102, 0
	v_mov_b32_e32 v0, 0
	v_readlane_b32 s10, v102, 2
	v_readlane_b32 s11, v102, 3
	;; [unrolled: 1-line block ×7, first 2 shown]
	s_waitcnt lgkmcnt(0)
	global_store_dwordx2 v0, v[18:19], s[10:11]
.LBB70_289:
	s_or_b64 exec, exec, s[6:7]
                                        ; implicit-def: $vgpr14_vgpr15_vgpr16_vgpr17
.LBB70_290:
	s_andn2_saveexec_b64 s[4:5], s[4:5]
	s_cbranch_execz .LBB70_292
; %bb.291:
	v_readlane_b32 s8, v102, 0
	v_mov_b32_e32 v0, 0
	v_readlane_b32 s10, v102, 2
	v_readlane_b32 s11, v102, 3
	;; [unrolled: 1-line block ×7, first 2 shown]
	s_waitcnt lgkmcnt(1)
	global_store_dwordx2 v0, v[16:17], s[10:11]
.LBB70_292:
	s_or_b64 exec, exec, s[4:5]
                                        ; implicit-def: $vgpr6_vgpr7_vgpr8_vgpr9
                                        ; implicit-def: $vgpr0_vgpr1
                                        ; implicit-def: $vgpr14_vgpr15_vgpr16_vgpr17
.LBB70_293:
	s_andn2_saveexec_b64 s[2:3], s[2:3]
	s_cbranch_execz .LBB70_299
; %bb.294:
	v_cmp_lt_i64_e32 vcc, 5, v[0:1]
	s_and_saveexec_b64 s[4:5], vcc
	s_xor_b64 s[4:5], exec, s[4:5]
	s_cbranch_execz .LBB70_296
; %bb.295:
	v_readlane_b32 s8, v102, 0
	v_mov_b32_e32 v0, 0
	v_readlane_b32 s10, v102, 2
	v_readlane_b32 s11, v102, 3
	;; [unrolled: 1-line block ×7, first 2 shown]
	s_waitcnt lgkmcnt(1)
	global_store_dwordx2 v0, v[14:15], s[10:11]
                                        ; implicit-def: $vgpr6_vgpr7_vgpr8_vgpr9
.LBB70_296:
	s_andn2_saveexec_b64 s[4:5], s[4:5]
	s_cbranch_execz .LBB70_298
; %bb.297:
	v_readlane_b32 s8, v102, 0
	v_mov_b32_e32 v0, 0
	v_readlane_b32 s10, v102, 2
	v_readlane_b32 s11, v102, 3
	;; [unrolled: 1-line block ×7, first 2 shown]
	s_waitcnt lgkmcnt(2)
	global_store_dwordx2 v0, v[8:9], s[10:11]
.LBB70_298:
	s_or_b64 exec, exec, s[4:5]
.LBB70_299:
	s_or_b64 exec, exec, s[2:3]
                                        ; implicit-def: $vgpr0_vgpr1
                                        ; implicit-def: $vgpr10_vgpr11_vgpr12_vgpr13
                                        ; implicit-def: $vgpr2_vgpr3_vgpr4_vgpr5
                                        ; implicit-def: $vgpr6_vgpr7_vgpr8_vgpr9
.LBB70_300:
	s_andn2_saveexec_b64 s[0:1], s[0:1]
	s_cbranch_execz .LBB70_315
; %bb.301:
	v_cmp_lt_i64_e32 vcc, 2, v[0:1]
	s_and_saveexec_b64 s[0:1], vcc
	s_xor_b64 s[0:1], exec, s[0:1]
	s_cbranch_execz .LBB70_307
; %bb.302:
	v_cmp_lt_i64_e32 vcc, 3, v[0:1]
	s_and_saveexec_b64 s[2:3], vcc
	s_xor_b64 s[2:3], exec, s[2:3]
	s_cbranch_execz .LBB70_304
; %bb.303:
	v_readlane_b32 s4, v102, 0
	v_mov_b32_e32 v0, 0
	v_readlane_b32 s6, v102, 2
	v_readlane_b32 s7, v102, 3
	;; [unrolled: 1-line block ×7, first 2 shown]
	s_waitcnt lgkmcnt(2)
	global_store_dwordx2 v0, v[6:7], s[6:7]
                                        ; implicit-def: $vgpr10_vgpr11_vgpr12_vgpr13
.LBB70_304:
	s_andn2_saveexec_b64 s[2:3], s[2:3]
	s_cbranch_execz .LBB70_306
; %bb.305:
	v_readlane_b32 s4, v102, 0
	v_mov_b32_e32 v0, 0
	v_readlane_b32 s6, v102, 2
	v_readlane_b32 s7, v102, 3
	;; [unrolled: 1-line block ×7, first 2 shown]
	s_waitcnt lgkmcnt(3)
	global_store_dwordx2 v0, v[12:13], s[6:7]
.LBB70_306:
	s_or_b64 exec, exec, s[2:3]
                                        ; implicit-def: $vgpr0_vgpr1
                                        ; implicit-def: $vgpr10_vgpr11_vgpr12_vgpr13
                                        ; implicit-def: $vgpr2_vgpr3_vgpr4_vgpr5
.LBB70_307:
	s_andn2_saveexec_b64 s[0:1], s[0:1]
	s_cbranch_execz .LBB70_315
; %bb.308:
	v_cmp_lt_i64_e32 vcc, 1, v[0:1]
	s_and_saveexec_b64 s[0:1], vcc
	s_xor_b64 s[0:1], exec, s[0:1]
	s_cbranch_execz .LBB70_310
; %bb.309:
	v_readlane_b32 s4, v102, 0
	v_mov_b32_e32 v0, 0
	v_readlane_b32 s6, v102, 2
	v_readlane_b32 s7, v102, 3
	;; [unrolled: 1-line block ×7, first 2 shown]
	s_waitcnt lgkmcnt(3)
	global_store_dwordx2 v0, v[10:11], s[6:7]
                                        ; implicit-def: $vgpr2_vgpr3_vgpr4_vgpr5
                                        ; implicit-def: $vgpr0_vgpr1
.LBB70_310:
	s_andn2_saveexec_b64 s[0:1], s[0:1]
	s_cbranch_execz .LBB70_315
; %bb.311:
	v_cmp_ne_u64_e32 vcc, 1, v[0:1]
	s_and_saveexec_b64 s[0:1], vcc
	s_xor_b64 s[0:1], exec, s[0:1]
	s_cbranch_execz .LBB70_313
; %bb.312:
	v_readlane_b32 s4, v102, 0
	v_mov_b32_e32 v0, 0
	v_readlane_b32 s6, v102, 2
	v_readlane_b32 s7, v102, 3
	;; [unrolled: 1-line block ×7, first 2 shown]
	s_waitcnt lgkmcnt(4)
	global_store_dwordx2 v0, v[2:3], s[6:7]
                                        ; implicit-def: $vgpr2_vgpr3_vgpr4_vgpr5
.LBB70_313:
	s_andn2_saveexec_b64 s[0:1], s[0:1]
	s_cbranch_execz .LBB70_315
; %bb.314:
	v_readlane_b32 s0, v102, 0
	v_mov_b32_e32 v0, 0
	v_readlane_b32 s2, v102, 2
	v_readlane_b32 s3, v102, 3
	v_readlane_b32 s1, v102, 1
	v_readlane_b32 s4, v102, 4
	v_readlane_b32 s5, v102, 5
	v_readlane_b32 s6, v102, 6
	v_readlane_b32 s7, v102, 7
	s_waitcnt lgkmcnt(4)
	global_store_dwordx2 v0, v[4:5], s[2:3]
.LBB70_315:
	s_endpgm
	.section	.rodata,"a",@progbits
	.p2align	6, 0x0
	.amdhsa_kernel _ZN7rocprim17ROCPRIM_400000_NS6detail17trampoline_kernelINS0_14default_configENS1_20scan_config_selectorIdEEZZNS1_9scan_implILNS1_25lookback_scan_determinismE0ELb0ELb0ES3_PKdPddZZZN2at6native31launch_logcumsumexp_cuda_kernelERKNSB_10TensorBaseESF_lENKUlvE_clEvENKUlvE_clEvEUlddE_dEEDaPvRmT3_T4_T5_mT6_P12ihipStream_tbENKUlT_T0_E_clISt17integral_constantIbLb0EESV_IbLb1EEEEDaSR_SS_EUlSR_E_NS1_11comp_targetILNS1_3genE2ELNS1_11target_archE906ELNS1_3gpuE6ELNS1_3repE0EEENS1_30default_config_static_selectorELNS0_4arch9wavefront6targetE1EEEvT1_
		.amdhsa_group_segment_fixed_size 10240
		.amdhsa_private_segment_fixed_size 0
		.amdhsa_kernarg_size 104
		.amdhsa_user_sgpr_count 6
		.amdhsa_user_sgpr_private_segment_buffer 1
		.amdhsa_user_sgpr_dispatch_ptr 0
		.amdhsa_user_sgpr_queue_ptr 0
		.amdhsa_user_sgpr_kernarg_segment_ptr 1
		.amdhsa_user_sgpr_dispatch_id 0
		.amdhsa_user_sgpr_flat_scratch_init 0
		.amdhsa_user_sgpr_private_segment_size 0
		.amdhsa_uses_dynamic_stack 0
		.amdhsa_system_sgpr_private_segment_wavefront_offset 0
		.amdhsa_system_sgpr_workgroup_id_x 1
		.amdhsa_system_sgpr_workgroup_id_y 0
		.amdhsa_system_sgpr_workgroup_id_z 0
		.amdhsa_system_sgpr_workgroup_info 0
		.amdhsa_system_vgpr_workitem_id 0
		.amdhsa_next_free_vgpr 103
		.amdhsa_next_free_sgpr 98
		.amdhsa_reserve_vcc 1
		.amdhsa_reserve_flat_scratch 0
		.amdhsa_float_round_mode_32 0
		.amdhsa_float_round_mode_16_64 0
		.amdhsa_float_denorm_mode_32 3
		.amdhsa_float_denorm_mode_16_64 3
		.amdhsa_dx10_clamp 1
		.amdhsa_ieee_mode 1
		.amdhsa_fp16_overflow 0
		.amdhsa_exception_fp_ieee_invalid_op 0
		.amdhsa_exception_fp_denorm_src 0
		.amdhsa_exception_fp_ieee_div_zero 0
		.amdhsa_exception_fp_ieee_overflow 0
		.amdhsa_exception_fp_ieee_underflow 0
		.amdhsa_exception_fp_ieee_inexact 0
		.amdhsa_exception_int_div_zero 0
	.end_amdhsa_kernel
	.section	.text._ZN7rocprim17ROCPRIM_400000_NS6detail17trampoline_kernelINS0_14default_configENS1_20scan_config_selectorIdEEZZNS1_9scan_implILNS1_25lookback_scan_determinismE0ELb0ELb0ES3_PKdPddZZZN2at6native31launch_logcumsumexp_cuda_kernelERKNSB_10TensorBaseESF_lENKUlvE_clEvENKUlvE_clEvEUlddE_dEEDaPvRmT3_T4_T5_mT6_P12ihipStream_tbENKUlT_T0_E_clISt17integral_constantIbLb0EESV_IbLb1EEEEDaSR_SS_EUlSR_E_NS1_11comp_targetILNS1_3genE2ELNS1_11target_archE906ELNS1_3gpuE6ELNS1_3repE0EEENS1_30default_config_static_selectorELNS0_4arch9wavefront6targetE1EEEvT1_,"axG",@progbits,_ZN7rocprim17ROCPRIM_400000_NS6detail17trampoline_kernelINS0_14default_configENS1_20scan_config_selectorIdEEZZNS1_9scan_implILNS1_25lookback_scan_determinismE0ELb0ELb0ES3_PKdPddZZZN2at6native31launch_logcumsumexp_cuda_kernelERKNSB_10TensorBaseESF_lENKUlvE_clEvENKUlvE_clEvEUlddE_dEEDaPvRmT3_T4_T5_mT6_P12ihipStream_tbENKUlT_T0_E_clISt17integral_constantIbLb0EESV_IbLb1EEEEDaSR_SS_EUlSR_E_NS1_11comp_targetILNS1_3genE2ELNS1_11target_archE906ELNS1_3gpuE6ELNS1_3repE0EEENS1_30default_config_static_selectorELNS0_4arch9wavefront6targetE1EEEvT1_,comdat
.Lfunc_end70:
	.size	_ZN7rocprim17ROCPRIM_400000_NS6detail17trampoline_kernelINS0_14default_configENS1_20scan_config_selectorIdEEZZNS1_9scan_implILNS1_25lookback_scan_determinismE0ELb0ELb0ES3_PKdPddZZZN2at6native31launch_logcumsumexp_cuda_kernelERKNSB_10TensorBaseESF_lENKUlvE_clEvENKUlvE_clEvEUlddE_dEEDaPvRmT3_T4_T5_mT6_P12ihipStream_tbENKUlT_T0_E_clISt17integral_constantIbLb0EESV_IbLb1EEEEDaSR_SS_EUlSR_E_NS1_11comp_targetILNS1_3genE2ELNS1_11target_archE906ELNS1_3gpuE6ELNS1_3repE0EEENS1_30default_config_static_selectorELNS0_4arch9wavefront6targetE1EEEvT1_, .Lfunc_end70-_ZN7rocprim17ROCPRIM_400000_NS6detail17trampoline_kernelINS0_14default_configENS1_20scan_config_selectorIdEEZZNS1_9scan_implILNS1_25lookback_scan_determinismE0ELb0ELb0ES3_PKdPddZZZN2at6native31launch_logcumsumexp_cuda_kernelERKNSB_10TensorBaseESF_lENKUlvE_clEvENKUlvE_clEvEUlddE_dEEDaPvRmT3_T4_T5_mT6_P12ihipStream_tbENKUlT_T0_E_clISt17integral_constantIbLb0EESV_IbLb1EEEEDaSR_SS_EUlSR_E_NS1_11comp_targetILNS1_3genE2ELNS1_11target_archE906ELNS1_3gpuE6ELNS1_3repE0EEENS1_30default_config_static_selectorELNS0_4arch9wavefront6targetE1EEEvT1_
                                        ; -- End function
	.set _ZN7rocprim17ROCPRIM_400000_NS6detail17trampoline_kernelINS0_14default_configENS1_20scan_config_selectorIdEEZZNS1_9scan_implILNS1_25lookback_scan_determinismE0ELb0ELb0ES3_PKdPddZZZN2at6native31launch_logcumsumexp_cuda_kernelERKNSB_10TensorBaseESF_lENKUlvE_clEvENKUlvE_clEvEUlddE_dEEDaPvRmT3_T4_T5_mT6_P12ihipStream_tbENKUlT_T0_E_clISt17integral_constantIbLb0EESV_IbLb1EEEEDaSR_SS_EUlSR_E_NS1_11comp_targetILNS1_3genE2ELNS1_11target_archE906ELNS1_3gpuE6ELNS1_3repE0EEENS1_30default_config_static_selectorELNS0_4arch9wavefront6targetE1EEEvT1_.num_vgpr, 103
	.set _ZN7rocprim17ROCPRIM_400000_NS6detail17trampoline_kernelINS0_14default_configENS1_20scan_config_selectorIdEEZZNS1_9scan_implILNS1_25lookback_scan_determinismE0ELb0ELb0ES3_PKdPddZZZN2at6native31launch_logcumsumexp_cuda_kernelERKNSB_10TensorBaseESF_lENKUlvE_clEvENKUlvE_clEvEUlddE_dEEDaPvRmT3_T4_T5_mT6_P12ihipStream_tbENKUlT_T0_E_clISt17integral_constantIbLb0EESV_IbLb1EEEEDaSR_SS_EUlSR_E_NS1_11comp_targetILNS1_3genE2ELNS1_11target_archE906ELNS1_3gpuE6ELNS1_3repE0EEENS1_30default_config_static_selectorELNS0_4arch9wavefront6targetE1EEEvT1_.num_agpr, 0
	.set _ZN7rocprim17ROCPRIM_400000_NS6detail17trampoline_kernelINS0_14default_configENS1_20scan_config_selectorIdEEZZNS1_9scan_implILNS1_25lookback_scan_determinismE0ELb0ELb0ES3_PKdPddZZZN2at6native31launch_logcumsumexp_cuda_kernelERKNSB_10TensorBaseESF_lENKUlvE_clEvENKUlvE_clEvEUlddE_dEEDaPvRmT3_T4_T5_mT6_P12ihipStream_tbENKUlT_T0_E_clISt17integral_constantIbLb0EESV_IbLb1EEEEDaSR_SS_EUlSR_E_NS1_11comp_targetILNS1_3genE2ELNS1_11target_archE906ELNS1_3gpuE6ELNS1_3repE0EEENS1_30default_config_static_selectorELNS0_4arch9wavefront6targetE1EEEvT1_.numbered_sgpr, 96
	.set _ZN7rocprim17ROCPRIM_400000_NS6detail17trampoline_kernelINS0_14default_configENS1_20scan_config_selectorIdEEZZNS1_9scan_implILNS1_25lookback_scan_determinismE0ELb0ELb0ES3_PKdPddZZZN2at6native31launch_logcumsumexp_cuda_kernelERKNSB_10TensorBaseESF_lENKUlvE_clEvENKUlvE_clEvEUlddE_dEEDaPvRmT3_T4_T5_mT6_P12ihipStream_tbENKUlT_T0_E_clISt17integral_constantIbLb0EESV_IbLb1EEEEDaSR_SS_EUlSR_E_NS1_11comp_targetILNS1_3genE2ELNS1_11target_archE906ELNS1_3gpuE6ELNS1_3repE0EEENS1_30default_config_static_selectorELNS0_4arch9wavefront6targetE1EEEvT1_.num_named_barrier, 0
	.set _ZN7rocprim17ROCPRIM_400000_NS6detail17trampoline_kernelINS0_14default_configENS1_20scan_config_selectorIdEEZZNS1_9scan_implILNS1_25lookback_scan_determinismE0ELb0ELb0ES3_PKdPddZZZN2at6native31launch_logcumsumexp_cuda_kernelERKNSB_10TensorBaseESF_lENKUlvE_clEvENKUlvE_clEvEUlddE_dEEDaPvRmT3_T4_T5_mT6_P12ihipStream_tbENKUlT_T0_E_clISt17integral_constantIbLb0EESV_IbLb1EEEEDaSR_SS_EUlSR_E_NS1_11comp_targetILNS1_3genE2ELNS1_11target_archE906ELNS1_3gpuE6ELNS1_3repE0EEENS1_30default_config_static_selectorELNS0_4arch9wavefront6targetE1EEEvT1_.private_seg_size, 0
	.set _ZN7rocprim17ROCPRIM_400000_NS6detail17trampoline_kernelINS0_14default_configENS1_20scan_config_selectorIdEEZZNS1_9scan_implILNS1_25lookback_scan_determinismE0ELb0ELb0ES3_PKdPddZZZN2at6native31launch_logcumsumexp_cuda_kernelERKNSB_10TensorBaseESF_lENKUlvE_clEvENKUlvE_clEvEUlddE_dEEDaPvRmT3_T4_T5_mT6_P12ihipStream_tbENKUlT_T0_E_clISt17integral_constantIbLb0EESV_IbLb1EEEEDaSR_SS_EUlSR_E_NS1_11comp_targetILNS1_3genE2ELNS1_11target_archE906ELNS1_3gpuE6ELNS1_3repE0EEENS1_30default_config_static_selectorELNS0_4arch9wavefront6targetE1EEEvT1_.uses_vcc, 1
	.set _ZN7rocprim17ROCPRIM_400000_NS6detail17trampoline_kernelINS0_14default_configENS1_20scan_config_selectorIdEEZZNS1_9scan_implILNS1_25lookback_scan_determinismE0ELb0ELb0ES3_PKdPddZZZN2at6native31launch_logcumsumexp_cuda_kernelERKNSB_10TensorBaseESF_lENKUlvE_clEvENKUlvE_clEvEUlddE_dEEDaPvRmT3_T4_T5_mT6_P12ihipStream_tbENKUlT_T0_E_clISt17integral_constantIbLb0EESV_IbLb1EEEEDaSR_SS_EUlSR_E_NS1_11comp_targetILNS1_3genE2ELNS1_11target_archE906ELNS1_3gpuE6ELNS1_3repE0EEENS1_30default_config_static_selectorELNS0_4arch9wavefront6targetE1EEEvT1_.uses_flat_scratch, 0
	.set _ZN7rocprim17ROCPRIM_400000_NS6detail17trampoline_kernelINS0_14default_configENS1_20scan_config_selectorIdEEZZNS1_9scan_implILNS1_25lookback_scan_determinismE0ELb0ELb0ES3_PKdPddZZZN2at6native31launch_logcumsumexp_cuda_kernelERKNSB_10TensorBaseESF_lENKUlvE_clEvENKUlvE_clEvEUlddE_dEEDaPvRmT3_T4_T5_mT6_P12ihipStream_tbENKUlT_T0_E_clISt17integral_constantIbLb0EESV_IbLb1EEEEDaSR_SS_EUlSR_E_NS1_11comp_targetILNS1_3genE2ELNS1_11target_archE906ELNS1_3gpuE6ELNS1_3repE0EEENS1_30default_config_static_selectorELNS0_4arch9wavefront6targetE1EEEvT1_.has_dyn_sized_stack, 0
	.set _ZN7rocprim17ROCPRIM_400000_NS6detail17trampoline_kernelINS0_14default_configENS1_20scan_config_selectorIdEEZZNS1_9scan_implILNS1_25lookback_scan_determinismE0ELb0ELb0ES3_PKdPddZZZN2at6native31launch_logcumsumexp_cuda_kernelERKNSB_10TensorBaseESF_lENKUlvE_clEvENKUlvE_clEvEUlddE_dEEDaPvRmT3_T4_T5_mT6_P12ihipStream_tbENKUlT_T0_E_clISt17integral_constantIbLb0EESV_IbLb1EEEEDaSR_SS_EUlSR_E_NS1_11comp_targetILNS1_3genE2ELNS1_11target_archE906ELNS1_3gpuE6ELNS1_3repE0EEENS1_30default_config_static_selectorELNS0_4arch9wavefront6targetE1EEEvT1_.has_recursion, 0
	.set _ZN7rocprim17ROCPRIM_400000_NS6detail17trampoline_kernelINS0_14default_configENS1_20scan_config_selectorIdEEZZNS1_9scan_implILNS1_25lookback_scan_determinismE0ELb0ELb0ES3_PKdPddZZZN2at6native31launch_logcumsumexp_cuda_kernelERKNSB_10TensorBaseESF_lENKUlvE_clEvENKUlvE_clEvEUlddE_dEEDaPvRmT3_T4_T5_mT6_P12ihipStream_tbENKUlT_T0_E_clISt17integral_constantIbLb0EESV_IbLb1EEEEDaSR_SS_EUlSR_E_NS1_11comp_targetILNS1_3genE2ELNS1_11target_archE906ELNS1_3gpuE6ELNS1_3repE0EEENS1_30default_config_static_selectorELNS0_4arch9wavefront6targetE1EEEvT1_.has_indirect_call, 0
	.section	.AMDGPU.csdata,"",@progbits
; Kernel info:
; codeLenInByte = 120820
; TotalNumSgprs: 100
; NumVgprs: 103
; ScratchSize: 0
; MemoryBound: 0
; FloatMode: 240
; IeeeMode: 1
; LDSByteSize: 10240 bytes/workgroup (compile time only)
; SGPRBlocks: 12
; VGPRBlocks: 25
; NumSGPRsForWavesPerEU: 102
; NumVGPRsForWavesPerEU: 103
; Occupancy: 2
; WaveLimiterHint : 1
; COMPUTE_PGM_RSRC2:SCRATCH_EN: 0
; COMPUTE_PGM_RSRC2:USER_SGPR: 6
; COMPUTE_PGM_RSRC2:TRAP_HANDLER: 0
; COMPUTE_PGM_RSRC2:TGID_X_EN: 1
; COMPUTE_PGM_RSRC2:TGID_Y_EN: 0
; COMPUTE_PGM_RSRC2:TGID_Z_EN: 0
; COMPUTE_PGM_RSRC2:TIDIG_COMP_CNT: 0
	.section	.text._ZN7rocprim17ROCPRIM_400000_NS6detail17trampoline_kernelINS0_14default_configENS1_20scan_config_selectorIdEEZZNS1_9scan_implILNS1_25lookback_scan_determinismE0ELb0ELb0ES3_PKdPddZZZN2at6native31launch_logcumsumexp_cuda_kernelERKNSB_10TensorBaseESF_lENKUlvE_clEvENKUlvE_clEvEUlddE_dEEDaPvRmT3_T4_T5_mT6_P12ihipStream_tbENKUlT_T0_E_clISt17integral_constantIbLb0EESV_IbLb1EEEEDaSR_SS_EUlSR_E_NS1_11comp_targetILNS1_3genE10ELNS1_11target_archE1201ELNS1_3gpuE5ELNS1_3repE0EEENS1_30default_config_static_selectorELNS0_4arch9wavefront6targetE1EEEvT1_,"axG",@progbits,_ZN7rocprim17ROCPRIM_400000_NS6detail17trampoline_kernelINS0_14default_configENS1_20scan_config_selectorIdEEZZNS1_9scan_implILNS1_25lookback_scan_determinismE0ELb0ELb0ES3_PKdPddZZZN2at6native31launch_logcumsumexp_cuda_kernelERKNSB_10TensorBaseESF_lENKUlvE_clEvENKUlvE_clEvEUlddE_dEEDaPvRmT3_T4_T5_mT6_P12ihipStream_tbENKUlT_T0_E_clISt17integral_constantIbLb0EESV_IbLb1EEEEDaSR_SS_EUlSR_E_NS1_11comp_targetILNS1_3genE10ELNS1_11target_archE1201ELNS1_3gpuE5ELNS1_3repE0EEENS1_30default_config_static_selectorELNS0_4arch9wavefront6targetE1EEEvT1_,comdat
	.globl	_ZN7rocprim17ROCPRIM_400000_NS6detail17trampoline_kernelINS0_14default_configENS1_20scan_config_selectorIdEEZZNS1_9scan_implILNS1_25lookback_scan_determinismE0ELb0ELb0ES3_PKdPddZZZN2at6native31launch_logcumsumexp_cuda_kernelERKNSB_10TensorBaseESF_lENKUlvE_clEvENKUlvE_clEvEUlddE_dEEDaPvRmT3_T4_T5_mT6_P12ihipStream_tbENKUlT_T0_E_clISt17integral_constantIbLb0EESV_IbLb1EEEEDaSR_SS_EUlSR_E_NS1_11comp_targetILNS1_3genE10ELNS1_11target_archE1201ELNS1_3gpuE5ELNS1_3repE0EEENS1_30default_config_static_selectorELNS0_4arch9wavefront6targetE1EEEvT1_ ; -- Begin function _ZN7rocprim17ROCPRIM_400000_NS6detail17trampoline_kernelINS0_14default_configENS1_20scan_config_selectorIdEEZZNS1_9scan_implILNS1_25lookback_scan_determinismE0ELb0ELb0ES3_PKdPddZZZN2at6native31launch_logcumsumexp_cuda_kernelERKNSB_10TensorBaseESF_lENKUlvE_clEvENKUlvE_clEvEUlddE_dEEDaPvRmT3_T4_T5_mT6_P12ihipStream_tbENKUlT_T0_E_clISt17integral_constantIbLb0EESV_IbLb1EEEEDaSR_SS_EUlSR_E_NS1_11comp_targetILNS1_3genE10ELNS1_11target_archE1201ELNS1_3gpuE5ELNS1_3repE0EEENS1_30default_config_static_selectorELNS0_4arch9wavefront6targetE1EEEvT1_
	.p2align	8
	.type	_ZN7rocprim17ROCPRIM_400000_NS6detail17trampoline_kernelINS0_14default_configENS1_20scan_config_selectorIdEEZZNS1_9scan_implILNS1_25lookback_scan_determinismE0ELb0ELb0ES3_PKdPddZZZN2at6native31launch_logcumsumexp_cuda_kernelERKNSB_10TensorBaseESF_lENKUlvE_clEvENKUlvE_clEvEUlddE_dEEDaPvRmT3_T4_T5_mT6_P12ihipStream_tbENKUlT_T0_E_clISt17integral_constantIbLb0EESV_IbLb1EEEEDaSR_SS_EUlSR_E_NS1_11comp_targetILNS1_3genE10ELNS1_11target_archE1201ELNS1_3gpuE5ELNS1_3repE0EEENS1_30default_config_static_selectorELNS0_4arch9wavefront6targetE1EEEvT1_,@function
_ZN7rocprim17ROCPRIM_400000_NS6detail17trampoline_kernelINS0_14default_configENS1_20scan_config_selectorIdEEZZNS1_9scan_implILNS1_25lookback_scan_determinismE0ELb0ELb0ES3_PKdPddZZZN2at6native31launch_logcumsumexp_cuda_kernelERKNSB_10TensorBaseESF_lENKUlvE_clEvENKUlvE_clEvEUlddE_dEEDaPvRmT3_T4_T5_mT6_P12ihipStream_tbENKUlT_T0_E_clISt17integral_constantIbLb0EESV_IbLb1EEEEDaSR_SS_EUlSR_E_NS1_11comp_targetILNS1_3genE10ELNS1_11target_archE1201ELNS1_3gpuE5ELNS1_3repE0EEENS1_30default_config_static_selectorELNS0_4arch9wavefront6targetE1EEEvT1_: ; @_ZN7rocprim17ROCPRIM_400000_NS6detail17trampoline_kernelINS0_14default_configENS1_20scan_config_selectorIdEEZZNS1_9scan_implILNS1_25lookback_scan_determinismE0ELb0ELb0ES3_PKdPddZZZN2at6native31launch_logcumsumexp_cuda_kernelERKNSB_10TensorBaseESF_lENKUlvE_clEvENKUlvE_clEvEUlddE_dEEDaPvRmT3_T4_T5_mT6_P12ihipStream_tbENKUlT_T0_E_clISt17integral_constantIbLb0EESV_IbLb1EEEEDaSR_SS_EUlSR_E_NS1_11comp_targetILNS1_3genE10ELNS1_11target_archE1201ELNS1_3gpuE5ELNS1_3repE0EEENS1_30default_config_static_selectorELNS0_4arch9wavefront6targetE1EEEvT1_
; %bb.0:
	.section	.rodata,"a",@progbits
	.p2align	6, 0x0
	.amdhsa_kernel _ZN7rocprim17ROCPRIM_400000_NS6detail17trampoline_kernelINS0_14default_configENS1_20scan_config_selectorIdEEZZNS1_9scan_implILNS1_25lookback_scan_determinismE0ELb0ELb0ES3_PKdPddZZZN2at6native31launch_logcumsumexp_cuda_kernelERKNSB_10TensorBaseESF_lENKUlvE_clEvENKUlvE_clEvEUlddE_dEEDaPvRmT3_T4_T5_mT6_P12ihipStream_tbENKUlT_T0_E_clISt17integral_constantIbLb0EESV_IbLb1EEEEDaSR_SS_EUlSR_E_NS1_11comp_targetILNS1_3genE10ELNS1_11target_archE1201ELNS1_3gpuE5ELNS1_3repE0EEENS1_30default_config_static_selectorELNS0_4arch9wavefront6targetE1EEEvT1_
		.amdhsa_group_segment_fixed_size 0
		.amdhsa_private_segment_fixed_size 0
		.amdhsa_kernarg_size 104
		.amdhsa_user_sgpr_count 6
		.amdhsa_user_sgpr_private_segment_buffer 1
		.amdhsa_user_sgpr_dispatch_ptr 0
		.amdhsa_user_sgpr_queue_ptr 0
		.amdhsa_user_sgpr_kernarg_segment_ptr 1
		.amdhsa_user_sgpr_dispatch_id 0
		.amdhsa_user_sgpr_flat_scratch_init 0
		.amdhsa_user_sgpr_private_segment_size 0
		.amdhsa_uses_dynamic_stack 0
		.amdhsa_system_sgpr_private_segment_wavefront_offset 0
		.amdhsa_system_sgpr_workgroup_id_x 1
		.amdhsa_system_sgpr_workgroup_id_y 0
		.amdhsa_system_sgpr_workgroup_id_z 0
		.amdhsa_system_sgpr_workgroup_info 0
		.amdhsa_system_vgpr_workitem_id 0
		.amdhsa_next_free_vgpr 1
		.amdhsa_next_free_sgpr 0
		.amdhsa_reserve_vcc 0
		.amdhsa_reserve_flat_scratch 0
		.amdhsa_float_round_mode_32 0
		.amdhsa_float_round_mode_16_64 0
		.amdhsa_float_denorm_mode_32 3
		.amdhsa_float_denorm_mode_16_64 3
		.amdhsa_dx10_clamp 1
		.amdhsa_ieee_mode 1
		.amdhsa_fp16_overflow 0
		.amdhsa_exception_fp_ieee_invalid_op 0
		.amdhsa_exception_fp_denorm_src 0
		.amdhsa_exception_fp_ieee_div_zero 0
		.amdhsa_exception_fp_ieee_overflow 0
		.amdhsa_exception_fp_ieee_underflow 0
		.amdhsa_exception_fp_ieee_inexact 0
		.amdhsa_exception_int_div_zero 0
	.end_amdhsa_kernel
	.section	.text._ZN7rocprim17ROCPRIM_400000_NS6detail17trampoline_kernelINS0_14default_configENS1_20scan_config_selectorIdEEZZNS1_9scan_implILNS1_25lookback_scan_determinismE0ELb0ELb0ES3_PKdPddZZZN2at6native31launch_logcumsumexp_cuda_kernelERKNSB_10TensorBaseESF_lENKUlvE_clEvENKUlvE_clEvEUlddE_dEEDaPvRmT3_T4_T5_mT6_P12ihipStream_tbENKUlT_T0_E_clISt17integral_constantIbLb0EESV_IbLb1EEEEDaSR_SS_EUlSR_E_NS1_11comp_targetILNS1_3genE10ELNS1_11target_archE1201ELNS1_3gpuE5ELNS1_3repE0EEENS1_30default_config_static_selectorELNS0_4arch9wavefront6targetE1EEEvT1_,"axG",@progbits,_ZN7rocprim17ROCPRIM_400000_NS6detail17trampoline_kernelINS0_14default_configENS1_20scan_config_selectorIdEEZZNS1_9scan_implILNS1_25lookback_scan_determinismE0ELb0ELb0ES3_PKdPddZZZN2at6native31launch_logcumsumexp_cuda_kernelERKNSB_10TensorBaseESF_lENKUlvE_clEvENKUlvE_clEvEUlddE_dEEDaPvRmT3_T4_T5_mT6_P12ihipStream_tbENKUlT_T0_E_clISt17integral_constantIbLb0EESV_IbLb1EEEEDaSR_SS_EUlSR_E_NS1_11comp_targetILNS1_3genE10ELNS1_11target_archE1201ELNS1_3gpuE5ELNS1_3repE0EEENS1_30default_config_static_selectorELNS0_4arch9wavefront6targetE1EEEvT1_,comdat
.Lfunc_end71:
	.size	_ZN7rocprim17ROCPRIM_400000_NS6detail17trampoline_kernelINS0_14default_configENS1_20scan_config_selectorIdEEZZNS1_9scan_implILNS1_25lookback_scan_determinismE0ELb0ELb0ES3_PKdPddZZZN2at6native31launch_logcumsumexp_cuda_kernelERKNSB_10TensorBaseESF_lENKUlvE_clEvENKUlvE_clEvEUlddE_dEEDaPvRmT3_T4_T5_mT6_P12ihipStream_tbENKUlT_T0_E_clISt17integral_constantIbLb0EESV_IbLb1EEEEDaSR_SS_EUlSR_E_NS1_11comp_targetILNS1_3genE10ELNS1_11target_archE1201ELNS1_3gpuE5ELNS1_3repE0EEENS1_30default_config_static_selectorELNS0_4arch9wavefront6targetE1EEEvT1_, .Lfunc_end71-_ZN7rocprim17ROCPRIM_400000_NS6detail17trampoline_kernelINS0_14default_configENS1_20scan_config_selectorIdEEZZNS1_9scan_implILNS1_25lookback_scan_determinismE0ELb0ELb0ES3_PKdPddZZZN2at6native31launch_logcumsumexp_cuda_kernelERKNSB_10TensorBaseESF_lENKUlvE_clEvENKUlvE_clEvEUlddE_dEEDaPvRmT3_T4_T5_mT6_P12ihipStream_tbENKUlT_T0_E_clISt17integral_constantIbLb0EESV_IbLb1EEEEDaSR_SS_EUlSR_E_NS1_11comp_targetILNS1_3genE10ELNS1_11target_archE1201ELNS1_3gpuE5ELNS1_3repE0EEENS1_30default_config_static_selectorELNS0_4arch9wavefront6targetE1EEEvT1_
                                        ; -- End function
	.set _ZN7rocprim17ROCPRIM_400000_NS6detail17trampoline_kernelINS0_14default_configENS1_20scan_config_selectorIdEEZZNS1_9scan_implILNS1_25lookback_scan_determinismE0ELb0ELb0ES3_PKdPddZZZN2at6native31launch_logcumsumexp_cuda_kernelERKNSB_10TensorBaseESF_lENKUlvE_clEvENKUlvE_clEvEUlddE_dEEDaPvRmT3_T4_T5_mT6_P12ihipStream_tbENKUlT_T0_E_clISt17integral_constantIbLb0EESV_IbLb1EEEEDaSR_SS_EUlSR_E_NS1_11comp_targetILNS1_3genE10ELNS1_11target_archE1201ELNS1_3gpuE5ELNS1_3repE0EEENS1_30default_config_static_selectorELNS0_4arch9wavefront6targetE1EEEvT1_.num_vgpr, 0
	.set _ZN7rocprim17ROCPRIM_400000_NS6detail17trampoline_kernelINS0_14default_configENS1_20scan_config_selectorIdEEZZNS1_9scan_implILNS1_25lookback_scan_determinismE0ELb0ELb0ES3_PKdPddZZZN2at6native31launch_logcumsumexp_cuda_kernelERKNSB_10TensorBaseESF_lENKUlvE_clEvENKUlvE_clEvEUlddE_dEEDaPvRmT3_T4_T5_mT6_P12ihipStream_tbENKUlT_T0_E_clISt17integral_constantIbLb0EESV_IbLb1EEEEDaSR_SS_EUlSR_E_NS1_11comp_targetILNS1_3genE10ELNS1_11target_archE1201ELNS1_3gpuE5ELNS1_3repE0EEENS1_30default_config_static_selectorELNS0_4arch9wavefront6targetE1EEEvT1_.num_agpr, 0
	.set _ZN7rocprim17ROCPRIM_400000_NS6detail17trampoline_kernelINS0_14default_configENS1_20scan_config_selectorIdEEZZNS1_9scan_implILNS1_25lookback_scan_determinismE0ELb0ELb0ES3_PKdPddZZZN2at6native31launch_logcumsumexp_cuda_kernelERKNSB_10TensorBaseESF_lENKUlvE_clEvENKUlvE_clEvEUlddE_dEEDaPvRmT3_T4_T5_mT6_P12ihipStream_tbENKUlT_T0_E_clISt17integral_constantIbLb0EESV_IbLb1EEEEDaSR_SS_EUlSR_E_NS1_11comp_targetILNS1_3genE10ELNS1_11target_archE1201ELNS1_3gpuE5ELNS1_3repE0EEENS1_30default_config_static_selectorELNS0_4arch9wavefront6targetE1EEEvT1_.numbered_sgpr, 0
	.set _ZN7rocprim17ROCPRIM_400000_NS6detail17trampoline_kernelINS0_14default_configENS1_20scan_config_selectorIdEEZZNS1_9scan_implILNS1_25lookback_scan_determinismE0ELb0ELb0ES3_PKdPddZZZN2at6native31launch_logcumsumexp_cuda_kernelERKNSB_10TensorBaseESF_lENKUlvE_clEvENKUlvE_clEvEUlddE_dEEDaPvRmT3_T4_T5_mT6_P12ihipStream_tbENKUlT_T0_E_clISt17integral_constantIbLb0EESV_IbLb1EEEEDaSR_SS_EUlSR_E_NS1_11comp_targetILNS1_3genE10ELNS1_11target_archE1201ELNS1_3gpuE5ELNS1_3repE0EEENS1_30default_config_static_selectorELNS0_4arch9wavefront6targetE1EEEvT1_.num_named_barrier, 0
	.set _ZN7rocprim17ROCPRIM_400000_NS6detail17trampoline_kernelINS0_14default_configENS1_20scan_config_selectorIdEEZZNS1_9scan_implILNS1_25lookback_scan_determinismE0ELb0ELb0ES3_PKdPddZZZN2at6native31launch_logcumsumexp_cuda_kernelERKNSB_10TensorBaseESF_lENKUlvE_clEvENKUlvE_clEvEUlddE_dEEDaPvRmT3_T4_T5_mT6_P12ihipStream_tbENKUlT_T0_E_clISt17integral_constantIbLb0EESV_IbLb1EEEEDaSR_SS_EUlSR_E_NS1_11comp_targetILNS1_3genE10ELNS1_11target_archE1201ELNS1_3gpuE5ELNS1_3repE0EEENS1_30default_config_static_selectorELNS0_4arch9wavefront6targetE1EEEvT1_.private_seg_size, 0
	.set _ZN7rocprim17ROCPRIM_400000_NS6detail17trampoline_kernelINS0_14default_configENS1_20scan_config_selectorIdEEZZNS1_9scan_implILNS1_25lookback_scan_determinismE0ELb0ELb0ES3_PKdPddZZZN2at6native31launch_logcumsumexp_cuda_kernelERKNSB_10TensorBaseESF_lENKUlvE_clEvENKUlvE_clEvEUlddE_dEEDaPvRmT3_T4_T5_mT6_P12ihipStream_tbENKUlT_T0_E_clISt17integral_constantIbLb0EESV_IbLb1EEEEDaSR_SS_EUlSR_E_NS1_11comp_targetILNS1_3genE10ELNS1_11target_archE1201ELNS1_3gpuE5ELNS1_3repE0EEENS1_30default_config_static_selectorELNS0_4arch9wavefront6targetE1EEEvT1_.uses_vcc, 0
	.set _ZN7rocprim17ROCPRIM_400000_NS6detail17trampoline_kernelINS0_14default_configENS1_20scan_config_selectorIdEEZZNS1_9scan_implILNS1_25lookback_scan_determinismE0ELb0ELb0ES3_PKdPddZZZN2at6native31launch_logcumsumexp_cuda_kernelERKNSB_10TensorBaseESF_lENKUlvE_clEvENKUlvE_clEvEUlddE_dEEDaPvRmT3_T4_T5_mT6_P12ihipStream_tbENKUlT_T0_E_clISt17integral_constantIbLb0EESV_IbLb1EEEEDaSR_SS_EUlSR_E_NS1_11comp_targetILNS1_3genE10ELNS1_11target_archE1201ELNS1_3gpuE5ELNS1_3repE0EEENS1_30default_config_static_selectorELNS0_4arch9wavefront6targetE1EEEvT1_.uses_flat_scratch, 0
	.set _ZN7rocprim17ROCPRIM_400000_NS6detail17trampoline_kernelINS0_14default_configENS1_20scan_config_selectorIdEEZZNS1_9scan_implILNS1_25lookback_scan_determinismE0ELb0ELb0ES3_PKdPddZZZN2at6native31launch_logcumsumexp_cuda_kernelERKNSB_10TensorBaseESF_lENKUlvE_clEvENKUlvE_clEvEUlddE_dEEDaPvRmT3_T4_T5_mT6_P12ihipStream_tbENKUlT_T0_E_clISt17integral_constantIbLb0EESV_IbLb1EEEEDaSR_SS_EUlSR_E_NS1_11comp_targetILNS1_3genE10ELNS1_11target_archE1201ELNS1_3gpuE5ELNS1_3repE0EEENS1_30default_config_static_selectorELNS0_4arch9wavefront6targetE1EEEvT1_.has_dyn_sized_stack, 0
	.set _ZN7rocprim17ROCPRIM_400000_NS6detail17trampoline_kernelINS0_14default_configENS1_20scan_config_selectorIdEEZZNS1_9scan_implILNS1_25lookback_scan_determinismE0ELb0ELb0ES3_PKdPddZZZN2at6native31launch_logcumsumexp_cuda_kernelERKNSB_10TensorBaseESF_lENKUlvE_clEvENKUlvE_clEvEUlddE_dEEDaPvRmT3_T4_T5_mT6_P12ihipStream_tbENKUlT_T0_E_clISt17integral_constantIbLb0EESV_IbLb1EEEEDaSR_SS_EUlSR_E_NS1_11comp_targetILNS1_3genE10ELNS1_11target_archE1201ELNS1_3gpuE5ELNS1_3repE0EEENS1_30default_config_static_selectorELNS0_4arch9wavefront6targetE1EEEvT1_.has_recursion, 0
	.set _ZN7rocprim17ROCPRIM_400000_NS6detail17trampoline_kernelINS0_14default_configENS1_20scan_config_selectorIdEEZZNS1_9scan_implILNS1_25lookback_scan_determinismE0ELb0ELb0ES3_PKdPddZZZN2at6native31launch_logcumsumexp_cuda_kernelERKNSB_10TensorBaseESF_lENKUlvE_clEvENKUlvE_clEvEUlddE_dEEDaPvRmT3_T4_T5_mT6_P12ihipStream_tbENKUlT_T0_E_clISt17integral_constantIbLb0EESV_IbLb1EEEEDaSR_SS_EUlSR_E_NS1_11comp_targetILNS1_3genE10ELNS1_11target_archE1201ELNS1_3gpuE5ELNS1_3repE0EEENS1_30default_config_static_selectorELNS0_4arch9wavefront6targetE1EEEvT1_.has_indirect_call, 0
	.section	.AMDGPU.csdata,"",@progbits
; Kernel info:
; codeLenInByte = 0
; TotalNumSgprs: 4
; NumVgprs: 0
; ScratchSize: 0
; MemoryBound: 0
; FloatMode: 240
; IeeeMode: 1
; LDSByteSize: 0 bytes/workgroup (compile time only)
; SGPRBlocks: 0
; VGPRBlocks: 0
; NumSGPRsForWavesPerEU: 4
; NumVGPRsForWavesPerEU: 1
; Occupancy: 10
; WaveLimiterHint : 0
; COMPUTE_PGM_RSRC2:SCRATCH_EN: 0
; COMPUTE_PGM_RSRC2:USER_SGPR: 6
; COMPUTE_PGM_RSRC2:TRAP_HANDLER: 0
; COMPUTE_PGM_RSRC2:TGID_X_EN: 1
; COMPUTE_PGM_RSRC2:TGID_Y_EN: 0
; COMPUTE_PGM_RSRC2:TGID_Z_EN: 0
; COMPUTE_PGM_RSRC2:TIDIG_COMP_CNT: 0
	.section	.text._ZN7rocprim17ROCPRIM_400000_NS6detail17trampoline_kernelINS0_14default_configENS1_20scan_config_selectorIdEEZZNS1_9scan_implILNS1_25lookback_scan_determinismE0ELb0ELb0ES3_PKdPddZZZN2at6native31launch_logcumsumexp_cuda_kernelERKNSB_10TensorBaseESF_lENKUlvE_clEvENKUlvE_clEvEUlddE_dEEDaPvRmT3_T4_T5_mT6_P12ihipStream_tbENKUlT_T0_E_clISt17integral_constantIbLb0EESV_IbLb1EEEEDaSR_SS_EUlSR_E_NS1_11comp_targetILNS1_3genE10ELNS1_11target_archE1200ELNS1_3gpuE4ELNS1_3repE0EEENS1_30default_config_static_selectorELNS0_4arch9wavefront6targetE1EEEvT1_,"axG",@progbits,_ZN7rocprim17ROCPRIM_400000_NS6detail17trampoline_kernelINS0_14default_configENS1_20scan_config_selectorIdEEZZNS1_9scan_implILNS1_25lookback_scan_determinismE0ELb0ELb0ES3_PKdPddZZZN2at6native31launch_logcumsumexp_cuda_kernelERKNSB_10TensorBaseESF_lENKUlvE_clEvENKUlvE_clEvEUlddE_dEEDaPvRmT3_T4_T5_mT6_P12ihipStream_tbENKUlT_T0_E_clISt17integral_constantIbLb0EESV_IbLb1EEEEDaSR_SS_EUlSR_E_NS1_11comp_targetILNS1_3genE10ELNS1_11target_archE1200ELNS1_3gpuE4ELNS1_3repE0EEENS1_30default_config_static_selectorELNS0_4arch9wavefront6targetE1EEEvT1_,comdat
	.globl	_ZN7rocprim17ROCPRIM_400000_NS6detail17trampoline_kernelINS0_14default_configENS1_20scan_config_selectorIdEEZZNS1_9scan_implILNS1_25lookback_scan_determinismE0ELb0ELb0ES3_PKdPddZZZN2at6native31launch_logcumsumexp_cuda_kernelERKNSB_10TensorBaseESF_lENKUlvE_clEvENKUlvE_clEvEUlddE_dEEDaPvRmT3_T4_T5_mT6_P12ihipStream_tbENKUlT_T0_E_clISt17integral_constantIbLb0EESV_IbLb1EEEEDaSR_SS_EUlSR_E_NS1_11comp_targetILNS1_3genE10ELNS1_11target_archE1200ELNS1_3gpuE4ELNS1_3repE0EEENS1_30default_config_static_selectorELNS0_4arch9wavefront6targetE1EEEvT1_ ; -- Begin function _ZN7rocprim17ROCPRIM_400000_NS6detail17trampoline_kernelINS0_14default_configENS1_20scan_config_selectorIdEEZZNS1_9scan_implILNS1_25lookback_scan_determinismE0ELb0ELb0ES3_PKdPddZZZN2at6native31launch_logcumsumexp_cuda_kernelERKNSB_10TensorBaseESF_lENKUlvE_clEvENKUlvE_clEvEUlddE_dEEDaPvRmT3_T4_T5_mT6_P12ihipStream_tbENKUlT_T0_E_clISt17integral_constantIbLb0EESV_IbLb1EEEEDaSR_SS_EUlSR_E_NS1_11comp_targetILNS1_3genE10ELNS1_11target_archE1200ELNS1_3gpuE4ELNS1_3repE0EEENS1_30default_config_static_selectorELNS0_4arch9wavefront6targetE1EEEvT1_
	.p2align	8
	.type	_ZN7rocprim17ROCPRIM_400000_NS6detail17trampoline_kernelINS0_14default_configENS1_20scan_config_selectorIdEEZZNS1_9scan_implILNS1_25lookback_scan_determinismE0ELb0ELb0ES3_PKdPddZZZN2at6native31launch_logcumsumexp_cuda_kernelERKNSB_10TensorBaseESF_lENKUlvE_clEvENKUlvE_clEvEUlddE_dEEDaPvRmT3_T4_T5_mT6_P12ihipStream_tbENKUlT_T0_E_clISt17integral_constantIbLb0EESV_IbLb1EEEEDaSR_SS_EUlSR_E_NS1_11comp_targetILNS1_3genE10ELNS1_11target_archE1200ELNS1_3gpuE4ELNS1_3repE0EEENS1_30default_config_static_selectorELNS0_4arch9wavefront6targetE1EEEvT1_,@function
_ZN7rocprim17ROCPRIM_400000_NS6detail17trampoline_kernelINS0_14default_configENS1_20scan_config_selectorIdEEZZNS1_9scan_implILNS1_25lookback_scan_determinismE0ELb0ELb0ES3_PKdPddZZZN2at6native31launch_logcumsumexp_cuda_kernelERKNSB_10TensorBaseESF_lENKUlvE_clEvENKUlvE_clEvEUlddE_dEEDaPvRmT3_T4_T5_mT6_P12ihipStream_tbENKUlT_T0_E_clISt17integral_constantIbLb0EESV_IbLb1EEEEDaSR_SS_EUlSR_E_NS1_11comp_targetILNS1_3genE10ELNS1_11target_archE1200ELNS1_3gpuE4ELNS1_3repE0EEENS1_30default_config_static_selectorELNS0_4arch9wavefront6targetE1EEEvT1_: ; @_ZN7rocprim17ROCPRIM_400000_NS6detail17trampoline_kernelINS0_14default_configENS1_20scan_config_selectorIdEEZZNS1_9scan_implILNS1_25lookback_scan_determinismE0ELb0ELb0ES3_PKdPddZZZN2at6native31launch_logcumsumexp_cuda_kernelERKNSB_10TensorBaseESF_lENKUlvE_clEvENKUlvE_clEvEUlddE_dEEDaPvRmT3_T4_T5_mT6_P12ihipStream_tbENKUlT_T0_E_clISt17integral_constantIbLb0EESV_IbLb1EEEEDaSR_SS_EUlSR_E_NS1_11comp_targetILNS1_3genE10ELNS1_11target_archE1200ELNS1_3gpuE4ELNS1_3repE0EEENS1_30default_config_static_selectorELNS0_4arch9wavefront6targetE1EEEvT1_
; %bb.0:
	.section	.rodata,"a",@progbits
	.p2align	6, 0x0
	.amdhsa_kernel _ZN7rocprim17ROCPRIM_400000_NS6detail17trampoline_kernelINS0_14default_configENS1_20scan_config_selectorIdEEZZNS1_9scan_implILNS1_25lookback_scan_determinismE0ELb0ELb0ES3_PKdPddZZZN2at6native31launch_logcumsumexp_cuda_kernelERKNSB_10TensorBaseESF_lENKUlvE_clEvENKUlvE_clEvEUlddE_dEEDaPvRmT3_T4_T5_mT6_P12ihipStream_tbENKUlT_T0_E_clISt17integral_constantIbLb0EESV_IbLb1EEEEDaSR_SS_EUlSR_E_NS1_11comp_targetILNS1_3genE10ELNS1_11target_archE1200ELNS1_3gpuE4ELNS1_3repE0EEENS1_30default_config_static_selectorELNS0_4arch9wavefront6targetE1EEEvT1_
		.amdhsa_group_segment_fixed_size 0
		.amdhsa_private_segment_fixed_size 0
		.amdhsa_kernarg_size 104
		.amdhsa_user_sgpr_count 6
		.amdhsa_user_sgpr_private_segment_buffer 1
		.amdhsa_user_sgpr_dispatch_ptr 0
		.amdhsa_user_sgpr_queue_ptr 0
		.amdhsa_user_sgpr_kernarg_segment_ptr 1
		.amdhsa_user_sgpr_dispatch_id 0
		.amdhsa_user_sgpr_flat_scratch_init 0
		.amdhsa_user_sgpr_private_segment_size 0
		.amdhsa_uses_dynamic_stack 0
		.amdhsa_system_sgpr_private_segment_wavefront_offset 0
		.amdhsa_system_sgpr_workgroup_id_x 1
		.amdhsa_system_sgpr_workgroup_id_y 0
		.amdhsa_system_sgpr_workgroup_id_z 0
		.amdhsa_system_sgpr_workgroup_info 0
		.amdhsa_system_vgpr_workitem_id 0
		.amdhsa_next_free_vgpr 1
		.amdhsa_next_free_sgpr 0
		.amdhsa_reserve_vcc 0
		.amdhsa_reserve_flat_scratch 0
		.amdhsa_float_round_mode_32 0
		.amdhsa_float_round_mode_16_64 0
		.amdhsa_float_denorm_mode_32 3
		.amdhsa_float_denorm_mode_16_64 3
		.amdhsa_dx10_clamp 1
		.amdhsa_ieee_mode 1
		.amdhsa_fp16_overflow 0
		.amdhsa_exception_fp_ieee_invalid_op 0
		.amdhsa_exception_fp_denorm_src 0
		.amdhsa_exception_fp_ieee_div_zero 0
		.amdhsa_exception_fp_ieee_overflow 0
		.amdhsa_exception_fp_ieee_underflow 0
		.amdhsa_exception_fp_ieee_inexact 0
		.amdhsa_exception_int_div_zero 0
	.end_amdhsa_kernel
	.section	.text._ZN7rocprim17ROCPRIM_400000_NS6detail17trampoline_kernelINS0_14default_configENS1_20scan_config_selectorIdEEZZNS1_9scan_implILNS1_25lookback_scan_determinismE0ELb0ELb0ES3_PKdPddZZZN2at6native31launch_logcumsumexp_cuda_kernelERKNSB_10TensorBaseESF_lENKUlvE_clEvENKUlvE_clEvEUlddE_dEEDaPvRmT3_T4_T5_mT6_P12ihipStream_tbENKUlT_T0_E_clISt17integral_constantIbLb0EESV_IbLb1EEEEDaSR_SS_EUlSR_E_NS1_11comp_targetILNS1_3genE10ELNS1_11target_archE1200ELNS1_3gpuE4ELNS1_3repE0EEENS1_30default_config_static_selectorELNS0_4arch9wavefront6targetE1EEEvT1_,"axG",@progbits,_ZN7rocprim17ROCPRIM_400000_NS6detail17trampoline_kernelINS0_14default_configENS1_20scan_config_selectorIdEEZZNS1_9scan_implILNS1_25lookback_scan_determinismE0ELb0ELb0ES3_PKdPddZZZN2at6native31launch_logcumsumexp_cuda_kernelERKNSB_10TensorBaseESF_lENKUlvE_clEvENKUlvE_clEvEUlddE_dEEDaPvRmT3_T4_T5_mT6_P12ihipStream_tbENKUlT_T0_E_clISt17integral_constantIbLb0EESV_IbLb1EEEEDaSR_SS_EUlSR_E_NS1_11comp_targetILNS1_3genE10ELNS1_11target_archE1200ELNS1_3gpuE4ELNS1_3repE0EEENS1_30default_config_static_selectorELNS0_4arch9wavefront6targetE1EEEvT1_,comdat
.Lfunc_end72:
	.size	_ZN7rocprim17ROCPRIM_400000_NS6detail17trampoline_kernelINS0_14default_configENS1_20scan_config_selectorIdEEZZNS1_9scan_implILNS1_25lookback_scan_determinismE0ELb0ELb0ES3_PKdPddZZZN2at6native31launch_logcumsumexp_cuda_kernelERKNSB_10TensorBaseESF_lENKUlvE_clEvENKUlvE_clEvEUlddE_dEEDaPvRmT3_T4_T5_mT6_P12ihipStream_tbENKUlT_T0_E_clISt17integral_constantIbLb0EESV_IbLb1EEEEDaSR_SS_EUlSR_E_NS1_11comp_targetILNS1_3genE10ELNS1_11target_archE1200ELNS1_3gpuE4ELNS1_3repE0EEENS1_30default_config_static_selectorELNS0_4arch9wavefront6targetE1EEEvT1_, .Lfunc_end72-_ZN7rocprim17ROCPRIM_400000_NS6detail17trampoline_kernelINS0_14default_configENS1_20scan_config_selectorIdEEZZNS1_9scan_implILNS1_25lookback_scan_determinismE0ELb0ELb0ES3_PKdPddZZZN2at6native31launch_logcumsumexp_cuda_kernelERKNSB_10TensorBaseESF_lENKUlvE_clEvENKUlvE_clEvEUlddE_dEEDaPvRmT3_T4_T5_mT6_P12ihipStream_tbENKUlT_T0_E_clISt17integral_constantIbLb0EESV_IbLb1EEEEDaSR_SS_EUlSR_E_NS1_11comp_targetILNS1_3genE10ELNS1_11target_archE1200ELNS1_3gpuE4ELNS1_3repE0EEENS1_30default_config_static_selectorELNS0_4arch9wavefront6targetE1EEEvT1_
                                        ; -- End function
	.set _ZN7rocprim17ROCPRIM_400000_NS6detail17trampoline_kernelINS0_14default_configENS1_20scan_config_selectorIdEEZZNS1_9scan_implILNS1_25lookback_scan_determinismE0ELb0ELb0ES3_PKdPddZZZN2at6native31launch_logcumsumexp_cuda_kernelERKNSB_10TensorBaseESF_lENKUlvE_clEvENKUlvE_clEvEUlddE_dEEDaPvRmT3_T4_T5_mT6_P12ihipStream_tbENKUlT_T0_E_clISt17integral_constantIbLb0EESV_IbLb1EEEEDaSR_SS_EUlSR_E_NS1_11comp_targetILNS1_3genE10ELNS1_11target_archE1200ELNS1_3gpuE4ELNS1_3repE0EEENS1_30default_config_static_selectorELNS0_4arch9wavefront6targetE1EEEvT1_.num_vgpr, 0
	.set _ZN7rocprim17ROCPRIM_400000_NS6detail17trampoline_kernelINS0_14default_configENS1_20scan_config_selectorIdEEZZNS1_9scan_implILNS1_25lookback_scan_determinismE0ELb0ELb0ES3_PKdPddZZZN2at6native31launch_logcumsumexp_cuda_kernelERKNSB_10TensorBaseESF_lENKUlvE_clEvENKUlvE_clEvEUlddE_dEEDaPvRmT3_T4_T5_mT6_P12ihipStream_tbENKUlT_T0_E_clISt17integral_constantIbLb0EESV_IbLb1EEEEDaSR_SS_EUlSR_E_NS1_11comp_targetILNS1_3genE10ELNS1_11target_archE1200ELNS1_3gpuE4ELNS1_3repE0EEENS1_30default_config_static_selectorELNS0_4arch9wavefront6targetE1EEEvT1_.num_agpr, 0
	.set _ZN7rocprim17ROCPRIM_400000_NS6detail17trampoline_kernelINS0_14default_configENS1_20scan_config_selectorIdEEZZNS1_9scan_implILNS1_25lookback_scan_determinismE0ELb0ELb0ES3_PKdPddZZZN2at6native31launch_logcumsumexp_cuda_kernelERKNSB_10TensorBaseESF_lENKUlvE_clEvENKUlvE_clEvEUlddE_dEEDaPvRmT3_T4_T5_mT6_P12ihipStream_tbENKUlT_T0_E_clISt17integral_constantIbLb0EESV_IbLb1EEEEDaSR_SS_EUlSR_E_NS1_11comp_targetILNS1_3genE10ELNS1_11target_archE1200ELNS1_3gpuE4ELNS1_3repE0EEENS1_30default_config_static_selectorELNS0_4arch9wavefront6targetE1EEEvT1_.numbered_sgpr, 0
	.set _ZN7rocprim17ROCPRIM_400000_NS6detail17trampoline_kernelINS0_14default_configENS1_20scan_config_selectorIdEEZZNS1_9scan_implILNS1_25lookback_scan_determinismE0ELb0ELb0ES3_PKdPddZZZN2at6native31launch_logcumsumexp_cuda_kernelERKNSB_10TensorBaseESF_lENKUlvE_clEvENKUlvE_clEvEUlddE_dEEDaPvRmT3_T4_T5_mT6_P12ihipStream_tbENKUlT_T0_E_clISt17integral_constantIbLb0EESV_IbLb1EEEEDaSR_SS_EUlSR_E_NS1_11comp_targetILNS1_3genE10ELNS1_11target_archE1200ELNS1_3gpuE4ELNS1_3repE0EEENS1_30default_config_static_selectorELNS0_4arch9wavefront6targetE1EEEvT1_.num_named_barrier, 0
	.set _ZN7rocprim17ROCPRIM_400000_NS6detail17trampoline_kernelINS0_14default_configENS1_20scan_config_selectorIdEEZZNS1_9scan_implILNS1_25lookback_scan_determinismE0ELb0ELb0ES3_PKdPddZZZN2at6native31launch_logcumsumexp_cuda_kernelERKNSB_10TensorBaseESF_lENKUlvE_clEvENKUlvE_clEvEUlddE_dEEDaPvRmT3_T4_T5_mT6_P12ihipStream_tbENKUlT_T0_E_clISt17integral_constantIbLb0EESV_IbLb1EEEEDaSR_SS_EUlSR_E_NS1_11comp_targetILNS1_3genE10ELNS1_11target_archE1200ELNS1_3gpuE4ELNS1_3repE0EEENS1_30default_config_static_selectorELNS0_4arch9wavefront6targetE1EEEvT1_.private_seg_size, 0
	.set _ZN7rocprim17ROCPRIM_400000_NS6detail17trampoline_kernelINS0_14default_configENS1_20scan_config_selectorIdEEZZNS1_9scan_implILNS1_25lookback_scan_determinismE0ELb0ELb0ES3_PKdPddZZZN2at6native31launch_logcumsumexp_cuda_kernelERKNSB_10TensorBaseESF_lENKUlvE_clEvENKUlvE_clEvEUlddE_dEEDaPvRmT3_T4_T5_mT6_P12ihipStream_tbENKUlT_T0_E_clISt17integral_constantIbLb0EESV_IbLb1EEEEDaSR_SS_EUlSR_E_NS1_11comp_targetILNS1_3genE10ELNS1_11target_archE1200ELNS1_3gpuE4ELNS1_3repE0EEENS1_30default_config_static_selectorELNS0_4arch9wavefront6targetE1EEEvT1_.uses_vcc, 0
	.set _ZN7rocprim17ROCPRIM_400000_NS6detail17trampoline_kernelINS0_14default_configENS1_20scan_config_selectorIdEEZZNS1_9scan_implILNS1_25lookback_scan_determinismE0ELb0ELb0ES3_PKdPddZZZN2at6native31launch_logcumsumexp_cuda_kernelERKNSB_10TensorBaseESF_lENKUlvE_clEvENKUlvE_clEvEUlddE_dEEDaPvRmT3_T4_T5_mT6_P12ihipStream_tbENKUlT_T0_E_clISt17integral_constantIbLb0EESV_IbLb1EEEEDaSR_SS_EUlSR_E_NS1_11comp_targetILNS1_3genE10ELNS1_11target_archE1200ELNS1_3gpuE4ELNS1_3repE0EEENS1_30default_config_static_selectorELNS0_4arch9wavefront6targetE1EEEvT1_.uses_flat_scratch, 0
	.set _ZN7rocprim17ROCPRIM_400000_NS6detail17trampoline_kernelINS0_14default_configENS1_20scan_config_selectorIdEEZZNS1_9scan_implILNS1_25lookback_scan_determinismE0ELb0ELb0ES3_PKdPddZZZN2at6native31launch_logcumsumexp_cuda_kernelERKNSB_10TensorBaseESF_lENKUlvE_clEvENKUlvE_clEvEUlddE_dEEDaPvRmT3_T4_T5_mT6_P12ihipStream_tbENKUlT_T0_E_clISt17integral_constantIbLb0EESV_IbLb1EEEEDaSR_SS_EUlSR_E_NS1_11comp_targetILNS1_3genE10ELNS1_11target_archE1200ELNS1_3gpuE4ELNS1_3repE0EEENS1_30default_config_static_selectorELNS0_4arch9wavefront6targetE1EEEvT1_.has_dyn_sized_stack, 0
	.set _ZN7rocprim17ROCPRIM_400000_NS6detail17trampoline_kernelINS0_14default_configENS1_20scan_config_selectorIdEEZZNS1_9scan_implILNS1_25lookback_scan_determinismE0ELb0ELb0ES3_PKdPddZZZN2at6native31launch_logcumsumexp_cuda_kernelERKNSB_10TensorBaseESF_lENKUlvE_clEvENKUlvE_clEvEUlddE_dEEDaPvRmT3_T4_T5_mT6_P12ihipStream_tbENKUlT_T0_E_clISt17integral_constantIbLb0EESV_IbLb1EEEEDaSR_SS_EUlSR_E_NS1_11comp_targetILNS1_3genE10ELNS1_11target_archE1200ELNS1_3gpuE4ELNS1_3repE0EEENS1_30default_config_static_selectorELNS0_4arch9wavefront6targetE1EEEvT1_.has_recursion, 0
	.set _ZN7rocprim17ROCPRIM_400000_NS6detail17trampoline_kernelINS0_14default_configENS1_20scan_config_selectorIdEEZZNS1_9scan_implILNS1_25lookback_scan_determinismE0ELb0ELb0ES3_PKdPddZZZN2at6native31launch_logcumsumexp_cuda_kernelERKNSB_10TensorBaseESF_lENKUlvE_clEvENKUlvE_clEvEUlddE_dEEDaPvRmT3_T4_T5_mT6_P12ihipStream_tbENKUlT_T0_E_clISt17integral_constantIbLb0EESV_IbLb1EEEEDaSR_SS_EUlSR_E_NS1_11comp_targetILNS1_3genE10ELNS1_11target_archE1200ELNS1_3gpuE4ELNS1_3repE0EEENS1_30default_config_static_selectorELNS0_4arch9wavefront6targetE1EEEvT1_.has_indirect_call, 0
	.section	.AMDGPU.csdata,"",@progbits
; Kernel info:
; codeLenInByte = 0
; TotalNumSgprs: 4
; NumVgprs: 0
; ScratchSize: 0
; MemoryBound: 0
; FloatMode: 240
; IeeeMode: 1
; LDSByteSize: 0 bytes/workgroup (compile time only)
; SGPRBlocks: 0
; VGPRBlocks: 0
; NumSGPRsForWavesPerEU: 4
; NumVGPRsForWavesPerEU: 1
; Occupancy: 10
; WaveLimiterHint : 0
; COMPUTE_PGM_RSRC2:SCRATCH_EN: 0
; COMPUTE_PGM_RSRC2:USER_SGPR: 6
; COMPUTE_PGM_RSRC2:TRAP_HANDLER: 0
; COMPUTE_PGM_RSRC2:TGID_X_EN: 1
; COMPUTE_PGM_RSRC2:TGID_Y_EN: 0
; COMPUTE_PGM_RSRC2:TGID_Z_EN: 0
; COMPUTE_PGM_RSRC2:TIDIG_COMP_CNT: 0
	.section	.text._ZN7rocprim17ROCPRIM_400000_NS6detail17trampoline_kernelINS0_14default_configENS1_20scan_config_selectorIdEEZZNS1_9scan_implILNS1_25lookback_scan_determinismE0ELb0ELb0ES3_PKdPddZZZN2at6native31launch_logcumsumexp_cuda_kernelERKNSB_10TensorBaseESF_lENKUlvE_clEvENKUlvE_clEvEUlddE_dEEDaPvRmT3_T4_T5_mT6_P12ihipStream_tbENKUlT_T0_E_clISt17integral_constantIbLb0EESV_IbLb1EEEEDaSR_SS_EUlSR_E_NS1_11comp_targetILNS1_3genE9ELNS1_11target_archE1100ELNS1_3gpuE3ELNS1_3repE0EEENS1_30default_config_static_selectorELNS0_4arch9wavefront6targetE1EEEvT1_,"axG",@progbits,_ZN7rocprim17ROCPRIM_400000_NS6detail17trampoline_kernelINS0_14default_configENS1_20scan_config_selectorIdEEZZNS1_9scan_implILNS1_25lookback_scan_determinismE0ELb0ELb0ES3_PKdPddZZZN2at6native31launch_logcumsumexp_cuda_kernelERKNSB_10TensorBaseESF_lENKUlvE_clEvENKUlvE_clEvEUlddE_dEEDaPvRmT3_T4_T5_mT6_P12ihipStream_tbENKUlT_T0_E_clISt17integral_constantIbLb0EESV_IbLb1EEEEDaSR_SS_EUlSR_E_NS1_11comp_targetILNS1_3genE9ELNS1_11target_archE1100ELNS1_3gpuE3ELNS1_3repE0EEENS1_30default_config_static_selectorELNS0_4arch9wavefront6targetE1EEEvT1_,comdat
	.globl	_ZN7rocprim17ROCPRIM_400000_NS6detail17trampoline_kernelINS0_14default_configENS1_20scan_config_selectorIdEEZZNS1_9scan_implILNS1_25lookback_scan_determinismE0ELb0ELb0ES3_PKdPddZZZN2at6native31launch_logcumsumexp_cuda_kernelERKNSB_10TensorBaseESF_lENKUlvE_clEvENKUlvE_clEvEUlddE_dEEDaPvRmT3_T4_T5_mT6_P12ihipStream_tbENKUlT_T0_E_clISt17integral_constantIbLb0EESV_IbLb1EEEEDaSR_SS_EUlSR_E_NS1_11comp_targetILNS1_3genE9ELNS1_11target_archE1100ELNS1_3gpuE3ELNS1_3repE0EEENS1_30default_config_static_selectorELNS0_4arch9wavefront6targetE1EEEvT1_ ; -- Begin function _ZN7rocprim17ROCPRIM_400000_NS6detail17trampoline_kernelINS0_14default_configENS1_20scan_config_selectorIdEEZZNS1_9scan_implILNS1_25lookback_scan_determinismE0ELb0ELb0ES3_PKdPddZZZN2at6native31launch_logcumsumexp_cuda_kernelERKNSB_10TensorBaseESF_lENKUlvE_clEvENKUlvE_clEvEUlddE_dEEDaPvRmT3_T4_T5_mT6_P12ihipStream_tbENKUlT_T0_E_clISt17integral_constantIbLb0EESV_IbLb1EEEEDaSR_SS_EUlSR_E_NS1_11comp_targetILNS1_3genE9ELNS1_11target_archE1100ELNS1_3gpuE3ELNS1_3repE0EEENS1_30default_config_static_selectorELNS0_4arch9wavefront6targetE1EEEvT1_
	.p2align	8
	.type	_ZN7rocprim17ROCPRIM_400000_NS6detail17trampoline_kernelINS0_14default_configENS1_20scan_config_selectorIdEEZZNS1_9scan_implILNS1_25lookback_scan_determinismE0ELb0ELb0ES3_PKdPddZZZN2at6native31launch_logcumsumexp_cuda_kernelERKNSB_10TensorBaseESF_lENKUlvE_clEvENKUlvE_clEvEUlddE_dEEDaPvRmT3_T4_T5_mT6_P12ihipStream_tbENKUlT_T0_E_clISt17integral_constantIbLb0EESV_IbLb1EEEEDaSR_SS_EUlSR_E_NS1_11comp_targetILNS1_3genE9ELNS1_11target_archE1100ELNS1_3gpuE3ELNS1_3repE0EEENS1_30default_config_static_selectorELNS0_4arch9wavefront6targetE1EEEvT1_,@function
_ZN7rocprim17ROCPRIM_400000_NS6detail17trampoline_kernelINS0_14default_configENS1_20scan_config_selectorIdEEZZNS1_9scan_implILNS1_25lookback_scan_determinismE0ELb0ELb0ES3_PKdPddZZZN2at6native31launch_logcumsumexp_cuda_kernelERKNSB_10TensorBaseESF_lENKUlvE_clEvENKUlvE_clEvEUlddE_dEEDaPvRmT3_T4_T5_mT6_P12ihipStream_tbENKUlT_T0_E_clISt17integral_constantIbLb0EESV_IbLb1EEEEDaSR_SS_EUlSR_E_NS1_11comp_targetILNS1_3genE9ELNS1_11target_archE1100ELNS1_3gpuE3ELNS1_3repE0EEENS1_30default_config_static_selectorELNS0_4arch9wavefront6targetE1EEEvT1_: ; @_ZN7rocprim17ROCPRIM_400000_NS6detail17trampoline_kernelINS0_14default_configENS1_20scan_config_selectorIdEEZZNS1_9scan_implILNS1_25lookback_scan_determinismE0ELb0ELb0ES3_PKdPddZZZN2at6native31launch_logcumsumexp_cuda_kernelERKNSB_10TensorBaseESF_lENKUlvE_clEvENKUlvE_clEvEUlddE_dEEDaPvRmT3_T4_T5_mT6_P12ihipStream_tbENKUlT_T0_E_clISt17integral_constantIbLb0EESV_IbLb1EEEEDaSR_SS_EUlSR_E_NS1_11comp_targetILNS1_3genE9ELNS1_11target_archE1100ELNS1_3gpuE3ELNS1_3repE0EEENS1_30default_config_static_selectorELNS0_4arch9wavefront6targetE1EEEvT1_
; %bb.0:
	.section	.rodata,"a",@progbits
	.p2align	6, 0x0
	.amdhsa_kernel _ZN7rocprim17ROCPRIM_400000_NS6detail17trampoline_kernelINS0_14default_configENS1_20scan_config_selectorIdEEZZNS1_9scan_implILNS1_25lookback_scan_determinismE0ELb0ELb0ES3_PKdPddZZZN2at6native31launch_logcumsumexp_cuda_kernelERKNSB_10TensorBaseESF_lENKUlvE_clEvENKUlvE_clEvEUlddE_dEEDaPvRmT3_T4_T5_mT6_P12ihipStream_tbENKUlT_T0_E_clISt17integral_constantIbLb0EESV_IbLb1EEEEDaSR_SS_EUlSR_E_NS1_11comp_targetILNS1_3genE9ELNS1_11target_archE1100ELNS1_3gpuE3ELNS1_3repE0EEENS1_30default_config_static_selectorELNS0_4arch9wavefront6targetE1EEEvT1_
		.amdhsa_group_segment_fixed_size 0
		.amdhsa_private_segment_fixed_size 0
		.amdhsa_kernarg_size 104
		.amdhsa_user_sgpr_count 6
		.amdhsa_user_sgpr_private_segment_buffer 1
		.amdhsa_user_sgpr_dispatch_ptr 0
		.amdhsa_user_sgpr_queue_ptr 0
		.amdhsa_user_sgpr_kernarg_segment_ptr 1
		.amdhsa_user_sgpr_dispatch_id 0
		.amdhsa_user_sgpr_flat_scratch_init 0
		.amdhsa_user_sgpr_private_segment_size 0
		.amdhsa_uses_dynamic_stack 0
		.amdhsa_system_sgpr_private_segment_wavefront_offset 0
		.amdhsa_system_sgpr_workgroup_id_x 1
		.amdhsa_system_sgpr_workgroup_id_y 0
		.amdhsa_system_sgpr_workgroup_id_z 0
		.amdhsa_system_sgpr_workgroup_info 0
		.amdhsa_system_vgpr_workitem_id 0
		.amdhsa_next_free_vgpr 1
		.amdhsa_next_free_sgpr 0
		.amdhsa_reserve_vcc 0
		.amdhsa_reserve_flat_scratch 0
		.amdhsa_float_round_mode_32 0
		.amdhsa_float_round_mode_16_64 0
		.amdhsa_float_denorm_mode_32 3
		.amdhsa_float_denorm_mode_16_64 3
		.amdhsa_dx10_clamp 1
		.amdhsa_ieee_mode 1
		.amdhsa_fp16_overflow 0
		.amdhsa_exception_fp_ieee_invalid_op 0
		.amdhsa_exception_fp_denorm_src 0
		.amdhsa_exception_fp_ieee_div_zero 0
		.amdhsa_exception_fp_ieee_overflow 0
		.amdhsa_exception_fp_ieee_underflow 0
		.amdhsa_exception_fp_ieee_inexact 0
		.amdhsa_exception_int_div_zero 0
	.end_amdhsa_kernel
	.section	.text._ZN7rocprim17ROCPRIM_400000_NS6detail17trampoline_kernelINS0_14default_configENS1_20scan_config_selectorIdEEZZNS1_9scan_implILNS1_25lookback_scan_determinismE0ELb0ELb0ES3_PKdPddZZZN2at6native31launch_logcumsumexp_cuda_kernelERKNSB_10TensorBaseESF_lENKUlvE_clEvENKUlvE_clEvEUlddE_dEEDaPvRmT3_T4_T5_mT6_P12ihipStream_tbENKUlT_T0_E_clISt17integral_constantIbLb0EESV_IbLb1EEEEDaSR_SS_EUlSR_E_NS1_11comp_targetILNS1_3genE9ELNS1_11target_archE1100ELNS1_3gpuE3ELNS1_3repE0EEENS1_30default_config_static_selectorELNS0_4arch9wavefront6targetE1EEEvT1_,"axG",@progbits,_ZN7rocprim17ROCPRIM_400000_NS6detail17trampoline_kernelINS0_14default_configENS1_20scan_config_selectorIdEEZZNS1_9scan_implILNS1_25lookback_scan_determinismE0ELb0ELb0ES3_PKdPddZZZN2at6native31launch_logcumsumexp_cuda_kernelERKNSB_10TensorBaseESF_lENKUlvE_clEvENKUlvE_clEvEUlddE_dEEDaPvRmT3_T4_T5_mT6_P12ihipStream_tbENKUlT_T0_E_clISt17integral_constantIbLb0EESV_IbLb1EEEEDaSR_SS_EUlSR_E_NS1_11comp_targetILNS1_3genE9ELNS1_11target_archE1100ELNS1_3gpuE3ELNS1_3repE0EEENS1_30default_config_static_selectorELNS0_4arch9wavefront6targetE1EEEvT1_,comdat
.Lfunc_end73:
	.size	_ZN7rocprim17ROCPRIM_400000_NS6detail17trampoline_kernelINS0_14default_configENS1_20scan_config_selectorIdEEZZNS1_9scan_implILNS1_25lookback_scan_determinismE0ELb0ELb0ES3_PKdPddZZZN2at6native31launch_logcumsumexp_cuda_kernelERKNSB_10TensorBaseESF_lENKUlvE_clEvENKUlvE_clEvEUlddE_dEEDaPvRmT3_T4_T5_mT6_P12ihipStream_tbENKUlT_T0_E_clISt17integral_constantIbLb0EESV_IbLb1EEEEDaSR_SS_EUlSR_E_NS1_11comp_targetILNS1_3genE9ELNS1_11target_archE1100ELNS1_3gpuE3ELNS1_3repE0EEENS1_30default_config_static_selectorELNS0_4arch9wavefront6targetE1EEEvT1_, .Lfunc_end73-_ZN7rocprim17ROCPRIM_400000_NS6detail17trampoline_kernelINS0_14default_configENS1_20scan_config_selectorIdEEZZNS1_9scan_implILNS1_25lookback_scan_determinismE0ELb0ELb0ES3_PKdPddZZZN2at6native31launch_logcumsumexp_cuda_kernelERKNSB_10TensorBaseESF_lENKUlvE_clEvENKUlvE_clEvEUlddE_dEEDaPvRmT3_T4_T5_mT6_P12ihipStream_tbENKUlT_T0_E_clISt17integral_constantIbLb0EESV_IbLb1EEEEDaSR_SS_EUlSR_E_NS1_11comp_targetILNS1_3genE9ELNS1_11target_archE1100ELNS1_3gpuE3ELNS1_3repE0EEENS1_30default_config_static_selectorELNS0_4arch9wavefront6targetE1EEEvT1_
                                        ; -- End function
	.set _ZN7rocprim17ROCPRIM_400000_NS6detail17trampoline_kernelINS0_14default_configENS1_20scan_config_selectorIdEEZZNS1_9scan_implILNS1_25lookback_scan_determinismE0ELb0ELb0ES3_PKdPddZZZN2at6native31launch_logcumsumexp_cuda_kernelERKNSB_10TensorBaseESF_lENKUlvE_clEvENKUlvE_clEvEUlddE_dEEDaPvRmT3_T4_T5_mT6_P12ihipStream_tbENKUlT_T0_E_clISt17integral_constantIbLb0EESV_IbLb1EEEEDaSR_SS_EUlSR_E_NS1_11comp_targetILNS1_3genE9ELNS1_11target_archE1100ELNS1_3gpuE3ELNS1_3repE0EEENS1_30default_config_static_selectorELNS0_4arch9wavefront6targetE1EEEvT1_.num_vgpr, 0
	.set _ZN7rocprim17ROCPRIM_400000_NS6detail17trampoline_kernelINS0_14default_configENS1_20scan_config_selectorIdEEZZNS1_9scan_implILNS1_25lookback_scan_determinismE0ELb0ELb0ES3_PKdPddZZZN2at6native31launch_logcumsumexp_cuda_kernelERKNSB_10TensorBaseESF_lENKUlvE_clEvENKUlvE_clEvEUlddE_dEEDaPvRmT3_T4_T5_mT6_P12ihipStream_tbENKUlT_T0_E_clISt17integral_constantIbLb0EESV_IbLb1EEEEDaSR_SS_EUlSR_E_NS1_11comp_targetILNS1_3genE9ELNS1_11target_archE1100ELNS1_3gpuE3ELNS1_3repE0EEENS1_30default_config_static_selectorELNS0_4arch9wavefront6targetE1EEEvT1_.num_agpr, 0
	.set _ZN7rocprim17ROCPRIM_400000_NS6detail17trampoline_kernelINS0_14default_configENS1_20scan_config_selectorIdEEZZNS1_9scan_implILNS1_25lookback_scan_determinismE0ELb0ELb0ES3_PKdPddZZZN2at6native31launch_logcumsumexp_cuda_kernelERKNSB_10TensorBaseESF_lENKUlvE_clEvENKUlvE_clEvEUlddE_dEEDaPvRmT3_T4_T5_mT6_P12ihipStream_tbENKUlT_T0_E_clISt17integral_constantIbLb0EESV_IbLb1EEEEDaSR_SS_EUlSR_E_NS1_11comp_targetILNS1_3genE9ELNS1_11target_archE1100ELNS1_3gpuE3ELNS1_3repE0EEENS1_30default_config_static_selectorELNS0_4arch9wavefront6targetE1EEEvT1_.numbered_sgpr, 0
	.set _ZN7rocprim17ROCPRIM_400000_NS6detail17trampoline_kernelINS0_14default_configENS1_20scan_config_selectorIdEEZZNS1_9scan_implILNS1_25lookback_scan_determinismE0ELb0ELb0ES3_PKdPddZZZN2at6native31launch_logcumsumexp_cuda_kernelERKNSB_10TensorBaseESF_lENKUlvE_clEvENKUlvE_clEvEUlddE_dEEDaPvRmT3_T4_T5_mT6_P12ihipStream_tbENKUlT_T0_E_clISt17integral_constantIbLb0EESV_IbLb1EEEEDaSR_SS_EUlSR_E_NS1_11comp_targetILNS1_3genE9ELNS1_11target_archE1100ELNS1_3gpuE3ELNS1_3repE0EEENS1_30default_config_static_selectorELNS0_4arch9wavefront6targetE1EEEvT1_.num_named_barrier, 0
	.set _ZN7rocprim17ROCPRIM_400000_NS6detail17trampoline_kernelINS0_14default_configENS1_20scan_config_selectorIdEEZZNS1_9scan_implILNS1_25lookback_scan_determinismE0ELb0ELb0ES3_PKdPddZZZN2at6native31launch_logcumsumexp_cuda_kernelERKNSB_10TensorBaseESF_lENKUlvE_clEvENKUlvE_clEvEUlddE_dEEDaPvRmT3_T4_T5_mT6_P12ihipStream_tbENKUlT_T0_E_clISt17integral_constantIbLb0EESV_IbLb1EEEEDaSR_SS_EUlSR_E_NS1_11comp_targetILNS1_3genE9ELNS1_11target_archE1100ELNS1_3gpuE3ELNS1_3repE0EEENS1_30default_config_static_selectorELNS0_4arch9wavefront6targetE1EEEvT1_.private_seg_size, 0
	.set _ZN7rocprim17ROCPRIM_400000_NS6detail17trampoline_kernelINS0_14default_configENS1_20scan_config_selectorIdEEZZNS1_9scan_implILNS1_25lookback_scan_determinismE0ELb0ELb0ES3_PKdPddZZZN2at6native31launch_logcumsumexp_cuda_kernelERKNSB_10TensorBaseESF_lENKUlvE_clEvENKUlvE_clEvEUlddE_dEEDaPvRmT3_T4_T5_mT6_P12ihipStream_tbENKUlT_T0_E_clISt17integral_constantIbLb0EESV_IbLb1EEEEDaSR_SS_EUlSR_E_NS1_11comp_targetILNS1_3genE9ELNS1_11target_archE1100ELNS1_3gpuE3ELNS1_3repE0EEENS1_30default_config_static_selectorELNS0_4arch9wavefront6targetE1EEEvT1_.uses_vcc, 0
	.set _ZN7rocprim17ROCPRIM_400000_NS6detail17trampoline_kernelINS0_14default_configENS1_20scan_config_selectorIdEEZZNS1_9scan_implILNS1_25lookback_scan_determinismE0ELb0ELb0ES3_PKdPddZZZN2at6native31launch_logcumsumexp_cuda_kernelERKNSB_10TensorBaseESF_lENKUlvE_clEvENKUlvE_clEvEUlddE_dEEDaPvRmT3_T4_T5_mT6_P12ihipStream_tbENKUlT_T0_E_clISt17integral_constantIbLb0EESV_IbLb1EEEEDaSR_SS_EUlSR_E_NS1_11comp_targetILNS1_3genE9ELNS1_11target_archE1100ELNS1_3gpuE3ELNS1_3repE0EEENS1_30default_config_static_selectorELNS0_4arch9wavefront6targetE1EEEvT1_.uses_flat_scratch, 0
	.set _ZN7rocprim17ROCPRIM_400000_NS6detail17trampoline_kernelINS0_14default_configENS1_20scan_config_selectorIdEEZZNS1_9scan_implILNS1_25lookback_scan_determinismE0ELb0ELb0ES3_PKdPddZZZN2at6native31launch_logcumsumexp_cuda_kernelERKNSB_10TensorBaseESF_lENKUlvE_clEvENKUlvE_clEvEUlddE_dEEDaPvRmT3_T4_T5_mT6_P12ihipStream_tbENKUlT_T0_E_clISt17integral_constantIbLb0EESV_IbLb1EEEEDaSR_SS_EUlSR_E_NS1_11comp_targetILNS1_3genE9ELNS1_11target_archE1100ELNS1_3gpuE3ELNS1_3repE0EEENS1_30default_config_static_selectorELNS0_4arch9wavefront6targetE1EEEvT1_.has_dyn_sized_stack, 0
	.set _ZN7rocprim17ROCPRIM_400000_NS6detail17trampoline_kernelINS0_14default_configENS1_20scan_config_selectorIdEEZZNS1_9scan_implILNS1_25lookback_scan_determinismE0ELb0ELb0ES3_PKdPddZZZN2at6native31launch_logcumsumexp_cuda_kernelERKNSB_10TensorBaseESF_lENKUlvE_clEvENKUlvE_clEvEUlddE_dEEDaPvRmT3_T4_T5_mT6_P12ihipStream_tbENKUlT_T0_E_clISt17integral_constantIbLb0EESV_IbLb1EEEEDaSR_SS_EUlSR_E_NS1_11comp_targetILNS1_3genE9ELNS1_11target_archE1100ELNS1_3gpuE3ELNS1_3repE0EEENS1_30default_config_static_selectorELNS0_4arch9wavefront6targetE1EEEvT1_.has_recursion, 0
	.set _ZN7rocprim17ROCPRIM_400000_NS6detail17trampoline_kernelINS0_14default_configENS1_20scan_config_selectorIdEEZZNS1_9scan_implILNS1_25lookback_scan_determinismE0ELb0ELb0ES3_PKdPddZZZN2at6native31launch_logcumsumexp_cuda_kernelERKNSB_10TensorBaseESF_lENKUlvE_clEvENKUlvE_clEvEUlddE_dEEDaPvRmT3_T4_T5_mT6_P12ihipStream_tbENKUlT_T0_E_clISt17integral_constantIbLb0EESV_IbLb1EEEEDaSR_SS_EUlSR_E_NS1_11comp_targetILNS1_3genE9ELNS1_11target_archE1100ELNS1_3gpuE3ELNS1_3repE0EEENS1_30default_config_static_selectorELNS0_4arch9wavefront6targetE1EEEvT1_.has_indirect_call, 0
	.section	.AMDGPU.csdata,"",@progbits
; Kernel info:
; codeLenInByte = 0
; TotalNumSgprs: 4
; NumVgprs: 0
; ScratchSize: 0
; MemoryBound: 0
; FloatMode: 240
; IeeeMode: 1
; LDSByteSize: 0 bytes/workgroup (compile time only)
; SGPRBlocks: 0
; VGPRBlocks: 0
; NumSGPRsForWavesPerEU: 4
; NumVGPRsForWavesPerEU: 1
; Occupancy: 10
; WaveLimiterHint : 0
; COMPUTE_PGM_RSRC2:SCRATCH_EN: 0
; COMPUTE_PGM_RSRC2:USER_SGPR: 6
; COMPUTE_PGM_RSRC2:TRAP_HANDLER: 0
; COMPUTE_PGM_RSRC2:TGID_X_EN: 1
; COMPUTE_PGM_RSRC2:TGID_Y_EN: 0
; COMPUTE_PGM_RSRC2:TGID_Z_EN: 0
; COMPUTE_PGM_RSRC2:TIDIG_COMP_CNT: 0
	.section	.text._ZN7rocprim17ROCPRIM_400000_NS6detail17trampoline_kernelINS0_14default_configENS1_20scan_config_selectorIdEEZZNS1_9scan_implILNS1_25lookback_scan_determinismE0ELb0ELb0ES3_PKdPddZZZN2at6native31launch_logcumsumexp_cuda_kernelERKNSB_10TensorBaseESF_lENKUlvE_clEvENKUlvE_clEvEUlddE_dEEDaPvRmT3_T4_T5_mT6_P12ihipStream_tbENKUlT_T0_E_clISt17integral_constantIbLb0EESV_IbLb1EEEEDaSR_SS_EUlSR_E_NS1_11comp_targetILNS1_3genE8ELNS1_11target_archE1030ELNS1_3gpuE2ELNS1_3repE0EEENS1_30default_config_static_selectorELNS0_4arch9wavefront6targetE1EEEvT1_,"axG",@progbits,_ZN7rocprim17ROCPRIM_400000_NS6detail17trampoline_kernelINS0_14default_configENS1_20scan_config_selectorIdEEZZNS1_9scan_implILNS1_25lookback_scan_determinismE0ELb0ELb0ES3_PKdPddZZZN2at6native31launch_logcumsumexp_cuda_kernelERKNSB_10TensorBaseESF_lENKUlvE_clEvENKUlvE_clEvEUlddE_dEEDaPvRmT3_T4_T5_mT6_P12ihipStream_tbENKUlT_T0_E_clISt17integral_constantIbLb0EESV_IbLb1EEEEDaSR_SS_EUlSR_E_NS1_11comp_targetILNS1_3genE8ELNS1_11target_archE1030ELNS1_3gpuE2ELNS1_3repE0EEENS1_30default_config_static_selectorELNS0_4arch9wavefront6targetE1EEEvT1_,comdat
	.globl	_ZN7rocprim17ROCPRIM_400000_NS6detail17trampoline_kernelINS0_14default_configENS1_20scan_config_selectorIdEEZZNS1_9scan_implILNS1_25lookback_scan_determinismE0ELb0ELb0ES3_PKdPddZZZN2at6native31launch_logcumsumexp_cuda_kernelERKNSB_10TensorBaseESF_lENKUlvE_clEvENKUlvE_clEvEUlddE_dEEDaPvRmT3_T4_T5_mT6_P12ihipStream_tbENKUlT_T0_E_clISt17integral_constantIbLb0EESV_IbLb1EEEEDaSR_SS_EUlSR_E_NS1_11comp_targetILNS1_3genE8ELNS1_11target_archE1030ELNS1_3gpuE2ELNS1_3repE0EEENS1_30default_config_static_selectorELNS0_4arch9wavefront6targetE1EEEvT1_ ; -- Begin function _ZN7rocprim17ROCPRIM_400000_NS6detail17trampoline_kernelINS0_14default_configENS1_20scan_config_selectorIdEEZZNS1_9scan_implILNS1_25lookback_scan_determinismE0ELb0ELb0ES3_PKdPddZZZN2at6native31launch_logcumsumexp_cuda_kernelERKNSB_10TensorBaseESF_lENKUlvE_clEvENKUlvE_clEvEUlddE_dEEDaPvRmT3_T4_T5_mT6_P12ihipStream_tbENKUlT_T0_E_clISt17integral_constantIbLb0EESV_IbLb1EEEEDaSR_SS_EUlSR_E_NS1_11comp_targetILNS1_3genE8ELNS1_11target_archE1030ELNS1_3gpuE2ELNS1_3repE0EEENS1_30default_config_static_selectorELNS0_4arch9wavefront6targetE1EEEvT1_
	.p2align	8
	.type	_ZN7rocprim17ROCPRIM_400000_NS6detail17trampoline_kernelINS0_14default_configENS1_20scan_config_selectorIdEEZZNS1_9scan_implILNS1_25lookback_scan_determinismE0ELb0ELb0ES3_PKdPddZZZN2at6native31launch_logcumsumexp_cuda_kernelERKNSB_10TensorBaseESF_lENKUlvE_clEvENKUlvE_clEvEUlddE_dEEDaPvRmT3_T4_T5_mT6_P12ihipStream_tbENKUlT_T0_E_clISt17integral_constantIbLb0EESV_IbLb1EEEEDaSR_SS_EUlSR_E_NS1_11comp_targetILNS1_3genE8ELNS1_11target_archE1030ELNS1_3gpuE2ELNS1_3repE0EEENS1_30default_config_static_selectorELNS0_4arch9wavefront6targetE1EEEvT1_,@function
_ZN7rocprim17ROCPRIM_400000_NS6detail17trampoline_kernelINS0_14default_configENS1_20scan_config_selectorIdEEZZNS1_9scan_implILNS1_25lookback_scan_determinismE0ELb0ELb0ES3_PKdPddZZZN2at6native31launch_logcumsumexp_cuda_kernelERKNSB_10TensorBaseESF_lENKUlvE_clEvENKUlvE_clEvEUlddE_dEEDaPvRmT3_T4_T5_mT6_P12ihipStream_tbENKUlT_T0_E_clISt17integral_constantIbLb0EESV_IbLb1EEEEDaSR_SS_EUlSR_E_NS1_11comp_targetILNS1_3genE8ELNS1_11target_archE1030ELNS1_3gpuE2ELNS1_3repE0EEENS1_30default_config_static_selectorELNS0_4arch9wavefront6targetE1EEEvT1_: ; @_ZN7rocprim17ROCPRIM_400000_NS6detail17trampoline_kernelINS0_14default_configENS1_20scan_config_selectorIdEEZZNS1_9scan_implILNS1_25lookback_scan_determinismE0ELb0ELb0ES3_PKdPddZZZN2at6native31launch_logcumsumexp_cuda_kernelERKNSB_10TensorBaseESF_lENKUlvE_clEvENKUlvE_clEvEUlddE_dEEDaPvRmT3_T4_T5_mT6_P12ihipStream_tbENKUlT_T0_E_clISt17integral_constantIbLb0EESV_IbLb1EEEEDaSR_SS_EUlSR_E_NS1_11comp_targetILNS1_3genE8ELNS1_11target_archE1030ELNS1_3gpuE2ELNS1_3repE0EEENS1_30default_config_static_selectorELNS0_4arch9wavefront6targetE1EEEvT1_
; %bb.0:
	.section	.rodata,"a",@progbits
	.p2align	6, 0x0
	.amdhsa_kernel _ZN7rocprim17ROCPRIM_400000_NS6detail17trampoline_kernelINS0_14default_configENS1_20scan_config_selectorIdEEZZNS1_9scan_implILNS1_25lookback_scan_determinismE0ELb0ELb0ES3_PKdPddZZZN2at6native31launch_logcumsumexp_cuda_kernelERKNSB_10TensorBaseESF_lENKUlvE_clEvENKUlvE_clEvEUlddE_dEEDaPvRmT3_T4_T5_mT6_P12ihipStream_tbENKUlT_T0_E_clISt17integral_constantIbLb0EESV_IbLb1EEEEDaSR_SS_EUlSR_E_NS1_11comp_targetILNS1_3genE8ELNS1_11target_archE1030ELNS1_3gpuE2ELNS1_3repE0EEENS1_30default_config_static_selectorELNS0_4arch9wavefront6targetE1EEEvT1_
		.amdhsa_group_segment_fixed_size 0
		.amdhsa_private_segment_fixed_size 0
		.amdhsa_kernarg_size 104
		.amdhsa_user_sgpr_count 6
		.amdhsa_user_sgpr_private_segment_buffer 1
		.amdhsa_user_sgpr_dispatch_ptr 0
		.amdhsa_user_sgpr_queue_ptr 0
		.amdhsa_user_sgpr_kernarg_segment_ptr 1
		.amdhsa_user_sgpr_dispatch_id 0
		.amdhsa_user_sgpr_flat_scratch_init 0
		.amdhsa_user_sgpr_private_segment_size 0
		.amdhsa_uses_dynamic_stack 0
		.amdhsa_system_sgpr_private_segment_wavefront_offset 0
		.amdhsa_system_sgpr_workgroup_id_x 1
		.amdhsa_system_sgpr_workgroup_id_y 0
		.amdhsa_system_sgpr_workgroup_id_z 0
		.amdhsa_system_sgpr_workgroup_info 0
		.amdhsa_system_vgpr_workitem_id 0
		.amdhsa_next_free_vgpr 1
		.amdhsa_next_free_sgpr 0
		.amdhsa_reserve_vcc 0
		.amdhsa_reserve_flat_scratch 0
		.amdhsa_float_round_mode_32 0
		.amdhsa_float_round_mode_16_64 0
		.amdhsa_float_denorm_mode_32 3
		.amdhsa_float_denorm_mode_16_64 3
		.amdhsa_dx10_clamp 1
		.amdhsa_ieee_mode 1
		.amdhsa_fp16_overflow 0
		.amdhsa_exception_fp_ieee_invalid_op 0
		.amdhsa_exception_fp_denorm_src 0
		.amdhsa_exception_fp_ieee_div_zero 0
		.amdhsa_exception_fp_ieee_overflow 0
		.amdhsa_exception_fp_ieee_underflow 0
		.amdhsa_exception_fp_ieee_inexact 0
		.amdhsa_exception_int_div_zero 0
	.end_amdhsa_kernel
	.section	.text._ZN7rocprim17ROCPRIM_400000_NS6detail17trampoline_kernelINS0_14default_configENS1_20scan_config_selectorIdEEZZNS1_9scan_implILNS1_25lookback_scan_determinismE0ELb0ELb0ES3_PKdPddZZZN2at6native31launch_logcumsumexp_cuda_kernelERKNSB_10TensorBaseESF_lENKUlvE_clEvENKUlvE_clEvEUlddE_dEEDaPvRmT3_T4_T5_mT6_P12ihipStream_tbENKUlT_T0_E_clISt17integral_constantIbLb0EESV_IbLb1EEEEDaSR_SS_EUlSR_E_NS1_11comp_targetILNS1_3genE8ELNS1_11target_archE1030ELNS1_3gpuE2ELNS1_3repE0EEENS1_30default_config_static_selectorELNS0_4arch9wavefront6targetE1EEEvT1_,"axG",@progbits,_ZN7rocprim17ROCPRIM_400000_NS6detail17trampoline_kernelINS0_14default_configENS1_20scan_config_selectorIdEEZZNS1_9scan_implILNS1_25lookback_scan_determinismE0ELb0ELb0ES3_PKdPddZZZN2at6native31launch_logcumsumexp_cuda_kernelERKNSB_10TensorBaseESF_lENKUlvE_clEvENKUlvE_clEvEUlddE_dEEDaPvRmT3_T4_T5_mT6_P12ihipStream_tbENKUlT_T0_E_clISt17integral_constantIbLb0EESV_IbLb1EEEEDaSR_SS_EUlSR_E_NS1_11comp_targetILNS1_3genE8ELNS1_11target_archE1030ELNS1_3gpuE2ELNS1_3repE0EEENS1_30default_config_static_selectorELNS0_4arch9wavefront6targetE1EEEvT1_,comdat
.Lfunc_end74:
	.size	_ZN7rocprim17ROCPRIM_400000_NS6detail17trampoline_kernelINS0_14default_configENS1_20scan_config_selectorIdEEZZNS1_9scan_implILNS1_25lookback_scan_determinismE0ELb0ELb0ES3_PKdPddZZZN2at6native31launch_logcumsumexp_cuda_kernelERKNSB_10TensorBaseESF_lENKUlvE_clEvENKUlvE_clEvEUlddE_dEEDaPvRmT3_T4_T5_mT6_P12ihipStream_tbENKUlT_T0_E_clISt17integral_constantIbLb0EESV_IbLb1EEEEDaSR_SS_EUlSR_E_NS1_11comp_targetILNS1_3genE8ELNS1_11target_archE1030ELNS1_3gpuE2ELNS1_3repE0EEENS1_30default_config_static_selectorELNS0_4arch9wavefront6targetE1EEEvT1_, .Lfunc_end74-_ZN7rocprim17ROCPRIM_400000_NS6detail17trampoline_kernelINS0_14default_configENS1_20scan_config_selectorIdEEZZNS1_9scan_implILNS1_25lookback_scan_determinismE0ELb0ELb0ES3_PKdPddZZZN2at6native31launch_logcumsumexp_cuda_kernelERKNSB_10TensorBaseESF_lENKUlvE_clEvENKUlvE_clEvEUlddE_dEEDaPvRmT3_T4_T5_mT6_P12ihipStream_tbENKUlT_T0_E_clISt17integral_constantIbLb0EESV_IbLb1EEEEDaSR_SS_EUlSR_E_NS1_11comp_targetILNS1_3genE8ELNS1_11target_archE1030ELNS1_3gpuE2ELNS1_3repE0EEENS1_30default_config_static_selectorELNS0_4arch9wavefront6targetE1EEEvT1_
                                        ; -- End function
	.set _ZN7rocprim17ROCPRIM_400000_NS6detail17trampoline_kernelINS0_14default_configENS1_20scan_config_selectorIdEEZZNS1_9scan_implILNS1_25lookback_scan_determinismE0ELb0ELb0ES3_PKdPddZZZN2at6native31launch_logcumsumexp_cuda_kernelERKNSB_10TensorBaseESF_lENKUlvE_clEvENKUlvE_clEvEUlddE_dEEDaPvRmT3_T4_T5_mT6_P12ihipStream_tbENKUlT_T0_E_clISt17integral_constantIbLb0EESV_IbLb1EEEEDaSR_SS_EUlSR_E_NS1_11comp_targetILNS1_3genE8ELNS1_11target_archE1030ELNS1_3gpuE2ELNS1_3repE0EEENS1_30default_config_static_selectorELNS0_4arch9wavefront6targetE1EEEvT1_.num_vgpr, 0
	.set _ZN7rocprim17ROCPRIM_400000_NS6detail17trampoline_kernelINS0_14default_configENS1_20scan_config_selectorIdEEZZNS1_9scan_implILNS1_25lookback_scan_determinismE0ELb0ELb0ES3_PKdPddZZZN2at6native31launch_logcumsumexp_cuda_kernelERKNSB_10TensorBaseESF_lENKUlvE_clEvENKUlvE_clEvEUlddE_dEEDaPvRmT3_T4_T5_mT6_P12ihipStream_tbENKUlT_T0_E_clISt17integral_constantIbLb0EESV_IbLb1EEEEDaSR_SS_EUlSR_E_NS1_11comp_targetILNS1_3genE8ELNS1_11target_archE1030ELNS1_3gpuE2ELNS1_3repE0EEENS1_30default_config_static_selectorELNS0_4arch9wavefront6targetE1EEEvT1_.num_agpr, 0
	.set _ZN7rocprim17ROCPRIM_400000_NS6detail17trampoline_kernelINS0_14default_configENS1_20scan_config_selectorIdEEZZNS1_9scan_implILNS1_25lookback_scan_determinismE0ELb0ELb0ES3_PKdPddZZZN2at6native31launch_logcumsumexp_cuda_kernelERKNSB_10TensorBaseESF_lENKUlvE_clEvENKUlvE_clEvEUlddE_dEEDaPvRmT3_T4_T5_mT6_P12ihipStream_tbENKUlT_T0_E_clISt17integral_constantIbLb0EESV_IbLb1EEEEDaSR_SS_EUlSR_E_NS1_11comp_targetILNS1_3genE8ELNS1_11target_archE1030ELNS1_3gpuE2ELNS1_3repE0EEENS1_30default_config_static_selectorELNS0_4arch9wavefront6targetE1EEEvT1_.numbered_sgpr, 0
	.set _ZN7rocprim17ROCPRIM_400000_NS6detail17trampoline_kernelINS0_14default_configENS1_20scan_config_selectorIdEEZZNS1_9scan_implILNS1_25lookback_scan_determinismE0ELb0ELb0ES3_PKdPddZZZN2at6native31launch_logcumsumexp_cuda_kernelERKNSB_10TensorBaseESF_lENKUlvE_clEvENKUlvE_clEvEUlddE_dEEDaPvRmT3_T4_T5_mT6_P12ihipStream_tbENKUlT_T0_E_clISt17integral_constantIbLb0EESV_IbLb1EEEEDaSR_SS_EUlSR_E_NS1_11comp_targetILNS1_3genE8ELNS1_11target_archE1030ELNS1_3gpuE2ELNS1_3repE0EEENS1_30default_config_static_selectorELNS0_4arch9wavefront6targetE1EEEvT1_.num_named_barrier, 0
	.set _ZN7rocprim17ROCPRIM_400000_NS6detail17trampoline_kernelINS0_14default_configENS1_20scan_config_selectorIdEEZZNS1_9scan_implILNS1_25lookback_scan_determinismE0ELb0ELb0ES3_PKdPddZZZN2at6native31launch_logcumsumexp_cuda_kernelERKNSB_10TensorBaseESF_lENKUlvE_clEvENKUlvE_clEvEUlddE_dEEDaPvRmT3_T4_T5_mT6_P12ihipStream_tbENKUlT_T0_E_clISt17integral_constantIbLb0EESV_IbLb1EEEEDaSR_SS_EUlSR_E_NS1_11comp_targetILNS1_3genE8ELNS1_11target_archE1030ELNS1_3gpuE2ELNS1_3repE0EEENS1_30default_config_static_selectorELNS0_4arch9wavefront6targetE1EEEvT1_.private_seg_size, 0
	.set _ZN7rocprim17ROCPRIM_400000_NS6detail17trampoline_kernelINS0_14default_configENS1_20scan_config_selectorIdEEZZNS1_9scan_implILNS1_25lookback_scan_determinismE0ELb0ELb0ES3_PKdPddZZZN2at6native31launch_logcumsumexp_cuda_kernelERKNSB_10TensorBaseESF_lENKUlvE_clEvENKUlvE_clEvEUlddE_dEEDaPvRmT3_T4_T5_mT6_P12ihipStream_tbENKUlT_T0_E_clISt17integral_constantIbLb0EESV_IbLb1EEEEDaSR_SS_EUlSR_E_NS1_11comp_targetILNS1_3genE8ELNS1_11target_archE1030ELNS1_3gpuE2ELNS1_3repE0EEENS1_30default_config_static_selectorELNS0_4arch9wavefront6targetE1EEEvT1_.uses_vcc, 0
	.set _ZN7rocprim17ROCPRIM_400000_NS6detail17trampoline_kernelINS0_14default_configENS1_20scan_config_selectorIdEEZZNS1_9scan_implILNS1_25lookback_scan_determinismE0ELb0ELb0ES3_PKdPddZZZN2at6native31launch_logcumsumexp_cuda_kernelERKNSB_10TensorBaseESF_lENKUlvE_clEvENKUlvE_clEvEUlddE_dEEDaPvRmT3_T4_T5_mT6_P12ihipStream_tbENKUlT_T0_E_clISt17integral_constantIbLb0EESV_IbLb1EEEEDaSR_SS_EUlSR_E_NS1_11comp_targetILNS1_3genE8ELNS1_11target_archE1030ELNS1_3gpuE2ELNS1_3repE0EEENS1_30default_config_static_selectorELNS0_4arch9wavefront6targetE1EEEvT1_.uses_flat_scratch, 0
	.set _ZN7rocprim17ROCPRIM_400000_NS6detail17trampoline_kernelINS0_14default_configENS1_20scan_config_selectorIdEEZZNS1_9scan_implILNS1_25lookback_scan_determinismE0ELb0ELb0ES3_PKdPddZZZN2at6native31launch_logcumsumexp_cuda_kernelERKNSB_10TensorBaseESF_lENKUlvE_clEvENKUlvE_clEvEUlddE_dEEDaPvRmT3_T4_T5_mT6_P12ihipStream_tbENKUlT_T0_E_clISt17integral_constantIbLb0EESV_IbLb1EEEEDaSR_SS_EUlSR_E_NS1_11comp_targetILNS1_3genE8ELNS1_11target_archE1030ELNS1_3gpuE2ELNS1_3repE0EEENS1_30default_config_static_selectorELNS0_4arch9wavefront6targetE1EEEvT1_.has_dyn_sized_stack, 0
	.set _ZN7rocprim17ROCPRIM_400000_NS6detail17trampoline_kernelINS0_14default_configENS1_20scan_config_selectorIdEEZZNS1_9scan_implILNS1_25lookback_scan_determinismE0ELb0ELb0ES3_PKdPddZZZN2at6native31launch_logcumsumexp_cuda_kernelERKNSB_10TensorBaseESF_lENKUlvE_clEvENKUlvE_clEvEUlddE_dEEDaPvRmT3_T4_T5_mT6_P12ihipStream_tbENKUlT_T0_E_clISt17integral_constantIbLb0EESV_IbLb1EEEEDaSR_SS_EUlSR_E_NS1_11comp_targetILNS1_3genE8ELNS1_11target_archE1030ELNS1_3gpuE2ELNS1_3repE0EEENS1_30default_config_static_selectorELNS0_4arch9wavefront6targetE1EEEvT1_.has_recursion, 0
	.set _ZN7rocprim17ROCPRIM_400000_NS6detail17trampoline_kernelINS0_14default_configENS1_20scan_config_selectorIdEEZZNS1_9scan_implILNS1_25lookback_scan_determinismE0ELb0ELb0ES3_PKdPddZZZN2at6native31launch_logcumsumexp_cuda_kernelERKNSB_10TensorBaseESF_lENKUlvE_clEvENKUlvE_clEvEUlddE_dEEDaPvRmT3_T4_T5_mT6_P12ihipStream_tbENKUlT_T0_E_clISt17integral_constantIbLb0EESV_IbLb1EEEEDaSR_SS_EUlSR_E_NS1_11comp_targetILNS1_3genE8ELNS1_11target_archE1030ELNS1_3gpuE2ELNS1_3repE0EEENS1_30default_config_static_selectorELNS0_4arch9wavefront6targetE1EEEvT1_.has_indirect_call, 0
	.section	.AMDGPU.csdata,"",@progbits
; Kernel info:
; codeLenInByte = 0
; TotalNumSgprs: 4
; NumVgprs: 0
; ScratchSize: 0
; MemoryBound: 0
; FloatMode: 240
; IeeeMode: 1
; LDSByteSize: 0 bytes/workgroup (compile time only)
; SGPRBlocks: 0
; VGPRBlocks: 0
; NumSGPRsForWavesPerEU: 4
; NumVGPRsForWavesPerEU: 1
; Occupancy: 10
; WaveLimiterHint : 0
; COMPUTE_PGM_RSRC2:SCRATCH_EN: 0
; COMPUTE_PGM_RSRC2:USER_SGPR: 6
; COMPUTE_PGM_RSRC2:TRAP_HANDLER: 0
; COMPUTE_PGM_RSRC2:TGID_X_EN: 1
; COMPUTE_PGM_RSRC2:TGID_Y_EN: 0
; COMPUTE_PGM_RSRC2:TGID_Z_EN: 0
; COMPUTE_PGM_RSRC2:TIDIG_COMP_CNT: 0
	.section	.text._ZN7rocprim17ROCPRIM_400000_NS6detail17trampoline_kernelINS0_14default_configENS1_20scan_config_selectorIdEEZZNS1_9scan_implILNS1_25lookback_scan_determinismE0ELb0ELb0ES3_PKdPddZZZN2at6native31launch_logcumsumexp_cuda_kernelERKNSB_10TensorBaseESF_lENKUlvE_clEvENKUlvE_clEvEUlddE_dEEDaPvRmT3_T4_T5_mT6_P12ihipStream_tbENKUlT_T0_E_clISt17integral_constantIbLb0EESV_IbLb1EEEEDaSR_SS_EUlSR_E0_NS1_11comp_targetILNS1_3genE0ELNS1_11target_archE4294967295ELNS1_3gpuE0ELNS1_3repE0EEENS1_30default_config_static_selectorELNS0_4arch9wavefront6targetE1EEEvT1_,"axG",@progbits,_ZN7rocprim17ROCPRIM_400000_NS6detail17trampoline_kernelINS0_14default_configENS1_20scan_config_selectorIdEEZZNS1_9scan_implILNS1_25lookback_scan_determinismE0ELb0ELb0ES3_PKdPddZZZN2at6native31launch_logcumsumexp_cuda_kernelERKNSB_10TensorBaseESF_lENKUlvE_clEvENKUlvE_clEvEUlddE_dEEDaPvRmT3_T4_T5_mT6_P12ihipStream_tbENKUlT_T0_E_clISt17integral_constantIbLb0EESV_IbLb1EEEEDaSR_SS_EUlSR_E0_NS1_11comp_targetILNS1_3genE0ELNS1_11target_archE4294967295ELNS1_3gpuE0ELNS1_3repE0EEENS1_30default_config_static_selectorELNS0_4arch9wavefront6targetE1EEEvT1_,comdat
	.globl	_ZN7rocprim17ROCPRIM_400000_NS6detail17trampoline_kernelINS0_14default_configENS1_20scan_config_selectorIdEEZZNS1_9scan_implILNS1_25lookback_scan_determinismE0ELb0ELb0ES3_PKdPddZZZN2at6native31launch_logcumsumexp_cuda_kernelERKNSB_10TensorBaseESF_lENKUlvE_clEvENKUlvE_clEvEUlddE_dEEDaPvRmT3_T4_T5_mT6_P12ihipStream_tbENKUlT_T0_E_clISt17integral_constantIbLb0EESV_IbLb1EEEEDaSR_SS_EUlSR_E0_NS1_11comp_targetILNS1_3genE0ELNS1_11target_archE4294967295ELNS1_3gpuE0ELNS1_3repE0EEENS1_30default_config_static_selectorELNS0_4arch9wavefront6targetE1EEEvT1_ ; -- Begin function _ZN7rocprim17ROCPRIM_400000_NS6detail17trampoline_kernelINS0_14default_configENS1_20scan_config_selectorIdEEZZNS1_9scan_implILNS1_25lookback_scan_determinismE0ELb0ELb0ES3_PKdPddZZZN2at6native31launch_logcumsumexp_cuda_kernelERKNSB_10TensorBaseESF_lENKUlvE_clEvENKUlvE_clEvEUlddE_dEEDaPvRmT3_T4_T5_mT6_P12ihipStream_tbENKUlT_T0_E_clISt17integral_constantIbLb0EESV_IbLb1EEEEDaSR_SS_EUlSR_E0_NS1_11comp_targetILNS1_3genE0ELNS1_11target_archE4294967295ELNS1_3gpuE0ELNS1_3repE0EEENS1_30default_config_static_selectorELNS0_4arch9wavefront6targetE1EEEvT1_
	.p2align	8
	.type	_ZN7rocprim17ROCPRIM_400000_NS6detail17trampoline_kernelINS0_14default_configENS1_20scan_config_selectorIdEEZZNS1_9scan_implILNS1_25lookback_scan_determinismE0ELb0ELb0ES3_PKdPddZZZN2at6native31launch_logcumsumexp_cuda_kernelERKNSB_10TensorBaseESF_lENKUlvE_clEvENKUlvE_clEvEUlddE_dEEDaPvRmT3_T4_T5_mT6_P12ihipStream_tbENKUlT_T0_E_clISt17integral_constantIbLb0EESV_IbLb1EEEEDaSR_SS_EUlSR_E0_NS1_11comp_targetILNS1_3genE0ELNS1_11target_archE4294967295ELNS1_3gpuE0ELNS1_3repE0EEENS1_30default_config_static_selectorELNS0_4arch9wavefront6targetE1EEEvT1_,@function
_ZN7rocprim17ROCPRIM_400000_NS6detail17trampoline_kernelINS0_14default_configENS1_20scan_config_selectorIdEEZZNS1_9scan_implILNS1_25lookback_scan_determinismE0ELb0ELb0ES3_PKdPddZZZN2at6native31launch_logcumsumexp_cuda_kernelERKNSB_10TensorBaseESF_lENKUlvE_clEvENKUlvE_clEvEUlddE_dEEDaPvRmT3_T4_T5_mT6_P12ihipStream_tbENKUlT_T0_E_clISt17integral_constantIbLb0EESV_IbLb1EEEEDaSR_SS_EUlSR_E0_NS1_11comp_targetILNS1_3genE0ELNS1_11target_archE4294967295ELNS1_3gpuE0ELNS1_3repE0EEENS1_30default_config_static_selectorELNS0_4arch9wavefront6targetE1EEEvT1_: ; @_ZN7rocprim17ROCPRIM_400000_NS6detail17trampoline_kernelINS0_14default_configENS1_20scan_config_selectorIdEEZZNS1_9scan_implILNS1_25lookback_scan_determinismE0ELb0ELb0ES3_PKdPddZZZN2at6native31launch_logcumsumexp_cuda_kernelERKNSB_10TensorBaseESF_lENKUlvE_clEvENKUlvE_clEvEUlddE_dEEDaPvRmT3_T4_T5_mT6_P12ihipStream_tbENKUlT_T0_E_clISt17integral_constantIbLb0EESV_IbLb1EEEEDaSR_SS_EUlSR_E0_NS1_11comp_targetILNS1_3genE0ELNS1_11target_archE4294967295ELNS1_3gpuE0ELNS1_3repE0EEENS1_30default_config_static_selectorELNS0_4arch9wavefront6targetE1EEEvT1_
; %bb.0:
	.section	.rodata,"a",@progbits
	.p2align	6, 0x0
	.amdhsa_kernel _ZN7rocprim17ROCPRIM_400000_NS6detail17trampoline_kernelINS0_14default_configENS1_20scan_config_selectorIdEEZZNS1_9scan_implILNS1_25lookback_scan_determinismE0ELb0ELb0ES3_PKdPddZZZN2at6native31launch_logcumsumexp_cuda_kernelERKNSB_10TensorBaseESF_lENKUlvE_clEvENKUlvE_clEvEUlddE_dEEDaPvRmT3_T4_T5_mT6_P12ihipStream_tbENKUlT_T0_E_clISt17integral_constantIbLb0EESV_IbLb1EEEEDaSR_SS_EUlSR_E0_NS1_11comp_targetILNS1_3genE0ELNS1_11target_archE4294967295ELNS1_3gpuE0ELNS1_3repE0EEENS1_30default_config_static_selectorELNS0_4arch9wavefront6targetE1EEEvT1_
		.amdhsa_group_segment_fixed_size 0
		.amdhsa_private_segment_fixed_size 0
		.amdhsa_kernarg_size 40
		.amdhsa_user_sgpr_count 6
		.amdhsa_user_sgpr_private_segment_buffer 1
		.amdhsa_user_sgpr_dispatch_ptr 0
		.amdhsa_user_sgpr_queue_ptr 0
		.amdhsa_user_sgpr_kernarg_segment_ptr 1
		.amdhsa_user_sgpr_dispatch_id 0
		.amdhsa_user_sgpr_flat_scratch_init 0
		.amdhsa_user_sgpr_private_segment_size 0
		.amdhsa_uses_dynamic_stack 0
		.amdhsa_system_sgpr_private_segment_wavefront_offset 0
		.amdhsa_system_sgpr_workgroup_id_x 1
		.amdhsa_system_sgpr_workgroup_id_y 0
		.amdhsa_system_sgpr_workgroup_id_z 0
		.amdhsa_system_sgpr_workgroup_info 0
		.amdhsa_system_vgpr_workitem_id 0
		.amdhsa_next_free_vgpr 1
		.amdhsa_next_free_sgpr 0
		.amdhsa_reserve_vcc 0
		.amdhsa_reserve_flat_scratch 0
		.amdhsa_float_round_mode_32 0
		.amdhsa_float_round_mode_16_64 0
		.amdhsa_float_denorm_mode_32 3
		.amdhsa_float_denorm_mode_16_64 3
		.amdhsa_dx10_clamp 1
		.amdhsa_ieee_mode 1
		.amdhsa_fp16_overflow 0
		.amdhsa_exception_fp_ieee_invalid_op 0
		.amdhsa_exception_fp_denorm_src 0
		.amdhsa_exception_fp_ieee_div_zero 0
		.amdhsa_exception_fp_ieee_overflow 0
		.amdhsa_exception_fp_ieee_underflow 0
		.amdhsa_exception_fp_ieee_inexact 0
		.amdhsa_exception_int_div_zero 0
	.end_amdhsa_kernel
	.section	.text._ZN7rocprim17ROCPRIM_400000_NS6detail17trampoline_kernelINS0_14default_configENS1_20scan_config_selectorIdEEZZNS1_9scan_implILNS1_25lookback_scan_determinismE0ELb0ELb0ES3_PKdPddZZZN2at6native31launch_logcumsumexp_cuda_kernelERKNSB_10TensorBaseESF_lENKUlvE_clEvENKUlvE_clEvEUlddE_dEEDaPvRmT3_T4_T5_mT6_P12ihipStream_tbENKUlT_T0_E_clISt17integral_constantIbLb0EESV_IbLb1EEEEDaSR_SS_EUlSR_E0_NS1_11comp_targetILNS1_3genE0ELNS1_11target_archE4294967295ELNS1_3gpuE0ELNS1_3repE0EEENS1_30default_config_static_selectorELNS0_4arch9wavefront6targetE1EEEvT1_,"axG",@progbits,_ZN7rocprim17ROCPRIM_400000_NS6detail17trampoline_kernelINS0_14default_configENS1_20scan_config_selectorIdEEZZNS1_9scan_implILNS1_25lookback_scan_determinismE0ELb0ELb0ES3_PKdPddZZZN2at6native31launch_logcumsumexp_cuda_kernelERKNSB_10TensorBaseESF_lENKUlvE_clEvENKUlvE_clEvEUlddE_dEEDaPvRmT3_T4_T5_mT6_P12ihipStream_tbENKUlT_T0_E_clISt17integral_constantIbLb0EESV_IbLb1EEEEDaSR_SS_EUlSR_E0_NS1_11comp_targetILNS1_3genE0ELNS1_11target_archE4294967295ELNS1_3gpuE0ELNS1_3repE0EEENS1_30default_config_static_selectorELNS0_4arch9wavefront6targetE1EEEvT1_,comdat
.Lfunc_end75:
	.size	_ZN7rocprim17ROCPRIM_400000_NS6detail17trampoline_kernelINS0_14default_configENS1_20scan_config_selectorIdEEZZNS1_9scan_implILNS1_25lookback_scan_determinismE0ELb0ELb0ES3_PKdPddZZZN2at6native31launch_logcumsumexp_cuda_kernelERKNSB_10TensorBaseESF_lENKUlvE_clEvENKUlvE_clEvEUlddE_dEEDaPvRmT3_T4_T5_mT6_P12ihipStream_tbENKUlT_T0_E_clISt17integral_constantIbLb0EESV_IbLb1EEEEDaSR_SS_EUlSR_E0_NS1_11comp_targetILNS1_3genE0ELNS1_11target_archE4294967295ELNS1_3gpuE0ELNS1_3repE0EEENS1_30default_config_static_selectorELNS0_4arch9wavefront6targetE1EEEvT1_, .Lfunc_end75-_ZN7rocprim17ROCPRIM_400000_NS6detail17trampoline_kernelINS0_14default_configENS1_20scan_config_selectorIdEEZZNS1_9scan_implILNS1_25lookback_scan_determinismE0ELb0ELb0ES3_PKdPddZZZN2at6native31launch_logcumsumexp_cuda_kernelERKNSB_10TensorBaseESF_lENKUlvE_clEvENKUlvE_clEvEUlddE_dEEDaPvRmT3_T4_T5_mT6_P12ihipStream_tbENKUlT_T0_E_clISt17integral_constantIbLb0EESV_IbLb1EEEEDaSR_SS_EUlSR_E0_NS1_11comp_targetILNS1_3genE0ELNS1_11target_archE4294967295ELNS1_3gpuE0ELNS1_3repE0EEENS1_30default_config_static_selectorELNS0_4arch9wavefront6targetE1EEEvT1_
                                        ; -- End function
	.set _ZN7rocprim17ROCPRIM_400000_NS6detail17trampoline_kernelINS0_14default_configENS1_20scan_config_selectorIdEEZZNS1_9scan_implILNS1_25lookback_scan_determinismE0ELb0ELb0ES3_PKdPddZZZN2at6native31launch_logcumsumexp_cuda_kernelERKNSB_10TensorBaseESF_lENKUlvE_clEvENKUlvE_clEvEUlddE_dEEDaPvRmT3_T4_T5_mT6_P12ihipStream_tbENKUlT_T0_E_clISt17integral_constantIbLb0EESV_IbLb1EEEEDaSR_SS_EUlSR_E0_NS1_11comp_targetILNS1_3genE0ELNS1_11target_archE4294967295ELNS1_3gpuE0ELNS1_3repE0EEENS1_30default_config_static_selectorELNS0_4arch9wavefront6targetE1EEEvT1_.num_vgpr, 0
	.set _ZN7rocprim17ROCPRIM_400000_NS6detail17trampoline_kernelINS0_14default_configENS1_20scan_config_selectorIdEEZZNS1_9scan_implILNS1_25lookback_scan_determinismE0ELb0ELb0ES3_PKdPddZZZN2at6native31launch_logcumsumexp_cuda_kernelERKNSB_10TensorBaseESF_lENKUlvE_clEvENKUlvE_clEvEUlddE_dEEDaPvRmT3_T4_T5_mT6_P12ihipStream_tbENKUlT_T0_E_clISt17integral_constantIbLb0EESV_IbLb1EEEEDaSR_SS_EUlSR_E0_NS1_11comp_targetILNS1_3genE0ELNS1_11target_archE4294967295ELNS1_3gpuE0ELNS1_3repE0EEENS1_30default_config_static_selectorELNS0_4arch9wavefront6targetE1EEEvT1_.num_agpr, 0
	.set _ZN7rocprim17ROCPRIM_400000_NS6detail17trampoline_kernelINS0_14default_configENS1_20scan_config_selectorIdEEZZNS1_9scan_implILNS1_25lookback_scan_determinismE0ELb0ELb0ES3_PKdPddZZZN2at6native31launch_logcumsumexp_cuda_kernelERKNSB_10TensorBaseESF_lENKUlvE_clEvENKUlvE_clEvEUlddE_dEEDaPvRmT3_T4_T5_mT6_P12ihipStream_tbENKUlT_T0_E_clISt17integral_constantIbLb0EESV_IbLb1EEEEDaSR_SS_EUlSR_E0_NS1_11comp_targetILNS1_3genE0ELNS1_11target_archE4294967295ELNS1_3gpuE0ELNS1_3repE0EEENS1_30default_config_static_selectorELNS0_4arch9wavefront6targetE1EEEvT1_.numbered_sgpr, 0
	.set _ZN7rocprim17ROCPRIM_400000_NS6detail17trampoline_kernelINS0_14default_configENS1_20scan_config_selectorIdEEZZNS1_9scan_implILNS1_25lookback_scan_determinismE0ELb0ELb0ES3_PKdPddZZZN2at6native31launch_logcumsumexp_cuda_kernelERKNSB_10TensorBaseESF_lENKUlvE_clEvENKUlvE_clEvEUlddE_dEEDaPvRmT3_T4_T5_mT6_P12ihipStream_tbENKUlT_T0_E_clISt17integral_constantIbLb0EESV_IbLb1EEEEDaSR_SS_EUlSR_E0_NS1_11comp_targetILNS1_3genE0ELNS1_11target_archE4294967295ELNS1_3gpuE0ELNS1_3repE0EEENS1_30default_config_static_selectorELNS0_4arch9wavefront6targetE1EEEvT1_.num_named_barrier, 0
	.set _ZN7rocprim17ROCPRIM_400000_NS6detail17trampoline_kernelINS0_14default_configENS1_20scan_config_selectorIdEEZZNS1_9scan_implILNS1_25lookback_scan_determinismE0ELb0ELb0ES3_PKdPddZZZN2at6native31launch_logcumsumexp_cuda_kernelERKNSB_10TensorBaseESF_lENKUlvE_clEvENKUlvE_clEvEUlddE_dEEDaPvRmT3_T4_T5_mT6_P12ihipStream_tbENKUlT_T0_E_clISt17integral_constantIbLb0EESV_IbLb1EEEEDaSR_SS_EUlSR_E0_NS1_11comp_targetILNS1_3genE0ELNS1_11target_archE4294967295ELNS1_3gpuE0ELNS1_3repE0EEENS1_30default_config_static_selectorELNS0_4arch9wavefront6targetE1EEEvT1_.private_seg_size, 0
	.set _ZN7rocprim17ROCPRIM_400000_NS6detail17trampoline_kernelINS0_14default_configENS1_20scan_config_selectorIdEEZZNS1_9scan_implILNS1_25lookback_scan_determinismE0ELb0ELb0ES3_PKdPddZZZN2at6native31launch_logcumsumexp_cuda_kernelERKNSB_10TensorBaseESF_lENKUlvE_clEvENKUlvE_clEvEUlddE_dEEDaPvRmT3_T4_T5_mT6_P12ihipStream_tbENKUlT_T0_E_clISt17integral_constantIbLb0EESV_IbLb1EEEEDaSR_SS_EUlSR_E0_NS1_11comp_targetILNS1_3genE0ELNS1_11target_archE4294967295ELNS1_3gpuE0ELNS1_3repE0EEENS1_30default_config_static_selectorELNS0_4arch9wavefront6targetE1EEEvT1_.uses_vcc, 0
	.set _ZN7rocprim17ROCPRIM_400000_NS6detail17trampoline_kernelINS0_14default_configENS1_20scan_config_selectorIdEEZZNS1_9scan_implILNS1_25lookback_scan_determinismE0ELb0ELb0ES3_PKdPddZZZN2at6native31launch_logcumsumexp_cuda_kernelERKNSB_10TensorBaseESF_lENKUlvE_clEvENKUlvE_clEvEUlddE_dEEDaPvRmT3_T4_T5_mT6_P12ihipStream_tbENKUlT_T0_E_clISt17integral_constantIbLb0EESV_IbLb1EEEEDaSR_SS_EUlSR_E0_NS1_11comp_targetILNS1_3genE0ELNS1_11target_archE4294967295ELNS1_3gpuE0ELNS1_3repE0EEENS1_30default_config_static_selectorELNS0_4arch9wavefront6targetE1EEEvT1_.uses_flat_scratch, 0
	.set _ZN7rocprim17ROCPRIM_400000_NS6detail17trampoline_kernelINS0_14default_configENS1_20scan_config_selectorIdEEZZNS1_9scan_implILNS1_25lookback_scan_determinismE0ELb0ELb0ES3_PKdPddZZZN2at6native31launch_logcumsumexp_cuda_kernelERKNSB_10TensorBaseESF_lENKUlvE_clEvENKUlvE_clEvEUlddE_dEEDaPvRmT3_T4_T5_mT6_P12ihipStream_tbENKUlT_T0_E_clISt17integral_constantIbLb0EESV_IbLb1EEEEDaSR_SS_EUlSR_E0_NS1_11comp_targetILNS1_3genE0ELNS1_11target_archE4294967295ELNS1_3gpuE0ELNS1_3repE0EEENS1_30default_config_static_selectorELNS0_4arch9wavefront6targetE1EEEvT1_.has_dyn_sized_stack, 0
	.set _ZN7rocprim17ROCPRIM_400000_NS6detail17trampoline_kernelINS0_14default_configENS1_20scan_config_selectorIdEEZZNS1_9scan_implILNS1_25lookback_scan_determinismE0ELb0ELb0ES3_PKdPddZZZN2at6native31launch_logcumsumexp_cuda_kernelERKNSB_10TensorBaseESF_lENKUlvE_clEvENKUlvE_clEvEUlddE_dEEDaPvRmT3_T4_T5_mT6_P12ihipStream_tbENKUlT_T0_E_clISt17integral_constantIbLb0EESV_IbLb1EEEEDaSR_SS_EUlSR_E0_NS1_11comp_targetILNS1_3genE0ELNS1_11target_archE4294967295ELNS1_3gpuE0ELNS1_3repE0EEENS1_30default_config_static_selectorELNS0_4arch9wavefront6targetE1EEEvT1_.has_recursion, 0
	.set _ZN7rocprim17ROCPRIM_400000_NS6detail17trampoline_kernelINS0_14default_configENS1_20scan_config_selectorIdEEZZNS1_9scan_implILNS1_25lookback_scan_determinismE0ELb0ELb0ES3_PKdPddZZZN2at6native31launch_logcumsumexp_cuda_kernelERKNSB_10TensorBaseESF_lENKUlvE_clEvENKUlvE_clEvEUlddE_dEEDaPvRmT3_T4_T5_mT6_P12ihipStream_tbENKUlT_T0_E_clISt17integral_constantIbLb0EESV_IbLb1EEEEDaSR_SS_EUlSR_E0_NS1_11comp_targetILNS1_3genE0ELNS1_11target_archE4294967295ELNS1_3gpuE0ELNS1_3repE0EEENS1_30default_config_static_selectorELNS0_4arch9wavefront6targetE1EEEvT1_.has_indirect_call, 0
	.section	.AMDGPU.csdata,"",@progbits
; Kernel info:
; codeLenInByte = 0
; TotalNumSgprs: 4
; NumVgprs: 0
; ScratchSize: 0
; MemoryBound: 0
; FloatMode: 240
; IeeeMode: 1
; LDSByteSize: 0 bytes/workgroup (compile time only)
; SGPRBlocks: 0
; VGPRBlocks: 0
; NumSGPRsForWavesPerEU: 4
; NumVGPRsForWavesPerEU: 1
; Occupancy: 10
; WaveLimiterHint : 0
; COMPUTE_PGM_RSRC2:SCRATCH_EN: 0
; COMPUTE_PGM_RSRC2:USER_SGPR: 6
; COMPUTE_PGM_RSRC2:TRAP_HANDLER: 0
; COMPUTE_PGM_RSRC2:TGID_X_EN: 1
; COMPUTE_PGM_RSRC2:TGID_Y_EN: 0
; COMPUTE_PGM_RSRC2:TGID_Z_EN: 0
; COMPUTE_PGM_RSRC2:TIDIG_COMP_CNT: 0
	.section	.text._ZN7rocprim17ROCPRIM_400000_NS6detail17trampoline_kernelINS0_14default_configENS1_20scan_config_selectorIdEEZZNS1_9scan_implILNS1_25lookback_scan_determinismE0ELb0ELb0ES3_PKdPddZZZN2at6native31launch_logcumsumexp_cuda_kernelERKNSB_10TensorBaseESF_lENKUlvE_clEvENKUlvE_clEvEUlddE_dEEDaPvRmT3_T4_T5_mT6_P12ihipStream_tbENKUlT_T0_E_clISt17integral_constantIbLb0EESV_IbLb1EEEEDaSR_SS_EUlSR_E0_NS1_11comp_targetILNS1_3genE5ELNS1_11target_archE942ELNS1_3gpuE9ELNS1_3repE0EEENS1_30default_config_static_selectorELNS0_4arch9wavefront6targetE1EEEvT1_,"axG",@progbits,_ZN7rocprim17ROCPRIM_400000_NS6detail17trampoline_kernelINS0_14default_configENS1_20scan_config_selectorIdEEZZNS1_9scan_implILNS1_25lookback_scan_determinismE0ELb0ELb0ES3_PKdPddZZZN2at6native31launch_logcumsumexp_cuda_kernelERKNSB_10TensorBaseESF_lENKUlvE_clEvENKUlvE_clEvEUlddE_dEEDaPvRmT3_T4_T5_mT6_P12ihipStream_tbENKUlT_T0_E_clISt17integral_constantIbLb0EESV_IbLb1EEEEDaSR_SS_EUlSR_E0_NS1_11comp_targetILNS1_3genE5ELNS1_11target_archE942ELNS1_3gpuE9ELNS1_3repE0EEENS1_30default_config_static_selectorELNS0_4arch9wavefront6targetE1EEEvT1_,comdat
	.globl	_ZN7rocprim17ROCPRIM_400000_NS6detail17trampoline_kernelINS0_14default_configENS1_20scan_config_selectorIdEEZZNS1_9scan_implILNS1_25lookback_scan_determinismE0ELb0ELb0ES3_PKdPddZZZN2at6native31launch_logcumsumexp_cuda_kernelERKNSB_10TensorBaseESF_lENKUlvE_clEvENKUlvE_clEvEUlddE_dEEDaPvRmT3_T4_T5_mT6_P12ihipStream_tbENKUlT_T0_E_clISt17integral_constantIbLb0EESV_IbLb1EEEEDaSR_SS_EUlSR_E0_NS1_11comp_targetILNS1_3genE5ELNS1_11target_archE942ELNS1_3gpuE9ELNS1_3repE0EEENS1_30default_config_static_selectorELNS0_4arch9wavefront6targetE1EEEvT1_ ; -- Begin function _ZN7rocprim17ROCPRIM_400000_NS6detail17trampoline_kernelINS0_14default_configENS1_20scan_config_selectorIdEEZZNS1_9scan_implILNS1_25lookback_scan_determinismE0ELb0ELb0ES3_PKdPddZZZN2at6native31launch_logcumsumexp_cuda_kernelERKNSB_10TensorBaseESF_lENKUlvE_clEvENKUlvE_clEvEUlddE_dEEDaPvRmT3_T4_T5_mT6_P12ihipStream_tbENKUlT_T0_E_clISt17integral_constantIbLb0EESV_IbLb1EEEEDaSR_SS_EUlSR_E0_NS1_11comp_targetILNS1_3genE5ELNS1_11target_archE942ELNS1_3gpuE9ELNS1_3repE0EEENS1_30default_config_static_selectorELNS0_4arch9wavefront6targetE1EEEvT1_
	.p2align	8
	.type	_ZN7rocprim17ROCPRIM_400000_NS6detail17trampoline_kernelINS0_14default_configENS1_20scan_config_selectorIdEEZZNS1_9scan_implILNS1_25lookback_scan_determinismE0ELb0ELb0ES3_PKdPddZZZN2at6native31launch_logcumsumexp_cuda_kernelERKNSB_10TensorBaseESF_lENKUlvE_clEvENKUlvE_clEvEUlddE_dEEDaPvRmT3_T4_T5_mT6_P12ihipStream_tbENKUlT_T0_E_clISt17integral_constantIbLb0EESV_IbLb1EEEEDaSR_SS_EUlSR_E0_NS1_11comp_targetILNS1_3genE5ELNS1_11target_archE942ELNS1_3gpuE9ELNS1_3repE0EEENS1_30default_config_static_selectorELNS0_4arch9wavefront6targetE1EEEvT1_,@function
_ZN7rocprim17ROCPRIM_400000_NS6detail17trampoline_kernelINS0_14default_configENS1_20scan_config_selectorIdEEZZNS1_9scan_implILNS1_25lookback_scan_determinismE0ELb0ELb0ES3_PKdPddZZZN2at6native31launch_logcumsumexp_cuda_kernelERKNSB_10TensorBaseESF_lENKUlvE_clEvENKUlvE_clEvEUlddE_dEEDaPvRmT3_T4_T5_mT6_P12ihipStream_tbENKUlT_T0_E_clISt17integral_constantIbLb0EESV_IbLb1EEEEDaSR_SS_EUlSR_E0_NS1_11comp_targetILNS1_3genE5ELNS1_11target_archE942ELNS1_3gpuE9ELNS1_3repE0EEENS1_30default_config_static_selectorELNS0_4arch9wavefront6targetE1EEEvT1_: ; @_ZN7rocprim17ROCPRIM_400000_NS6detail17trampoline_kernelINS0_14default_configENS1_20scan_config_selectorIdEEZZNS1_9scan_implILNS1_25lookback_scan_determinismE0ELb0ELb0ES3_PKdPddZZZN2at6native31launch_logcumsumexp_cuda_kernelERKNSB_10TensorBaseESF_lENKUlvE_clEvENKUlvE_clEvEUlddE_dEEDaPvRmT3_T4_T5_mT6_P12ihipStream_tbENKUlT_T0_E_clISt17integral_constantIbLb0EESV_IbLb1EEEEDaSR_SS_EUlSR_E0_NS1_11comp_targetILNS1_3genE5ELNS1_11target_archE942ELNS1_3gpuE9ELNS1_3repE0EEENS1_30default_config_static_selectorELNS0_4arch9wavefront6targetE1EEEvT1_
; %bb.0:
	.section	.rodata,"a",@progbits
	.p2align	6, 0x0
	.amdhsa_kernel _ZN7rocprim17ROCPRIM_400000_NS6detail17trampoline_kernelINS0_14default_configENS1_20scan_config_selectorIdEEZZNS1_9scan_implILNS1_25lookback_scan_determinismE0ELb0ELb0ES3_PKdPddZZZN2at6native31launch_logcumsumexp_cuda_kernelERKNSB_10TensorBaseESF_lENKUlvE_clEvENKUlvE_clEvEUlddE_dEEDaPvRmT3_T4_T5_mT6_P12ihipStream_tbENKUlT_T0_E_clISt17integral_constantIbLb0EESV_IbLb1EEEEDaSR_SS_EUlSR_E0_NS1_11comp_targetILNS1_3genE5ELNS1_11target_archE942ELNS1_3gpuE9ELNS1_3repE0EEENS1_30default_config_static_selectorELNS0_4arch9wavefront6targetE1EEEvT1_
		.amdhsa_group_segment_fixed_size 0
		.amdhsa_private_segment_fixed_size 0
		.amdhsa_kernarg_size 40
		.amdhsa_user_sgpr_count 6
		.amdhsa_user_sgpr_private_segment_buffer 1
		.amdhsa_user_sgpr_dispatch_ptr 0
		.amdhsa_user_sgpr_queue_ptr 0
		.amdhsa_user_sgpr_kernarg_segment_ptr 1
		.amdhsa_user_sgpr_dispatch_id 0
		.amdhsa_user_sgpr_flat_scratch_init 0
		.amdhsa_user_sgpr_private_segment_size 0
		.amdhsa_uses_dynamic_stack 0
		.amdhsa_system_sgpr_private_segment_wavefront_offset 0
		.amdhsa_system_sgpr_workgroup_id_x 1
		.amdhsa_system_sgpr_workgroup_id_y 0
		.amdhsa_system_sgpr_workgroup_id_z 0
		.amdhsa_system_sgpr_workgroup_info 0
		.amdhsa_system_vgpr_workitem_id 0
		.amdhsa_next_free_vgpr 1
		.amdhsa_next_free_sgpr 0
		.amdhsa_reserve_vcc 0
		.amdhsa_reserve_flat_scratch 0
		.amdhsa_float_round_mode_32 0
		.amdhsa_float_round_mode_16_64 0
		.amdhsa_float_denorm_mode_32 3
		.amdhsa_float_denorm_mode_16_64 3
		.amdhsa_dx10_clamp 1
		.amdhsa_ieee_mode 1
		.amdhsa_fp16_overflow 0
		.amdhsa_exception_fp_ieee_invalid_op 0
		.amdhsa_exception_fp_denorm_src 0
		.amdhsa_exception_fp_ieee_div_zero 0
		.amdhsa_exception_fp_ieee_overflow 0
		.amdhsa_exception_fp_ieee_underflow 0
		.amdhsa_exception_fp_ieee_inexact 0
		.amdhsa_exception_int_div_zero 0
	.end_amdhsa_kernel
	.section	.text._ZN7rocprim17ROCPRIM_400000_NS6detail17trampoline_kernelINS0_14default_configENS1_20scan_config_selectorIdEEZZNS1_9scan_implILNS1_25lookback_scan_determinismE0ELb0ELb0ES3_PKdPddZZZN2at6native31launch_logcumsumexp_cuda_kernelERKNSB_10TensorBaseESF_lENKUlvE_clEvENKUlvE_clEvEUlddE_dEEDaPvRmT3_T4_T5_mT6_P12ihipStream_tbENKUlT_T0_E_clISt17integral_constantIbLb0EESV_IbLb1EEEEDaSR_SS_EUlSR_E0_NS1_11comp_targetILNS1_3genE5ELNS1_11target_archE942ELNS1_3gpuE9ELNS1_3repE0EEENS1_30default_config_static_selectorELNS0_4arch9wavefront6targetE1EEEvT1_,"axG",@progbits,_ZN7rocprim17ROCPRIM_400000_NS6detail17trampoline_kernelINS0_14default_configENS1_20scan_config_selectorIdEEZZNS1_9scan_implILNS1_25lookback_scan_determinismE0ELb0ELb0ES3_PKdPddZZZN2at6native31launch_logcumsumexp_cuda_kernelERKNSB_10TensorBaseESF_lENKUlvE_clEvENKUlvE_clEvEUlddE_dEEDaPvRmT3_T4_T5_mT6_P12ihipStream_tbENKUlT_T0_E_clISt17integral_constantIbLb0EESV_IbLb1EEEEDaSR_SS_EUlSR_E0_NS1_11comp_targetILNS1_3genE5ELNS1_11target_archE942ELNS1_3gpuE9ELNS1_3repE0EEENS1_30default_config_static_selectorELNS0_4arch9wavefront6targetE1EEEvT1_,comdat
.Lfunc_end76:
	.size	_ZN7rocprim17ROCPRIM_400000_NS6detail17trampoline_kernelINS0_14default_configENS1_20scan_config_selectorIdEEZZNS1_9scan_implILNS1_25lookback_scan_determinismE0ELb0ELb0ES3_PKdPddZZZN2at6native31launch_logcumsumexp_cuda_kernelERKNSB_10TensorBaseESF_lENKUlvE_clEvENKUlvE_clEvEUlddE_dEEDaPvRmT3_T4_T5_mT6_P12ihipStream_tbENKUlT_T0_E_clISt17integral_constantIbLb0EESV_IbLb1EEEEDaSR_SS_EUlSR_E0_NS1_11comp_targetILNS1_3genE5ELNS1_11target_archE942ELNS1_3gpuE9ELNS1_3repE0EEENS1_30default_config_static_selectorELNS0_4arch9wavefront6targetE1EEEvT1_, .Lfunc_end76-_ZN7rocprim17ROCPRIM_400000_NS6detail17trampoline_kernelINS0_14default_configENS1_20scan_config_selectorIdEEZZNS1_9scan_implILNS1_25lookback_scan_determinismE0ELb0ELb0ES3_PKdPddZZZN2at6native31launch_logcumsumexp_cuda_kernelERKNSB_10TensorBaseESF_lENKUlvE_clEvENKUlvE_clEvEUlddE_dEEDaPvRmT3_T4_T5_mT6_P12ihipStream_tbENKUlT_T0_E_clISt17integral_constantIbLb0EESV_IbLb1EEEEDaSR_SS_EUlSR_E0_NS1_11comp_targetILNS1_3genE5ELNS1_11target_archE942ELNS1_3gpuE9ELNS1_3repE0EEENS1_30default_config_static_selectorELNS0_4arch9wavefront6targetE1EEEvT1_
                                        ; -- End function
	.set _ZN7rocprim17ROCPRIM_400000_NS6detail17trampoline_kernelINS0_14default_configENS1_20scan_config_selectorIdEEZZNS1_9scan_implILNS1_25lookback_scan_determinismE0ELb0ELb0ES3_PKdPddZZZN2at6native31launch_logcumsumexp_cuda_kernelERKNSB_10TensorBaseESF_lENKUlvE_clEvENKUlvE_clEvEUlddE_dEEDaPvRmT3_T4_T5_mT6_P12ihipStream_tbENKUlT_T0_E_clISt17integral_constantIbLb0EESV_IbLb1EEEEDaSR_SS_EUlSR_E0_NS1_11comp_targetILNS1_3genE5ELNS1_11target_archE942ELNS1_3gpuE9ELNS1_3repE0EEENS1_30default_config_static_selectorELNS0_4arch9wavefront6targetE1EEEvT1_.num_vgpr, 0
	.set _ZN7rocprim17ROCPRIM_400000_NS6detail17trampoline_kernelINS0_14default_configENS1_20scan_config_selectorIdEEZZNS1_9scan_implILNS1_25lookback_scan_determinismE0ELb0ELb0ES3_PKdPddZZZN2at6native31launch_logcumsumexp_cuda_kernelERKNSB_10TensorBaseESF_lENKUlvE_clEvENKUlvE_clEvEUlddE_dEEDaPvRmT3_T4_T5_mT6_P12ihipStream_tbENKUlT_T0_E_clISt17integral_constantIbLb0EESV_IbLb1EEEEDaSR_SS_EUlSR_E0_NS1_11comp_targetILNS1_3genE5ELNS1_11target_archE942ELNS1_3gpuE9ELNS1_3repE0EEENS1_30default_config_static_selectorELNS0_4arch9wavefront6targetE1EEEvT1_.num_agpr, 0
	.set _ZN7rocprim17ROCPRIM_400000_NS6detail17trampoline_kernelINS0_14default_configENS1_20scan_config_selectorIdEEZZNS1_9scan_implILNS1_25lookback_scan_determinismE0ELb0ELb0ES3_PKdPddZZZN2at6native31launch_logcumsumexp_cuda_kernelERKNSB_10TensorBaseESF_lENKUlvE_clEvENKUlvE_clEvEUlddE_dEEDaPvRmT3_T4_T5_mT6_P12ihipStream_tbENKUlT_T0_E_clISt17integral_constantIbLb0EESV_IbLb1EEEEDaSR_SS_EUlSR_E0_NS1_11comp_targetILNS1_3genE5ELNS1_11target_archE942ELNS1_3gpuE9ELNS1_3repE0EEENS1_30default_config_static_selectorELNS0_4arch9wavefront6targetE1EEEvT1_.numbered_sgpr, 0
	.set _ZN7rocprim17ROCPRIM_400000_NS6detail17trampoline_kernelINS0_14default_configENS1_20scan_config_selectorIdEEZZNS1_9scan_implILNS1_25lookback_scan_determinismE0ELb0ELb0ES3_PKdPddZZZN2at6native31launch_logcumsumexp_cuda_kernelERKNSB_10TensorBaseESF_lENKUlvE_clEvENKUlvE_clEvEUlddE_dEEDaPvRmT3_T4_T5_mT6_P12ihipStream_tbENKUlT_T0_E_clISt17integral_constantIbLb0EESV_IbLb1EEEEDaSR_SS_EUlSR_E0_NS1_11comp_targetILNS1_3genE5ELNS1_11target_archE942ELNS1_3gpuE9ELNS1_3repE0EEENS1_30default_config_static_selectorELNS0_4arch9wavefront6targetE1EEEvT1_.num_named_barrier, 0
	.set _ZN7rocprim17ROCPRIM_400000_NS6detail17trampoline_kernelINS0_14default_configENS1_20scan_config_selectorIdEEZZNS1_9scan_implILNS1_25lookback_scan_determinismE0ELb0ELb0ES3_PKdPddZZZN2at6native31launch_logcumsumexp_cuda_kernelERKNSB_10TensorBaseESF_lENKUlvE_clEvENKUlvE_clEvEUlddE_dEEDaPvRmT3_T4_T5_mT6_P12ihipStream_tbENKUlT_T0_E_clISt17integral_constantIbLb0EESV_IbLb1EEEEDaSR_SS_EUlSR_E0_NS1_11comp_targetILNS1_3genE5ELNS1_11target_archE942ELNS1_3gpuE9ELNS1_3repE0EEENS1_30default_config_static_selectorELNS0_4arch9wavefront6targetE1EEEvT1_.private_seg_size, 0
	.set _ZN7rocprim17ROCPRIM_400000_NS6detail17trampoline_kernelINS0_14default_configENS1_20scan_config_selectorIdEEZZNS1_9scan_implILNS1_25lookback_scan_determinismE0ELb0ELb0ES3_PKdPddZZZN2at6native31launch_logcumsumexp_cuda_kernelERKNSB_10TensorBaseESF_lENKUlvE_clEvENKUlvE_clEvEUlddE_dEEDaPvRmT3_T4_T5_mT6_P12ihipStream_tbENKUlT_T0_E_clISt17integral_constantIbLb0EESV_IbLb1EEEEDaSR_SS_EUlSR_E0_NS1_11comp_targetILNS1_3genE5ELNS1_11target_archE942ELNS1_3gpuE9ELNS1_3repE0EEENS1_30default_config_static_selectorELNS0_4arch9wavefront6targetE1EEEvT1_.uses_vcc, 0
	.set _ZN7rocprim17ROCPRIM_400000_NS6detail17trampoline_kernelINS0_14default_configENS1_20scan_config_selectorIdEEZZNS1_9scan_implILNS1_25lookback_scan_determinismE0ELb0ELb0ES3_PKdPddZZZN2at6native31launch_logcumsumexp_cuda_kernelERKNSB_10TensorBaseESF_lENKUlvE_clEvENKUlvE_clEvEUlddE_dEEDaPvRmT3_T4_T5_mT6_P12ihipStream_tbENKUlT_T0_E_clISt17integral_constantIbLb0EESV_IbLb1EEEEDaSR_SS_EUlSR_E0_NS1_11comp_targetILNS1_3genE5ELNS1_11target_archE942ELNS1_3gpuE9ELNS1_3repE0EEENS1_30default_config_static_selectorELNS0_4arch9wavefront6targetE1EEEvT1_.uses_flat_scratch, 0
	.set _ZN7rocprim17ROCPRIM_400000_NS6detail17trampoline_kernelINS0_14default_configENS1_20scan_config_selectorIdEEZZNS1_9scan_implILNS1_25lookback_scan_determinismE0ELb0ELb0ES3_PKdPddZZZN2at6native31launch_logcumsumexp_cuda_kernelERKNSB_10TensorBaseESF_lENKUlvE_clEvENKUlvE_clEvEUlddE_dEEDaPvRmT3_T4_T5_mT6_P12ihipStream_tbENKUlT_T0_E_clISt17integral_constantIbLb0EESV_IbLb1EEEEDaSR_SS_EUlSR_E0_NS1_11comp_targetILNS1_3genE5ELNS1_11target_archE942ELNS1_3gpuE9ELNS1_3repE0EEENS1_30default_config_static_selectorELNS0_4arch9wavefront6targetE1EEEvT1_.has_dyn_sized_stack, 0
	.set _ZN7rocprim17ROCPRIM_400000_NS6detail17trampoline_kernelINS0_14default_configENS1_20scan_config_selectorIdEEZZNS1_9scan_implILNS1_25lookback_scan_determinismE0ELb0ELb0ES3_PKdPddZZZN2at6native31launch_logcumsumexp_cuda_kernelERKNSB_10TensorBaseESF_lENKUlvE_clEvENKUlvE_clEvEUlddE_dEEDaPvRmT3_T4_T5_mT6_P12ihipStream_tbENKUlT_T0_E_clISt17integral_constantIbLb0EESV_IbLb1EEEEDaSR_SS_EUlSR_E0_NS1_11comp_targetILNS1_3genE5ELNS1_11target_archE942ELNS1_3gpuE9ELNS1_3repE0EEENS1_30default_config_static_selectorELNS0_4arch9wavefront6targetE1EEEvT1_.has_recursion, 0
	.set _ZN7rocprim17ROCPRIM_400000_NS6detail17trampoline_kernelINS0_14default_configENS1_20scan_config_selectorIdEEZZNS1_9scan_implILNS1_25lookback_scan_determinismE0ELb0ELb0ES3_PKdPddZZZN2at6native31launch_logcumsumexp_cuda_kernelERKNSB_10TensorBaseESF_lENKUlvE_clEvENKUlvE_clEvEUlddE_dEEDaPvRmT3_T4_T5_mT6_P12ihipStream_tbENKUlT_T0_E_clISt17integral_constantIbLb0EESV_IbLb1EEEEDaSR_SS_EUlSR_E0_NS1_11comp_targetILNS1_3genE5ELNS1_11target_archE942ELNS1_3gpuE9ELNS1_3repE0EEENS1_30default_config_static_selectorELNS0_4arch9wavefront6targetE1EEEvT1_.has_indirect_call, 0
	.section	.AMDGPU.csdata,"",@progbits
; Kernel info:
; codeLenInByte = 0
; TotalNumSgprs: 4
; NumVgprs: 0
; ScratchSize: 0
; MemoryBound: 0
; FloatMode: 240
; IeeeMode: 1
; LDSByteSize: 0 bytes/workgroup (compile time only)
; SGPRBlocks: 0
; VGPRBlocks: 0
; NumSGPRsForWavesPerEU: 4
; NumVGPRsForWavesPerEU: 1
; Occupancy: 10
; WaveLimiterHint : 0
; COMPUTE_PGM_RSRC2:SCRATCH_EN: 0
; COMPUTE_PGM_RSRC2:USER_SGPR: 6
; COMPUTE_PGM_RSRC2:TRAP_HANDLER: 0
; COMPUTE_PGM_RSRC2:TGID_X_EN: 1
; COMPUTE_PGM_RSRC2:TGID_Y_EN: 0
; COMPUTE_PGM_RSRC2:TGID_Z_EN: 0
; COMPUTE_PGM_RSRC2:TIDIG_COMP_CNT: 0
	.section	.text._ZN7rocprim17ROCPRIM_400000_NS6detail17trampoline_kernelINS0_14default_configENS1_20scan_config_selectorIdEEZZNS1_9scan_implILNS1_25lookback_scan_determinismE0ELb0ELb0ES3_PKdPddZZZN2at6native31launch_logcumsumexp_cuda_kernelERKNSB_10TensorBaseESF_lENKUlvE_clEvENKUlvE_clEvEUlddE_dEEDaPvRmT3_T4_T5_mT6_P12ihipStream_tbENKUlT_T0_E_clISt17integral_constantIbLb0EESV_IbLb1EEEEDaSR_SS_EUlSR_E0_NS1_11comp_targetILNS1_3genE4ELNS1_11target_archE910ELNS1_3gpuE8ELNS1_3repE0EEENS1_30default_config_static_selectorELNS0_4arch9wavefront6targetE1EEEvT1_,"axG",@progbits,_ZN7rocprim17ROCPRIM_400000_NS6detail17trampoline_kernelINS0_14default_configENS1_20scan_config_selectorIdEEZZNS1_9scan_implILNS1_25lookback_scan_determinismE0ELb0ELb0ES3_PKdPddZZZN2at6native31launch_logcumsumexp_cuda_kernelERKNSB_10TensorBaseESF_lENKUlvE_clEvENKUlvE_clEvEUlddE_dEEDaPvRmT3_T4_T5_mT6_P12ihipStream_tbENKUlT_T0_E_clISt17integral_constantIbLb0EESV_IbLb1EEEEDaSR_SS_EUlSR_E0_NS1_11comp_targetILNS1_3genE4ELNS1_11target_archE910ELNS1_3gpuE8ELNS1_3repE0EEENS1_30default_config_static_selectorELNS0_4arch9wavefront6targetE1EEEvT1_,comdat
	.globl	_ZN7rocprim17ROCPRIM_400000_NS6detail17trampoline_kernelINS0_14default_configENS1_20scan_config_selectorIdEEZZNS1_9scan_implILNS1_25lookback_scan_determinismE0ELb0ELb0ES3_PKdPddZZZN2at6native31launch_logcumsumexp_cuda_kernelERKNSB_10TensorBaseESF_lENKUlvE_clEvENKUlvE_clEvEUlddE_dEEDaPvRmT3_T4_T5_mT6_P12ihipStream_tbENKUlT_T0_E_clISt17integral_constantIbLb0EESV_IbLb1EEEEDaSR_SS_EUlSR_E0_NS1_11comp_targetILNS1_3genE4ELNS1_11target_archE910ELNS1_3gpuE8ELNS1_3repE0EEENS1_30default_config_static_selectorELNS0_4arch9wavefront6targetE1EEEvT1_ ; -- Begin function _ZN7rocprim17ROCPRIM_400000_NS6detail17trampoline_kernelINS0_14default_configENS1_20scan_config_selectorIdEEZZNS1_9scan_implILNS1_25lookback_scan_determinismE0ELb0ELb0ES3_PKdPddZZZN2at6native31launch_logcumsumexp_cuda_kernelERKNSB_10TensorBaseESF_lENKUlvE_clEvENKUlvE_clEvEUlddE_dEEDaPvRmT3_T4_T5_mT6_P12ihipStream_tbENKUlT_T0_E_clISt17integral_constantIbLb0EESV_IbLb1EEEEDaSR_SS_EUlSR_E0_NS1_11comp_targetILNS1_3genE4ELNS1_11target_archE910ELNS1_3gpuE8ELNS1_3repE0EEENS1_30default_config_static_selectorELNS0_4arch9wavefront6targetE1EEEvT1_
	.p2align	8
	.type	_ZN7rocprim17ROCPRIM_400000_NS6detail17trampoline_kernelINS0_14default_configENS1_20scan_config_selectorIdEEZZNS1_9scan_implILNS1_25lookback_scan_determinismE0ELb0ELb0ES3_PKdPddZZZN2at6native31launch_logcumsumexp_cuda_kernelERKNSB_10TensorBaseESF_lENKUlvE_clEvENKUlvE_clEvEUlddE_dEEDaPvRmT3_T4_T5_mT6_P12ihipStream_tbENKUlT_T0_E_clISt17integral_constantIbLb0EESV_IbLb1EEEEDaSR_SS_EUlSR_E0_NS1_11comp_targetILNS1_3genE4ELNS1_11target_archE910ELNS1_3gpuE8ELNS1_3repE0EEENS1_30default_config_static_selectorELNS0_4arch9wavefront6targetE1EEEvT1_,@function
_ZN7rocprim17ROCPRIM_400000_NS6detail17trampoline_kernelINS0_14default_configENS1_20scan_config_selectorIdEEZZNS1_9scan_implILNS1_25lookback_scan_determinismE0ELb0ELb0ES3_PKdPddZZZN2at6native31launch_logcumsumexp_cuda_kernelERKNSB_10TensorBaseESF_lENKUlvE_clEvENKUlvE_clEvEUlddE_dEEDaPvRmT3_T4_T5_mT6_P12ihipStream_tbENKUlT_T0_E_clISt17integral_constantIbLb0EESV_IbLb1EEEEDaSR_SS_EUlSR_E0_NS1_11comp_targetILNS1_3genE4ELNS1_11target_archE910ELNS1_3gpuE8ELNS1_3repE0EEENS1_30default_config_static_selectorELNS0_4arch9wavefront6targetE1EEEvT1_: ; @_ZN7rocprim17ROCPRIM_400000_NS6detail17trampoline_kernelINS0_14default_configENS1_20scan_config_selectorIdEEZZNS1_9scan_implILNS1_25lookback_scan_determinismE0ELb0ELb0ES3_PKdPddZZZN2at6native31launch_logcumsumexp_cuda_kernelERKNSB_10TensorBaseESF_lENKUlvE_clEvENKUlvE_clEvEUlddE_dEEDaPvRmT3_T4_T5_mT6_P12ihipStream_tbENKUlT_T0_E_clISt17integral_constantIbLb0EESV_IbLb1EEEEDaSR_SS_EUlSR_E0_NS1_11comp_targetILNS1_3genE4ELNS1_11target_archE910ELNS1_3gpuE8ELNS1_3repE0EEENS1_30default_config_static_selectorELNS0_4arch9wavefront6targetE1EEEvT1_
; %bb.0:
	.section	.rodata,"a",@progbits
	.p2align	6, 0x0
	.amdhsa_kernel _ZN7rocprim17ROCPRIM_400000_NS6detail17trampoline_kernelINS0_14default_configENS1_20scan_config_selectorIdEEZZNS1_9scan_implILNS1_25lookback_scan_determinismE0ELb0ELb0ES3_PKdPddZZZN2at6native31launch_logcumsumexp_cuda_kernelERKNSB_10TensorBaseESF_lENKUlvE_clEvENKUlvE_clEvEUlddE_dEEDaPvRmT3_T4_T5_mT6_P12ihipStream_tbENKUlT_T0_E_clISt17integral_constantIbLb0EESV_IbLb1EEEEDaSR_SS_EUlSR_E0_NS1_11comp_targetILNS1_3genE4ELNS1_11target_archE910ELNS1_3gpuE8ELNS1_3repE0EEENS1_30default_config_static_selectorELNS0_4arch9wavefront6targetE1EEEvT1_
		.amdhsa_group_segment_fixed_size 0
		.amdhsa_private_segment_fixed_size 0
		.amdhsa_kernarg_size 40
		.amdhsa_user_sgpr_count 6
		.amdhsa_user_sgpr_private_segment_buffer 1
		.amdhsa_user_sgpr_dispatch_ptr 0
		.amdhsa_user_sgpr_queue_ptr 0
		.amdhsa_user_sgpr_kernarg_segment_ptr 1
		.amdhsa_user_sgpr_dispatch_id 0
		.amdhsa_user_sgpr_flat_scratch_init 0
		.amdhsa_user_sgpr_private_segment_size 0
		.amdhsa_uses_dynamic_stack 0
		.amdhsa_system_sgpr_private_segment_wavefront_offset 0
		.amdhsa_system_sgpr_workgroup_id_x 1
		.amdhsa_system_sgpr_workgroup_id_y 0
		.amdhsa_system_sgpr_workgroup_id_z 0
		.amdhsa_system_sgpr_workgroup_info 0
		.amdhsa_system_vgpr_workitem_id 0
		.amdhsa_next_free_vgpr 1
		.amdhsa_next_free_sgpr 0
		.amdhsa_reserve_vcc 0
		.amdhsa_reserve_flat_scratch 0
		.amdhsa_float_round_mode_32 0
		.amdhsa_float_round_mode_16_64 0
		.amdhsa_float_denorm_mode_32 3
		.amdhsa_float_denorm_mode_16_64 3
		.amdhsa_dx10_clamp 1
		.amdhsa_ieee_mode 1
		.amdhsa_fp16_overflow 0
		.amdhsa_exception_fp_ieee_invalid_op 0
		.amdhsa_exception_fp_denorm_src 0
		.amdhsa_exception_fp_ieee_div_zero 0
		.amdhsa_exception_fp_ieee_overflow 0
		.amdhsa_exception_fp_ieee_underflow 0
		.amdhsa_exception_fp_ieee_inexact 0
		.amdhsa_exception_int_div_zero 0
	.end_amdhsa_kernel
	.section	.text._ZN7rocprim17ROCPRIM_400000_NS6detail17trampoline_kernelINS0_14default_configENS1_20scan_config_selectorIdEEZZNS1_9scan_implILNS1_25lookback_scan_determinismE0ELb0ELb0ES3_PKdPddZZZN2at6native31launch_logcumsumexp_cuda_kernelERKNSB_10TensorBaseESF_lENKUlvE_clEvENKUlvE_clEvEUlddE_dEEDaPvRmT3_T4_T5_mT6_P12ihipStream_tbENKUlT_T0_E_clISt17integral_constantIbLb0EESV_IbLb1EEEEDaSR_SS_EUlSR_E0_NS1_11comp_targetILNS1_3genE4ELNS1_11target_archE910ELNS1_3gpuE8ELNS1_3repE0EEENS1_30default_config_static_selectorELNS0_4arch9wavefront6targetE1EEEvT1_,"axG",@progbits,_ZN7rocprim17ROCPRIM_400000_NS6detail17trampoline_kernelINS0_14default_configENS1_20scan_config_selectorIdEEZZNS1_9scan_implILNS1_25lookback_scan_determinismE0ELb0ELb0ES3_PKdPddZZZN2at6native31launch_logcumsumexp_cuda_kernelERKNSB_10TensorBaseESF_lENKUlvE_clEvENKUlvE_clEvEUlddE_dEEDaPvRmT3_T4_T5_mT6_P12ihipStream_tbENKUlT_T0_E_clISt17integral_constantIbLb0EESV_IbLb1EEEEDaSR_SS_EUlSR_E0_NS1_11comp_targetILNS1_3genE4ELNS1_11target_archE910ELNS1_3gpuE8ELNS1_3repE0EEENS1_30default_config_static_selectorELNS0_4arch9wavefront6targetE1EEEvT1_,comdat
.Lfunc_end77:
	.size	_ZN7rocprim17ROCPRIM_400000_NS6detail17trampoline_kernelINS0_14default_configENS1_20scan_config_selectorIdEEZZNS1_9scan_implILNS1_25lookback_scan_determinismE0ELb0ELb0ES3_PKdPddZZZN2at6native31launch_logcumsumexp_cuda_kernelERKNSB_10TensorBaseESF_lENKUlvE_clEvENKUlvE_clEvEUlddE_dEEDaPvRmT3_T4_T5_mT6_P12ihipStream_tbENKUlT_T0_E_clISt17integral_constantIbLb0EESV_IbLb1EEEEDaSR_SS_EUlSR_E0_NS1_11comp_targetILNS1_3genE4ELNS1_11target_archE910ELNS1_3gpuE8ELNS1_3repE0EEENS1_30default_config_static_selectorELNS0_4arch9wavefront6targetE1EEEvT1_, .Lfunc_end77-_ZN7rocprim17ROCPRIM_400000_NS6detail17trampoline_kernelINS0_14default_configENS1_20scan_config_selectorIdEEZZNS1_9scan_implILNS1_25lookback_scan_determinismE0ELb0ELb0ES3_PKdPddZZZN2at6native31launch_logcumsumexp_cuda_kernelERKNSB_10TensorBaseESF_lENKUlvE_clEvENKUlvE_clEvEUlddE_dEEDaPvRmT3_T4_T5_mT6_P12ihipStream_tbENKUlT_T0_E_clISt17integral_constantIbLb0EESV_IbLb1EEEEDaSR_SS_EUlSR_E0_NS1_11comp_targetILNS1_3genE4ELNS1_11target_archE910ELNS1_3gpuE8ELNS1_3repE0EEENS1_30default_config_static_selectorELNS0_4arch9wavefront6targetE1EEEvT1_
                                        ; -- End function
	.set _ZN7rocprim17ROCPRIM_400000_NS6detail17trampoline_kernelINS0_14default_configENS1_20scan_config_selectorIdEEZZNS1_9scan_implILNS1_25lookback_scan_determinismE0ELb0ELb0ES3_PKdPddZZZN2at6native31launch_logcumsumexp_cuda_kernelERKNSB_10TensorBaseESF_lENKUlvE_clEvENKUlvE_clEvEUlddE_dEEDaPvRmT3_T4_T5_mT6_P12ihipStream_tbENKUlT_T0_E_clISt17integral_constantIbLb0EESV_IbLb1EEEEDaSR_SS_EUlSR_E0_NS1_11comp_targetILNS1_3genE4ELNS1_11target_archE910ELNS1_3gpuE8ELNS1_3repE0EEENS1_30default_config_static_selectorELNS0_4arch9wavefront6targetE1EEEvT1_.num_vgpr, 0
	.set _ZN7rocprim17ROCPRIM_400000_NS6detail17trampoline_kernelINS0_14default_configENS1_20scan_config_selectorIdEEZZNS1_9scan_implILNS1_25lookback_scan_determinismE0ELb0ELb0ES3_PKdPddZZZN2at6native31launch_logcumsumexp_cuda_kernelERKNSB_10TensorBaseESF_lENKUlvE_clEvENKUlvE_clEvEUlddE_dEEDaPvRmT3_T4_T5_mT6_P12ihipStream_tbENKUlT_T0_E_clISt17integral_constantIbLb0EESV_IbLb1EEEEDaSR_SS_EUlSR_E0_NS1_11comp_targetILNS1_3genE4ELNS1_11target_archE910ELNS1_3gpuE8ELNS1_3repE0EEENS1_30default_config_static_selectorELNS0_4arch9wavefront6targetE1EEEvT1_.num_agpr, 0
	.set _ZN7rocprim17ROCPRIM_400000_NS6detail17trampoline_kernelINS0_14default_configENS1_20scan_config_selectorIdEEZZNS1_9scan_implILNS1_25lookback_scan_determinismE0ELb0ELb0ES3_PKdPddZZZN2at6native31launch_logcumsumexp_cuda_kernelERKNSB_10TensorBaseESF_lENKUlvE_clEvENKUlvE_clEvEUlddE_dEEDaPvRmT3_T4_T5_mT6_P12ihipStream_tbENKUlT_T0_E_clISt17integral_constantIbLb0EESV_IbLb1EEEEDaSR_SS_EUlSR_E0_NS1_11comp_targetILNS1_3genE4ELNS1_11target_archE910ELNS1_3gpuE8ELNS1_3repE0EEENS1_30default_config_static_selectorELNS0_4arch9wavefront6targetE1EEEvT1_.numbered_sgpr, 0
	.set _ZN7rocprim17ROCPRIM_400000_NS6detail17trampoline_kernelINS0_14default_configENS1_20scan_config_selectorIdEEZZNS1_9scan_implILNS1_25lookback_scan_determinismE0ELb0ELb0ES3_PKdPddZZZN2at6native31launch_logcumsumexp_cuda_kernelERKNSB_10TensorBaseESF_lENKUlvE_clEvENKUlvE_clEvEUlddE_dEEDaPvRmT3_T4_T5_mT6_P12ihipStream_tbENKUlT_T0_E_clISt17integral_constantIbLb0EESV_IbLb1EEEEDaSR_SS_EUlSR_E0_NS1_11comp_targetILNS1_3genE4ELNS1_11target_archE910ELNS1_3gpuE8ELNS1_3repE0EEENS1_30default_config_static_selectorELNS0_4arch9wavefront6targetE1EEEvT1_.num_named_barrier, 0
	.set _ZN7rocprim17ROCPRIM_400000_NS6detail17trampoline_kernelINS0_14default_configENS1_20scan_config_selectorIdEEZZNS1_9scan_implILNS1_25lookback_scan_determinismE0ELb0ELb0ES3_PKdPddZZZN2at6native31launch_logcumsumexp_cuda_kernelERKNSB_10TensorBaseESF_lENKUlvE_clEvENKUlvE_clEvEUlddE_dEEDaPvRmT3_T4_T5_mT6_P12ihipStream_tbENKUlT_T0_E_clISt17integral_constantIbLb0EESV_IbLb1EEEEDaSR_SS_EUlSR_E0_NS1_11comp_targetILNS1_3genE4ELNS1_11target_archE910ELNS1_3gpuE8ELNS1_3repE0EEENS1_30default_config_static_selectorELNS0_4arch9wavefront6targetE1EEEvT1_.private_seg_size, 0
	.set _ZN7rocprim17ROCPRIM_400000_NS6detail17trampoline_kernelINS0_14default_configENS1_20scan_config_selectorIdEEZZNS1_9scan_implILNS1_25lookback_scan_determinismE0ELb0ELb0ES3_PKdPddZZZN2at6native31launch_logcumsumexp_cuda_kernelERKNSB_10TensorBaseESF_lENKUlvE_clEvENKUlvE_clEvEUlddE_dEEDaPvRmT3_T4_T5_mT6_P12ihipStream_tbENKUlT_T0_E_clISt17integral_constantIbLb0EESV_IbLb1EEEEDaSR_SS_EUlSR_E0_NS1_11comp_targetILNS1_3genE4ELNS1_11target_archE910ELNS1_3gpuE8ELNS1_3repE0EEENS1_30default_config_static_selectorELNS0_4arch9wavefront6targetE1EEEvT1_.uses_vcc, 0
	.set _ZN7rocprim17ROCPRIM_400000_NS6detail17trampoline_kernelINS0_14default_configENS1_20scan_config_selectorIdEEZZNS1_9scan_implILNS1_25lookback_scan_determinismE0ELb0ELb0ES3_PKdPddZZZN2at6native31launch_logcumsumexp_cuda_kernelERKNSB_10TensorBaseESF_lENKUlvE_clEvENKUlvE_clEvEUlddE_dEEDaPvRmT3_T4_T5_mT6_P12ihipStream_tbENKUlT_T0_E_clISt17integral_constantIbLb0EESV_IbLb1EEEEDaSR_SS_EUlSR_E0_NS1_11comp_targetILNS1_3genE4ELNS1_11target_archE910ELNS1_3gpuE8ELNS1_3repE0EEENS1_30default_config_static_selectorELNS0_4arch9wavefront6targetE1EEEvT1_.uses_flat_scratch, 0
	.set _ZN7rocprim17ROCPRIM_400000_NS6detail17trampoline_kernelINS0_14default_configENS1_20scan_config_selectorIdEEZZNS1_9scan_implILNS1_25lookback_scan_determinismE0ELb0ELb0ES3_PKdPddZZZN2at6native31launch_logcumsumexp_cuda_kernelERKNSB_10TensorBaseESF_lENKUlvE_clEvENKUlvE_clEvEUlddE_dEEDaPvRmT3_T4_T5_mT6_P12ihipStream_tbENKUlT_T0_E_clISt17integral_constantIbLb0EESV_IbLb1EEEEDaSR_SS_EUlSR_E0_NS1_11comp_targetILNS1_3genE4ELNS1_11target_archE910ELNS1_3gpuE8ELNS1_3repE0EEENS1_30default_config_static_selectorELNS0_4arch9wavefront6targetE1EEEvT1_.has_dyn_sized_stack, 0
	.set _ZN7rocprim17ROCPRIM_400000_NS6detail17trampoline_kernelINS0_14default_configENS1_20scan_config_selectorIdEEZZNS1_9scan_implILNS1_25lookback_scan_determinismE0ELb0ELb0ES3_PKdPddZZZN2at6native31launch_logcumsumexp_cuda_kernelERKNSB_10TensorBaseESF_lENKUlvE_clEvENKUlvE_clEvEUlddE_dEEDaPvRmT3_T4_T5_mT6_P12ihipStream_tbENKUlT_T0_E_clISt17integral_constantIbLb0EESV_IbLb1EEEEDaSR_SS_EUlSR_E0_NS1_11comp_targetILNS1_3genE4ELNS1_11target_archE910ELNS1_3gpuE8ELNS1_3repE0EEENS1_30default_config_static_selectorELNS0_4arch9wavefront6targetE1EEEvT1_.has_recursion, 0
	.set _ZN7rocprim17ROCPRIM_400000_NS6detail17trampoline_kernelINS0_14default_configENS1_20scan_config_selectorIdEEZZNS1_9scan_implILNS1_25lookback_scan_determinismE0ELb0ELb0ES3_PKdPddZZZN2at6native31launch_logcumsumexp_cuda_kernelERKNSB_10TensorBaseESF_lENKUlvE_clEvENKUlvE_clEvEUlddE_dEEDaPvRmT3_T4_T5_mT6_P12ihipStream_tbENKUlT_T0_E_clISt17integral_constantIbLb0EESV_IbLb1EEEEDaSR_SS_EUlSR_E0_NS1_11comp_targetILNS1_3genE4ELNS1_11target_archE910ELNS1_3gpuE8ELNS1_3repE0EEENS1_30default_config_static_selectorELNS0_4arch9wavefront6targetE1EEEvT1_.has_indirect_call, 0
	.section	.AMDGPU.csdata,"",@progbits
; Kernel info:
; codeLenInByte = 0
; TotalNumSgprs: 4
; NumVgprs: 0
; ScratchSize: 0
; MemoryBound: 0
; FloatMode: 240
; IeeeMode: 1
; LDSByteSize: 0 bytes/workgroup (compile time only)
; SGPRBlocks: 0
; VGPRBlocks: 0
; NumSGPRsForWavesPerEU: 4
; NumVGPRsForWavesPerEU: 1
; Occupancy: 10
; WaveLimiterHint : 0
; COMPUTE_PGM_RSRC2:SCRATCH_EN: 0
; COMPUTE_PGM_RSRC2:USER_SGPR: 6
; COMPUTE_PGM_RSRC2:TRAP_HANDLER: 0
; COMPUTE_PGM_RSRC2:TGID_X_EN: 1
; COMPUTE_PGM_RSRC2:TGID_Y_EN: 0
; COMPUTE_PGM_RSRC2:TGID_Z_EN: 0
; COMPUTE_PGM_RSRC2:TIDIG_COMP_CNT: 0
	.section	.text._ZN7rocprim17ROCPRIM_400000_NS6detail17trampoline_kernelINS0_14default_configENS1_20scan_config_selectorIdEEZZNS1_9scan_implILNS1_25lookback_scan_determinismE0ELb0ELb0ES3_PKdPddZZZN2at6native31launch_logcumsumexp_cuda_kernelERKNSB_10TensorBaseESF_lENKUlvE_clEvENKUlvE_clEvEUlddE_dEEDaPvRmT3_T4_T5_mT6_P12ihipStream_tbENKUlT_T0_E_clISt17integral_constantIbLb0EESV_IbLb1EEEEDaSR_SS_EUlSR_E0_NS1_11comp_targetILNS1_3genE3ELNS1_11target_archE908ELNS1_3gpuE7ELNS1_3repE0EEENS1_30default_config_static_selectorELNS0_4arch9wavefront6targetE1EEEvT1_,"axG",@progbits,_ZN7rocprim17ROCPRIM_400000_NS6detail17trampoline_kernelINS0_14default_configENS1_20scan_config_selectorIdEEZZNS1_9scan_implILNS1_25lookback_scan_determinismE0ELb0ELb0ES3_PKdPddZZZN2at6native31launch_logcumsumexp_cuda_kernelERKNSB_10TensorBaseESF_lENKUlvE_clEvENKUlvE_clEvEUlddE_dEEDaPvRmT3_T4_T5_mT6_P12ihipStream_tbENKUlT_T0_E_clISt17integral_constantIbLb0EESV_IbLb1EEEEDaSR_SS_EUlSR_E0_NS1_11comp_targetILNS1_3genE3ELNS1_11target_archE908ELNS1_3gpuE7ELNS1_3repE0EEENS1_30default_config_static_selectorELNS0_4arch9wavefront6targetE1EEEvT1_,comdat
	.globl	_ZN7rocprim17ROCPRIM_400000_NS6detail17trampoline_kernelINS0_14default_configENS1_20scan_config_selectorIdEEZZNS1_9scan_implILNS1_25lookback_scan_determinismE0ELb0ELb0ES3_PKdPddZZZN2at6native31launch_logcumsumexp_cuda_kernelERKNSB_10TensorBaseESF_lENKUlvE_clEvENKUlvE_clEvEUlddE_dEEDaPvRmT3_T4_T5_mT6_P12ihipStream_tbENKUlT_T0_E_clISt17integral_constantIbLb0EESV_IbLb1EEEEDaSR_SS_EUlSR_E0_NS1_11comp_targetILNS1_3genE3ELNS1_11target_archE908ELNS1_3gpuE7ELNS1_3repE0EEENS1_30default_config_static_selectorELNS0_4arch9wavefront6targetE1EEEvT1_ ; -- Begin function _ZN7rocprim17ROCPRIM_400000_NS6detail17trampoline_kernelINS0_14default_configENS1_20scan_config_selectorIdEEZZNS1_9scan_implILNS1_25lookback_scan_determinismE0ELb0ELb0ES3_PKdPddZZZN2at6native31launch_logcumsumexp_cuda_kernelERKNSB_10TensorBaseESF_lENKUlvE_clEvENKUlvE_clEvEUlddE_dEEDaPvRmT3_T4_T5_mT6_P12ihipStream_tbENKUlT_T0_E_clISt17integral_constantIbLb0EESV_IbLb1EEEEDaSR_SS_EUlSR_E0_NS1_11comp_targetILNS1_3genE3ELNS1_11target_archE908ELNS1_3gpuE7ELNS1_3repE0EEENS1_30default_config_static_selectorELNS0_4arch9wavefront6targetE1EEEvT1_
	.p2align	8
	.type	_ZN7rocprim17ROCPRIM_400000_NS6detail17trampoline_kernelINS0_14default_configENS1_20scan_config_selectorIdEEZZNS1_9scan_implILNS1_25lookback_scan_determinismE0ELb0ELb0ES3_PKdPddZZZN2at6native31launch_logcumsumexp_cuda_kernelERKNSB_10TensorBaseESF_lENKUlvE_clEvENKUlvE_clEvEUlddE_dEEDaPvRmT3_T4_T5_mT6_P12ihipStream_tbENKUlT_T0_E_clISt17integral_constantIbLb0EESV_IbLb1EEEEDaSR_SS_EUlSR_E0_NS1_11comp_targetILNS1_3genE3ELNS1_11target_archE908ELNS1_3gpuE7ELNS1_3repE0EEENS1_30default_config_static_selectorELNS0_4arch9wavefront6targetE1EEEvT1_,@function
_ZN7rocprim17ROCPRIM_400000_NS6detail17trampoline_kernelINS0_14default_configENS1_20scan_config_selectorIdEEZZNS1_9scan_implILNS1_25lookback_scan_determinismE0ELb0ELb0ES3_PKdPddZZZN2at6native31launch_logcumsumexp_cuda_kernelERKNSB_10TensorBaseESF_lENKUlvE_clEvENKUlvE_clEvEUlddE_dEEDaPvRmT3_T4_T5_mT6_P12ihipStream_tbENKUlT_T0_E_clISt17integral_constantIbLb0EESV_IbLb1EEEEDaSR_SS_EUlSR_E0_NS1_11comp_targetILNS1_3genE3ELNS1_11target_archE908ELNS1_3gpuE7ELNS1_3repE0EEENS1_30default_config_static_selectorELNS0_4arch9wavefront6targetE1EEEvT1_: ; @_ZN7rocprim17ROCPRIM_400000_NS6detail17trampoline_kernelINS0_14default_configENS1_20scan_config_selectorIdEEZZNS1_9scan_implILNS1_25lookback_scan_determinismE0ELb0ELb0ES3_PKdPddZZZN2at6native31launch_logcumsumexp_cuda_kernelERKNSB_10TensorBaseESF_lENKUlvE_clEvENKUlvE_clEvEUlddE_dEEDaPvRmT3_T4_T5_mT6_P12ihipStream_tbENKUlT_T0_E_clISt17integral_constantIbLb0EESV_IbLb1EEEEDaSR_SS_EUlSR_E0_NS1_11comp_targetILNS1_3genE3ELNS1_11target_archE908ELNS1_3gpuE7ELNS1_3repE0EEENS1_30default_config_static_selectorELNS0_4arch9wavefront6targetE1EEEvT1_
; %bb.0:
	.section	.rodata,"a",@progbits
	.p2align	6, 0x0
	.amdhsa_kernel _ZN7rocprim17ROCPRIM_400000_NS6detail17trampoline_kernelINS0_14default_configENS1_20scan_config_selectorIdEEZZNS1_9scan_implILNS1_25lookback_scan_determinismE0ELb0ELb0ES3_PKdPddZZZN2at6native31launch_logcumsumexp_cuda_kernelERKNSB_10TensorBaseESF_lENKUlvE_clEvENKUlvE_clEvEUlddE_dEEDaPvRmT3_T4_T5_mT6_P12ihipStream_tbENKUlT_T0_E_clISt17integral_constantIbLb0EESV_IbLb1EEEEDaSR_SS_EUlSR_E0_NS1_11comp_targetILNS1_3genE3ELNS1_11target_archE908ELNS1_3gpuE7ELNS1_3repE0EEENS1_30default_config_static_selectorELNS0_4arch9wavefront6targetE1EEEvT1_
		.amdhsa_group_segment_fixed_size 0
		.amdhsa_private_segment_fixed_size 0
		.amdhsa_kernarg_size 40
		.amdhsa_user_sgpr_count 6
		.amdhsa_user_sgpr_private_segment_buffer 1
		.amdhsa_user_sgpr_dispatch_ptr 0
		.amdhsa_user_sgpr_queue_ptr 0
		.amdhsa_user_sgpr_kernarg_segment_ptr 1
		.amdhsa_user_sgpr_dispatch_id 0
		.amdhsa_user_sgpr_flat_scratch_init 0
		.amdhsa_user_sgpr_private_segment_size 0
		.amdhsa_uses_dynamic_stack 0
		.amdhsa_system_sgpr_private_segment_wavefront_offset 0
		.amdhsa_system_sgpr_workgroup_id_x 1
		.amdhsa_system_sgpr_workgroup_id_y 0
		.amdhsa_system_sgpr_workgroup_id_z 0
		.amdhsa_system_sgpr_workgroup_info 0
		.amdhsa_system_vgpr_workitem_id 0
		.amdhsa_next_free_vgpr 1
		.amdhsa_next_free_sgpr 0
		.amdhsa_reserve_vcc 0
		.amdhsa_reserve_flat_scratch 0
		.amdhsa_float_round_mode_32 0
		.amdhsa_float_round_mode_16_64 0
		.amdhsa_float_denorm_mode_32 3
		.amdhsa_float_denorm_mode_16_64 3
		.amdhsa_dx10_clamp 1
		.amdhsa_ieee_mode 1
		.amdhsa_fp16_overflow 0
		.amdhsa_exception_fp_ieee_invalid_op 0
		.amdhsa_exception_fp_denorm_src 0
		.amdhsa_exception_fp_ieee_div_zero 0
		.amdhsa_exception_fp_ieee_overflow 0
		.amdhsa_exception_fp_ieee_underflow 0
		.amdhsa_exception_fp_ieee_inexact 0
		.amdhsa_exception_int_div_zero 0
	.end_amdhsa_kernel
	.section	.text._ZN7rocprim17ROCPRIM_400000_NS6detail17trampoline_kernelINS0_14default_configENS1_20scan_config_selectorIdEEZZNS1_9scan_implILNS1_25lookback_scan_determinismE0ELb0ELb0ES3_PKdPddZZZN2at6native31launch_logcumsumexp_cuda_kernelERKNSB_10TensorBaseESF_lENKUlvE_clEvENKUlvE_clEvEUlddE_dEEDaPvRmT3_T4_T5_mT6_P12ihipStream_tbENKUlT_T0_E_clISt17integral_constantIbLb0EESV_IbLb1EEEEDaSR_SS_EUlSR_E0_NS1_11comp_targetILNS1_3genE3ELNS1_11target_archE908ELNS1_3gpuE7ELNS1_3repE0EEENS1_30default_config_static_selectorELNS0_4arch9wavefront6targetE1EEEvT1_,"axG",@progbits,_ZN7rocprim17ROCPRIM_400000_NS6detail17trampoline_kernelINS0_14default_configENS1_20scan_config_selectorIdEEZZNS1_9scan_implILNS1_25lookback_scan_determinismE0ELb0ELb0ES3_PKdPddZZZN2at6native31launch_logcumsumexp_cuda_kernelERKNSB_10TensorBaseESF_lENKUlvE_clEvENKUlvE_clEvEUlddE_dEEDaPvRmT3_T4_T5_mT6_P12ihipStream_tbENKUlT_T0_E_clISt17integral_constantIbLb0EESV_IbLb1EEEEDaSR_SS_EUlSR_E0_NS1_11comp_targetILNS1_3genE3ELNS1_11target_archE908ELNS1_3gpuE7ELNS1_3repE0EEENS1_30default_config_static_selectorELNS0_4arch9wavefront6targetE1EEEvT1_,comdat
.Lfunc_end78:
	.size	_ZN7rocprim17ROCPRIM_400000_NS6detail17trampoline_kernelINS0_14default_configENS1_20scan_config_selectorIdEEZZNS1_9scan_implILNS1_25lookback_scan_determinismE0ELb0ELb0ES3_PKdPddZZZN2at6native31launch_logcumsumexp_cuda_kernelERKNSB_10TensorBaseESF_lENKUlvE_clEvENKUlvE_clEvEUlddE_dEEDaPvRmT3_T4_T5_mT6_P12ihipStream_tbENKUlT_T0_E_clISt17integral_constantIbLb0EESV_IbLb1EEEEDaSR_SS_EUlSR_E0_NS1_11comp_targetILNS1_3genE3ELNS1_11target_archE908ELNS1_3gpuE7ELNS1_3repE0EEENS1_30default_config_static_selectorELNS0_4arch9wavefront6targetE1EEEvT1_, .Lfunc_end78-_ZN7rocprim17ROCPRIM_400000_NS6detail17trampoline_kernelINS0_14default_configENS1_20scan_config_selectorIdEEZZNS1_9scan_implILNS1_25lookback_scan_determinismE0ELb0ELb0ES3_PKdPddZZZN2at6native31launch_logcumsumexp_cuda_kernelERKNSB_10TensorBaseESF_lENKUlvE_clEvENKUlvE_clEvEUlddE_dEEDaPvRmT3_T4_T5_mT6_P12ihipStream_tbENKUlT_T0_E_clISt17integral_constantIbLb0EESV_IbLb1EEEEDaSR_SS_EUlSR_E0_NS1_11comp_targetILNS1_3genE3ELNS1_11target_archE908ELNS1_3gpuE7ELNS1_3repE0EEENS1_30default_config_static_selectorELNS0_4arch9wavefront6targetE1EEEvT1_
                                        ; -- End function
	.set _ZN7rocprim17ROCPRIM_400000_NS6detail17trampoline_kernelINS0_14default_configENS1_20scan_config_selectorIdEEZZNS1_9scan_implILNS1_25lookback_scan_determinismE0ELb0ELb0ES3_PKdPddZZZN2at6native31launch_logcumsumexp_cuda_kernelERKNSB_10TensorBaseESF_lENKUlvE_clEvENKUlvE_clEvEUlddE_dEEDaPvRmT3_T4_T5_mT6_P12ihipStream_tbENKUlT_T0_E_clISt17integral_constantIbLb0EESV_IbLb1EEEEDaSR_SS_EUlSR_E0_NS1_11comp_targetILNS1_3genE3ELNS1_11target_archE908ELNS1_3gpuE7ELNS1_3repE0EEENS1_30default_config_static_selectorELNS0_4arch9wavefront6targetE1EEEvT1_.num_vgpr, 0
	.set _ZN7rocprim17ROCPRIM_400000_NS6detail17trampoline_kernelINS0_14default_configENS1_20scan_config_selectorIdEEZZNS1_9scan_implILNS1_25lookback_scan_determinismE0ELb0ELb0ES3_PKdPddZZZN2at6native31launch_logcumsumexp_cuda_kernelERKNSB_10TensorBaseESF_lENKUlvE_clEvENKUlvE_clEvEUlddE_dEEDaPvRmT3_T4_T5_mT6_P12ihipStream_tbENKUlT_T0_E_clISt17integral_constantIbLb0EESV_IbLb1EEEEDaSR_SS_EUlSR_E0_NS1_11comp_targetILNS1_3genE3ELNS1_11target_archE908ELNS1_3gpuE7ELNS1_3repE0EEENS1_30default_config_static_selectorELNS0_4arch9wavefront6targetE1EEEvT1_.num_agpr, 0
	.set _ZN7rocprim17ROCPRIM_400000_NS6detail17trampoline_kernelINS0_14default_configENS1_20scan_config_selectorIdEEZZNS1_9scan_implILNS1_25lookback_scan_determinismE0ELb0ELb0ES3_PKdPddZZZN2at6native31launch_logcumsumexp_cuda_kernelERKNSB_10TensorBaseESF_lENKUlvE_clEvENKUlvE_clEvEUlddE_dEEDaPvRmT3_T4_T5_mT6_P12ihipStream_tbENKUlT_T0_E_clISt17integral_constantIbLb0EESV_IbLb1EEEEDaSR_SS_EUlSR_E0_NS1_11comp_targetILNS1_3genE3ELNS1_11target_archE908ELNS1_3gpuE7ELNS1_3repE0EEENS1_30default_config_static_selectorELNS0_4arch9wavefront6targetE1EEEvT1_.numbered_sgpr, 0
	.set _ZN7rocprim17ROCPRIM_400000_NS6detail17trampoline_kernelINS0_14default_configENS1_20scan_config_selectorIdEEZZNS1_9scan_implILNS1_25lookback_scan_determinismE0ELb0ELb0ES3_PKdPddZZZN2at6native31launch_logcumsumexp_cuda_kernelERKNSB_10TensorBaseESF_lENKUlvE_clEvENKUlvE_clEvEUlddE_dEEDaPvRmT3_T4_T5_mT6_P12ihipStream_tbENKUlT_T0_E_clISt17integral_constantIbLb0EESV_IbLb1EEEEDaSR_SS_EUlSR_E0_NS1_11comp_targetILNS1_3genE3ELNS1_11target_archE908ELNS1_3gpuE7ELNS1_3repE0EEENS1_30default_config_static_selectorELNS0_4arch9wavefront6targetE1EEEvT1_.num_named_barrier, 0
	.set _ZN7rocprim17ROCPRIM_400000_NS6detail17trampoline_kernelINS0_14default_configENS1_20scan_config_selectorIdEEZZNS1_9scan_implILNS1_25lookback_scan_determinismE0ELb0ELb0ES3_PKdPddZZZN2at6native31launch_logcumsumexp_cuda_kernelERKNSB_10TensorBaseESF_lENKUlvE_clEvENKUlvE_clEvEUlddE_dEEDaPvRmT3_T4_T5_mT6_P12ihipStream_tbENKUlT_T0_E_clISt17integral_constantIbLb0EESV_IbLb1EEEEDaSR_SS_EUlSR_E0_NS1_11comp_targetILNS1_3genE3ELNS1_11target_archE908ELNS1_3gpuE7ELNS1_3repE0EEENS1_30default_config_static_selectorELNS0_4arch9wavefront6targetE1EEEvT1_.private_seg_size, 0
	.set _ZN7rocprim17ROCPRIM_400000_NS6detail17trampoline_kernelINS0_14default_configENS1_20scan_config_selectorIdEEZZNS1_9scan_implILNS1_25lookback_scan_determinismE0ELb0ELb0ES3_PKdPddZZZN2at6native31launch_logcumsumexp_cuda_kernelERKNSB_10TensorBaseESF_lENKUlvE_clEvENKUlvE_clEvEUlddE_dEEDaPvRmT3_T4_T5_mT6_P12ihipStream_tbENKUlT_T0_E_clISt17integral_constantIbLb0EESV_IbLb1EEEEDaSR_SS_EUlSR_E0_NS1_11comp_targetILNS1_3genE3ELNS1_11target_archE908ELNS1_3gpuE7ELNS1_3repE0EEENS1_30default_config_static_selectorELNS0_4arch9wavefront6targetE1EEEvT1_.uses_vcc, 0
	.set _ZN7rocprim17ROCPRIM_400000_NS6detail17trampoline_kernelINS0_14default_configENS1_20scan_config_selectorIdEEZZNS1_9scan_implILNS1_25lookback_scan_determinismE0ELb0ELb0ES3_PKdPddZZZN2at6native31launch_logcumsumexp_cuda_kernelERKNSB_10TensorBaseESF_lENKUlvE_clEvENKUlvE_clEvEUlddE_dEEDaPvRmT3_T4_T5_mT6_P12ihipStream_tbENKUlT_T0_E_clISt17integral_constantIbLb0EESV_IbLb1EEEEDaSR_SS_EUlSR_E0_NS1_11comp_targetILNS1_3genE3ELNS1_11target_archE908ELNS1_3gpuE7ELNS1_3repE0EEENS1_30default_config_static_selectorELNS0_4arch9wavefront6targetE1EEEvT1_.uses_flat_scratch, 0
	.set _ZN7rocprim17ROCPRIM_400000_NS6detail17trampoline_kernelINS0_14default_configENS1_20scan_config_selectorIdEEZZNS1_9scan_implILNS1_25lookback_scan_determinismE0ELb0ELb0ES3_PKdPddZZZN2at6native31launch_logcumsumexp_cuda_kernelERKNSB_10TensorBaseESF_lENKUlvE_clEvENKUlvE_clEvEUlddE_dEEDaPvRmT3_T4_T5_mT6_P12ihipStream_tbENKUlT_T0_E_clISt17integral_constantIbLb0EESV_IbLb1EEEEDaSR_SS_EUlSR_E0_NS1_11comp_targetILNS1_3genE3ELNS1_11target_archE908ELNS1_3gpuE7ELNS1_3repE0EEENS1_30default_config_static_selectorELNS0_4arch9wavefront6targetE1EEEvT1_.has_dyn_sized_stack, 0
	.set _ZN7rocprim17ROCPRIM_400000_NS6detail17trampoline_kernelINS0_14default_configENS1_20scan_config_selectorIdEEZZNS1_9scan_implILNS1_25lookback_scan_determinismE0ELb0ELb0ES3_PKdPddZZZN2at6native31launch_logcumsumexp_cuda_kernelERKNSB_10TensorBaseESF_lENKUlvE_clEvENKUlvE_clEvEUlddE_dEEDaPvRmT3_T4_T5_mT6_P12ihipStream_tbENKUlT_T0_E_clISt17integral_constantIbLb0EESV_IbLb1EEEEDaSR_SS_EUlSR_E0_NS1_11comp_targetILNS1_3genE3ELNS1_11target_archE908ELNS1_3gpuE7ELNS1_3repE0EEENS1_30default_config_static_selectorELNS0_4arch9wavefront6targetE1EEEvT1_.has_recursion, 0
	.set _ZN7rocprim17ROCPRIM_400000_NS6detail17trampoline_kernelINS0_14default_configENS1_20scan_config_selectorIdEEZZNS1_9scan_implILNS1_25lookback_scan_determinismE0ELb0ELb0ES3_PKdPddZZZN2at6native31launch_logcumsumexp_cuda_kernelERKNSB_10TensorBaseESF_lENKUlvE_clEvENKUlvE_clEvEUlddE_dEEDaPvRmT3_T4_T5_mT6_P12ihipStream_tbENKUlT_T0_E_clISt17integral_constantIbLb0EESV_IbLb1EEEEDaSR_SS_EUlSR_E0_NS1_11comp_targetILNS1_3genE3ELNS1_11target_archE908ELNS1_3gpuE7ELNS1_3repE0EEENS1_30default_config_static_selectorELNS0_4arch9wavefront6targetE1EEEvT1_.has_indirect_call, 0
	.section	.AMDGPU.csdata,"",@progbits
; Kernel info:
; codeLenInByte = 0
; TotalNumSgprs: 4
; NumVgprs: 0
; ScratchSize: 0
; MemoryBound: 0
; FloatMode: 240
; IeeeMode: 1
; LDSByteSize: 0 bytes/workgroup (compile time only)
; SGPRBlocks: 0
; VGPRBlocks: 0
; NumSGPRsForWavesPerEU: 4
; NumVGPRsForWavesPerEU: 1
; Occupancy: 10
; WaveLimiterHint : 0
; COMPUTE_PGM_RSRC2:SCRATCH_EN: 0
; COMPUTE_PGM_RSRC2:USER_SGPR: 6
; COMPUTE_PGM_RSRC2:TRAP_HANDLER: 0
; COMPUTE_PGM_RSRC2:TGID_X_EN: 1
; COMPUTE_PGM_RSRC2:TGID_Y_EN: 0
; COMPUTE_PGM_RSRC2:TGID_Z_EN: 0
; COMPUTE_PGM_RSRC2:TIDIG_COMP_CNT: 0
	.section	.text._ZN7rocprim17ROCPRIM_400000_NS6detail17trampoline_kernelINS0_14default_configENS1_20scan_config_selectorIdEEZZNS1_9scan_implILNS1_25lookback_scan_determinismE0ELb0ELb0ES3_PKdPddZZZN2at6native31launch_logcumsumexp_cuda_kernelERKNSB_10TensorBaseESF_lENKUlvE_clEvENKUlvE_clEvEUlddE_dEEDaPvRmT3_T4_T5_mT6_P12ihipStream_tbENKUlT_T0_E_clISt17integral_constantIbLb0EESV_IbLb1EEEEDaSR_SS_EUlSR_E0_NS1_11comp_targetILNS1_3genE2ELNS1_11target_archE906ELNS1_3gpuE6ELNS1_3repE0EEENS1_30default_config_static_selectorELNS0_4arch9wavefront6targetE1EEEvT1_,"axG",@progbits,_ZN7rocprim17ROCPRIM_400000_NS6detail17trampoline_kernelINS0_14default_configENS1_20scan_config_selectorIdEEZZNS1_9scan_implILNS1_25lookback_scan_determinismE0ELb0ELb0ES3_PKdPddZZZN2at6native31launch_logcumsumexp_cuda_kernelERKNSB_10TensorBaseESF_lENKUlvE_clEvENKUlvE_clEvEUlddE_dEEDaPvRmT3_T4_T5_mT6_P12ihipStream_tbENKUlT_T0_E_clISt17integral_constantIbLb0EESV_IbLb1EEEEDaSR_SS_EUlSR_E0_NS1_11comp_targetILNS1_3genE2ELNS1_11target_archE906ELNS1_3gpuE6ELNS1_3repE0EEENS1_30default_config_static_selectorELNS0_4arch9wavefront6targetE1EEEvT1_,comdat
	.globl	_ZN7rocprim17ROCPRIM_400000_NS6detail17trampoline_kernelINS0_14default_configENS1_20scan_config_selectorIdEEZZNS1_9scan_implILNS1_25lookback_scan_determinismE0ELb0ELb0ES3_PKdPddZZZN2at6native31launch_logcumsumexp_cuda_kernelERKNSB_10TensorBaseESF_lENKUlvE_clEvENKUlvE_clEvEUlddE_dEEDaPvRmT3_T4_T5_mT6_P12ihipStream_tbENKUlT_T0_E_clISt17integral_constantIbLb0EESV_IbLb1EEEEDaSR_SS_EUlSR_E0_NS1_11comp_targetILNS1_3genE2ELNS1_11target_archE906ELNS1_3gpuE6ELNS1_3repE0EEENS1_30default_config_static_selectorELNS0_4arch9wavefront6targetE1EEEvT1_ ; -- Begin function _ZN7rocprim17ROCPRIM_400000_NS6detail17trampoline_kernelINS0_14default_configENS1_20scan_config_selectorIdEEZZNS1_9scan_implILNS1_25lookback_scan_determinismE0ELb0ELb0ES3_PKdPddZZZN2at6native31launch_logcumsumexp_cuda_kernelERKNSB_10TensorBaseESF_lENKUlvE_clEvENKUlvE_clEvEUlddE_dEEDaPvRmT3_T4_T5_mT6_P12ihipStream_tbENKUlT_T0_E_clISt17integral_constantIbLb0EESV_IbLb1EEEEDaSR_SS_EUlSR_E0_NS1_11comp_targetILNS1_3genE2ELNS1_11target_archE906ELNS1_3gpuE6ELNS1_3repE0EEENS1_30default_config_static_selectorELNS0_4arch9wavefront6targetE1EEEvT1_
	.p2align	8
	.type	_ZN7rocprim17ROCPRIM_400000_NS6detail17trampoline_kernelINS0_14default_configENS1_20scan_config_selectorIdEEZZNS1_9scan_implILNS1_25lookback_scan_determinismE0ELb0ELb0ES3_PKdPddZZZN2at6native31launch_logcumsumexp_cuda_kernelERKNSB_10TensorBaseESF_lENKUlvE_clEvENKUlvE_clEvEUlddE_dEEDaPvRmT3_T4_T5_mT6_P12ihipStream_tbENKUlT_T0_E_clISt17integral_constantIbLb0EESV_IbLb1EEEEDaSR_SS_EUlSR_E0_NS1_11comp_targetILNS1_3genE2ELNS1_11target_archE906ELNS1_3gpuE6ELNS1_3repE0EEENS1_30default_config_static_selectorELNS0_4arch9wavefront6targetE1EEEvT1_,@function
_ZN7rocprim17ROCPRIM_400000_NS6detail17trampoline_kernelINS0_14default_configENS1_20scan_config_selectorIdEEZZNS1_9scan_implILNS1_25lookback_scan_determinismE0ELb0ELb0ES3_PKdPddZZZN2at6native31launch_logcumsumexp_cuda_kernelERKNSB_10TensorBaseESF_lENKUlvE_clEvENKUlvE_clEvEUlddE_dEEDaPvRmT3_T4_T5_mT6_P12ihipStream_tbENKUlT_T0_E_clISt17integral_constantIbLb0EESV_IbLb1EEEEDaSR_SS_EUlSR_E0_NS1_11comp_targetILNS1_3genE2ELNS1_11target_archE906ELNS1_3gpuE6ELNS1_3repE0EEENS1_30default_config_static_selectorELNS0_4arch9wavefront6targetE1EEEvT1_: ; @_ZN7rocprim17ROCPRIM_400000_NS6detail17trampoline_kernelINS0_14default_configENS1_20scan_config_selectorIdEEZZNS1_9scan_implILNS1_25lookback_scan_determinismE0ELb0ELb0ES3_PKdPddZZZN2at6native31launch_logcumsumexp_cuda_kernelERKNSB_10TensorBaseESF_lENKUlvE_clEvENKUlvE_clEvEUlddE_dEEDaPvRmT3_T4_T5_mT6_P12ihipStream_tbENKUlT_T0_E_clISt17integral_constantIbLb0EESV_IbLb1EEEEDaSR_SS_EUlSR_E0_NS1_11comp_targetILNS1_3genE2ELNS1_11target_archE906ELNS1_3gpuE6ELNS1_3repE0EEENS1_30default_config_static_selectorELNS0_4arch9wavefront6targetE1EEEvT1_
; %bb.0:
	s_load_dwordx4 s[20:23], s[4:5], 0x0
	v_lshlrev_b32_e32 v57, 3, v0
	s_waitcnt lgkmcnt(0)
	s_load_dwordx2 s[18:19], s[20:21], 0x0
	v_cmp_gt_u32_e32 vcc, s22, v0
	s_waitcnt lgkmcnt(0)
	v_mov_b32_e32 v1, s18
	v_mov_b32_e32 v2, s19
	s_and_saveexec_b64 s[0:1], vcc
	s_cbranch_execz .LBB79_2
; %bb.1:
	global_load_dwordx2 v[1:2], v57, s[20:21]
.LBB79_2:
	s_or_b64 exec, exec, s[0:1]
	v_or_b32_e32 v3, 0x80, v0
	v_cmp_gt_u32_e64 s[0:1], s22, v3
	v_mov_b32_e32 v3, s18
	v_mov_b32_e32 v4, s19
	s_and_saveexec_b64 s[2:3], s[0:1]
	s_cbranch_execz .LBB79_4
; %bb.3:
	global_load_dwordx2 v[3:4], v57, s[20:21] offset:1024
.LBB79_4:
	s_or_b64 exec, exec, s[2:3]
	v_or_b32_e32 v5, 0x100, v0
	v_cmp_gt_u32_e64 s[2:3], s22, v5
	v_mov_b32_e32 v5, s18
	v_mov_b32_e32 v6, s19
	s_and_saveexec_b64 s[6:7], s[2:3]
	s_cbranch_execz .LBB79_6
; %bb.5:
	global_load_dwordx2 v[5:6], v57, s[20:21] offset:2048
.LBB79_6:
	;; [unrolled: 10-line block ×3, first 2 shown]
	s_or_b64 exec, exec, s[6:7]
	v_or_b32_e32 v11, 0x200, v0
	v_mov_b32_e32 v9, s18
	v_cmp_gt_u32_e64 s[6:7], s22, v11
	v_mov_b32_e32 v10, s19
	s_and_saveexec_b64 s[8:9], s[6:7]
	s_cbranch_execz .LBB79_10
; %bb.9:
	v_lshlrev_b32_e32 v9, 3, v11
	global_load_dwordx2 v[9:10], v9, s[20:21]
.LBB79_10:
	s_or_b64 exec, exec, s[8:9]
	v_or_b32_e32 v13, 0x280, v0
	v_mov_b32_e32 v11, s18
	v_cmp_gt_u32_e64 s[8:9], s22, v13
	v_mov_b32_e32 v12, s19
	s_and_saveexec_b64 s[10:11], s[8:9]
	s_cbranch_execz .LBB79_12
; %bb.11:
	v_lshlrev_b32_e32 v11, 3, v13
	global_load_dwordx2 v[11:12], v11, s[20:21]
.LBB79_12:
	;; [unrolled: 11-line block ×6, first 2 shown]
	s_or_b64 exec, exec, s[18:19]
	s_movk_i32 s18, 0x48
	s_waitcnt vmcnt(0)
	ds_write2st64_b64 v57, v[1:2], v[3:4] offset1:2
	ds_write2st64_b64 v57, v[5:6], v[7:8] offset0:4 offset1:6
	ds_write2st64_b64 v57, v[9:10], v[11:12] offset0:8 offset1:10
	;; [unrolled: 1-line block ×4, first 2 shown]
	v_mad_u32_u24 v5, v0, s18, v57
	s_waitcnt lgkmcnt(0)
	s_barrier
	ds_read_b128 v[1:4], v5
	ds_read_b128 v[17:20], v5 offset:16
	s_movk_i32 s30, 0x1f8
	s_waitcnt lgkmcnt(1)
	v_max_f64 v[29:30], v[3:4], v[3:4]
	v_max_f64 v[47:48], v[1:2], v[1:2]
	v_cmp_u_f64_e64 s[38:39], v[1:2], v[1:2]
	v_cmp_u_f64_e64 s[18:19], v[3:4], v[3:4]
	v_mov_b32_e32 v50, v2
	v_mov_b32_e32 v49, v1
	v_min_f64 v[43:44], v[47:48], v[29:30]
	v_max_f64 v[45:46], v[47:48], v[29:30]
	v_cndmask_b32_e64 v6, v43, v1, s[38:39]
	v_cndmask_b32_e64 v7, v44, v2, s[38:39]
	;; [unrolled: 1-line block ×8, first 2 shown]
	v_cmp_neq_f64_e64 s[20:21], v[23:24], v[21:22]
	v_cmp_class_f64_e64 s[22:23], v[23:24], s30
	ds_read_b128 v[13:16], v5 offset:32
	ds_read_b128 v[9:12], v5 offset:48
	;; [unrolled: 1-line block ×3, first 2 shown]
	s_waitcnt lgkmcnt(0)
	s_barrier
	s_or_b64 s[20:21], s[20:21], s[22:23]
	s_and_saveexec_b64 s[24:25], s[20:21]
	s_cbranch_execz .LBB79_22
; %bb.21:
	v_add_f64 v[23:24], v[23:24], -v[21:22]
	s_mov_b32 s20, 0x652b82fe
	s_mov_b32 s21, 0x3ff71547
	;; [unrolled: 1-line block ×6, first 2 shown]
	v_mov_b32_e32 v31, 0xfca7ab0c
	v_mul_f64 v[25:26], v[23:24], s[20:21]
	s_mov_b32 s20, 0x6a5dcb37
	v_mov_b32_e32 v32, 0x3e928af3
	s_mov_b32 s21, 0x3e5ade15
	s_mov_b32 s22, 0
	;; [unrolled: 1-line block ×3, first 2 shown]
	v_cmp_ngt_f64_e64 s[22:23], s[22:23], v[23:24]
	v_mov_b32_e32 v55, 0x7ff00000
	v_rndne_f64_e32 v[25:26], v[25:26]
	v_fma_f64 v[27:28], v[25:26], s[26:27], v[23:24]
	s_mov_b32 s27, 0x3fe62e42
	v_fma_f64 v[27:28], v[25:26], s[28:29], v[27:28]
	v_cvt_i32_f64_e32 v25, v[25:26]
	s_mov_b32 s29, 0x3c7abc9e
	v_fma_f64 v[31:32], v[27:28], s[20:21], v[31:32]
	s_mov_b32 s20, 0x623fde64
	s_mov_b32 s21, 0x3ec71dee
	v_fma_f64 v[31:32], v[27:28], v[31:32], s[20:21]
	s_mov_b32 s20, 0x7c89e6b0
	s_mov_b32 s21, 0x3efa0199
	v_fma_f64 v[31:32], v[27:28], v[31:32], s[20:21]
	s_mov_b32 s20, 0x14761f6e
	s_mov_b32 s21, 0x3f2a01a0
	v_fma_f64 v[31:32], v[27:28], v[31:32], s[20:21]
	s_mov_b32 s20, 0x1852b7b0
	s_mov_b32 s21, 0x3f56c16c
	v_fma_f64 v[31:32], v[27:28], v[31:32], s[20:21]
	s_mov_b32 s20, 0x11122322
	s_mov_b32 s21, 0x3f811111
	v_fma_f64 v[31:32], v[27:28], v[31:32], s[20:21]
	s_mov_b32 s20, 0x555502a1
	s_mov_b32 s21, 0x3fa55555
	v_fma_f64 v[31:32], v[27:28], v[31:32], s[20:21]
	s_mov_b32 s20, 0x55555511
	s_mov_b32 s21, 0x3fc55555
	v_fma_f64 v[31:32], v[27:28], v[31:32], s[20:21]
	s_mov_b32 s20, 11
	s_mov_b32 s21, 0x3fe00000
	v_fma_f64 v[31:32], v[27:28], v[31:32], s[20:21]
	s_mov_b32 s20, 0
	s_mov_b32 s21, 0x40900000
	v_cmp_nlt_f64_e64 s[20:21], s[20:21], v[23:24]
	v_fma_f64 v[31:32], v[27:28], v[31:32], 1.0
	v_fma_f64 v[27:28], v[27:28], v[31:32], 1.0
	v_ldexp_f64 v[25:26], v[27:28], v25
	v_cndmask_b32_e64 v26, v55, v26, s[20:21]
	s_and_b64 s[20:21], s[22:23], s[20:21]
	v_cndmask_b32_e64 v24, 0, v26, s[22:23]
	v_cndmask_b32_e64 v23, 0, v25, s[20:21]
	v_add_f64 v[25:26], v[23:24], 1.0
	s_mov_b32 s23, 0x3fe55555
	s_mov_b32 s22, 0x55555555
	v_frexp_mant_f64_e32 v[31:32], v[25:26]
	v_frexp_exp_i32_f64_e32 v35, v[25:26]
	v_add_f64 v[27:28], v[25:26], -1.0
	v_cmp_gt_f64_e64 s[20:21], s[22:23], v[31:32]
	s_mov_b32 s22, 0x55555780
	v_add_f64 v[33:34], v[27:28], -v[25:26]
	v_add_f64 v[27:28], v[23:24], -v[27:28]
	v_subbrev_co_u32_e64 v56, s[20:21], 0, v35, s[20:21]
	v_sub_u32_e32 v35, 0, v56
	v_ldexp_f64 v[25:26], v[25:26], v35
	v_add_f64 v[31:32], v[33:34], 1.0
	s_mov_b32 s20, 0xbf559e2b
	s_mov_b32 s21, 0x3fc3ab76
	v_add_f64 v[33:34], v[25:26], 1.0
	v_add_f64 v[27:28], v[27:28], v[31:32]
	v_add_f64 v[39:40], v[25:26], -1.0
	v_add_f64 v[31:32], v[33:34], -1.0
	v_ldexp_f64 v[27:28], v[27:28], v35
	v_add_f64 v[41:42], v[39:40], 1.0
	v_add_f64 v[31:32], v[25:26], -v[31:32]
	v_add_f64 v[25:26], v[25:26], -v[41:42]
	v_add_f64 v[31:32], v[27:28], v[31:32]
	v_add_f64 v[25:26], v[27:28], v[25:26]
	;; [unrolled: 1-line block ×4, first 2 shown]
	v_rcp_f64_e32 v[37:38], v[35:36]
	v_add_f64 v[33:34], v[35:36], -v[33:34]
	v_add_f64 v[39:40], v[41:42], -v[39:40]
	v_add_f64 v[31:32], v[31:32], -v[33:34]
	v_add_f64 v[25:26], v[25:26], -v[39:40]
	v_fma_f64 v[49:50], -v[35:36], v[37:38], 1.0
	v_fma_f64 v[37:38], v[49:50], v[37:38], v[37:38]
	v_fma_f64 v[27:28], -v[35:36], v[37:38], 1.0
	v_fma_f64 v[27:28], v[27:28], v[37:38], v[37:38]
	v_mul_f64 v[37:38], v[41:42], v[27:28]
	v_mul_f64 v[49:50], v[35:36], v[37:38]
	v_fma_f64 v[33:34], v[37:38], v[35:36], -v[49:50]
	v_fma_f64 v[33:34], v[37:38], v[31:32], v[33:34]
	v_add_f64 v[51:52], v[49:50], v[33:34]
	v_add_f64 v[53:54], v[41:42], -v[51:52]
	v_add_f64 v[39:40], v[51:52], -v[49:50]
	;; [unrolled: 1-line block ×5, first 2 shown]
	v_add_f64 v[25:26], v[25:26], v[41:42]
	v_add_f64 v[25:26], v[33:34], v[25:26]
	;; [unrolled: 1-line block ×3, first 2 shown]
	v_mul_f64 v[39:40], v[27:28], v[33:34]
	v_add_f64 v[51:52], v[53:54], -v[33:34]
	v_mul_f64 v[41:42], v[35:36], v[39:40]
	v_add_f64 v[25:26], v[25:26], v[51:52]
	v_fma_f64 v[35:36], v[39:40], v[35:36], -v[41:42]
	v_fma_f64 v[31:32], v[39:40], v[31:32], v[35:36]
	v_add_f64 v[35:36], v[41:42], v[31:32]
	v_add_f64 v[49:50], v[33:34], -v[35:36]
	v_add_f64 v[41:42], v[35:36], -v[41:42]
	;; [unrolled: 1-line block ×5, first 2 shown]
	v_mov_b32_e32 v35, 0x6b47b09a
	v_mov_b32_e32 v36, 0x3fc38538
	v_add_f64 v[25:26], v[25:26], v[33:34]
	v_add_f64 v[33:34], v[37:38], v[39:40]
	;; [unrolled: 1-line block ×3, first 2 shown]
	v_add_f64 v[31:32], v[33:34], -v[37:38]
	v_add_f64 v[25:26], v[49:50], v[25:26]
	v_add_f64 v[31:32], v[39:40], -v[31:32]
	v_mul_f64 v[25:26], v[27:28], v[25:26]
	v_add_f64 v[25:26], v[31:32], v[25:26]
	v_add_f64 v[27:28], v[33:34], v[25:26]
	v_mul_f64 v[31:32], v[27:28], v[27:28]
	v_fma_f64 v[35:36], v[31:32], s[20:21], v[35:36]
	s_mov_b32 s20, 0xd7f4df2e
	s_mov_b32 s21, 0x3fc7474d
	v_mul_f64 v[37:38], v[27:28], v[31:32]
	v_fma_f64 v[35:36], v[31:32], v[35:36], s[20:21]
	s_mov_b32 s20, 0x16291751
	s_mov_b32 s21, 0x3fcc71c0
	v_fma_f64 v[35:36], v[31:32], v[35:36], s[20:21]
	s_mov_b32 s20, 0x9b27acf1
	s_mov_b32 s21, 0x3fd24924
	v_fma_f64 v[35:36], v[31:32], v[35:36], s[20:21]
	s_mov_b32 s20, 0x998ef7b6
	s_mov_b32 s21, 0x3fd99999
	v_fma_f64 v[35:36], v[31:32], v[35:36], s[20:21]
	v_cmp_nge_f64_e64 s[20:21], -1.0, v[23:24]
	v_fma_f64 v[31:32], v[31:32], v[35:36], s[22:23]
	v_ldexp_f64 v[35:36], v[27:28], 1
	v_add_f64 v[27:28], v[27:28], -v[33:34]
	s_mov_b32 s22, 0
	s_mov_b32 s23, 0x7ff00000
	v_cmp_neq_f64_e64 s[22:23], s[22:23], v[23:24]
	v_mul_f64 v[31:32], v[37:38], v[31:32]
	v_cvt_f64_i32_e32 v[37:38], v56
	v_add_f64 v[25:26], v[25:26], -v[27:28]
	v_mul_f64 v[39:40], v[37:38], s[26:27]
	s_and_b64 s[20:21], s[20:21], s[22:23]
	v_add_f64 v[33:34], v[35:36], v[31:32]
	v_ldexp_f64 v[25:26], v[25:26], 1
	v_add_f64 v[27:28], v[33:34], -v[35:36]
	v_fma_f64 v[35:36], v[37:38], s[26:27], -v[39:40]
	v_add_f64 v[27:28], v[31:32], -v[27:28]
	v_fma_f64 v[31:32], v[37:38], s[28:29], v[35:36]
	v_add_f64 v[25:26], v[25:26], v[27:28]
	v_add_f64 v[27:28], v[39:40], v[31:32]
	;; [unrolled: 1-line block ×3, first 2 shown]
	v_add_f64 v[39:40], v[27:28], -v[39:40]
	v_add_f64 v[37:38], v[27:28], v[35:36]
	v_add_f64 v[33:34], v[35:36], -v[33:34]
	v_add_f64 v[31:32], v[31:32], -v[39:40]
	;; [unrolled: 1-line block ×6, first 2 shown]
	v_add_f64 v[35:36], v[31:32], v[25:26]
	v_add_f64 v[27:28], v[27:28], -v[49:50]
	v_add_f64 v[27:28], v[33:34], v[27:28]
	v_add_f64 v[33:34], v[35:36], -v[31:32]
	;; [unrolled: 2-line block ×3, first 2 shown]
	v_add_f64 v[25:26], v[25:26], -v[33:34]
	v_add_f64 v[39:40], v[37:38], v[27:28]
	v_add_f64 v[31:32], v[31:32], -v[35:36]
	v_add_f64 v[33:34], v[39:40], -v[37:38]
	v_add_f64 v[25:26], v[25:26], v[31:32]
	v_add_f64 v[27:28], v[27:28], -v[33:34]
	v_add_f64 v[25:26], v[25:26], v[27:28]
	v_mov_b32_e32 v27, 0x7ff80000
	v_mov_b32_e32 v28, 0xfff00000
	v_add_f64 v[25:26], v[39:40], v[25:26]
	v_cndmask_b32_e64 v25, 0, v25, s[20:21]
	v_cmp_ngt_f64_e64 s[20:21], -1.0, v[23:24]
	v_cndmask_b32_e64 v26, v55, v26, s[22:23]
	v_cndmask_b32_e64 v26, v27, v26, s[20:21]
	v_cmp_neq_f64_e64 s[20:21], -1.0, v[23:24]
	v_cndmask_b32_e64 v26, v28, v26, s[20:21]
	v_add_f64 v[49:50], v[21:22], v[25:26]
.LBB79_22:
	s_or_b64 exec, exec, s[24:25]
	v_max_f64 v[25:26], v[17:18], v[17:18]
	v_max_f64 v[21:22], v[49:50], v[49:50]
	v_cmp_u_f64_e64 s[20:21], v[49:50], v[49:50]
	v_cmp_u_f64_e64 s[22:23], v[17:18], v[17:18]
	v_min_f64 v[23:24], v[21:22], v[25:26]
	v_max_f64 v[21:22], v[21:22], v[25:26]
	v_cndmask_b32_e64 v23, v23, v49, s[20:21]
	v_cndmask_b32_e64 v24, v24, v50, s[20:21]
	;; [unrolled: 1-line block ×8, first 2 shown]
	v_cmp_neq_f64_e64 s[20:21], v[23:24], v[21:22]
	v_cmp_class_f64_e64 s[24:25], v[23:24], s30
	s_or_b64 s[20:21], s[20:21], s[24:25]
	s_and_saveexec_b64 s[26:27], s[20:21]
	s_cbranch_execz .LBB79_24
; %bb.23:
	v_add_f64 v[23:24], v[23:24], -v[21:22]
	s_mov_b32 s20, 0x652b82fe
	s_mov_b32 s21, 0x3ff71547
	s_mov_b32 s29, 0xbfe62e42
	s_mov_b32 s28, 0xfefa39ef
	s_mov_b32 s31, 0xbc7abc9e
	s_mov_b32 s30, 0x3b39803f
	v_mov_b32_e32 v33, 0xfca7ab0c
	v_mul_f64 v[27:28], v[23:24], s[20:21]
	s_mov_b32 s20, 0x6a5dcb37
	v_mov_b32_e32 v34, 0x3e928af3
	s_mov_b32 s21, 0x3e5ade15
	s_mov_b32 s24, 0
	;; [unrolled: 1-line block ×3, first 2 shown]
	v_cmp_ngt_f64_e64 s[24:25], s[24:25], v[23:24]
	v_mov_b32_e32 v58, 0x7ff00000
	v_rndne_f64_e32 v[27:28], v[27:28]
	v_fma_f64 v[31:32], v[27:28], s[28:29], v[23:24]
	s_mov_b32 s29, 0x3fe62e42
	v_fma_f64 v[31:32], v[27:28], s[30:31], v[31:32]
	v_cvt_i32_f64_e32 v27, v[27:28]
	s_mov_b32 s31, 0x3c7abc9e
	v_fma_f64 v[33:34], v[31:32], s[20:21], v[33:34]
	s_mov_b32 s20, 0x623fde64
	s_mov_b32 s21, 0x3ec71dee
	v_fma_f64 v[33:34], v[31:32], v[33:34], s[20:21]
	s_mov_b32 s20, 0x7c89e6b0
	;; [unrolled: 3-line block ×9, first 2 shown]
	s_mov_b32 s21, 0x40900000
	v_cmp_nlt_f64_e64 s[20:21], s[20:21], v[23:24]
	v_fma_f64 v[33:34], v[31:32], v[33:34], 1.0
	v_fma_f64 v[31:32], v[31:32], v[33:34], 1.0
	v_ldexp_f64 v[27:28], v[31:32], v27
	v_cndmask_b32_e64 v28, v58, v28, s[20:21]
	s_and_b64 s[20:21], s[24:25], s[20:21]
	v_cndmask_b32_e64 v24, 0, v28, s[24:25]
	v_cndmask_b32_e64 v23, 0, v27, s[20:21]
	v_add_f64 v[27:28], v[23:24], 1.0
	s_mov_b32 s25, 0x3fe55555
	s_mov_b32 s24, 0x55555555
	v_frexp_mant_f64_e32 v[33:34], v[27:28]
	v_frexp_exp_i32_f64_e32 v37, v[27:28]
	v_add_f64 v[31:32], v[27:28], -1.0
	v_cmp_gt_f64_e64 s[20:21], s[24:25], v[33:34]
	s_mov_b32 s24, 0x55555780
	v_add_f64 v[35:36], v[31:32], -v[27:28]
	v_add_f64 v[31:32], v[23:24], -v[31:32]
	v_subbrev_co_u32_e64 v59, s[20:21], 0, v37, s[20:21]
	v_sub_u32_e32 v37, 0, v59
	v_ldexp_f64 v[27:28], v[27:28], v37
	v_add_f64 v[33:34], v[35:36], 1.0
	s_mov_b32 s20, 0xbf559e2b
	s_mov_b32 s21, 0x3fc3ab76
	v_add_f64 v[35:36], v[27:28], 1.0
	v_add_f64 v[31:32], v[31:32], v[33:34]
	v_add_f64 v[41:42], v[27:28], -1.0
	v_add_f64 v[33:34], v[35:36], -1.0
	v_ldexp_f64 v[31:32], v[31:32], v37
	v_add_f64 v[49:50], v[41:42], 1.0
	v_add_f64 v[33:34], v[27:28], -v[33:34]
	v_add_f64 v[27:28], v[27:28], -v[49:50]
	v_add_f64 v[33:34], v[31:32], v[33:34]
	v_add_f64 v[27:28], v[31:32], v[27:28]
	;; [unrolled: 1-line block ×4, first 2 shown]
	v_rcp_f64_e32 v[39:40], v[37:38]
	v_add_f64 v[35:36], v[37:38], -v[35:36]
	v_add_f64 v[41:42], v[49:50], -v[41:42]
	;; [unrolled: 1-line block ×4, first 2 shown]
	v_fma_f64 v[51:52], -v[37:38], v[39:40], 1.0
	v_fma_f64 v[39:40], v[51:52], v[39:40], v[39:40]
	v_fma_f64 v[31:32], -v[37:38], v[39:40], 1.0
	v_fma_f64 v[31:32], v[31:32], v[39:40], v[39:40]
	v_mul_f64 v[39:40], v[49:50], v[31:32]
	v_mul_f64 v[51:52], v[37:38], v[39:40]
	v_fma_f64 v[35:36], v[39:40], v[37:38], -v[51:52]
	v_fma_f64 v[35:36], v[39:40], v[33:34], v[35:36]
	v_add_f64 v[53:54], v[51:52], v[35:36]
	v_add_f64 v[55:56], v[49:50], -v[53:54]
	v_add_f64 v[41:42], v[53:54], -v[51:52]
	;; [unrolled: 1-line block ×5, first 2 shown]
	v_add_f64 v[27:28], v[27:28], v[49:50]
	v_add_f64 v[27:28], v[35:36], v[27:28]
	;; [unrolled: 1-line block ×3, first 2 shown]
	v_mul_f64 v[41:42], v[31:32], v[35:36]
	v_add_f64 v[53:54], v[55:56], -v[35:36]
	v_mul_f64 v[49:50], v[37:38], v[41:42]
	v_add_f64 v[27:28], v[27:28], v[53:54]
	v_fma_f64 v[37:38], v[41:42], v[37:38], -v[49:50]
	v_fma_f64 v[33:34], v[41:42], v[33:34], v[37:38]
	v_add_f64 v[37:38], v[49:50], v[33:34]
	v_add_f64 v[51:52], v[35:36], -v[37:38]
	v_add_f64 v[49:50], v[37:38], -v[49:50]
	;; [unrolled: 1-line block ×5, first 2 shown]
	v_mov_b32_e32 v37, 0x6b47b09a
	v_mov_b32_e32 v38, 0x3fc38538
	v_add_f64 v[27:28], v[27:28], v[35:36]
	v_add_f64 v[35:36], v[39:40], v[41:42]
	;; [unrolled: 1-line block ×3, first 2 shown]
	v_add_f64 v[33:34], v[35:36], -v[39:40]
	v_add_f64 v[27:28], v[51:52], v[27:28]
	v_add_f64 v[33:34], v[41:42], -v[33:34]
	v_mul_f64 v[27:28], v[31:32], v[27:28]
	v_add_f64 v[27:28], v[33:34], v[27:28]
	v_add_f64 v[31:32], v[35:36], v[27:28]
	v_mul_f64 v[33:34], v[31:32], v[31:32]
	v_fma_f64 v[37:38], v[33:34], s[20:21], v[37:38]
	s_mov_b32 s20, 0xd7f4df2e
	s_mov_b32 s21, 0x3fc7474d
	v_mul_f64 v[39:40], v[31:32], v[33:34]
	v_fma_f64 v[37:38], v[33:34], v[37:38], s[20:21]
	s_mov_b32 s20, 0x16291751
	s_mov_b32 s21, 0x3fcc71c0
	v_fma_f64 v[37:38], v[33:34], v[37:38], s[20:21]
	s_mov_b32 s20, 0x9b27acf1
	s_mov_b32 s21, 0x3fd24924
	;; [unrolled: 3-line block ×3, first 2 shown]
	v_fma_f64 v[37:38], v[33:34], v[37:38], s[20:21]
	v_cmp_nge_f64_e64 s[20:21], -1.0, v[23:24]
	v_fma_f64 v[33:34], v[33:34], v[37:38], s[24:25]
	v_ldexp_f64 v[37:38], v[31:32], 1
	v_add_f64 v[31:32], v[31:32], -v[35:36]
	s_mov_b32 s24, 0
	s_mov_b32 s25, 0x7ff00000
	v_cmp_neq_f64_e64 s[24:25], s[24:25], v[23:24]
	v_mul_f64 v[33:34], v[39:40], v[33:34]
	v_cvt_f64_i32_e32 v[39:40], v59
	v_add_f64 v[27:28], v[27:28], -v[31:32]
	v_mul_f64 v[41:42], v[39:40], s[28:29]
	s_and_b64 s[20:21], s[20:21], s[24:25]
	v_add_f64 v[35:36], v[37:38], v[33:34]
	v_ldexp_f64 v[27:28], v[27:28], 1
	v_add_f64 v[31:32], v[35:36], -v[37:38]
	v_fma_f64 v[37:38], v[39:40], s[28:29], -v[41:42]
	v_add_f64 v[31:32], v[33:34], -v[31:32]
	v_fma_f64 v[33:34], v[39:40], s[30:31], v[37:38]
	v_add_f64 v[27:28], v[27:28], v[31:32]
	v_add_f64 v[31:32], v[41:42], v[33:34]
	;; [unrolled: 1-line block ×3, first 2 shown]
	v_add_f64 v[41:42], v[31:32], -v[41:42]
	v_add_f64 v[39:40], v[31:32], v[37:38]
	v_add_f64 v[35:36], v[37:38], -v[35:36]
	v_add_f64 v[33:34], v[33:34], -v[41:42]
	;; [unrolled: 1-line block ×6, first 2 shown]
	v_add_f64 v[37:38], v[33:34], v[27:28]
	v_add_f64 v[31:32], v[31:32], -v[51:52]
	v_add_f64 v[31:32], v[35:36], v[31:32]
	v_add_f64 v[35:36], v[37:38], -v[33:34]
	v_add_f64 v[31:32], v[37:38], v[31:32]
	v_add_f64 v[37:38], v[37:38], -v[35:36]
	v_add_f64 v[27:28], v[27:28], -v[35:36]
	v_add_f64 v[41:42], v[39:40], v[31:32]
	v_add_f64 v[33:34], v[33:34], -v[37:38]
	v_add_f64 v[35:36], v[41:42], -v[39:40]
	v_add_f64 v[27:28], v[27:28], v[33:34]
	v_add_f64 v[31:32], v[31:32], -v[35:36]
	v_add_f64 v[27:28], v[27:28], v[31:32]
	v_mov_b32_e32 v31, 0x7ff80000
	v_mov_b32_e32 v32, 0xfff00000
	v_add_f64 v[27:28], v[41:42], v[27:28]
	v_cndmask_b32_e64 v27, 0, v27, s[20:21]
	v_cmp_ngt_f64_e64 s[20:21], -1.0, v[23:24]
	v_cndmask_b32_e64 v28, v58, v28, s[24:25]
	v_cndmask_b32_e64 v28, v31, v28, s[20:21]
	v_cmp_neq_f64_e64 s[20:21], -1.0, v[23:24]
	v_cndmask_b32_e64 v28, v32, v28, s[20:21]
	v_add_f64 v[49:50], v[21:22], v[27:28]
.LBB79_24:
	s_or_b64 exec, exec, s[26:27]
	v_max_f64 v[27:28], v[19:20], v[19:20]
	v_max_f64 v[21:22], v[49:50], v[49:50]
	v_cmp_u_f64_e64 s[24:25], v[49:50], v[49:50]
	v_cmp_u_f64_e64 s[20:21], v[19:20], v[19:20]
	s_movk_i32 s33, 0x1f8
	v_min_f64 v[23:24], v[21:22], v[27:28]
	v_max_f64 v[21:22], v[21:22], v[27:28]
	v_cndmask_b32_e64 v23, v23, v49, s[24:25]
	v_cndmask_b32_e64 v24, v24, v50, s[24:25]
	;; [unrolled: 1-line block ×8, first 2 shown]
	v_cmp_neq_f64_e64 s[24:25], v[23:24], v[21:22]
	v_cmp_class_f64_e64 s[26:27], v[23:24], s33
	s_or_b64 s[24:25], s[24:25], s[26:27]
	s_and_saveexec_b64 s[28:29], s[24:25]
	s_cbranch_execz .LBB79_26
; %bb.25:
	v_add_f64 v[23:24], v[23:24], -v[21:22]
	s_mov_b32 s24, 0x652b82fe
	s_mov_b32 s25, 0x3ff71547
	;; [unrolled: 1-line block ×6, first 2 shown]
	v_mov_b32_e32 v35, 0xfca7ab0c
	v_mul_f64 v[31:32], v[23:24], s[24:25]
	s_mov_b32 s24, 0x6a5dcb37
	v_mov_b32_e32 v36, 0x3e928af3
	s_mov_b32 s25, 0x3e5ade15
	s_mov_b32 s26, 0
	;; [unrolled: 1-line block ×3, first 2 shown]
	v_cmp_ngt_f64_e64 s[26:27], s[26:27], v[23:24]
	v_mov_b32_e32 v60, 0x7ff00000
	v_rndne_f64_e32 v[31:32], v[31:32]
	v_fma_f64 v[33:34], v[31:32], s[30:31], v[23:24]
	s_mov_b32 s31, 0x3fe62e42
	v_fma_f64 v[33:34], v[31:32], s[34:35], v[33:34]
	v_cvt_i32_f64_e32 v31, v[31:32]
	s_mov_b32 s35, 0x3c7abc9e
	v_fma_f64 v[35:36], v[33:34], s[24:25], v[35:36]
	s_mov_b32 s24, 0x623fde64
	s_mov_b32 s25, 0x3ec71dee
	v_fma_f64 v[35:36], v[33:34], v[35:36], s[24:25]
	s_mov_b32 s24, 0x7c89e6b0
	;; [unrolled: 3-line block ×9, first 2 shown]
	s_mov_b32 s25, 0x40900000
	v_cmp_nlt_f64_e64 s[24:25], s[24:25], v[23:24]
	v_fma_f64 v[35:36], v[33:34], v[35:36], 1.0
	v_fma_f64 v[33:34], v[33:34], v[35:36], 1.0
	v_ldexp_f64 v[31:32], v[33:34], v31
	v_cndmask_b32_e64 v32, v60, v32, s[24:25]
	s_and_b64 s[24:25], s[26:27], s[24:25]
	v_cndmask_b32_e64 v24, 0, v32, s[26:27]
	v_cndmask_b32_e64 v23, 0, v31, s[24:25]
	v_add_f64 v[31:32], v[23:24], 1.0
	s_mov_b32 s27, 0x3fe55555
	s_mov_b32 s26, 0x55555555
	v_frexp_mant_f64_e32 v[35:36], v[31:32]
	v_frexp_exp_i32_f64_e32 v39, v[31:32]
	v_add_f64 v[33:34], v[31:32], -1.0
	v_cmp_gt_f64_e64 s[24:25], s[26:27], v[35:36]
	s_mov_b32 s26, 0x55555780
	v_add_f64 v[37:38], v[33:34], -v[31:32]
	v_add_f64 v[33:34], v[23:24], -v[33:34]
	v_subbrev_co_u32_e64 v61, s[24:25], 0, v39, s[24:25]
	v_sub_u32_e32 v39, 0, v61
	v_ldexp_f64 v[31:32], v[31:32], v39
	v_add_f64 v[35:36], v[37:38], 1.0
	s_mov_b32 s24, 0xbf559e2b
	s_mov_b32 s25, 0x3fc3ab76
	v_add_f64 v[37:38], v[31:32], 1.0
	v_add_f64 v[33:34], v[33:34], v[35:36]
	v_add_f64 v[49:50], v[31:32], -1.0
	v_add_f64 v[35:36], v[37:38], -1.0
	v_ldexp_f64 v[33:34], v[33:34], v39
	v_add_f64 v[51:52], v[49:50], 1.0
	v_add_f64 v[35:36], v[31:32], -v[35:36]
	v_add_f64 v[31:32], v[31:32], -v[51:52]
	v_add_f64 v[35:36], v[33:34], v[35:36]
	v_add_f64 v[31:32], v[33:34], v[31:32]
	v_add_f64 v[39:40], v[37:38], v[35:36]
	v_add_f64 v[51:52], v[49:50], v[31:32]
	v_rcp_f64_e32 v[41:42], v[39:40]
	v_add_f64 v[37:38], v[39:40], -v[37:38]
	v_add_f64 v[49:50], v[51:52], -v[49:50]
	;; [unrolled: 1-line block ×4, first 2 shown]
	v_fma_f64 v[53:54], -v[39:40], v[41:42], 1.0
	v_fma_f64 v[41:42], v[53:54], v[41:42], v[41:42]
	v_fma_f64 v[33:34], -v[39:40], v[41:42], 1.0
	v_fma_f64 v[33:34], v[33:34], v[41:42], v[41:42]
	v_mul_f64 v[41:42], v[51:52], v[33:34]
	v_mul_f64 v[53:54], v[39:40], v[41:42]
	v_fma_f64 v[37:38], v[41:42], v[39:40], -v[53:54]
	v_fma_f64 v[37:38], v[41:42], v[35:36], v[37:38]
	v_add_f64 v[55:56], v[53:54], v[37:38]
	v_add_f64 v[58:59], v[51:52], -v[55:56]
	v_add_f64 v[49:50], v[55:56], -v[53:54]
	v_add_f64 v[51:52], v[51:52], -v[58:59]
	v_add_f64 v[37:38], v[49:50], -v[37:38]
	v_add_f64 v[51:52], v[51:52], -v[55:56]
	v_add_f64 v[31:32], v[31:32], v[51:52]
	v_add_f64 v[31:32], v[37:38], v[31:32]
	;; [unrolled: 1-line block ×3, first 2 shown]
	v_mul_f64 v[49:50], v[33:34], v[37:38]
	v_add_f64 v[55:56], v[58:59], -v[37:38]
	v_mul_f64 v[51:52], v[39:40], v[49:50]
	v_add_f64 v[31:32], v[31:32], v[55:56]
	v_fma_f64 v[39:40], v[49:50], v[39:40], -v[51:52]
	v_fma_f64 v[35:36], v[49:50], v[35:36], v[39:40]
	v_add_f64 v[39:40], v[51:52], v[35:36]
	v_add_f64 v[53:54], v[37:38], -v[39:40]
	v_add_f64 v[51:52], v[39:40], -v[51:52]
	;; [unrolled: 1-line block ×5, first 2 shown]
	v_mov_b32_e32 v39, 0x6b47b09a
	v_mov_b32_e32 v40, 0x3fc38538
	v_add_f64 v[31:32], v[31:32], v[37:38]
	v_add_f64 v[37:38], v[41:42], v[49:50]
	;; [unrolled: 1-line block ×3, first 2 shown]
	v_add_f64 v[35:36], v[37:38], -v[41:42]
	v_add_f64 v[31:32], v[53:54], v[31:32]
	v_add_f64 v[35:36], v[49:50], -v[35:36]
	v_mul_f64 v[31:32], v[33:34], v[31:32]
	v_add_f64 v[31:32], v[35:36], v[31:32]
	v_add_f64 v[33:34], v[37:38], v[31:32]
	v_mul_f64 v[35:36], v[33:34], v[33:34]
	v_fma_f64 v[39:40], v[35:36], s[24:25], v[39:40]
	s_mov_b32 s24, 0xd7f4df2e
	s_mov_b32 s25, 0x3fc7474d
	v_mul_f64 v[41:42], v[33:34], v[35:36]
	v_fma_f64 v[39:40], v[35:36], v[39:40], s[24:25]
	s_mov_b32 s24, 0x16291751
	s_mov_b32 s25, 0x3fcc71c0
	v_fma_f64 v[39:40], v[35:36], v[39:40], s[24:25]
	s_mov_b32 s24, 0x9b27acf1
	s_mov_b32 s25, 0x3fd24924
	;; [unrolled: 3-line block ×3, first 2 shown]
	v_fma_f64 v[39:40], v[35:36], v[39:40], s[24:25]
	v_cmp_nge_f64_e64 s[24:25], -1.0, v[23:24]
	v_fma_f64 v[35:36], v[35:36], v[39:40], s[26:27]
	v_ldexp_f64 v[39:40], v[33:34], 1
	v_add_f64 v[33:34], v[33:34], -v[37:38]
	s_mov_b32 s26, 0
	s_mov_b32 s27, 0x7ff00000
	v_cmp_neq_f64_e64 s[26:27], s[26:27], v[23:24]
	v_mul_f64 v[35:36], v[41:42], v[35:36]
	v_cvt_f64_i32_e32 v[41:42], v61
	v_add_f64 v[31:32], v[31:32], -v[33:34]
	v_mul_f64 v[49:50], v[41:42], s[30:31]
	s_and_b64 s[24:25], s[24:25], s[26:27]
	v_add_f64 v[37:38], v[39:40], v[35:36]
	v_ldexp_f64 v[31:32], v[31:32], 1
	v_add_f64 v[33:34], v[37:38], -v[39:40]
	v_fma_f64 v[39:40], v[41:42], s[30:31], -v[49:50]
	v_add_f64 v[33:34], v[35:36], -v[33:34]
	v_fma_f64 v[35:36], v[41:42], s[34:35], v[39:40]
	v_add_f64 v[31:32], v[31:32], v[33:34]
	v_add_f64 v[33:34], v[49:50], v[35:36]
	;; [unrolled: 1-line block ×3, first 2 shown]
	v_add_f64 v[49:50], v[33:34], -v[49:50]
	v_add_f64 v[41:42], v[33:34], v[39:40]
	v_add_f64 v[37:38], v[39:40], -v[37:38]
	v_add_f64 v[35:36], v[35:36], -v[49:50]
	;; [unrolled: 1-line block ×6, first 2 shown]
	v_add_f64 v[39:40], v[35:36], v[31:32]
	v_add_f64 v[33:34], v[33:34], -v[53:54]
	v_add_f64 v[33:34], v[37:38], v[33:34]
	v_add_f64 v[37:38], v[39:40], -v[35:36]
	;; [unrolled: 2-line block ×3, first 2 shown]
	v_add_f64 v[31:32], v[31:32], -v[37:38]
	v_add_f64 v[49:50], v[41:42], v[33:34]
	v_add_f64 v[35:36], v[35:36], -v[39:40]
	v_add_f64 v[37:38], v[49:50], -v[41:42]
	v_add_f64 v[31:32], v[31:32], v[35:36]
	v_add_f64 v[33:34], v[33:34], -v[37:38]
	v_add_f64 v[31:32], v[31:32], v[33:34]
	v_mov_b32_e32 v33, 0x7ff80000
	v_mov_b32_e32 v34, 0xfff00000
	v_add_f64 v[31:32], v[49:50], v[31:32]
	v_cndmask_b32_e64 v31, 0, v31, s[24:25]
	v_cmp_ngt_f64_e64 s[24:25], -1.0, v[23:24]
	v_cndmask_b32_e64 v32, v60, v32, s[26:27]
	v_cndmask_b32_e64 v32, v33, v32, s[24:25]
	v_cmp_neq_f64_e64 s[24:25], -1.0, v[23:24]
	v_cndmask_b32_e64 v32, v34, v32, s[24:25]
	v_add_f64 v[49:50], v[21:22], v[31:32]
.LBB79_26:
	s_or_b64 exec, exec, s[28:29]
	v_max_f64 v[31:32], v[13:14], v[13:14]
	v_max_f64 v[21:22], v[49:50], v[49:50]
	v_cmp_u_f64_e64 s[24:25], v[49:50], v[49:50]
	v_cmp_u_f64_e64 s[26:27], v[13:14], v[13:14]
	v_min_f64 v[23:24], v[21:22], v[31:32]
	v_max_f64 v[21:22], v[21:22], v[31:32]
	v_cndmask_b32_e64 v23, v23, v49, s[24:25]
	v_cndmask_b32_e64 v24, v24, v50, s[24:25]
	;; [unrolled: 1-line block ×8, first 2 shown]
	v_cmp_neq_f64_e64 s[24:25], v[23:24], v[21:22]
	v_cmp_class_f64_e64 s[28:29], v[23:24], s33
	s_or_b64 s[24:25], s[24:25], s[28:29]
	s_and_saveexec_b64 s[30:31], s[24:25]
	s_cbranch_execz .LBB79_28
; %bb.27:
	v_add_f64 v[23:24], v[23:24], -v[21:22]
	s_mov_b32 s24, 0x652b82fe
	s_mov_b32 s25, 0x3ff71547
	s_mov_b32 s35, 0xbfe62e42
	s_mov_b32 s34, 0xfefa39ef
	s_mov_b32 s37, 0xbc7abc9e
	s_mov_b32 s36, 0x3b39803f
	v_mov_b32_e32 v37, 0xfca7ab0c
	v_mul_f64 v[33:34], v[23:24], s[24:25]
	s_mov_b32 s24, 0x6a5dcb37
	v_mov_b32_e32 v38, 0x3e928af3
	s_mov_b32 s25, 0x3e5ade15
	s_mov_b32 s28, 0
	;; [unrolled: 1-line block ×3, first 2 shown]
	v_cmp_ngt_f64_e64 s[28:29], s[28:29], v[23:24]
	v_mov_b32_e32 v62, 0x7ff00000
	v_rndne_f64_e32 v[33:34], v[33:34]
	v_fma_f64 v[35:36], v[33:34], s[34:35], v[23:24]
	s_mov_b32 s35, 0x3fe62e42
	v_fma_f64 v[35:36], v[33:34], s[36:37], v[35:36]
	v_cvt_i32_f64_e32 v33, v[33:34]
	s_mov_b32 s37, 0x3c7abc9e
	v_fma_f64 v[37:38], v[35:36], s[24:25], v[37:38]
	s_mov_b32 s24, 0x623fde64
	s_mov_b32 s25, 0x3ec71dee
	v_fma_f64 v[37:38], v[35:36], v[37:38], s[24:25]
	s_mov_b32 s24, 0x7c89e6b0
	s_mov_b32 s25, 0x3efa0199
	v_fma_f64 v[37:38], v[35:36], v[37:38], s[24:25]
	s_mov_b32 s24, 0x14761f6e
	s_mov_b32 s25, 0x3f2a01a0
	v_fma_f64 v[37:38], v[35:36], v[37:38], s[24:25]
	s_mov_b32 s24, 0x1852b7b0
	s_mov_b32 s25, 0x3f56c16c
	v_fma_f64 v[37:38], v[35:36], v[37:38], s[24:25]
	s_mov_b32 s24, 0x11122322
	s_mov_b32 s25, 0x3f811111
	v_fma_f64 v[37:38], v[35:36], v[37:38], s[24:25]
	s_mov_b32 s24, 0x555502a1
	s_mov_b32 s25, 0x3fa55555
	v_fma_f64 v[37:38], v[35:36], v[37:38], s[24:25]
	s_mov_b32 s24, 0x55555511
	s_mov_b32 s25, 0x3fc55555
	v_fma_f64 v[37:38], v[35:36], v[37:38], s[24:25]
	s_mov_b32 s24, 11
	s_mov_b32 s25, 0x3fe00000
	v_fma_f64 v[37:38], v[35:36], v[37:38], s[24:25]
	s_mov_b32 s24, 0
	s_mov_b32 s25, 0x40900000
	v_cmp_nlt_f64_e64 s[24:25], s[24:25], v[23:24]
	v_fma_f64 v[37:38], v[35:36], v[37:38], 1.0
	v_fma_f64 v[35:36], v[35:36], v[37:38], 1.0
	v_ldexp_f64 v[33:34], v[35:36], v33
	v_cndmask_b32_e64 v34, v62, v34, s[24:25]
	s_and_b64 s[24:25], s[28:29], s[24:25]
	v_cndmask_b32_e64 v24, 0, v34, s[28:29]
	v_cndmask_b32_e64 v23, 0, v33, s[24:25]
	v_add_f64 v[33:34], v[23:24], 1.0
	s_mov_b32 s29, 0x3fe55555
	s_mov_b32 s28, 0x55555555
	v_frexp_mant_f64_e32 v[37:38], v[33:34]
	v_frexp_exp_i32_f64_e32 v41, v[33:34]
	v_add_f64 v[35:36], v[33:34], -1.0
	v_cmp_gt_f64_e64 s[24:25], s[28:29], v[37:38]
	s_mov_b32 s28, 0x55555780
	v_add_f64 v[39:40], v[35:36], -v[33:34]
	v_add_f64 v[35:36], v[23:24], -v[35:36]
	v_subbrev_co_u32_e64 v63, s[24:25], 0, v41, s[24:25]
	v_sub_u32_e32 v41, 0, v63
	v_ldexp_f64 v[33:34], v[33:34], v41
	v_add_f64 v[37:38], v[39:40], 1.0
	s_mov_b32 s24, 0xbf559e2b
	s_mov_b32 s25, 0x3fc3ab76
	v_add_f64 v[39:40], v[33:34], 1.0
	v_add_f64 v[35:36], v[35:36], v[37:38]
	v_add_f64 v[51:52], v[33:34], -1.0
	v_add_f64 v[37:38], v[39:40], -1.0
	v_ldexp_f64 v[35:36], v[35:36], v41
	v_add_f64 v[53:54], v[51:52], 1.0
	v_add_f64 v[37:38], v[33:34], -v[37:38]
	v_add_f64 v[33:34], v[33:34], -v[53:54]
	v_add_f64 v[37:38], v[35:36], v[37:38]
	v_add_f64 v[33:34], v[35:36], v[33:34]
	;; [unrolled: 1-line block ×4, first 2 shown]
	v_rcp_f64_e32 v[49:50], v[41:42]
	v_add_f64 v[39:40], v[41:42], -v[39:40]
	v_add_f64 v[51:52], v[53:54], -v[51:52]
	;; [unrolled: 1-line block ×4, first 2 shown]
	v_fma_f64 v[55:56], -v[41:42], v[49:50], 1.0
	v_fma_f64 v[49:50], v[55:56], v[49:50], v[49:50]
	v_fma_f64 v[35:36], -v[41:42], v[49:50], 1.0
	v_fma_f64 v[35:36], v[35:36], v[49:50], v[49:50]
	v_mul_f64 v[49:50], v[53:54], v[35:36]
	v_mul_f64 v[55:56], v[41:42], v[49:50]
	v_fma_f64 v[39:40], v[49:50], v[41:42], -v[55:56]
	v_fma_f64 v[39:40], v[49:50], v[37:38], v[39:40]
	v_add_f64 v[58:59], v[55:56], v[39:40]
	v_add_f64 v[60:61], v[53:54], -v[58:59]
	v_add_f64 v[51:52], v[58:59], -v[55:56]
	;; [unrolled: 1-line block ×5, first 2 shown]
	v_add_f64 v[33:34], v[33:34], v[53:54]
	v_add_f64 v[33:34], v[39:40], v[33:34]
	v_add_f64 v[39:40], v[60:61], v[33:34]
	v_mul_f64 v[51:52], v[35:36], v[39:40]
	v_add_f64 v[58:59], v[60:61], -v[39:40]
	v_mul_f64 v[53:54], v[41:42], v[51:52]
	v_add_f64 v[33:34], v[33:34], v[58:59]
	v_fma_f64 v[41:42], v[51:52], v[41:42], -v[53:54]
	v_fma_f64 v[37:38], v[51:52], v[37:38], v[41:42]
	v_add_f64 v[41:42], v[53:54], v[37:38]
	v_add_f64 v[55:56], v[39:40], -v[41:42]
	v_add_f64 v[53:54], v[41:42], -v[53:54]
	;; [unrolled: 1-line block ×5, first 2 shown]
	v_mov_b32_e32 v41, 0x6b47b09a
	v_mov_b32_e32 v42, 0x3fc38538
	v_add_f64 v[33:34], v[33:34], v[39:40]
	v_add_f64 v[39:40], v[49:50], v[51:52]
	;; [unrolled: 1-line block ×3, first 2 shown]
	v_add_f64 v[37:38], v[39:40], -v[49:50]
	v_add_f64 v[33:34], v[55:56], v[33:34]
	v_add_f64 v[37:38], v[51:52], -v[37:38]
	v_mul_f64 v[33:34], v[35:36], v[33:34]
	v_add_f64 v[33:34], v[37:38], v[33:34]
	v_add_f64 v[35:36], v[39:40], v[33:34]
	v_mul_f64 v[37:38], v[35:36], v[35:36]
	v_fma_f64 v[41:42], v[37:38], s[24:25], v[41:42]
	s_mov_b32 s24, 0xd7f4df2e
	s_mov_b32 s25, 0x3fc7474d
	v_mul_f64 v[49:50], v[35:36], v[37:38]
	v_fma_f64 v[41:42], v[37:38], v[41:42], s[24:25]
	s_mov_b32 s24, 0x16291751
	s_mov_b32 s25, 0x3fcc71c0
	v_fma_f64 v[41:42], v[37:38], v[41:42], s[24:25]
	s_mov_b32 s24, 0x9b27acf1
	s_mov_b32 s25, 0x3fd24924
	;; [unrolled: 3-line block ×3, first 2 shown]
	v_fma_f64 v[41:42], v[37:38], v[41:42], s[24:25]
	v_cmp_nge_f64_e64 s[24:25], -1.0, v[23:24]
	v_fma_f64 v[37:38], v[37:38], v[41:42], s[28:29]
	v_ldexp_f64 v[41:42], v[35:36], 1
	v_add_f64 v[35:36], v[35:36], -v[39:40]
	s_mov_b32 s28, 0
	s_mov_b32 s29, 0x7ff00000
	v_cmp_neq_f64_e64 s[28:29], s[28:29], v[23:24]
	v_mul_f64 v[37:38], v[49:50], v[37:38]
	v_cvt_f64_i32_e32 v[49:50], v63
	v_add_f64 v[33:34], v[33:34], -v[35:36]
	v_mul_f64 v[51:52], v[49:50], s[34:35]
	s_and_b64 s[24:25], s[24:25], s[28:29]
	v_add_f64 v[39:40], v[41:42], v[37:38]
	v_ldexp_f64 v[33:34], v[33:34], 1
	v_add_f64 v[35:36], v[39:40], -v[41:42]
	v_fma_f64 v[41:42], v[49:50], s[34:35], -v[51:52]
	v_add_f64 v[35:36], v[37:38], -v[35:36]
	v_fma_f64 v[37:38], v[49:50], s[36:37], v[41:42]
	v_add_f64 v[33:34], v[33:34], v[35:36]
	v_add_f64 v[35:36], v[51:52], v[37:38]
	;; [unrolled: 1-line block ×3, first 2 shown]
	v_add_f64 v[51:52], v[35:36], -v[51:52]
	v_add_f64 v[49:50], v[35:36], v[41:42]
	v_add_f64 v[39:40], v[41:42], -v[39:40]
	v_add_f64 v[37:38], v[37:38], -v[51:52]
	;; [unrolled: 1-line block ×6, first 2 shown]
	v_add_f64 v[41:42], v[37:38], v[33:34]
	v_add_f64 v[35:36], v[35:36], -v[55:56]
	v_add_f64 v[35:36], v[39:40], v[35:36]
	v_add_f64 v[39:40], v[41:42], -v[37:38]
	;; [unrolled: 2-line block ×3, first 2 shown]
	v_add_f64 v[33:34], v[33:34], -v[39:40]
	v_add_f64 v[51:52], v[49:50], v[35:36]
	v_add_f64 v[37:38], v[37:38], -v[41:42]
	v_add_f64 v[39:40], v[51:52], -v[49:50]
	v_add_f64 v[33:34], v[33:34], v[37:38]
	v_add_f64 v[35:36], v[35:36], -v[39:40]
	v_add_f64 v[33:34], v[33:34], v[35:36]
	v_mov_b32_e32 v35, 0x7ff80000
	v_mov_b32_e32 v36, 0xfff00000
	v_add_f64 v[33:34], v[51:52], v[33:34]
	v_cndmask_b32_e64 v33, 0, v33, s[24:25]
	v_cmp_ngt_f64_e64 s[24:25], -1.0, v[23:24]
	v_cndmask_b32_e64 v34, v62, v34, s[28:29]
	v_cndmask_b32_e64 v34, v35, v34, s[24:25]
	v_cmp_neq_f64_e64 s[24:25], -1.0, v[23:24]
	v_cndmask_b32_e64 v34, v36, v34, s[24:25]
	v_add_f64 v[49:50], v[21:22], v[33:34]
.LBB79_28:
	s_or_b64 exec, exec, s[30:31]
	v_max_f64 v[33:34], v[15:16], v[15:16]
	v_max_f64 v[21:22], v[49:50], v[49:50]
	v_cmp_u_f64_e64 s[28:29], v[49:50], v[49:50]
	v_cmp_u_f64_e64 s[24:25], v[15:16], v[15:16]
	v_min_f64 v[23:24], v[21:22], v[33:34]
	v_max_f64 v[21:22], v[21:22], v[33:34]
	v_cndmask_b32_e64 v23, v23, v49, s[28:29]
	v_cndmask_b32_e64 v24, v24, v50, s[28:29]
	;; [unrolled: 1-line block ×8, first 2 shown]
	v_cmp_neq_f64_e64 s[28:29], v[23:24], v[21:22]
	v_cmp_class_f64_e64 s[30:31], v[23:24], s33
	s_or_b64 s[28:29], s[28:29], s[30:31]
	s_and_saveexec_b64 s[34:35], s[28:29]
	s_cbranch_execz .LBB79_30
; %bb.29:
	v_add_f64 v[23:24], v[23:24], -v[21:22]
	s_mov_b32 s28, 0x652b82fe
	s_mov_b32 s29, 0x3ff71547
	;; [unrolled: 1-line block ×6, first 2 shown]
	v_mov_b32_e32 v39, 0xfca7ab0c
	v_mul_f64 v[35:36], v[23:24], s[28:29]
	s_mov_b32 s28, 0x6a5dcb37
	v_mov_b32_e32 v40, 0x3e928af3
	s_mov_b32 s29, 0x3e5ade15
	s_mov_b32 s30, 0
	;; [unrolled: 1-line block ×3, first 2 shown]
	v_cmp_ngt_f64_e64 s[30:31], s[30:31], v[23:24]
	v_mov_b32_e32 v64, 0x7ff00000
	v_rndne_f64_e32 v[35:36], v[35:36]
	v_fma_f64 v[37:38], v[35:36], s[36:37], v[23:24]
	s_mov_b32 s37, 0x3fe62e42
	v_fma_f64 v[37:38], v[35:36], s[42:43], v[37:38]
	v_cvt_i32_f64_e32 v35, v[35:36]
	s_mov_b32 s43, 0x3c7abc9e
	v_fma_f64 v[39:40], v[37:38], s[28:29], v[39:40]
	s_mov_b32 s28, 0x623fde64
	s_mov_b32 s29, 0x3ec71dee
	v_fma_f64 v[39:40], v[37:38], v[39:40], s[28:29]
	s_mov_b32 s28, 0x7c89e6b0
	;; [unrolled: 3-line block ×9, first 2 shown]
	s_mov_b32 s29, 0x40900000
	v_cmp_nlt_f64_e64 s[28:29], s[28:29], v[23:24]
	v_fma_f64 v[39:40], v[37:38], v[39:40], 1.0
	v_fma_f64 v[37:38], v[37:38], v[39:40], 1.0
	v_ldexp_f64 v[35:36], v[37:38], v35
	v_cndmask_b32_e64 v36, v64, v36, s[28:29]
	s_and_b64 s[28:29], s[30:31], s[28:29]
	v_cndmask_b32_e64 v24, 0, v36, s[30:31]
	v_cndmask_b32_e64 v23, 0, v35, s[28:29]
	v_add_f64 v[35:36], v[23:24], 1.0
	s_mov_b32 s31, 0x3fe55555
	s_mov_b32 s30, 0x55555555
	v_frexp_mant_f64_e32 v[39:40], v[35:36]
	v_frexp_exp_i32_f64_e32 v49, v[35:36]
	v_add_f64 v[37:38], v[35:36], -1.0
	v_cmp_gt_f64_e64 s[28:29], s[30:31], v[39:40]
	s_mov_b32 s30, 0x55555780
	v_add_f64 v[41:42], v[37:38], -v[35:36]
	v_add_f64 v[37:38], v[23:24], -v[37:38]
	v_subbrev_co_u32_e64 v65, s[28:29], 0, v49, s[28:29]
	v_sub_u32_e32 v49, 0, v65
	v_ldexp_f64 v[35:36], v[35:36], v49
	v_add_f64 v[39:40], v[41:42], 1.0
	s_mov_b32 s28, 0xbf559e2b
	s_mov_b32 s29, 0x3fc3ab76
	v_add_f64 v[41:42], v[35:36], 1.0
	v_add_f64 v[37:38], v[37:38], v[39:40]
	v_add_f64 v[53:54], v[35:36], -1.0
	v_add_f64 v[39:40], v[41:42], -1.0
	v_ldexp_f64 v[37:38], v[37:38], v49
	v_add_f64 v[55:56], v[53:54], 1.0
	v_add_f64 v[39:40], v[35:36], -v[39:40]
	v_add_f64 v[35:36], v[35:36], -v[55:56]
	v_add_f64 v[39:40], v[37:38], v[39:40]
	v_add_f64 v[35:36], v[37:38], v[35:36]
	;; [unrolled: 1-line block ×4, first 2 shown]
	v_rcp_f64_e32 v[51:52], v[49:50]
	v_add_f64 v[41:42], v[49:50], -v[41:42]
	v_add_f64 v[53:54], v[55:56], -v[53:54]
	;; [unrolled: 1-line block ×4, first 2 shown]
	v_fma_f64 v[58:59], -v[49:50], v[51:52], 1.0
	v_fma_f64 v[51:52], v[58:59], v[51:52], v[51:52]
	v_fma_f64 v[37:38], -v[49:50], v[51:52], 1.0
	v_fma_f64 v[37:38], v[37:38], v[51:52], v[51:52]
	v_mul_f64 v[51:52], v[55:56], v[37:38]
	v_mul_f64 v[58:59], v[49:50], v[51:52]
	v_fma_f64 v[41:42], v[51:52], v[49:50], -v[58:59]
	v_fma_f64 v[41:42], v[51:52], v[39:40], v[41:42]
	v_add_f64 v[60:61], v[58:59], v[41:42]
	v_add_f64 v[62:63], v[55:56], -v[60:61]
	v_add_f64 v[53:54], v[60:61], -v[58:59]
	v_add_f64 v[55:56], v[55:56], -v[62:63]
	v_add_f64 v[41:42], v[53:54], -v[41:42]
	v_add_f64 v[55:56], v[55:56], -v[60:61]
	v_add_f64 v[35:36], v[35:36], v[55:56]
	v_add_f64 v[35:36], v[41:42], v[35:36]
	;; [unrolled: 1-line block ×3, first 2 shown]
	v_mul_f64 v[53:54], v[37:38], v[41:42]
	v_add_f64 v[60:61], v[62:63], -v[41:42]
	v_mul_f64 v[55:56], v[49:50], v[53:54]
	v_add_f64 v[35:36], v[35:36], v[60:61]
	v_fma_f64 v[49:50], v[53:54], v[49:50], -v[55:56]
	v_fma_f64 v[39:40], v[53:54], v[39:40], v[49:50]
	v_add_f64 v[49:50], v[55:56], v[39:40]
	v_add_f64 v[58:59], v[41:42], -v[49:50]
	v_add_f64 v[55:56], v[49:50], -v[55:56]
	;; [unrolled: 1-line block ×5, first 2 shown]
	v_mov_b32_e32 v49, 0x6b47b09a
	v_mov_b32_e32 v50, 0x3fc38538
	v_add_f64 v[35:36], v[35:36], v[41:42]
	v_add_f64 v[41:42], v[51:52], v[53:54]
	;; [unrolled: 1-line block ×3, first 2 shown]
	v_add_f64 v[39:40], v[41:42], -v[51:52]
	v_add_f64 v[35:36], v[58:59], v[35:36]
	v_add_f64 v[39:40], v[53:54], -v[39:40]
	v_mul_f64 v[35:36], v[37:38], v[35:36]
	v_add_f64 v[35:36], v[39:40], v[35:36]
	v_add_f64 v[37:38], v[41:42], v[35:36]
	v_mul_f64 v[39:40], v[37:38], v[37:38]
	v_fma_f64 v[49:50], v[39:40], s[28:29], v[49:50]
	s_mov_b32 s28, 0xd7f4df2e
	s_mov_b32 s29, 0x3fc7474d
	v_mul_f64 v[51:52], v[37:38], v[39:40]
	v_fma_f64 v[49:50], v[39:40], v[49:50], s[28:29]
	s_mov_b32 s28, 0x16291751
	s_mov_b32 s29, 0x3fcc71c0
	v_fma_f64 v[49:50], v[39:40], v[49:50], s[28:29]
	s_mov_b32 s28, 0x9b27acf1
	s_mov_b32 s29, 0x3fd24924
	;; [unrolled: 3-line block ×3, first 2 shown]
	v_fma_f64 v[49:50], v[39:40], v[49:50], s[28:29]
	v_cmp_nge_f64_e64 s[28:29], -1.0, v[23:24]
	v_fma_f64 v[39:40], v[39:40], v[49:50], s[30:31]
	v_ldexp_f64 v[49:50], v[37:38], 1
	v_add_f64 v[37:38], v[37:38], -v[41:42]
	s_mov_b32 s30, 0
	s_mov_b32 s31, 0x7ff00000
	v_cmp_neq_f64_e64 s[30:31], s[30:31], v[23:24]
	v_mul_f64 v[39:40], v[51:52], v[39:40]
	v_cvt_f64_i32_e32 v[51:52], v65
	v_add_f64 v[35:36], v[35:36], -v[37:38]
	v_mul_f64 v[53:54], v[51:52], s[36:37]
	s_and_b64 s[28:29], s[28:29], s[30:31]
	v_add_f64 v[41:42], v[49:50], v[39:40]
	v_ldexp_f64 v[35:36], v[35:36], 1
	v_add_f64 v[37:38], v[41:42], -v[49:50]
	v_fma_f64 v[49:50], v[51:52], s[36:37], -v[53:54]
	v_add_f64 v[37:38], v[39:40], -v[37:38]
	v_fma_f64 v[39:40], v[51:52], s[42:43], v[49:50]
	v_add_f64 v[35:36], v[35:36], v[37:38]
	v_add_f64 v[37:38], v[53:54], v[39:40]
	;; [unrolled: 1-line block ×3, first 2 shown]
	v_add_f64 v[53:54], v[37:38], -v[53:54]
	v_add_f64 v[51:52], v[37:38], v[49:50]
	v_add_f64 v[41:42], v[49:50], -v[41:42]
	v_add_f64 v[39:40], v[39:40], -v[53:54]
	;; [unrolled: 1-line block ×6, first 2 shown]
	v_add_f64 v[49:50], v[39:40], v[35:36]
	v_add_f64 v[37:38], v[37:38], -v[58:59]
	v_add_f64 v[37:38], v[41:42], v[37:38]
	v_add_f64 v[41:42], v[49:50], -v[39:40]
	;; [unrolled: 2-line block ×3, first 2 shown]
	v_add_f64 v[35:36], v[35:36], -v[41:42]
	v_add_f64 v[53:54], v[51:52], v[37:38]
	v_add_f64 v[39:40], v[39:40], -v[49:50]
	v_add_f64 v[41:42], v[53:54], -v[51:52]
	v_add_f64 v[35:36], v[35:36], v[39:40]
	v_add_f64 v[37:38], v[37:38], -v[41:42]
	v_add_f64 v[35:36], v[35:36], v[37:38]
	v_mov_b32_e32 v37, 0x7ff80000
	v_mov_b32_e32 v38, 0xfff00000
	v_add_f64 v[35:36], v[53:54], v[35:36]
	v_cndmask_b32_e64 v35, 0, v35, s[28:29]
	v_cmp_ngt_f64_e64 s[28:29], -1.0, v[23:24]
	v_cndmask_b32_e64 v36, v64, v36, s[30:31]
	v_cndmask_b32_e64 v36, v37, v36, s[28:29]
	v_cmp_neq_f64_e64 s[28:29], -1.0, v[23:24]
	v_cndmask_b32_e64 v36, v38, v36, s[28:29]
	v_add_f64 v[49:50], v[21:22], v[35:36]
.LBB79_30:
	s_or_b64 exec, exec, s[34:35]
	v_max_f64 v[35:36], v[9:10], v[9:10]
	v_max_f64 v[21:22], v[49:50], v[49:50]
	v_cmp_u_f64_e64 s[28:29], v[49:50], v[49:50]
	v_cmp_u_f64_e64 s[30:31], v[9:10], v[9:10]
	v_min_f64 v[23:24], v[21:22], v[35:36]
	v_max_f64 v[21:22], v[21:22], v[35:36]
	v_cndmask_b32_e64 v23, v23, v49, s[28:29]
	v_cndmask_b32_e64 v24, v24, v50, s[28:29]
	;; [unrolled: 1-line block ×8, first 2 shown]
	v_cmp_neq_f64_e64 s[28:29], v[23:24], v[21:22]
	v_cmp_class_f64_e64 s[34:35], v[23:24], s33
	s_or_b64 s[28:29], s[28:29], s[34:35]
	s_and_saveexec_b64 s[36:37], s[28:29]
	s_cbranch_execz .LBB79_32
; %bb.31:
	v_add_f64 v[23:24], v[23:24], -v[21:22]
	s_mov_b32 s28, 0x652b82fe
	s_mov_b32 s29, 0x3ff71547
	;; [unrolled: 1-line block ×6, first 2 shown]
	v_mov_b32_e32 v41, 0xfca7ab0c
	v_mul_f64 v[37:38], v[23:24], s[28:29]
	s_mov_b32 s28, 0x6a5dcb37
	v_mov_b32_e32 v42, 0x3e928af3
	s_mov_b32 s29, 0x3e5ade15
	s_mov_b32 s34, 0
	;; [unrolled: 1-line block ×3, first 2 shown]
	v_cmp_ngt_f64_e64 s[34:35], s[34:35], v[23:24]
	v_mov_b32_e32 v66, 0x7ff00000
	v_rndne_f64_e32 v[37:38], v[37:38]
	v_fma_f64 v[39:40], v[37:38], s[42:43], v[23:24]
	s_mov_b32 s43, 0x3fe62e42
	v_fma_f64 v[39:40], v[37:38], s[44:45], v[39:40]
	v_cvt_i32_f64_e32 v37, v[37:38]
	s_mov_b32 s45, 0x3c7abc9e
	v_fma_f64 v[41:42], v[39:40], s[28:29], v[41:42]
	s_mov_b32 s28, 0x623fde64
	s_mov_b32 s29, 0x3ec71dee
	v_fma_f64 v[41:42], v[39:40], v[41:42], s[28:29]
	s_mov_b32 s28, 0x7c89e6b0
	;; [unrolled: 3-line block ×9, first 2 shown]
	s_mov_b32 s29, 0x40900000
	v_cmp_nlt_f64_e64 s[28:29], s[28:29], v[23:24]
	v_fma_f64 v[41:42], v[39:40], v[41:42], 1.0
	v_fma_f64 v[39:40], v[39:40], v[41:42], 1.0
	v_ldexp_f64 v[37:38], v[39:40], v37
	v_cndmask_b32_e64 v38, v66, v38, s[28:29]
	s_and_b64 s[28:29], s[34:35], s[28:29]
	v_cndmask_b32_e64 v24, 0, v38, s[34:35]
	v_cndmask_b32_e64 v23, 0, v37, s[28:29]
	v_add_f64 v[37:38], v[23:24], 1.0
	s_mov_b32 s35, 0x3fe55555
	s_mov_b32 s34, 0x55555555
	v_frexp_mant_f64_e32 v[41:42], v[37:38]
	v_frexp_exp_i32_f64_e32 v51, v[37:38]
	v_add_f64 v[39:40], v[37:38], -1.0
	v_cmp_gt_f64_e64 s[28:29], s[34:35], v[41:42]
	s_mov_b32 s34, 0x55555780
	v_add_f64 v[49:50], v[39:40], -v[37:38]
	v_add_f64 v[39:40], v[23:24], -v[39:40]
	v_subbrev_co_u32_e64 v67, s[28:29], 0, v51, s[28:29]
	v_sub_u32_e32 v51, 0, v67
	v_ldexp_f64 v[37:38], v[37:38], v51
	v_add_f64 v[41:42], v[49:50], 1.0
	s_mov_b32 s28, 0xbf559e2b
	s_mov_b32 s29, 0x3fc3ab76
	v_add_f64 v[49:50], v[37:38], 1.0
	v_add_f64 v[39:40], v[39:40], v[41:42]
	v_add_f64 v[55:56], v[37:38], -1.0
	v_add_f64 v[41:42], v[49:50], -1.0
	v_ldexp_f64 v[39:40], v[39:40], v51
	v_add_f64 v[58:59], v[55:56], 1.0
	v_add_f64 v[41:42], v[37:38], -v[41:42]
	v_add_f64 v[37:38], v[37:38], -v[58:59]
	v_add_f64 v[41:42], v[39:40], v[41:42]
	v_add_f64 v[37:38], v[39:40], v[37:38]
	;; [unrolled: 1-line block ×4, first 2 shown]
	v_rcp_f64_e32 v[53:54], v[51:52]
	v_add_f64 v[49:50], v[51:52], -v[49:50]
	v_add_f64 v[55:56], v[58:59], -v[55:56]
	;; [unrolled: 1-line block ×4, first 2 shown]
	v_fma_f64 v[60:61], -v[51:52], v[53:54], 1.0
	v_fma_f64 v[53:54], v[60:61], v[53:54], v[53:54]
	v_fma_f64 v[39:40], -v[51:52], v[53:54], 1.0
	v_fma_f64 v[39:40], v[39:40], v[53:54], v[53:54]
	v_mul_f64 v[53:54], v[58:59], v[39:40]
	v_mul_f64 v[60:61], v[51:52], v[53:54]
	v_fma_f64 v[49:50], v[53:54], v[51:52], -v[60:61]
	v_fma_f64 v[49:50], v[53:54], v[41:42], v[49:50]
	v_add_f64 v[62:63], v[60:61], v[49:50]
	v_add_f64 v[64:65], v[58:59], -v[62:63]
	v_add_f64 v[55:56], v[62:63], -v[60:61]
	;; [unrolled: 1-line block ×5, first 2 shown]
	v_add_f64 v[37:38], v[37:38], v[58:59]
	v_add_f64 v[37:38], v[49:50], v[37:38]
	;; [unrolled: 1-line block ×3, first 2 shown]
	v_mul_f64 v[55:56], v[39:40], v[49:50]
	v_add_f64 v[62:63], v[64:65], -v[49:50]
	v_mul_f64 v[58:59], v[51:52], v[55:56]
	v_add_f64 v[37:38], v[37:38], v[62:63]
	v_fma_f64 v[51:52], v[55:56], v[51:52], -v[58:59]
	v_fma_f64 v[41:42], v[55:56], v[41:42], v[51:52]
	v_add_f64 v[51:52], v[58:59], v[41:42]
	v_add_f64 v[60:61], v[49:50], -v[51:52]
	v_add_f64 v[58:59], v[51:52], -v[58:59]
	;; [unrolled: 1-line block ×5, first 2 shown]
	v_mov_b32_e32 v51, 0x6b47b09a
	v_mov_b32_e32 v52, 0x3fc38538
	v_add_f64 v[37:38], v[37:38], v[49:50]
	v_add_f64 v[49:50], v[53:54], v[55:56]
	;; [unrolled: 1-line block ×3, first 2 shown]
	v_add_f64 v[41:42], v[49:50], -v[53:54]
	v_add_f64 v[37:38], v[60:61], v[37:38]
	v_add_f64 v[41:42], v[55:56], -v[41:42]
	v_mul_f64 v[37:38], v[39:40], v[37:38]
	v_add_f64 v[37:38], v[41:42], v[37:38]
	v_add_f64 v[39:40], v[49:50], v[37:38]
	v_mul_f64 v[41:42], v[39:40], v[39:40]
	v_fma_f64 v[51:52], v[41:42], s[28:29], v[51:52]
	s_mov_b32 s28, 0xd7f4df2e
	s_mov_b32 s29, 0x3fc7474d
	v_mul_f64 v[53:54], v[39:40], v[41:42]
	v_fma_f64 v[51:52], v[41:42], v[51:52], s[28:29]
	s_mov_b32 s28, 0x16291751
	s_mov_b32 s29, 0x3fcc71c0
	v_fma_f64 v[51:52], v[41:42], v[51:52], s[28:29]
	s_mov_b32 s28, 0x9b27acf1
	s_mov_b32 s29, 0x3fd24924
	;; [unrolled: 3-line block ×3, first 2 shown]
	v_fma_f64 v[51:52], v[41:42], v[51:52], s[28:29]
	v_cmp_nge_f64_e64 s[28:29], -1.0, v[23:24]
	v_fma_f64 v[41:42], v[41:42], v[51:52], s[34:35]
	v_ldexp_f64 v[51:52], v[39:40], 1
	v_add_f64 v[39:40], v[39:40], -v[49:50]
	s_mov_b32 s34, 0
	s_mov_b32 s35, 0x7ff00000
	v_cmp_neq_f64_e64 s[34:35], s[34:35], v[23:24]
	v_mul_f64 v[41:42], v[53:54], v[41:42]
	v_cvt_f64_i32_e32 v[53:54], v67
	v_add_f64 v[37:38], v[37:38], -v[39:40]
	v_mul_f64 v[55:56], v[53:54], s[42:43]
	s_and_b64 s[28:29], s[28:29], s[34:35]
	v_add_f64 v[49:50], v[51:52], v[41:42]
	v_ldexp_f64 v[37:38], v[37:38], 1
	v_add_f64 v[39:40], v[49:50], -v[51:52]
	v_fma_f64 v[51:52], v[53:54], s[42:43], -v[55:56]
	v_add_f64 v[39:40], v[41:42], -v[39:40]
	v_fma_f64 v[41:42], v[53:54], s[44:45], v[51:52]
	v_add_f64 v[37:38], v[37:38], v[39:40]
	v_add_f64 v[39:40], v[55:56], v[41:42]
	;; [unrolled: 1-line block ×3, first 2 shown]
	v_add_f64 v[55:56], v[39:40], -v[55:56]
	v_add_f64 v[53:54], v[39:40], v[51:52]
	v_add_f64 v[49:50], v[51:52], -v[49:50]
	v_add_f64 v[41:42], v[41:42], -v[55:56]
	;; [unrolled: 1-line block ×6, first 2 shown]
	v_add_f64 v[51:52], v[41:42], v[37:38]
	v_add_f64 v[39:40], v[39:40], -v[60:61]
	v_add_f64 v[39:40], v[49:50], v[39:40]
	v_add_f64 v[49:50], v[51:52], -v[41:42]
	;; [unrolled: 2-line block ×3, first 2 shown]
	v_add_f64 v[37:38], v[37:38], -v[49:50]
	v_add_f64 v[55:56], v[53:54], v[39:40]
	v_add_f64 v[41:42], v[41:42], -v[51:52]
	v_add_f64 v[49:50], v[55:56], -v[53:54]
	v_add_f64 v[37:38], v[37:38], v[41:42]
	v_add_f64 v[39:40], v[39:40], -v[49:50]
	v_add_f64 v[37:38], v[37:38], v[39:40]
	v_mov_b32_e32 v39, 0x7ff80000
	v_mov_b32_e32 v40, 0xfff00000
	v_add_f64 v[37:38], v[55:56], v[37:38]
	v_cndmask_b32_e64 v37, 0, v37, s[28:29]
	v_cmp_ngt_f64_e64 s[28:29], -1.0, v[23:24]
	v_cndmask_b32_e64 v38, v66, v38, s[34:35]
	v_cndmask_b32_e64 v38, v39, v38, s[28:29]
	v_cmp_neq_f64_e64 s[28:29], -1.0, v[23:24]
	v_cndmask_b32_e64 v38, v40, v38, s[28:29]
	v_add_f64 v[49:50], v[21:22], v[37:38]
.LBB79_32:
	s_or_b64 exec, exec, s[36:37]
	v_max_f64 v[37:38], v[11:12], v[11:12]
	v_max_f64 v[21:22], v[49:50], v[49:50]
	v_cmp_u_f64_e64 s[34:35], v[49:50], v[49:50]
	v_cmp_u_f64_e64 s[28:29], v[11:12], v[11:12]
	v_min_f64 v[23:24], v[21:22], v[37:38]
	v_max_f64 v[21:22], v[21:22], v[37:38]
	v_cndmask_b32_e64 v23, v23, v49, s[34:35]
	v_cndmask_b32_e64 v24, v24, v50, s[34:35]
	;; [unrolled: 1-line block ×8, first 2 shown]
	v_cmp_neq_f64_e64 s[34:35], v[23:24], v[21:22]
	v_cmp_class_f64_e64 s[36:37], v[23:24], s33
	s_or_b64 s[34:35], s[34:35], s[36:37]
	s_and_saveexec_b64 s[42:43], s[34:35]
	s_cbranch_execz .LBB79_34
; %bb.33:
	v_add_f64 v[23:24], v[23:24], -v[21:22]
	s_mov_b32 s34, 0x652b82fe
	s_mov_b32 s35, 0x3ff71547
	;; [unrolled: 1-line block ×6, first 2 shown]
	v_mov_b32_e32 v49, 0xfca7ab0c
	v_mul_f64 v[39:40], v[23:24], s[34:35]
	s_mov_b32 s34, 0x6a5dcb37
	v_mov_b32_e32 v50, 0x3e928af3
	s_mov_b32 s35, 0x3e5ade15
	s_mov_b32 s36, 0
	s_mov_b32 s37, 0xc090cc00
	v_cmp_ngt_f64_e64 s[36:37], s[36:37], v[23:24]
	v_mov_b32_e32 v68, 0x7ff00000
	v_rndne_f64_e32 v[39:40], v[39:40]
	v_fma_f64 v[41:42], v[39:40], s[44:45], v[23:24]
	s_mov_b32 s45, 0x3fe62e42
	v_fma_f64 v[41:42], v[39:40], s[46:47], v[41:42]
	v_cvt_i32_f64_e32 v39, v[39:40]
	s_mov_b32 s47, 0x3c7abc9e
	v_fma_f64 v[49:50], v[41:42], s[34:35], v[49:50]
	s_mov_b32 s34, 0x623fde64
	s_mov_b32 s35, 0x3ec71dee
	v_fma_f64 v[49:50], v[41:42], v[49:50], s[34:35]
	s_mov_b32 s34, 0x7c89e6b0
	;; [unrolled: 3-line block ×9, first 2 shown]
	s_mov_b32 s35, 0x40900000
	v_cmp_nlt_f64_e64 s[34:35], s[34:35], v[23:24]
	v_fma_f64 v[49:50], v[41:42], v[49:50], 1.0
	v_fma_f64 v[41:42], v[41:42], v[49:50], 1.0
	v_ldexp_f64 v[39:40], v[41:42], v39
	v_cndmask_b32_e64 v40, v68, v40, s[34:35]
	s_and_b64 s[34:35], s[36:37], s[34:35]
	v_cndmask_b32_e64 v24, 0, v40, s[36:37]
	v_cndmask_b32_e64 v23, 0, v39, s[34:35]
	v_add_f64 v[39:40], v[23:24], 1.0
	s_mov_b32 s37, 0x3fe55555
	s_mov_b32 s36, 0x55555555
	v_frexp_mant_f64_e32 v[49:50], v[39:40]
	v_frexp_exp_i32_f64_e32 v53, v[39:40]
	v_add_f64 v[41:42], v[39:40], -1.0
	v_cmp_gt_f64_e64 s[34:35], s[36:37], v[49:50]
	s_mov_b32 s36, 0x55555780
	v_add_f64 v[51:52], v[41:42], -v[39:40]
	v_add_f64 v[41:42], v[23:24], -v[41:42]
	v_subbrev_co_u32_e64 v69, s[34:35], 0, v53, s[34:35]
	v_sub_u32_e32 v53, 0, v69
	v_ldexp_f64 v[39:40], v[39:40], v53
	v_add_f64 v[49:50], v[51:52], 1.0
	s_mov_b32 s34, 0xbf559e2b
	s_mov_b32 s35, 0x3fc3ab76
	v_add_f64 v[51:52], v[39:40], 1.0
	v_add_f64 v[41:42], v[41:42], v[49:50]
	v_add_f64 v[58:59], v[39:40], -1.0
	v_add_f64 v[49:50], v[51:52], -1.0
	v_ldexp_f64 v[41:42], v[41:42], v53
	v_add_f64 v[60:61], v[58:59], 1.0
	v_add_f64 v[49:50], v[39:40], -v[49:50]
	v_add_f64 v[39:40], v[39:40], -v[60:61]
	v_add_f64 v[49:50], v[41:42], v[49:50]
	v_add_f64 v[39:40], v[41:42], v[39:40]
	;; [unrolled: 1-line block ×4, first 2 shown]
	v_rcp_f64_e32 v[55:56], v[53:54]
	v_add_f64 v[51:52], v[53:54], -v[51:52]
	v_add_f64 v[58:59], v[60:61], -v[58:59]
	;; [unrolled: 1-line block ×4, first 2 shown]
	v_fma_f64 v[62:63], -v[53:54], v[55:56], 1.0
	v_fma_f64 v[55:56], v[62:63], v[55:56], v[55:56]
	v_fma_f64 v[41:42], -v[53:54], v[55:56], 1.0
	v_fma_f64 v[41:42], v[41:42], v[55:56], v[55:56]
	v_mul_f64 v[55:56], v[60:61], v[41:42]
	v_mul_f64 v[62:63], v[53:54], v[55:56]
	v_fma_f64 v[51:52], v[55:56], v[53:54], -v[62:63]
	v_fma_f64 v[51:52], v[55:56], v[49:50], v[51:52]
	v_add_f64 v[64:65], v[62:63], v[51:52]
	v_add_f64 v[66:67], v[60:61], -v[64:65]
	v_add_f64 v[58:59], v[64:65], -v[62:63]
	;; [unrolled: 1-line block ×5, first 2 shown]
	v_add_f64 v[39:40], v[39:40], v[60:61]
	v_add_f64 v[39:40], v[51:52], v[39:40]
	;; [unrolled: 1-line block ×3, first 2 shown]
	v_mul_f64 v[58:59], v[41:42], v[51:52]
	v_add_f64 v[64:65], v[66:67], -v[51:52]
	v_mul_f64 v[60:61], v[53:54], v[58:59]
	v_add_f64 v[39:40], v[39:40], v[64:65]
	v_fma_f64 v[53:54], v[58:59], v[53:54], -v[60:61]
	v_fma_f64 v[49:50], v[58:59], v[49:50], v[53:54]
	v_add_f64 v[53:54], v[60:61], v[49:50]
	v_add_f64 v[62:63], v[51:52], -v[53:54]
	v_add_f64 v[60:61], v[53:54], -v[60:61]
	;; [unrolled: 1-line block ×5, first 2 shown]
	v_mov_b32_e32 v53, 0x6b47b09a
	v_mov_b32_e32 v54, 0x3fc38538
	v_add_f64 v[39:40], v[39:40], v[51:52]
	v_add_f64 v[51:52], v[55:56], v[58:59]
	;; [unrolled: 1-line block ×3, first 2 shown]
	v_add_f64 v[49:50], v[51:52], -v[55:56]
	v_add_f64 v[39:40], v[62:63], v[39:40]
	v_add_f64 v[49:50], v[58:59], -v[49:50]
	v_mul_f64 v[39:40], v[41:42], v[39:40]
	v_add_f64 v[39:40], v[49:50], v[39:40]
	v_add_f64 v[41:42], v[51:52], v[39:40]
	v_mul_f64 v[49:50], v[41:42], v[41:42]
	v_fma_f64 v[53:54], v[49:50], s[34:35], v[53:54]
	s_mov_b32 s34, 0xd7f4df2e
	s_mov_b32 s35, 0x3fc7474d
	v_mul_f64 v[55:56], v[41:42], v[49:50]
	v_fma_f64 v[53:54], v[49:50], v[53:54], s[34:35]
	s_mov_b32 s34, 0x16291751
	s_mov_b32 s35, 0x3fcc71c0
	v_fma_f64 v[53:54], v[49:50], v[53:54], s[34:35]
	s_mov_b32 s34, 0x9b27acf1
	s_mov_b32 s35, 0x3fd24924
	;; [unrolled: 3-line block ×3, first 2 shown]
	v_fma_f64 v[53:54], v[49:50], v[53:54], s[34:35]
	v_cmp_nge_f64_e64 s[34:35], -1.0, v[23:24]
	v_fma_f64 v[49:50], v[49:50], v[53:54], s[36:37]
	v_ldexp_f64 v[53:54], v[41:42], 1
	v_add_f64 v[41:42], v[41:42], -v[51:52]
	s_mov_b32 s36, 0
	s_mov_b32 s37, 0x7ff00000
	v_cmp_neq_f64_e64 s[36:37], s[36:37], v[23:24]
	v_mul_f64 v[49:50], v[55:56], v[49:50]
	v_cvt_f64_i32_e32 v[55:56], v69
	v_add_f64 v[39:40], v[39:40], -v[41:42]
	v_mul_f64 v[58:59], v[55:56], s[44:45]
	s_and_b64 s[34:35], s[34:35], s[36:37]
	v_add_f64 v[51:52], v[53:54], v[49:50]
	v_ldexp_f64 v[39:40], v[39:40], 1
	v_add_f64 v[41:42], v[51:52], -v[53:54]
	v_fma_f64 v[53:54], v[55:56], s[44:45], -v[58:59]
	v_add_f64 v[41:42], v[49:50], -v[41:42]
	v_fma_f64 v[49:50], v[55:56], s[46:47], v[53:54]
	v_add_f64 v[39:40], v[39:40], v[41:42]
	v_add_f64 v[41:42], v[58:59], v[49:50]
	;; [unrolled: 1-line block ×3, first 2 shown]
	v_add_f64 v[58:59], v[41:42], -v[58:59]
	v_add_f64 v[55:56], v[41:42], v[53:54]
	v_add_f64 v[51:52], v[53:54], -v[51:52]
	v_add_f64 v[49:50], v[49:50], -v[58:59]
	;; [unrolled: 1-line block ×6, first 2 shown]
	v_add_f64 v[53:54], v[49:50], v[39:40]
	v_add_f64 v[41:42], v[41:42], -v[62:63]
	v_add_f64 v[41:42], v[51:52], v[41:42]
	v_add_f64 v[51:52], v[53:54], -v[49:50]
	;; [unrolled: 2-line block ×3, first 2 shown]
	v_add_f64 v[39:40], v[39:40], -v[51:52]
	v_add_f64 v[58:59], v[55:56], v[41:42]
	v_add_f64 v[49:50], v[49:50], -v[53:54]
	v_add_f64 v[51:52], v[58:59], -v[55:56]
	v_add_f64 v[39:40], v[39:40], v[49:50]
	v_add_f64 v[41:42], v[41:42], -v[51:52]
	v_add_f64 v[39:40], v[39:40], v[41:42]
	v_mov_b32_e32 v41, 0x7ff80000
	v_mov_b32_e32 v42, 0xfff00000
	v_add_f64 v[39:40], v[58:59], v[39:40]
	v_cndmask_b32_e64 v39, 0, v39, s[34:35]
	v_cmp_ngt_f64_e64 s[34:35], -1.0, v[23:24]
	v_cndmask_b32_e64 v40, v68, v40, s[36:37]
	v_cndmask_b32_e64 v40, v41, v40, s[34:35]
	v_cmp_neq_f64_e64 s[34:35], -1.0, v[23:24]
	v_cndmask_b32_e64 v40, v42, v40, s[34:35]
	v_add_f64 v[49:50], v[21:22], v[39:40]
.LBB79_34:
	s_or_b64 exec, exec, s[42:43]
	v_max_f64 v[39:40], v[5:6], v[5:6]
	v_max_f64 v[21:22], v[49:50], v[49:50]
	v_cmp_u_f64_e64 s[34:35], v[49:50], v[49:50]
	v_cmp_u_f64_e64 s[36:37], v[5:6], v[5:6]
	v_min_f64 v[23:24], v[21:22], v[39:40]
	v_max_f64 v[21:22], v[21:22], v[39:40]
	v_cndmask_b32_e64 v23, v23, v49, s[34:35]
	v_cndmask_b32_e64 v24, v24, v50, s[34:35]
	;; [unrolled: 1-line block ×8, first 2 shown]
	v_cmp_neq_f64_e64 s[34:35], v[23:24], v[21:22]
	v_cmp_class_f64_e64 s[42:43], v[23:24], s33
	s_or_b64 s[34:35], s[34:35], s[42:43]
	s_and_saveexec_b64 s[44:45], s[34:35]
	s_cbranch_execz .LBB79_36
; %bb.35:
	v_add_f64 v[23:24], v[23:24], -v[21:22]
	s_mov_b32 s34, 0x652b82fe
	s_mov_b32 s35, 0x3ff71547
	;; [unrolled: 1-line block ×6, first 2 shown]
	v_mov_b32_e32 v51, 0xfca7ab0c
	v_mul_f64 v[41:42], v[23:24], s[34:35]
	s_mov_b32 s34, 0x6a5dcb37
	v_mov_b32_e32 v52, 0x3e928af3
	s_mov_b32 s35, 0x3e5ade15
	s_mov_b32 s42, 0
	s_mov_b32 s43, 0xc090cc00
	v_cmp_ngt_f64_e64 s[42:43], s[42:43], v[23:24]
	v_mov_b32_e32 v70, 0x7ff00000
	v_rndne_f64_e32 v[41:42], v[41:42]
	v_fma_f64 v[49:50], v[41:42], s[46:47], v[23:24]
	s_mov_b32 s47, 0x3fe62e42
	v_fma_f64 v[49:50], v[41:42], s[48:49], v[49:50]
	v_cvt_i32_f64_e32 v41, v[41:42]
	s_mov_b32 s49, 0x3c7abc9e
	v_fma_f64 v[51:52], v[49:50], s[34:35], v[51:52]
	s_mov_b32 s34, 0x623fde64
	s_mov_b32 s35, 0x3ec71dee
	v_fma_f64 v[51:52], v[49:50], v[51:52], s[34:35]
	s_mov_b32 s34, 0x7c89e6b0
	;; [unrolled: 3-line block ×9, first 2 shown]
	s_mov_b32 s35, 0x40900000
	v_cmp_nlt_f64_e64 s[34:35], s[34:35], v[23:24]
	v_fma_f64 v[51:52], v[49:50], v[51:52], 1.0
	v_fma_f64 v[49:50], v[49:50], v[51:52], 1.0
	v_ldexp_f64 v[41:42], v[49:50], v41
	v_cndmask_b32_e64 v42, v70, v42, s[34:35]
	s_and_b64 s[34:35], s[42:43], s[34:35]
	v_cndmask_b32_e64 v24, 0, v42, s[42:43]
	v_cndmask_b32_e64 v23, 0, v41, s[34:35]
	v_add_f64 v[41:42], v[23:24], 1.0
	s_mov_b32 s43, 0x3fe55555
	s_mov_b32 s42, 0x55555555
	v_frexp_mant_f64_e32 v[51:52], v[41:42]
	v_frexp_exp_i32_f64_e32 v55, v[41:42]
	v_add_f64 v[49:50], v[41:42], -1.0
	v_cmp_gt_f64_e64 s[34:35], s[42:43], v[51:52]
	s_mov_b32 s42, 0x55555780
	v_add_f64 v[53:54], v[49:50], -v[41:42]
	v_add_f64 v[49:50], v[23:24], -v[49:50]
	v_subbrev_co_u32_e64 v71, s[34:35], 0, v55, s[34:35]
	v_sub_u32_e32 v55, 0, v71
	v_ldexp_f64 v[41:42], v[41:42], v55
	v_add_f64 v[51:52], v[53:54], 1.0
	s_mov_b32 s34, 0xbf559e2b
	s_mov_b32 s35, 0x3fc3ab76
	v_add_f64 v[53:54], v[41:42], 1.0
	v_add_f64 v[49:50], v[49:50], v[51:52]
	v_add_f64 v[60:61], v[41:42], -1.0
	v_add_f64 v[51:52], v[53:54], -1.0
	v_ldexp_f64 v[49:50], v[49:50], v55
	v_add_f64 v[62:63], v[60:61], 1.0
	v_add_f64 v[51:52], v[41:42], -v[51:52]
	v_add_f64 v[41:42], v[41:42], -v[62:63]
	v_add_f64 v[51:52], v[49:50], v[51:52]
	v_add_f64 v[41:42], v[49:50], v[41:42]
	;; [unrolled: 1-line block ×4, first 2 shown]
	v_rcp_f64_e32 v[58:59], v[55:56]
	v_add_f64 v[53:54], v[55:56], -v[53:54]
	v_add_f64 v[60:61], v[62:63], -v[60:61]
	;; [unrolled: 1-line block ×4, first 2 shown]
	v_fma_f64 v[64:65], -v[55:56], v[58:59], 1.0
	v_fma_f64 v[58:59], v[64:65], v[58:59], v[58:59]
	v_fma_f64 v[49:50], -v[55:56], v[58:59], 1.0
	v_fma_f64 v[49:50], v[49:50], v[58:59], v[58:59]
	v_mul_f64 v[58:59], v[62:63], v[49:50]
	v_mul_f64 v[64:65], v[55:56], v[58:59]
	v_fma_f64 v[53:54], v[58:59], v[55:56], -v[64:65]
	v_fma_f64 v[53:54], v[58:59], v[51:52], v[53:54]
	v_add_f64 v[66:67], v[64:65], v[53:54]
	v_add_f64 v[68:69], v[62:63], -v[66:67]
	v_add_f64 v[60:61], v[66:67], -v[64:65]
	v_add_f64 v[62:63], v[62:63], -v[68:69]
	v_add_f64 v[53:54], v[60:61], -v[53:54]
	v_add_f64 v[62:63], v[62:63], -v[66:67]
	v_add_f64 v[41:42], v[41:42], v[62:63]
	v_add_f64 v[41:42], v[53:54], v[41:42]
	;; [unrolled: 1-line block ×3, first 2 shown]
	v_mul_f64 v[60:61], v[49:50], v[53:54]
	v_add_f64 v[66:67], v[68:69], -v[53:54]
	v_mul_f64 v[62:63], v[55:56], v[60:61]
	v_add_f64 v[41:42], v[41:42], v[66:67]
	v_fma_f64 v[55:56], v[60:61], v[55:56], -v[62:63]
	v_fma_f64 v[51:52], v[60:61], v[51:52], v[55:56]
	v_add_f64 v[55:56], v[62:63], v[51:52]
	v_add_f64 v[64:65], v[53:54], -v[55:56]
	v_add_f64 v[62:63], v[55:56], -v[62:63]
	;; [unrolled: 1-line block ×5, first 2 shown]
	v_mov_b32_e32 v55, 0x6b47b09a
	v_mov_b32_e32 v56, 0x3fc38538
	v_add_f64 v[41:42], v[41:42], v[53:54]
	v_add_f64 v[53:54], v[58:59], v[60:61]
	;; [unrolled: 1-line block ×3, first 2 shown]
	v_add_f64 v[51:52], v[53:54], -v[58:59]
	v_add_f64 v[41:42], v[64:65], v[41:42]
	v_add_f64 v[51:52], v[60:61], -v[51:52]
	v_mul_f64 v[41:42], v[49:50], v[41:42]
	v_add_f64 v[41:42], v[51:52], v[41:42]
	v_add_f64 v[49:50], v[53:54], v[41:42]
	v_mul_f64 v[51:52], v[49:50], v[49:50]
	v_fma_f64 v[55:56], v[51:52], s[34:35], v[55:56]
	s_mov_b32 s34, 0xd7f4df2e
	s_mov_b32 s35, 0x3fc7474d
	v_mul_f64 v[58:59], v[49:50], v[51:52]
	v_fma_f64 v[55:56], v[51:52], v[55:56], s[34:35]
	s_mov_b32 s34, 0x16291751
	s_mov_b32 s35, 0x3fcc71c0
	v_fma_f64 v[55:56], v[51:52], v[55:56], s[34:35]
	s_mov_b32 s34, 0x9b27acf1
	s_mov_b32 s35, 0x3fd24924
	;; [unrolled: 3-line block ×3, first 2 shown]
	v_fma_f64 v[55:56], v[51:52], v[55:56], s[34:35]
	v_cmp_nge_f64_e64 s[34:35], -1.0, v[23:24]
	v_fma_f64 v[51:52], v[51:52], v[55:56], s[42:43]
	v_ldexp_f64 v[55:56], v[49:50], 1
	v_add_f64 v[49:50], v[49:50], -v[53:54]
	s_mov_b32 s42, 0
	s_mov_b32 s43, 0x7ff00000
	v_cmp_neq_f64_e64 s[42:43], s[42:43], v[23:24]
	v_mul_f64 v[51:52], v[58:59], v[51:52]
	v_cvt_f64_i32_e32 v[58:59], v71
	v_add_f64 v[41:42], v[41:42], -v[49:50]
	v_mul_f64 v[60:61], v[58:59], s[46:47]
	s_and_b64 s[34:35], s[34:35], s[42:43]
	v_add_f64 v[53:54], v[55:56], v[51:52]
	v_ldexp_f64 v[41:42], v[41:42], 1
	v_add_f64 v[49:50], v[53:54], -v[55:56]
	v_fma_f64 v[55:56], v[58:59], s[46:47], -v[60:61]
	v_add_f64 v[49:50], v[51:52], -v[49:50]
	v_fma_f64 v[51:52], v[58:59], s[48:49], v[55:56]
	v_add_f64 v[41:42], v[41:42], v[49:50]
	v_add_f64 v[49:50], v[60:61], v[51:52]
	;; [unrolled: 1-line block ×3, first 2 shown]
	v_add_f64 v[60:61], v[49:50], -v[60:61]
	v_add_f64 v[58:59], v[49:50], v[55:56]
	v_add_f64 v[53:54], v[55:56], -v[53:54]
	v_add_f64 v[51:52], v[51:52], -v[60:61]
	v_add_f64 v[62:63], v[58:59], -v[49:50]
	v_add_f64 v[41:42], v[41:42], -v[53:54]
	v_add_f64 v[64:65], v[58:59], -v[62:63]
	v_add_f64 v[53:54], v[55:56], -v[62:63]
	v_add_f64 v[55:56], v[51:52], v[41:42]
	v_add_f64 v[49:50], v[49:50], -v[64:65]
	v_add_f64 v[49:50], v[53:54], v[49:50]
	v_add_f64 v[53:54], v[55:56], -v[51:52]
	;; [unrolled: 2-line block ×3, first 2 shown]
	v_add_f64 v[41:42], v[41:42], -v[53:54]
	v_add_f64 v[60:61], v[58:59], v[49:50]
	v_add_f64 v[51:52], v[51:52], -v[55:56]
	v_add_f64 v[53:54], v[60:61], -v[58:59]
	v_add_f64 v[41:42], v[41:42], v[51:52]
	v_add_f64 v[49:50], v[49:50], -v[53:54]
	v_add_f64 v[41:42], v[41:42], v[49:50]
	v_mov_b32_e32 v49, 0x7ff80000
	v_mov_b32_e32 v50, 0xfff00000
	v_add_f64 v[41:42], v[60:61], v[41:42]
	v_cndmask_b32_e64 v41, 0, v41, s[34:35]
	v_cmp_ngt_f64_e64 s[34:35], -1.0, v[23:24]
	v_cndmask_b32_e64 v42, v70, v42, s[42:43]
	v_cndmask_b32_e64 v42, v49, v42, s[34:35]
	v_cmp_neq_f64_e64 s[34:35], -1.0, v[23:24]
	v_cndmask_b32_e64 v42, v50, v42, s[34:35]
	v_add_f64 v[49:50], v[21:22], v[41:42]
.LBB79_36:
	s_or_b64 exec, exec, s[44:45]
	v_max_f64 v[41:42], v[7:8], v[7:8]
	v_max_f64 v[21:22], v[49:50], v[49:50]
	v_cmp_u_f64_e64 s[42:43], v[49:50], v[49:50]
	v_cmp_u_f64_e64 s[34:35], v[7:8], v[7:8]
	v_min_f64 v[23:24], v[21:22], v[41:42]
	v_max_f64 v[21:22], v[21:22], v[41:42]
	v_cndmask_b32_e64 v23, v23, v49, s[42:43]
	v_cndmask_b32_e64 v24, v24, v50, s[42:43]
	;; [unrolled: 1-line block ×8, first 2 shown]
	v_cmp_neq_f64_e64 s[42:43], v[23:24], v[21:22]
	v_cmp_class_f64_e64 s[44:45], v[23:24], s33
	s_or_b64 s[42:43], s[42:43], s[44:45]
	s_and_saveexec_b64 s[46:47], s[42:43]
	s_cbranch_execz .LBB79_38
; %bb.37:
	v_add_f64 v[23:24], v[23:24], -v[21:22]
	s_mov_b32 s42, 0x652b82fe
	s_mov_b32 s43, 0x3ff71547
	;; [unrolled: 1-line block ×6, first 2 shown]
	v_mov_b32_e32 v53, 0xfca7ab0c
	v_mul_f64 v[49:50], v[23:24], s[42:43]
	s_mov_b32 s42, 0x6a5dcb37
	v_mov_b32_e32 v54, 0x3e928af3
	s_mov_b32 s43, 0x3e5ade15
	s_mov_b32 s44, 0
	;; [unrolled: 1-line block ×3, first 2 shown]
	v_cmp_ngt_f64_e64 s[44:45], s[44:45], v[23:24]
	v_mov_b32_e32 v72, 0x7ff00000
	v_rndne_f64_e32 v[49:50], v[49:50]
	v_fma_f64 v[51:52], v[49:50], s[48:49], v[23:24]
	s_mov_b32 s49, 0x3fe62e42
	v_fma_f64 v[51:52], v[49:50], s[50:51], v[51:52]
	v_cvt_i32_f64_e32 v49, v[49:50]
	s_mov_b32 s51, 0x3c7abc9e
	v_fma_f64 v[53:54], v[51:52], s[42:43], v[53:54]
	s_mov_b32 s42, 0x623fde64
	s_mov_b32 s43, 0x3ec71dee
	v_fma_f64 v[53:54], v[51:52], v[53:54], s[42:43]
	s_mov_b32 s42, 0x7c89e6b0
	;; [unrolled: 3-line block ×9, first 2 shown]
	s_mov_b32 s43, 0x40900000
	v_cmp_nlt_f64_e64 s[42:43], s[42:43], v[23:24]
	v_fma_f64 v[53:54], v[51:52], v[53:54], 1.0
	v_fma_f64 v[51:52], v[51:52], v[53:54], 1.0
	v_ldexp_f64 v[49:50], v[51:52], v49
	v_cndmask_b32_e64 v50, v72, v50, s[42:43]
	s_and_b64 s[42:43], s[44:45], s[42:43]
	v_cndmask_b32_e64 v24, 0, v50, s[44:45]
	v_cndmask_b32_e64 v23, 0, v49, s[42:43]
	v_add_f64 v[49:50], v[23:24], 1.0
	s_mov_b32 s45, 0x3fe55555
	s_mov_b32 s44, 0x55555555
	v_frexp_mant_f64_e32 v[53:54], v[49:50]
	v_frexp_exp_i32_f64_e32 v58, v[49:50]
	v_add_f64 v[51:52], v[49:50], -1.0
	v_cmp_gt_f64_e64 s[42:43], s[44:45], v[53:54]
	s_mov_b32 s44, 0x55555780
	v_add_f64 v[55:56], v[51:52], -v[49:50]
	v_add_f64 v[51:52], v[23:24], -v[51:52]
	v_subbrev_co_u32_e64 v73, s[42:43], 0, v58, s[42:43]
	v_sub_u32_e32 v58, 0, v73
	v_ldexp_f64 v[49:50], v[49:50], v58
	v_add_f64 v[53:54], v[55:56], 1.0
	s_mov_b32 s42, 0xbf559e2b
	s_mov_b32 s43, 0x3fc3ab76
	v_add_f64 v[55:56], v[49:50], 1.0
	v_add_f64 v[51:52], v[51:52], v[53:54]
	v_add_f64 v[62:63], v[49:50], -1.0
	v_add_f64 v[53:54], v[55:56], -1.0
	v_ldexp_f64 v[51:52], v[51:52], v58
	v_add_f64 v[64:65], v[62:63], 1.0
	v_add_f64 v[53:54], v[49:50], -v[53:54]
	v_add_f64 v[49:50], v[49:50], -v[64:65]
	v_add_f64 v[53:54], v[51:52], v[53:54]
	v_add_f64 v[49:50], v[51:52], v[49:50]
	;; [unrolled: 1-line block ×4, first 2 shown]
	v_rcp_f64_e32 v[60:61], v[58:59]
	v_add_f64 v[55:56], v[58:59], -v[55:56]
	v_add_f64 v[62:63], v[64:65], -v[62:63]
	;; [unrolled: 1-line block ×4, first 2 shown]
	v_fma_f64 v[66:67], -v[58:59], v[60:61], 1.0
	v_fma_f64 v[60:61], v[66:67], v[60:61], v[60:61]
	v_fma_f64 v[51:52], -v[58:59], v[60:61], 1.0
	v_fma_f64 v[51:52], v[51:52], v[60:61], v[60:61]
	v_mul_f64 v[60:61], v[64:65], v[51:52]
	v_mul_f64 v[66:67], v[58:59], v[60:61]
	v_fma_f64 v[55:56], v[60:61], v[58:59], -v[66:67]
	v_fma_f64 v[55:56], v[60:61], v[53:54], v[55:56]
	v_add_f64 v[68:69], v[66:67], v[55:56]
	v_add_f64 v[70:71], v[64:65], -v[68:69]
	v_add_f64 v[62:63], v[68:69], -v[66:67]
	;; [unrolled: 1-line block ×5, first 2 shown]
	v_add_f64 v[49:50], v[49:50], v[64:65]
	v_add_f64 v[49:50], v[55:56], v[49:50]
	;; [unrolled: 1-line block ×3, first 2 shown]
	v_mul_f64 v[62:63], v[51:52], v[55:56]
	v_add_f64 v[68:69], v[70:71], -v[55:56]
	v_mul_f64 v[64:65], v[58:59], v[62:63]
	v_add_f64 v[49:50], v[49:50], v[68:69]
	v_fma_f64 v[58:59], v[62:63], v[58:59], -v[64:65]
	v_fma_f64 v[53:54], v[62:63], v[53:54], v[58:59]
	v_add_f64 v[58:59], v[64:65], v[53:54]
	v_add_f64 v[66:67], v[55:56], -v[58:59]
	v_add_f64 v[64:65], v[58:59], -v[64:65]
	;; [unrolled: 1-line block ×5, first 2 shown]
	v_mov_b32_e32 v58, 0x6b47b09a
	v_mov_b32_e32 v59, 0x3fc38538
	v_add_f64 v[49:50], v[49:50], v[55:56]
	v_add_f64 v[55:56], v[60:61], v[62:63]
	;; [unrolled: 1-line block ×3, first 2 shown]
	v_add_f64 v[53:54], v[55:56], -v[60:61]
	v_add_f64 v[49:50], v[66:67], v[49:50]
	v_add_f64 v[53:54], v[62:63], -v[53:54]
	v_mul_f64 v[49:50], v[51:52], v[49:50]
	v_add_f64 v[49:50], v[53:54], v[49:50]
	v_add_f64 v[51:52], v[55:56], v[49:50]
	v_mul_f64 v[53:54], v[51:52], v[51:52]
	v_fma_f64 v[58:59], v[53:54], s[42:43], v[58:59]
	s_mov_b32 s42, 0xd7f4df2e
	s_mov_b32 s43, 0x3fc7474d
	v_mul_f64 v[60:61], v[51:52], v[53:54]
	v_fma_f64 v[58:59], v[53:54], v[58:59], s[42:43]
	s_mov_b32 s42, 0x16291751
	s_mov_b32 s43, 0x3fcc71c0
	v_fma_f64 v[58:59], v[53:54], v[58:59], s[42:43]
	s_mov_b32 s42, 0x9b27acf1
	s_mov_b32 s43, 0x3fd24924
	;; [unrolled: 3-line block ×3, first 2 shown]
	v_fma_f64 v[58:59], v[53:54], v[58:59], s[42:43]
	v_cmp_nge_f64_e64 s[42:43], -1.0, v[23:24]
	v_fma_f64 v[53:54], v[53:54], v[58:59], s[44:45]
	v_ldexp_f64 v[58:59], v[51:52], 1
	v_add_f64 v[51:52], v[51:52], -v[55:56]
	s_mov_b32 s44, 0
	s_mov_b32 s45, 0x7ff00000
	v_cmp_neq_f64_e64 s[44:45], s[44:45], v[23:24]
	v_mul_f64 v[53:54], v[60:61], v[53:54]
	v_cvt_f64_i32_e32 v[60:61], v73
	v_add_f64 v[49:50], v[49:50], -v[51:52]
	v_mul_f64 v[62:63], v[60:61], s[48:49]
	s_and_b64 s[42:43], s[42:43], s[44:45]
	v_add_f64 v[55:56], v[58:59], v[53:54]
	v_ldexp_f64 v[49:50], v[49:50], 1
	v_add_f64 v[51:52], v[55:56], -v[58:59]
	v_fma_f64 v[58:59], v[60:61], s[48:49], -v[62:63]
	v_add_f64 v[51:52], v[53:54], -v[51:52]
	v_fma_f64 v[53:54], v[60:61], s[50:51], v[58:59]
	v_add_f64 v[49:50], v[49:50], v[51:52]
	v_add_f64 v[51:52], v[62:63], v[53:54]
	;; [unrolled: 1-line block ×3, first 2 shown]
	v_add_f64 v[62:63], v[51:52], -v[62:63]
	v_add_f64 v[60:61], v[51:52], v[58:59]
	v_add_f64 v[55:56], v[58:59], -v[55:56]
	v_add_f64 v[53:54], v[53:54], -v[62:63]
	;; [unrolled: 1-line block ×6, first 2 shown]
	v_add_f64 v[58:59], v[53:54], v[49:50]
	v_add_f64 v[51:52], v[51:52], -v[66:67]
	v_add_f64 v[51:52], v[55:56], v[51:52]
	v_add_f64 v[55:56], v[58:59], -v[53:54]
	;; [unrolled: 2-line block ×3, first 2 shown]
	v_add_f64 v[49:50], v[49:50], -v[55:56]
	v_add_f64 v[62:63], v[60:61], v[51:52]
	v_add_f64 v[53:54], v[53:54], -v[58:59]
	v_add_f64 v[55:56], v[62:63], -v[60:61]
	v_add_f64 v[49:50], v[49:50], v[53:54]
	v_add_f64 v[51:52], v[51:52], -v[55:56]
	v_add_f64 v[49:50], v[49:50], v[51:52]
	v_mov_b32_e32 v51, 0x7ff80000
	v_mov_b32_e32 v52, 0xfff00000
	v_add_f64 v[49:50], v[62:63], v[49:50]
	v_cndmask_b32_e64 v49, 0, v49, s[42:43]
	v_cmp_ngt_f64_e64 s[42:43], -1.0, v[23:24]
	v_cndmask_b32_e64 v50, v72, v50, s[44:45]
	v_cndmask_b32_e64 v50, v51, v50, s[42:43]
	v_cmp_neq_f64_e64 s[42:43], -1.0, v[23:24]
	v_cndmask_b32_e64 v50, v52, v50, s[42:43]
	v_add_f64 v[49:50], v[21:22], v[49:50]
.LBB79_38:
	s_or_b64 exec, exec, s[46:47]
	s_load_dwordx2 s[46:47], s[4:5], 0x20
	v_lshrrev_b32_e32 v21, 2, v0
	v_and_b32_e32 v21, 24, v21
	v_lshl_add_u32 v21, v0, 3, v21
	v_cmp_gt_u32_e64 s[4:5], 64, v0
	ds_write_b64 v21, v[49:50]
	s_waitcnt lgkmcnt(0)
	s_barrier
	s_and_saveexec_b64 s[48:49], s[4:5]
	s_cbranch_execz .LBB79_70
; %bb.39:
	v_lshrrev_b32_e32 v21, 1, v0
	v_and_b32_e32 v21, 56, v21
	v_lshlrev_b32_e32 v22, 4, v0
	v_add_u32_e32 v58, v21, v22
	ds_read2_b64 v[21:24], v58 offset1:1
	s_waitcnt lgkmcnt(0)
	v_max_f64 v[53:54], v[23:24], v[23:24]
	v_max_f64 v[51:52], v[21:22], v[21:22]
	v_cmp_u_f64_e64 s[4:5], v[21:22], v[21:22]
	v_cmp_u_f64_e64 s[42:43], v[23:24], v[23:24]
	v_min_f64 v[55:56], v[51:52], v[53:54]
	v_max_f64 v[53:54], v[51:52], v[53:54]
	v_cndmask_b32_e64 v55, v55, v21, s[4:5]
	v_cndmask_b32_e64 v56, v56, v22, s[4:5]
	;; [unrolled: 1-line block ×8, first 2 shown]
	v_cmp_neq_f64_e64 s[42:43], v[55:56], v[53:54]
	v_cmp_class_f64_e64 s[44:45], v[55:56], s33
	v_mov_b32_e32 v24, v22
	v_mov_b32_e32 v23, v21
	s_or_b64 s[42:43], s[42:43], s[44:45]
	s_and_saveexec_b64 s[50:51], s[42:43]
	s_cbranch_execz .LBB79_41
; %bb.40:
	v_add_f64 v[23:24], v[55:56], -v[53:54]
	s_mov_b32 s42, 0x652b82fe
	s_mov_b32 s43, 0x3ff71547
	;; [unrolled: 1-line block ×6, first 2 shown]
	v_mov_b32_e32 v61, 0xfca7ab0c
	v_mul_f64 v[55:56], v[23:24], s[42:43]
	s_mov_b32 s42, 0x6a5dcb37
	v_mov_b32_e32 v62, 0x3e928af3
	s_mov_b32 s43, 0x3e5ade15
	s_mov_b32 s44, 0
	;; [unrolled: 1-line block ×3, first 2 shown]
	v_cmp_ngt_f64_e64 s[44:45], s[44:45], v[23:24]
	v_mov_b32_e32 v79, 0x7ff00000
	v_rndne_f64_e32 v[55:56], v[55:56]
	v_fma_f64 v[59:60], v[55:56], s[52:53], v[23:24]
	s_mov_b32 s53, 0x3fe62e42
	v_fma_f64 v[59:60], v[55:56], s[54:55], v[59:60]
	v_cvt_i32_f64_e32 v55, v[55:56]
	s_mov_b32 s55, 0x3c7abc9e
	v_fma_f64 v[61:62], v[59:60], s[42:43], v[61:62]
	s_mov_b32 s42, 0x623fde64
	s_mov_b32 s43, 0x3ec71dee
	v_fma_f64 v[61:62], v[59:60], v[61:62], s[42:43]
	s_mov_b32 s42, 0x7c89e6b0
	;; [unrolled: 3-line block ×9, first 2 shown]
	s_mov_b32 s43, 0x40900000
	v_cmp_nlt_f64_e64 s[42:43], s[42:43], v[23:24]
	v_fma_f64 v[61:62], v[59:60], v[61:62], 1.0
	v_fma_f64 v[59:60], v[59:60], v[61:62], 1.0
	v_ldexp_f64 v[55:56], v[59:60], v55
	v_cndmask_b32_e64 v56, v79, v56, s[42:43]
	s_and_b64 s[42:43], s[44:45], s[42:43]
	v_cndmask_b32_e64 v24, 0, v56, s[44:45]
	v_cndmask_b32_e64 v23, 0, v55, s[42:43]
	v_add_f64 v[55:56], v[23:24], 1.0
	s_mov_b32 s45, 0x3fe55555
	s_mov_b32 s44, 0x55555555
	v_frexp_mant_f64_e32 v[61:62], v[55:56]
	v_frexp_exp_i32_f64_e32 v65, v[55:56]
	v_add_f64 v[59:60], v[55:56], -1.0
	v_cmp_gt_f64_e64 s[42:43], s[44:45], v[61:62]
	s_mov_b32 s44, 0x55555780
	v_add_f64 v[63:64], v[59:60], -v[55:56]
	v_add_f64 v[59:60], v[23:24], -v[59:60]
	v_subbrev_co_u32_e64 v80, s[42:43], 0, v65, s[42:43]
	v_sub_u32_e32 v65, 0, v80
	v_ldexp_f64 v[55:56], v[55:56], v65
	v_add_f64 v[61:62], v[63:64], 1.0
	s_mov_b32 s42, 0xbf559e2b
	s_mov_b32 s43, 0x3fc3ab76
	v_add_f64 v[63:64], v[55:56], 1.0
	v_add_f64 v[59:60], v[59:60], v[61:62]
	v_add_f64 v[69:70], v[55:56], -1.0
	v_add_f64 v[61:62], v[63:64], -1.0
	v_ldexp_f64 v[59:60], v[59:60], v65
	v_add_f64 v[71:72], v[69:70], 1.0
	v_add_f64 v[61:62], v[55:56], -v[61:62]
	v_add_f64 v[55:56], v[55:56], -v[71:72]
	v_add_f64 v[61:62], v[59:60], v[61:62]
	v_add_f64 v[55:56], v[59:60], v[55:56]
	;; [unrolled: 1-line block ×4, first 2 shown]
	v_rcp_f64_e32 v[67:68], v[65:66]
	v_add_f64 v[63:64], v[65:66], -v[63:64]
	v_add_f64 v[69:70], v[71:72], -v[69:70]
	;; [unrolled: 1-line block ×4, first 2 shown]
	v_fma_f64 v[73:74], -v[65:66], v[67:68], 1.0
	v_fma_f64 v[67:68], v[73:74], v[67:68], v[67:68]
	v_fma_f64 v[59:60], -v[65:66], v[67:68], 1.0
	v_fma_f64 v[59:60], v[59:60], v[67:68], v[67:68]
	v_mul_f64 v[67:68], v[71:72], v[59:60]
	v_mul_f64 v[73:74], v[65:66], v[67:68]
	v_fma_f64 v[63:64], v[67:68], v[65:66], -v[73:74]
	v_fma_f64 v[63:64], v[67:68], v[61:62], v[63:64]
	v_add_f64 v[75:76], v[73:74], v[63:64]
	v_add_f64 v[77:78], v[71:72], -v[75:76]
	v_add_f64 v[69:70], v[75:76], -v[73:74]
	;; [unrolled: 1-line block ×5, first 2 shown]
	v_add_f64 v[55:56], v[55:56], v[71:72]
	v_add_f64 v[55:56], v[63:64], v[55:56]
	;; [unrolled: 1-line block ×3, first 2 shown]
	v_mul_f64 v[69:70], v[59:60], v[63:64]
	v_add_f64 v[75:76], v[77:78], -v[63:64]
	v_mul_f64 v[71:72], v[65:66], v[69:70]
	v_add_f64 v[55:56], v[55:56], v[75:76]
	v_fma_f64 v[65:66], v[69:70], v[65:66], -v[71:72]
	v_fma_f64 v[61:62], v[69:70], v[61:62], v[65:66]
	v_add_f64 v[65:66], v[71:72], v[61:62]
	v_add_f64 v[73:74], v[63:64], -v[65:66]
	v_add_f64 v[71:72], v[65:66], -v[71:72]
	;; [unrolled: 1-line block ×5, first 2 shown]
	v_mov_b32_e32 v65, 0x6b47b09a
	v_mov_b32_e32 v66, 0x3fc38538
	v_add_f64 v[55:56], v[55:56], v[63:64]
	v_add_f64 v[63:64], v[67:68], v[69:70]
	;; [unrolled: 1-line block ×3, first 2 shown]
	v_add_f64 v[61:62], v[63:64], -v[67:68]
	v_add_f64 v[55:56], v[73:74], v[55:56]
	v_add_f64 v[61:62], v[69:70], -v[61:62]
	v_mul_f64 v[55:56], v[59:60], v[55:56]
	v_add_f64 v[55:56], v[61:62], v[55:56]
	v_add_f64 v[59:60], v[63:64], v[55:56]
	v_mul_f64 v[61:62], v[59:60], v[59:60]
	v_fma_f64 v[65:66], v[61:62], s[42:43], v[65:66]
	s_mov_b32 s42, 0xd7f4df2e
	s_mov_b32 s43, 0x3fc7474d
	v_mul_f64 v[67:68], v[59:60], v[61:62]
	v_fma_f64 v[65:66], v[61:62], v[65:66], s[42:43]
	s_mov_b32 s42, 0x16291751
	s_mov_b32 s43, 0x3fcc71c0
	v_fma_f64 v[65:66], v[61:62], v[65:66], s[42:43]
	s_mov_b32 s42, 0x9b27acf1
	s_mov_b32 s43, 0x3fd24924
	;; [unrolled: 3-line block ×3, first 2 shown]
	v_fma_f64 v[65:66], v[61:62], v[65:66], s[42:43]
	v_cmp_nge_f64_e64 s[42:43], -1.0, v[23:24]
	v_fma_f64 v[61:62], v[61:62], v[65:66], s[44:45]
	v_ldexp_f64 v[65:66], v[59:60], 1
	v_add_f64 v[59:60], v[59:60], -v[63:64]
	s_mov_b32 s44, 0
	s_mov_b32 s45, 0x7ff00000
	v_cmp_neq_f64_e64 s[44:45], s[44:45], v[23:24]
	v_mul_f64 v[61:62], v[67:68], v[61:62]
	v_cvt_f64_i32_e32 v[67:68], v80
	v_add_f64 v[55:56], v[55:56], -v[59:60]
	v_mul_f64 v[69:70], v[67:68], s[52:53]
	s_and_b64 s[42:43], s[42:43], s[44:45]
	v_add_f64 v[63:64], v[65:66], v[61:62]
	v_ldexp_f64 v[55:56], v[55:56], 1
	v_add_f64 v[59:60], v[63:64], -v[65:66]
	v_fma_f64 v[65:66], v[67:68], s[52:53], -v[69:70]
	v_add_f64 v[59:60], v[61:62], -v[59:60]
	v_fma_f64 v[61:62], v[67:68], s[54:55], v[65:66]
	v_add_f64 v[55:56], v[55:56], v[59:60]
	v_add_f64 v[59:60], v[69:70], v[61:62]
	;; [unrolled: 1-line block ×3, first 2 shown]
	v_add_f64 v[69:70], v[59:60], -v[69:70]
	v_add_f64 v[67:68], v[59:60], v[65:66]
	v_add_f64 v[63:64], v[65:66], -v[63:64]
	v_add_f64 v[61:62], v[61:62], -v[69:70]
	;; [unrolled: 1-line block ×6, first 2 shown]
	v_add_f64 v[65:66], v[61:62], v[55:56]
	v_add_f64 v[59:60], v[59:60], -v[73:74]
	v_add_f64 v[59:60], v[63:64], v[59:60]
	v_add_f64 v[63:64], v[65:66], -v[61:62]
	;; [unrolled: 2-line block ×3, first 2 shown]
	v_add_f64 v[55:56], v[55:56], -v[63:64]
	v_add_f64 v[69:70], v[67:68], v[59:60]
	v_add_f64 v[61:62], v[61:62], -v[65:66]
	v_add_f64 v[63:64], v[69:70], -v[67:68]
	v_add_f64 v[55:56], v[55:56], v[61:62]
	v_add_f64 v[59:60], v[59:60], -v[63:64]
	v_add_f64 v[55:56], v[55:56], v[59:60]
	v_mov_b32_e32 v59, 0x7ff80000
	v_mov_b32_e32 v60, 0xfff00000
	v_add_f64 v[55:56], v[69:70], v[55:56]
	v_cndmask_b32_e64 v55, 0, v55, s[42:43]
	v_cmp_ngt_f64_e64 s[42:43], -1.0, v[23:24]
	v_cndmask_b32_e64 v56, v79, v56, s[44:45]
	v_cndmask_b32_e64 v56, v59, v56, s[42:43]
	v_cmp_neq_f64_e64 s[42:43], -1.0, v[23:24]
	v_cndmask_b32_e64 v56, v60, v56, s[42:43]
	v_add_f64 v[23:24], v[53:54], v[55:56]
.LBB79_41:
	s_or_b64 exec, exec, s[50:51]
	v_mbcnt_lo_u32_b32 v53, -1, 0
	v_mbcnt_hi_u32_b32 v59, -1, v53
	v_and_b32_e32 v60, 15, v59
	v_mov_b32_dpp v53, v23 row_shr:1 row_mask:0xf bank_mask:0xf
	v_mov_b32_dpp v54, v24 row_shr:1 row_mask:0xf bank_mask:0xf
	v_cmp_ne_u32_e64 s[42:43], 0, v60
	v_mov_b32_e32 v55, v23
	v_mov_b32_e32 v56, v24
	s_and_saveexec_b64 s[44:45], s[42:43]
	s_xor_b64 s[50:51], exec, s[44:45]
	s_cbranch_execz .LBB79_45
; %bb.42:
	v_max_f64 v[55:56], v[53:54], v[53:54]
	v_max_f64 v[61:62], v[23:24], v[23:24]
	v_cmp_u_f64_e64 s[42:43], v[53:54], v[53:54]
	v_cmp_u_f64_e64 s[44:45], v[23:24], v[23:24]
	v_min_f64 v[63:64], v[55:56], v[61:62]
	v_max_f64 v[55:56], v[55:56], v[61:62]
	v_cndmask_b32_e64 v61, v64, v54, s[42:43]
	v_cndmask_b32_e64 v62, v63, v53, s[42:43]
	;; [unrolled: 1-line block ×8, first 2 shown]
	v_cmp_neq_f64_e64 s[42:43], v[55:56], v[23:24]
	v_cmp_class_f64_e64 s[44:45], v[55:56], s33
	s_or_b64 s[42:43], s[42:43], s[44:45]
	s_and_saveexec_b64 s[52:53], s[42:43]
	s_cbranch_execz .LBB79_44
; %bb.43:
	v_add_f64 v[53:54], v[55:56], -v[23:24]
	s_mov_b32 s42, 0x652b82fe
	s_mov_b32 s43, 0x3ff71547
	;; [unrolled: 1-line block ×6, first 2 shown]
	v_mov_b32_e32 v63, 0xfca7ab0c
	v_mul_f64 v[55:56], v[53:54], s[42:43]
	s_mov_b32 s42, 0x6a5dcb37
	v_mov_b32_e32 v64, 0x3e928af3
	s_mov_b32 s43, 0x3e5ade15
	s_mov_b32 s44, 0
	;; [unrolled: 1-line block ×3, first 2 shown]
	v_cmp_ngt_f64_e64 s[44:45], s[44:45], v[53:54]
	v_mov_b32_e32 v79, 0x7ff00000
	v_rndne_f64_e32 v[55:56], v[55:56]
	v_fma_f64 v[61:62], v[55:56], s[54:55], v[53:54]
	s_mov_b32 s55, 0x3fe62e42
	v_fma_f64 v[61:62], v[55:56], s[56:57], v[61:62]
	v_cvt_i32_f64_e32 v55, v[55:56]
	s_mov_b32 s57, 0x3c7abc9e
	v_fma_f64 v[63:64], v[61:62], s[42:43], v[63:64]
	s_mov_b32 s42, 0x623fde64
	s_mov_b32 s43, 0x3ec71dee
	v_fma_f64 v[63:64], v[61:62], v[63:64], s[42:43]
	s_mov_b32 s42, 0x7c89e6b0
	;; [unrolled: 3-line block ×9, first 2 shown]
	s_mov_b32 s43, 0x40900000
	v_cmp_nlt_f64_e64 s[42:43], s[42:43], v[53:54]
	v_fma_f64 v[63:64], v[61:62], v[63:64], 1.0
	v_fma_f64 v[61:62], v[61:62], v[63:64], 1.0
	v_ldexp_f64 v[55:56], v[61:62], v55
	v_cndmask_b32_e64 v56, v79, v56, s[42:43]
	s_and_b64 s[42:43], s[44:45], s[42:43]
	v_cndmask_b32_e64 v53, 0, v55, s[42:43]
	v_cndmask_b32_e64 v54, 0, v56, s[44:45]
	v_add_f64 v[55:56], v[53:54], 1.0
	s_mov_b32 s45, 0x3fe55555
	s_mov_b32 s44, 0x55555555
	v_add_f64 v[61:62], v[55:56], -1.0
	v_frexp_exp_i32_f64_e32 v65, v[55:56]
	v_add_f64 v[63:64], v[61:62], -v[55:56]
	v_add_f64 v[61:62], v[53:54], -v[61:62]
	v_add_f64 v[63:64], v[63:64], 1.0
	v_add_f64 v[61:62], v[61:62], v[63:64]
	v_frexp_mant_f64_e32 v[63:64], v[55:56]
	v_cmp_gt_f64_e64 s[42:43], s[44:45], v[63:64]
	s_mov_b32 s44, 0x55555780
	v_subbrev_co_u32_e64 v80, s[42:43], 0, v65, s[42:43]
	v_sub_u32_e32 v63, 0, v80
	v_ldexp_f64 v[55:56], v[55:56], v63
	v_ldexp_f64 v[61:62], v[61:62], v63
	s_mov_b32 s42, 0xbf559e2b
	s_mov_b32 s43, 0x3fc3ab76
	v_add_f64 v[63:64], v[55:56], -1.0
	v_add_f64 v[65:66], v[63:64], 1.0
	v_add_f64 v[65:66], v[55:56], -v[65:66]
	v_add_f64 v[65:66], v[61:62], v[65:66]
	v_add_f64 v[67:68], v[63:64], v[65:66]
	v_add_f64 v[63:64], v[67:68], -v[63:64]
	v_add_f64 v[63:64], v[65:66], -v[63:64]
	v_add_f64 v[65:66], v[55:56], 1.0
	v_add_f64 v[69:70], v[65:66], -1.0
	v_add_f64 v[55:56], v[55:56], -v[69:70]
	v_add_f64 v[55:56], v[61:62], v[55:56]
	v_add_f64 v[61:62], v[65:66], v[55:56]
	v_add_f64 v[65:66], v[61:62], -v[65:66]
	v_add_f64 v[55:56], v[55:56], -v[65:66]
	v_rcp_f64_e32 v[65:66], v[61:62]
	v_fma_f64 v[69:70], -v[61:62], v[65:66], 1.0
	v_fma_f64 v[65:66], v[69:70], v[65:66], v[65:66]
	v_fma_f64 v[69:70], -v[61:62], v[65:66], 1.0
	v_fma_f64 v[65:66], v[69:70], v[65:66], v[65:66]
	v_mul_f64 v[69:70], v[67:68], v[65:66]
	v_mul_f64 v[71:72], v[61:62], v[69:70]
	v_fma_f64 v[73:74], v[69:70], v[61:62], -v[71:72]
	v_fma_f64 v[73:74], v[69:70], v[55:56], v[73:74]
	v_add_f64 v[75:76], v[71:72], v[73:74]
	v_add_f64 v[77:78], v[67:68], -v[75:76]
	v_add_f64 v[71:72], v[75:76], -v[71:72]
	;; [unrolled: 1-line block ×4, first 2 shown]
	v_add_f64 v[63:64], v[63:64], v[67:68]
	v_add_f64 v[67:68], v[71:72], -v[73:74]
	v_add_f64 v[63:64], v[67:68], v[63:64]
	v_add_f64 v[67:68], v[77:78], v[63:64]
	v_add_f64 v[71:72], v[77:78], -v[67:68]
	v_add_f64 v[63:64], v[63:64], v[71:72]
	v_mul_f64 v[71:72], v[65:66], v[67:68]
	v_mul_f64 v[73:74], v[61:62], v[71:72]
	v_fma_f64 v[61:62], v[71:72], v[61:62], -v[73:74]
	v_fma_f64 v[55:56], v[71:72], v[55:56], v[61:62]
	v_add_f64 v[61:62], v[73:74], v[55:56]
	v_add_f64 v[75:76], v[67:68], -v[61:62]
	v_add_f64 v[73:74], v[61:62], -v[73:74]
	v_add_f64 v[67:68], v[67:68], -v[75:76]
	v_add_f64 v[55:56], v[73:74], -v[55:56]
	v_add_f64 v[61:62], v[67:68], -v[61:62]
	v_cvt_f64_i32_e32 v[67:68], v80
	v_add_f64 v[61:62], v[63:64], v[61:62]
	v_add_f64 v[55:56], v[55:56], v[61:62]
	;; [unrolled: 1-line block ×4, first 2 shown]
	v_add_f64 v[63:64], v[61:62], -v[69:70]
	v_mul_f64 v[69:70], v[67:68], s[54:55]
	v_mul_f64 v[55:56], v[65:66], v[55:56]
	v_add_f64 v[63:64], v[71:72], -v[63:64]
	v_mov_b32_e32 v65, 0x6b47b09a
	v_mov_b32_e32 v66, 0x3fc38538
	v_fma_f64 v[71:72], v[67:68], s[54:55], -v[69:70]
	v_add_f64 v[55:56], v[63:64], v[55:56]
	v_fma_f64 v[67:68], v[67:68], s[56:57], v[71:72]
	v_add_f64 v[63:64], v[61:62], v[55:56]
	v_add_f64 v[71:72], v[69:70], v[67:68]
	v_add_f64 v[61:62], v[63:64], -v[61:62]
	v_add_f64 v[69:70], v[71:72], -v[69:70]
	;; [unrolled: 1-line block ×3, first 2 shown]
	v_mul_f64 v[61:62], v[63:64], v[63:64]
	v_add_f64 v[67:68], v[67:68], -v[69:70]
	v_ldexp_f64 v[69:70], v[63:64], 1
	v_ldexp_f64 v[55:56], v[55:56], 1
	v_fma_f64 v[65:66], v[61:62], s[42:43], v[65:66]
	s_mov_b32 s42, 0xd7f4df2e
	s_mov_b32 s43, 0x3fc7474d
	v_fma_f64 v[65:66], v[61:62], v[65:66], s[42:43]
	s_mov_b32 s42, 0x16291751
	s_mov_b32 s43, 0x3fcc71c0
	;; [unrolled: 3-line block ×5, first 2 shown]
	v_cmp_neq_f64_e64 s[42:43], s[42:43], v[53:54]
	v_fma_f64 v[65:66], v[61:62], v[65:66], s[44:45]
	v_mul_f64 v[61:62], v[63:64], v[61:62]
	v_cmp_ngt_f64_e64 s[44:45], -1.0, v[53:54]
	v_mul_f64 v[61:62], v[61:62], v[65:66]
	v_add_f64 v[63:64], v[69:70], v[61:62]
	v_add_f64 v[65:66], v[63:64], -v[69:70]
	v_add_f64 v[61:62], v[61:62], -v[65:66]
	v_add_f64 v[55:56], v[55:56], v[61:62]
	v_add_f64 v[61:62], v[63:64], v[55:56]
	v_add_f64 v[63:64], v[61:62], -v[63:64]
	v_add_f64 v[55:56], v[55:56], -v[63:64]
	v_add_f64 v[63:64], v[71:72], v[61:62]
	v_add_f64 v[65:66], v[63:64], -v[71:72]
	v_add_f64 v[69:70], v[63:64], -v[65:66]
	;; [unrolled: 1-line block ×3, first 2 shown]
	v_add_f64 v[65:66], v[67:68], v[55:56]
	v_add_f64 v[69:70], v[71:72], -v[69:70]
	v_add_f64 v[61:62], v[61:62], v[69:70]
	v_add_f64 v[69:70], v[65:66], -v[67:68]
	;; [unrolled: 2-line block ×3, first 2 shown]
	v_add_f64 v[55:56], v[55:56], -v[69:70]
	v_add_f64 v[65:66], v[63:64], v[61:62]
	v_add_f64 v[67:68], v[67:68], -v[71:72]
	v_add_f64 v[63:64], v[65:66], -v[63:64]
	v_add_f64 v[55:56], v[55:56], v[67:68]
	v_add_f64 v[61:62], v[61:62], -v[63:64]
	v_add_f64 v[55:56], v[55:56], v[61:62]
	v_mov_b32_e32 v61, 0x7ff80000
	v_add_f64 v[55:56], v[65:66], v[55:56]
	v_cndmask_b32_e64 v56, v79, v56, s[42:43]
	v_cndmask_b32_e64 v56, v61, v56, s[44:45]
	v_cmp_nge_f64_e64 s[44:45], -1.0, v[53:54]
	s_and_b64 s[42:43], s[44:45], s[42:43]
	v_cndmask_b32_e64 v55, 0, v55, s[42:43]
	v_cmp_neq_f64_e64 s[42:43], -1.0, v[53:54]
	v_mov_b32_e32 v53, 0xfff00000
	v_cndmask_b32_e64 v56, v53, v56, s[42:43]
	v_add_f64 v[53:54], v[23:24], v[55:56]
.LBB79_44:
	s_or_b64 exec, exec, s[52:53]
	v_mov_b32_e32 v23, v53
	v_mov_b32_e32 v55, v53
	;; [unrolled: 1-line block ×4, first 2 shown]
.LBB79_45:
	s_or_b64 exec, exec, s[50:51]
	v_mov_b32_dpp v53, v55 row_shr:2 row_mask:0xf bank_mask:0xf
	v_mov_b32_dpp v54, v56 row_shr:2 row_mask:0xf bank_mask:0xf
	v_cmp_lt_u32_e64 s[42:43], 1, v60
	s_and_saveexec_b64 s[50:51], s[42:43]
	s_cbranch_execz .LBB79_49
; %bb.46:
	v_max_f64 v[55:56], v[53:54], v[53:54]
	v_max_f64 v[61:62], v[23:24], v[23:24]
	v_cmp_u_f64_e64 s[42:43], v[53:54], v[53:54]
	v_cmp_u_f64_e64 s[44:45], v[23:24], v[23:24]
	v_min_f64 v[63:64], v[55:56], v[61:62]
	v_max_f64 v[55:56], v[55:56], v[61:62]
	v_cndmask_b32_e64 v61, v64, v54, s[42:43]
	v_cndmask_b32_e64 v62, v63, v53, s[42:43]
	;; [unrolled: 1-line block ×8, first 2 shown]
	v_cmp_neq_f64_e64 s[42:43], v[55:56], v[23:24]
	v_cmp_class_f64_e64 s[44:45], v[55:56], s33
	s_or_b64 s[42:43], s[42:43], s[44:45]
	s_and_saveexec_b64 s[52:53], s[42:43]
	s_cbranch_execz .LBB79_48
; %bb.47:
	v_add_f64 v[53:54], v[55:56], -v[23:24]
	s_mov_b32 s42, 0x652b82fe
	s_mov_b32 s43, 0x3ff71547
	;; [unrolled: 1-line block ×6, first 2 shown]
	v_mov_b32_e32 v63, 0xfca7ab0c
	v_mul_f64 v[55:56], v[53:54], s[42:43]
	s_mov_b32 s42, 0x6a5dcb37
	v_mov_b32_e32 v64, 0x3e928af3
	s_mov_b32 s43, 0x3e5ade15
	s_mov_b32 s44, 0
	;; [unrolled: 1-line block ×3, first 2 shown]
	v_cmp_ngt_f64_e64 s[44:45], s[44:45], v[53:54]
	v_mov_b32_e32 v79, 0x7ff00000
	v_rndne_f64_e32 v[55:56], v[55:56]
	v_fma_f64 v[61:62], v[55:56], s[54:55], v[53:54]
	s_mov_b32 s55, 0x3fe62e42
	v_fma_f64 v[61:62], v[55:56], s[56:57], v[61:62]
	v_cvt_i32_f64_e32 v55, v[55:56]
	s_mov_b32 s57, 0x3c7abc9e
	v_fma_f64 v[63:64], v[61:62], s[42:43], v[63:64]
	s_mov_b32 s42, 0x623fde64
	s_mov_b32 s43, 0x3ec71dee
	v_fma_f64 v[63:64], v[61:62], v[63:64], s[42:43]
	s_mov_b32 s42, 0x7c89e6b0
	;; [unrolled: 3-line block ×9, first 2 shown]
	s_mov_b32 s43, 0x40900000
	v_cmp_nlt_f64_e64 s[42:43], s[42:43], v[53:54]
	v_fma_f64 v[63:64], v[61:62], v[63:64], 1.0
	v_fma_f64 v[61:62], v[61:62], v[63:64], 1.0
	v_ldexp_f64 v[55:56], v[61:62], v55
	v_cndmask_b32_e64 v56, v79, v56, s[42:43]
	s_and_b64 s[42:43], s[44:45], s[42:43]
	v_cndmask_b32_e64 v53, 0, v55, s[42:43]
	v_cndmask_b32_e64 v54, 0, v56, s[44:45]
	v_add_f64 v[55:56], v[53:54], 1.0
	s_mov_b32 s45, 0x3fe55555
	s_mov_b32 s44, 0x55555555
	v_add_f64 v[61:62], v[55:56], -1.0
	v_frexp_exp_i32_f64_e32 v65, v[55:56]
	v_add_f64 v[63:64], v[61:62], -v[55:56]
	v_add_f64 v[61:62], v[53:54], -v[61:62]
	v_add_f64 v[63:64], v[63:64], 1.0
	v_add_f64 v[61:62], v[61:62], v[63:64]
	v_frexp_mant_f64_e32 v[63:64], v[55:56]
	v_cmp_gt_f64_e64 s[42:43], s[44:45], v[63:64]
	s_mov_b32 s44, 0x55555780
	v_subbrev_co_u32_e64 v80, s[42:43], 0, v65, s[42:43]
	v_sub_u32_e32 v63, 0, v80
	v_ldexp_f64 v[55:56], v[55:56], v63
	v_ldexp_f64 v[61:62], v[61:62], v63
	s_mov_b32 s42, 0xbf559e2b
	s_mov_b32 s43, 0x3fc3ab76
	v_add_f64 v[63:64], v[55:56], -1.0
	v_add_f64 v[65:66], v[63:64], 1.0
	v_add_f64 v[65:66], v[55:56], -v[65:66]
	v_add_f64 v[65:66], v[61:62], v[65:66]
	v_add_f64 v[67:68], v[63:64], v[65:66]
	v_add_f64 v[63:64], v[67:68], -v[63:64]
	v_add_f64 v[63:64], v[65:66], -v[63:64]
	v_add_f64 v[65:66], v[55:56], 1.0
	v_add_f64 v[69:70], v[65:66], -1.0
	v_add_f64 v[55:56], v[55:56], -v[69:70]
	v_add_f64 v[55:56], v[61:62], v[55:56]
	v_add_f64 v[61:62], v[65:66], v[55:56]
	v_add_f64 v[65:66], v[61:62], -v[65:66]
	v_add_f64 v[55:56], v[55:56], -v[65:66]
	v_rcp_f64_e32 v[65:66], v[61:62]
	v_fma_f64 v[69:70], -v[61:62], v[65:66], 1.0
	v_fma_f64 v[65:66], v[69:70], v[65:66], v[65:66]
	v_fma_f64 v[69:70], -v[61:62], v[65:66], 1.0
	v_fma_f64 v[65:66], v[69:70], v[65:66], v[65:66]
	v_mul_f64 v[69:70], v[67:68], v[65:66]
	v_mul_f64 v[71:72], v[61:62], v[69:70]
	v_fma_f64 v[73:74], v[69:70], v[61:62], -v[71:72]
	v_fma_f64 v[73:74], v[69:70], v[55:56], v[73:74]
	v_add_f64 v[75:76], v[71:72], v[73:74]
	v_add_f64 v[77:78], v[67:68], -v[75:76]
	v_add_f64 v[71:72], v[75:76], -v[71:72]
	;; [unrolled: 1-line block ×4, first 2 shown]
	v_add_f64 v[63:64], v[63:64], v[67:68]
	v_add_f64 v[67:68], v[71:72], -v[73:74]
	v_add_f64 v[63:64], v[67:68], v[63:64]
	v_add_f64 v[67:68], v[77:78], v[63:64]
	v_add_f64 v[71:72], v[77:78], -v[67:68]
	v_add_f64 v[63:64], v[63:64], v[71:72]
	v_mul_f64 v[71:72], v[65:66], v[67:68]
	v_mul_f64 v[73:74], v[61:62], v[71:72]
	v_fma_f64 v[61:62], v[71:72], v[61:62], -v[73:74]
	v_fma_f64 v[55:56], v[71:72], v[55:56], v[61:62]
	v_add_f64 v[61:62], v[73:74], v[55:56]
	v_add_f64 v[75:76], v[67:68], -v[61:62]
	v_add_f64 v[73:74], v[61:62], -v[73:74]
	;; [unrolled: 1-line block ×5, first 2 shown]
	v_cvt_f64_i32_e32 v[67:68], v80
	v_add_f64 v[61:62], v[63:64], v[61:62]
	v_add_f64 v[55:56], v[55:56], v[61:62]
	;; [unrolled: 1-line block ×4, first 2 shown]
	v_add_f64 v[63:64], v[61:62], -v[69:70]
	v_mul_f64 v[69:70], v[67:68], s[54:55]
	v_mul_f64 v[55:56], v[65:66], v[55:56]
	v_add_f64 v[63:64], v[71:72], -v[63:64]
	v_mov_b32_e32 v65, 0x6b47b09a
	v_mov_b32_e32 v66, 0x3fc38538
	v_fma_f64 v[71:72], v[67:68], s[54:55], -v[69:70]
	v_add_f64 v[55:56], v[63:64], v[55:56]
	v_fma_f64 v[67:68], v[67:68], s[56:57], v[71:72]
	v_add_f64 v[63:64], v[61:62], v[55:56]
	v_add_f64 v[71:72], v[69:70], v[67:68]
	v_add_f64 v[61:62], v[63:64], -v[61:62]
	v_add_f64 v[69:70], v[71:72], -v[69:70]
	;; [unrolled: 1-line block ×3, first 2 shown]
	v_mul_f64 v[61:62], v[63:64], v[63:64]
	v_add_f64 v[67:68], v[67:68], -v[69:70]
	v_ldexp_f64 v[69:70], v[63:64], 1
	v_ldexp_f64 v[55:56], v[55:56], 1
	v_fma_f64 v[65:66], v[61:62], s[42:43], v[65:66]
	s_mov_b32 s42, 0xd7f4df2e
	s_mov_b32 s43, 0x3fc7474d
	v_fma_f64 v[65:66], v[61:62], v[65:66], s[42:43]
	s_mov_b32 s42, 0x16291751
	s_mov_b32 s43, 0x3fcc71c0
	;; [unrolled: 3-line block ×5, first 2 shown]
	v_cmp_neq_f64_e64 s[42:43], s[42:43], v[53:54]
	v_fma_f64 v[65:66], v[61:62], v[65:66], s[44:45]
	v_mul_f64 v[61:62], v[63:64], v[61:62]
	v_cmp_ngt_f64_e64 s[44:45], -1.0, v[53:54]
	v_mul_f64 v[61:62], v[61:62], v[65:66]
	v_add_f64 v[63:64], v[69:70], v[61:62]
	v_add_f64 v[65:66], v[63:64], -v[69:70]
	v_add_f64 v[61:62], v[61:62], -v[65:66]
	v_add_f64 v[55:56], v[55:56], v[61:62]
	v_add_f64 v[61:62], v[63:64], v[55:56]
	v_add_f64 v[63:64], v[61:62], -v[63:64]
	v_add_f64 v[55:56], v[55:56], -v[63:64]
	v_add_f64 v[63:64], v[71:72], v[61:62]
	v_add_f64 v[65:66], v[63:64], -v[71:72]
	v_add_f64 v[69:70], v[63:64], -v[65:66]
	;; [unrolled: 1-line block ×3, first 2 shown]
	v_add_f64 v[65:66], v[67:68], v[55:56]
	v_add_f64 v[69:70], v[71:72], -v[69:70]
	v_add_f64 v[61:62], v[61:62], v[69:70]
	v_add_f64 v[69:70], v[65:66], -v[67:68]
	;; [unrolled: 2-line block ×3, first 2 shown]
	v_add_f64 v[55:56], v[55:56], -v[69:70]
	v_add_f64 v[65:66], v[63:64], v[61:62]
	v_add_f64 v[67:68], v[67:68], -v[71:72]
	v_add_f64 v[63:64], v[65:66], -v[63:64]
	v_add_f64 v[55:56], v[55:56], v[67:68]
	v_add_f64 v[61:62], v[61:62], -v[63:64]
	v_add_f64 v[55:56], v[55:56], v[61:62]
	v_mov_b32_e32 v61, 0x7ff80000
	v_add_f64 v[55:56], v[65:66], v[55:56]
	v_cndmask_b32_e64 v56, v79, v56, s[42:43]
	v_cndmask_b32_e64 v56, v61, v56, s[44:45]
	v_cmp_nge_f64_e64 s[44:45], -1.0, v[53:54]
	s_and_b64 s[42:43], s[44:45], s[42:43]
	v_cndmask_b32_e64 v55, 0, v55, s[42:43]
	v_cmp_neq_f64_e64 s[42:43], -1.0, v[53:54]
	v_mov_b32_e32 v53, 0xfff00000
	v_cndmask_b32_e64 v56, v53, v56, s[42:43]
	v_add_f64 v[53:54], v[23:24], v[55:56]
.LBB79_48:
	s_or_b64 exec, exec, s[52:53]
	v_mov_b32_e32 v23, v53
	v_mov_b32_e32 v24, v54
	;; [unrolled: 1-line block ×4, first 2 shown]
.LBB79_49:
	s_or_b64 exec, exec, s[50:51]
	v_mov_b32_dpp v53, v55 row_shr:4 row_mask:0xf bank_mask:0xf
	v_mov_b32_dpp v54, v56 row_shr:4 row_mask:0xf bank_mask:0xf
	v_cmp_lt_u32_e64 s[42:43], 3, v60
	s_and_saveexec_b64 s[50:51], s[42:43]
	s_cbranch_execz .LBB79_53
; %bb.50:
	v_max_f64 v[55:56], v[53:54], v[53:54]
	v_max_f64 v[61:62], v[23:24], v[23:24]
	v_cmp_u_f64_e64 s[42:43], v[53:54], v[53:54]
	v_cmp_u_f64_e64 s[44:45], v[23:24], v[23:24]
	v_min_f64 v[63:64], v[55:56], v[61:62]
	v_max_f64 v[55:56], v[55:56], v[61:62]
	v_cndmask_b32_e64 v61, v64, v54, s[42:43]
	v_cndmask_b32_e64 v62, v63, v53, s[42:43]
	;; [unrolled: 1-line block ×8, first 2 shown]
	v_cmp_neq_f64_e64 s[42:43], v[55:56], v[23:24]
	v_cmp_class_f64_e64 s[44:45], v[55:56], s33
	s_or_b64 s[42:43], s[42:43], s[44:45]
	s_and_saveexec_b64 s[52:53], s[42:43]
	s_cbranch_execz .LBB79_52
; %bb.51:
	v_add_f64 v[53:54], v[55:56], -v[23:24]
	s_mov_b32 s42, 0x652b82fe
	s_mov_b32 s43, 0x3ff71547
	s_mov_b32 s55, 0xbfe62e42
	s_mov_b32 s54, 0xfefa39ef
	s_mov_b32 s57, 0xbc7abc9e
	s_mov_b32 s56, 0x3b39803f
	v_mov_b32_e32 v63, 0xfca7ab0c
	v_mul_f64 v[55:56], v[53:54], s[42:43]
	s_mov_b32 s42, 0x6a5dcb37
	v_mov_b32_e32 v64, 0x3e928af3
	s_mov_b32 s43, 0x3e5ade15
	s_mov_b32 s44, 0
	;; [unrolled: 1-line block ×3, first 2 shown]
	v_cmp_ngt_f64_e64 s[44:45], s[44:45], v[53:54]
	v_mov_b32_e32 v79, 0x7ff00000
	v_rndne_f64_e32 v[55:56], v[55:56]
	v_fma_f64 v[61:62], v[55:56], s[54:55], v[53:54]
	s_mov_b32 s55, 0x3fe62e42
	v_fma_f64 v[61:62], v[55:56], s[56:57], v[61:62]
	v_cvt_i32_f64_e32 v55, v[55:56]
	s_mov_b32 s57, 0x3c7abc9e
	v_fma_f64 v[63:64], v[61:62], s[42:43], v[63:64]
	s_mov_b32 s42, 0x623fde64
	s_mov_b32 s43, 0x3ec71dee
	v_fma_f64 v[63:64], v[61:62], v[63:64], s[42:43]
	s_mov_b32 s42, 0x7c89e6b0
	;; [unrolled: 3-line block ×9, first 2 shown]
	s_mov_b32 s43, 0x40900000
	v_cmp_nlt_f64_e64 s[42:43], s[42:43], v[53:54]
	v_fma_f64 v[63:64], v[61:62], v[63:64], 1.0
	v_fma_f64 v[61:62], v[61:62], v[63:64], 1.0
	v_ldexp_f64 v[55:56], v[61:62], v55
	v_cndmask_b32_e64 v56, v79, v56, s[42:43]
	s_and_b64 s[42:43], s[44:45], s[42:43]
	v_cndmask_b32_e64 v53, 0, v55, s[42:43]
	v_cndmask_b32_e64 v54, 0, v56, s[44:45]
	v_add_f64 v[55:56], v[53:54], 1.0
	s_mov_b32 s45, 0x3fe55555
	s_mov_b32 s44, 0x55555555
	v_add_f64 v[61:62], v[55:56], -1.0
	v_frexp_exp_i32_f64_e32 v65, v[55:56]
	v_add_f64 v[63:64], v[61:62], -v[55:56]
	v_add_f64 v[61:62], v[53:54], -v[61:62]
	v_add_f64 v[63:64], v[63:64], 1.0
	v_add_f64 v[61:62], v[61:62], v[63:64]
	v_frexp_mant_f64_e32 v[63:64], v[55:56]
	v_cmp_gt_f64_e64 s[42:43], s[44:45], v[63:64]
	s_mov_b32 s44, 0x55555780
	v_subbrev_co_u32_e64 v80, s[42:43], 0, v65, s[42:43]
	v_sub_u32_e32 v63, 0, v80
	v_ldexp_f64 v[55:56], v[55:56], v63
	v_ldexp_f64 v[61:62], v[61:62], v63
	s_mov_b32 s42, 0xbf559e2b
	s_mov_b32 s43, 0x3fc3ab76
	v_add_f64 v[63:64], v[55:56], -1.0
	v_add_f64 v[65:66], v[63:64], 1.0
	v_add_f64 v[65:66], v[55:56], -v[65:66]
	v_add_f64 v[65:66], v[61:62], v[65:66]
	v_add_f64 v[67:68], v[63:64], v[65:66]
	v_add_f64 v[63:64], v[67:68], -v[63:64]
	v_add_f64 v[63:64], v[65:66], -v[63:64]
	v_add_f64 v[65:66], v[55:56], 1.0
	v_add_f64 v[69:70], v[65:66], -1.0
	v_add_f64 v[55:56], v[55:56], -v[69:70]
	v_add_f64 v[55:56], v[61:62], v[55:56]
	v_add_f64 v[61:62], v[65:66], v[55:56]
	v_add_f64 v[65:66], v[61:62], -v[65:66]
	v_add_f64 v[55:56], v[55:56], -v[65:66]
	v_rcp_f64_e32 v[65:66], v[61:62]
	v_fma_f64 v[69:70], -v[61:62], v[65:66], 1.0
	v_fma_f64 v[65:66], v[69:70], v[65:66], v[65:66]
	v_fma_f64 v[69:70], -v[61:62], v[65:66], 1.0
	v_fma_f64 v[65:66], v[69:70], v[65:66], v[65:66]
	v_mul_f64 v[69:70], v[67:68], v[65:66]
	v_mul_f64 v[71:72], v[61:62], v[69:70]
	v_fma_f64 v[73:74], v[69:70], v[61:62], -v[71:72]
	v_fma_f64 v[73:74], v[69:70], v[55:56], v[73:74]
	v_add_f64 v[75:76], v[71:72], v[73:74]
	v_add_f64 v[77:78], v[67:68], -v[75:76]
	v_add_f64 v[71:72], v[75:76], -v[71:72]
	;; [unrolled: 1-line block ×4, first 2 shown]
	v_add_f64 v[63:64], v[63:64], v[67:68]
	v_add_f64 v[67:68], v[71:72], -v[73:74]
	v_add_f64 v[63:64], v[67:68], v[63:64]
	v_add_f64 v[67:68], v[77:78], v[63:64]
	v_add_f64 v[71:72], v[77:78], -v[67:68]
	v_add_f64 v[63:64], v[63:64], v[71:72]
	v_mul_f64 v[71:72], v[65:66], v[67:68]
	v_mul_f64 v[73:74], v[61:62], v[71:72]
	v_fma_f64 v[61:62], v[71:72], v[61:62], -v[73:74]
	v_fma_f64 v[55:56], v[71:72], v[55:56], v[61:62]
	v_add_f64 v[61:62], v[73:74], v[55:56]
	v_add_f64 v[75:76], v[67:68], -v[61:62]
	v_add_f64 v[73:74], v[61:62], -v[73:74]
	;; [unrolled: 1-line block ×5, first 2 shown]
	v_cvt_f64_i32_e32 v[67:68], v80
	v_add_f64 v[61:62], v[63:64], v[61:62]
	v_add_f64 v[55:56], v[55:56], v[61:62]
	;; [unrolled: 1-line block ×4, first 2 shown]
	v_add_f64 v[63:64], v[61:62], -v[69:70]
	v_mul_f64 v[69:70], v[67:68], s[54:55]
	v_mul_f64 v[55:56], v[65:66], v[55:56]
	v_add_f64 v[63:64], v[71:72], -v[63:64]
	v_mov_b32_e32 v65, 0x6b47b09a
	v_mov_b32_e32 v66, 0x3fc38538
	v_fma_f64 v[71:72], v[67:68], s[54:55], -v[69:70]
	v_add_f64 v[55:56], v[63:64], v[55:56]
	v_fma_f64 v[67:68], v[67:68], s[56:57], v[71:72]
	v_add_f64 v[63:64], v[61:62], v[55:56]
	v_add_f64 v[71:72], v[69:70], v[67:68]
	v_add_f64 v[61:62], v[63:64], -v[61:62]
	v_add_f64 v[69:70], v[71:72], -v[69:70]
	v_add_f64 v[55:56], v[55:56], -v[61:62]
	v_mul_f64 v[61:62], v[63:64], v[63:64]
	v_add_f64 v[67:68], v[67:68], -v[69:70]
	v_ldexp_f64 v[69:70], v[63:64], 1
	v_ldexp_f64 v[55:56], v[55:56], 1
	v_fma_f64 v[65:66], v[61:62], s[42:43], v[65:66]
	s_mov_b32 s42, 0xd7f4df2e
	s_mov_b32 s43, 0x3fc7474d
	v_fma_f64 v[65:66], v[61:62], v[65:66], s[42:43]
	s_mov_b32 s42, 0x16291751
	s_mov_b32 s43, 0x3fcc71c0
	;; [unrolled: 3-line block ×5, first 2 shown]
	v_cmp_neq_f64_e64 s[42:43], s[42:43], v[53:54]
	v_fma_f64 v[65:66], v[61:62], v[65:66], s[44:45]
	v_mul_f64 v[61:62], v[63:64], v[61:62]
	v_cmp_ngt_f64_e64 s[44:45], -1.0, v[53:54]
	v_mul_f64 v[61:62], v[61:62], v[65:66]
	v_add_f64 v[63:64], v[69:70], v[61:62]
	v_add_f64 v[65:66], v[63:64], -v[69:70]
	v_add_f64 v[61:62], v[61:62], -v[65:66]
	v_add_f64 v[55:56], v[55:56], v[61:62]
	v_add_f64 v[61:62], v[63:64], v[55:56]
	v_add_f64 v[63:64], v[61:62], -v[63:64]
	v_add_f64 v[55:56], v[55:56], -v[63:64]
	v_add_f64 v[63:64], v[71:72], v[61:62]
	v_add_f64 v[65:66], v[63:64], -v[71:72]
	v_add_f64 v[69:70], v[63:64], -v[65:66]
	v_add_f64 v[61:62], v[61:62], -v[65:66]
	v_add_f64 v[65:66], v[67:68], v[55:56]
	v_add_f64 v[69:70], v[71:72], -v[69:70]
	v_add_f64 v[61:62], v[61:62], v[69:70]
	v_add_f64 v[69:70], v[65:66], -v[67:68]
	;; [unrolled: 2-line block ×3, first 2 shown]
	v_add_f64 v[55:56], v[55:56], -v[69:70]
	v_add_f64 v[65:66], v[63:64], v[61:62]
	v_add_f64 v[67:68], v[67:68], -v[71:72]
	v_add_f64 v[63:64], v[65:66], -v[63:64]
	v_add_f64 v[55:56], v[55:56], v[67:68]
	v_add_f64 v[61:62], v[61:62], -v[63:64]
	v_add_f64 v[55:56], v[55:56], v[61:62]
	v_mov_b32_e32 v61, 0x7ff80000
	v_add_f64 v[55:56], v[65:66], v[55:56]
	v_cndmask_b32_e64 v56, v79, v56, s[42:43]
	v_cndmask_b32_e64 v56, v61, v56, s[44:45]
	v_cmp_nge_f64_e64 s[44:45], -1.0, v[53:54]
	s_and_b64 s[42:43], s[44:45], s[42:43]
	v_cndmask_b32_e64 v55, 0, v55, s[42:43]
	v_cmp_neq_f64_e64 s[42:43], -1.0, v[53:54]
	v_mov_b32_e32 v53, 0xfff00000
	v_cndmask_b32_e64 v56, v53, v56, s[42:43]
	v_add_f64 v[53:54], v[23:24], v[55:56]
.LBB79_52:
	s_or_b64 exec, exec, s[52:53]
	v_mov_b32_e32 v23, v53
	v_mov_b32_e32 v24, v54
	;; [unrolled: 1-line block ×4, first 2 shown]
.LBB79_53:
	s_or_b64 exec, exec, s[50:51]
	v_mov_b32_dpp v53, v55 row_shr:8 row_mask:0xf bank_mask:0xf
	v_mov_b32_dpp v54, v56 row_shr:8 row_mask:0xf bank_mask:0xf
	v_cmp_lt_u32_e64 s[42:43], 7, v60
	s_and_saveexec_b64 s[50:51], s[42:43]
	s_cbranch_execz .LBB79_57
; %bb.54:
	v_max_f64 v[55:56], v[53:54], v[53:54]
	v_max_f64 v[60:61], v[23:24], v[23:24]
	v_cmp_u_f64_e64 s[42:43], v[53:54], v[53:54]
	v_cmp_u_f64_e64 s[44:45], v[23:24], v[23:24]
	v_min_f64 v[62:63], v[55:56], v[60:61]
	v_max_f64 v[55:56], v[55:56], v[60:61]
	v_cndmask_b32_e64 v60, v63, v54, s[42:43]
	v_cndmask_b32_e64 v61, v62, v53, s[42:43]
	;; [unrolled: 1-line block ×8, first 2 shown]
	v_cmp_neq_f64_e64 s[42:43], v[55:56], v[23:24]
	v_cmp_class_f64_e64 s[44:45], v[55:56], s33
	s_or_b64 s[42:43], s[42:43], s[44:45]
	s_and_saveexec_b64 s[52:53], s[42:43]
	s_cbranch_execz .LBB79_56
; %bb.55:
	v_add_f64 v[53:54], v[55:56], -v[23:24]
	s_mov_b32 s42, 0x652b82fe
	s_mov_b32 s43, 0x3ff71547
	;; [unrolled: 1-line block ×6, first 2 shown]
	v_mov_b32_e32 v62, 0xfca7ab0c
	v_mul_f64 v[55:56], v[53:54], s[42:43]
	s_mov_b32 s42, 0x6a5dcb37
	v_mov_b32_e32 v63, 0x3e928af3
	s_mov_b32 s43, 0x3e5ade15
	s_mov_b32 s44, 0
	;; [unrolled: 1-line block ×3, first 2 shown]
	v_cmp_ngt_f64_e64 s[44:45], s[44:45], v[53:54]
	v_mov_b32_e32 v80, 0x7ff00000
	v_rndne_f64_e32 v[55:56], v[55:56]
	v_fma_f64 v[60:61], v[55:56], s[54:55], v[53:54]
	s_mov_b32 s55, 0x3fe62e42
	v_fma_f64 v[60:61], v[55:56], s[56:57], v[60:61]
	v_cvt_i32_f64_e32 v55, v[55:56]
	s_mov_b32 s57, 0x3c7abc9e
	v_fma_f64 v[62:63], v[60:61], s[42:43], v[62:63]
	s_mov_b32 s42, 0x623fde64
	s_mov_b32 s43, 0x3ec71dee
	v_fma_f64 v[62:63], v[60:61], v[62:63], s[42:43]
	s_mov_b32 s42, 0x7c89e6b0
	;; [unrolled: 3-line block ×9, first 2 shown]
	s_mov_b32 s43, 0x40900000
	v_cmp_nlt_f64_e64 s[42:43], s[42:43], v[53:54]
	v_fma_f64 v[62:63], v[60:61], v[62:63], 1.0
	v_fma_f64 v[60:61], v[60:61], v[62:63], 1.0
	v_ldexp_f64 v[55:56], v[60:61], v55
	v_cndmask_b32_e64 v56, v80, v56, s[42:43]
	s_and_b64 s[42:43], s[44:45], s[42:43]
	v_cndmask_b32_e64 v54, 0, v56, s[44:45]
	v_cndmask_b32_e64 v53, 0, v55, s[42:43]
	v_add_f64 v[55:56], v[53:54], 1.0
	s_mov_b32 s45, 0x3fe55555
	s_mov_b32 s44, 0x55555555
	v_frexp_mant_f64_e32 v[62:63], v[55:56]
	v_frexp_exp_i32_f64_e32 v66, v[55:56]
	v_add_f64 v[60:61], v[55:56], -1.0
	v_cmp_gt_f64_e64 s[42:43], s[44:45], v[62:63]
	s_mov_b32 s44, 0x55555780
	v_add_f64 v[64:65], v[60:61], -v[55:56]
	v_add_f64 v[60:61], v[53:54], -v[60:61]
	v_subbrev_co_u32_e64 v81, s[42:43], 0, v66, s[42:43]
	v_sub_u32_e32 v66, 0, v81
	v_ldexp_f64 v[55:56], v[55:56], v66
	v_add_f64 v[62:63], v[64:65], 1.0
	s_mov_b32 s42, 0xbf559e2b
	s_mov_b32 s43, 0x3fc3ab76
	v_add_f64 v[64:65], v[55:56], 1.0
	v_add_f64 v[60:61], v[60:61], v[62:63]
	v_add_f64 v[70:71], v[55:56], -1.0
	v_add_f64 v[62:63], v[64:65], -1.0
	v_ldexp_f64 v[60:61], v[60:61], v66
	v_add_f64 v[72:73], v[70:71], 1.0
	v_add_f64 v[62:63], v[55:56], -v[62:63]
	v_add_f64 v[55:56], v[55:56], -v[72:73]
	v_add_f64 v[62:63], v[60:61], v[62:63]
	v_add_f64 v[55:56], v[60:61], v[55:56]
	;; [unrolled: 1-line block ×4, first 2 shown]
	v_rcp_f64_e32 v[68:69], v[66:67]
	v_add_f64 v[64:65], v[66:67], -v[64:65]
	v_add_f64 v[70:71], v[72:73], -v[70:71]
	;; [unrolled: 1-line block ×4, first 2 shown]
	v_fma_f64 v[74:75], -v[66:67], v[68:69], 1.0
	v_fma_f64 v[68:69], v[74:75], v[68:69], v[68:69]
	v_fma_f64 v[60:61], -v[66:67], v[68:69], 1.0
	v_fma_f64 v[60:61], v[60:61], v[68:69], v[68:69]
	v_mul_f64 v[68:69], v[72:73], v[60:61]
	v_mul_f64 v[74:75], v[66:67], v[68:69]
	v_fma_f64 v[64:65], v[68:69], v[66:67], -v[74:75]
	v_fma_f64 v[64:65], v[68:69], v[62:63], v[64:65]
	v_add_f64 v[76:77], v[74:75], v[64:65]
	v_add_f64 v[78:79], v[72:73], -v[76:77]
	v_add_f64 v[70:71], v[76:77], -v[74:75]
	;; [unrolled: 1-line block ×5, first 2 shown]
	v_add_f64 v[55:56], v[55:56], v[72:73]
	v_add_f64 v[55:56], v[64:65], v[55:56]
	;; [unrolled: 1-line block ×3, first 2 shown]
	v_mul_f64 v[70:71], v[60:61], v[64:65]
	v_add_f64 v[76:77], v[78:79], -v[64:65]
	v_mul_f64 v[72:73], v[66:67], v[70:71]
	v_add_f64 v[55:56], v[55:56], v[76:77]
	v_fma_f64 v[66:67], v[70:71], v[66:67], -v[72:73]
	v_fma_f64 v[62:63], v[70:71], v[62:63], v[66:67]
	v_add_f64 v[66:67], v[72:73], v[62:63]
	v_add_f64 v[74:75], v[64:65], -v[66:67]
	v_add_f64 v[72:73], v[66:67], -v[72:73]
	;; [unrolled: 1-line block ×5, first 2 shown]
	v_mov_b32_e32 v66, 0x6b47b09a
	v_mov_b32_e32 v67, 0x3fc38538
	v_add_f64 v[55:56], v[55:56], v[64:65]
	v_add_f64 v[64:65], v[68:69], v[70:71]
	;; [unrolled: 1-line block ×3, first 2 shown]
	v_add_f64 v[62:63], v[64:65], -v[68:69]
	v_add_f64 v[55:56], v[74:75], v[55:56]
	v_add_f64 v[62:63], v[70:71], -v[62:63]
	v_mul_f64 v[55:56], v[60:61], v[55:56]
	v_add_f64 v[55:56], v[62:63], v[55:56]
	v_add_f64 v[60:61], v[64:65], v[55:56]
	v_mul_f64 v[62:63], v[60:61], v[60:61]
	v_fma_f64 v[66:67], v[62:63], s[42:43], v[66:67]
	s_mov_b32 s42, 0xd7f4df2e
	s_mov_b32 s43, 0x3fc7474d
	v_mul_f64 v[68:69], v[60:61], v[62:63]
	v_fma_f64 v[66:67], v[62:63], v[66:67], s[42:43]
	s_mov_b32 s42, 0x16291751
	s_mov_b32 s43, 0x3fcc71c0
	v_fma_f64 v[66:67], v[62:63], v[66:67], s[42:43]
	s_mov_b32 s42, 0x9b27acf1
	s_mov_b32 s43, 0x3fd24924
	;; [unrolled: 3-line block ×3, first 2 shown]
	v_fma_f64 v[66:67], v[62:63], v[66:67], s[42:43]
	v_cmp_nge_f64_e64 s[42:43], -1.0, v[53:54]
	v_fma_f64 v[62:63], v[62:63], v[66:67], s[44:45]
	v_ldexp_f64 v[66:67], v[60:61], 1
	v_add_f64 v[60:61], v[60:61], -v[64:65]
	s_mov_b32 s44, 0
	s_mov_b32 s45, 0x7ff00000
	v_cmp_neq_f64_e64 s[44:45], s[44:45], v[53:54]
	v_mul_f64 v[62:63], v[68:69], v[62:63]
	v_cvt_f64_i32_e32 v[68:69], v81
	v_add_f64 v[55:56], v[55:56], -v[60:61]
	v_mul_f64 v[70:71], v[68:69], s[54:55]
	s_and_b64 s[42:43], s[42:43], s[44:45]
	v_add_f64 v[64:65], v[66:67], v[62:63]
	v_ldexp_f64 v[55:56], v[55:56], 1
	v_add_f64 v[60:61], v[64:65], -v[66:67]
	v_fma_f64 v[66:67], v[68:69], s[54:55], -v[70:71]
	v_add_f64 v[60:61], v[62:63], -v[60:61]
	v_fma_f64 v[62:63], v[68:69], s[56:57], v[66:67]
	v_add_f64 v[55:56], v[55:56], v[60:61]
	v_add_f64 v[60:61], v[70:71], v[62:63]
	;; [unrolled: 1-line block ×3, first 2 shown]
	v_add_f64 v[70:71], v[60:61], -v[70:71]
	v_add_f64 v[68:69], v[60:61], v[66:67]
	v_add_f64 v[64:65], v[66:67], -v[64:65]
	v_add_f64 v[62:63], v[62:63], -v[70:71]
	;; [unrolled: 1-line block ×6, first 2 shown]
	v_add_f64 v[66:67], v[62:63], v[55:56]
	v_add_f64 v[60:61], v[60:61], -v[74:75]
	v_add_f64 v[60:61], v[64:65], v[60:61]
	v_add_f64 v[64:65], v[66:67], -v[62:63]
	;; [unrolled: 2-line block ×3, first 2 shown]
	v_add_f64 v[55:56], v[55:56], -v[64:65]
	v_add_f64 v[70:71], v[68:69], v[60:61]
	v_add_f64 v[62:63], v[62:63], -v[66:67]
	v_add_f64 v[64:65], v[70:71], -v[68:69]
	v_add_f64 v[55:56], v[55:56], v[62:63]
	v_add_f64 v[60:61], v[60:61], -v[64:65]
	v_add_f64 v[55:56], v[55:56], v[60:61]
	v_mov_b32_e32 v60, 0x7ff80000
	v_mov_b32_e32 v61, 0xfff00000
	v_add_f64 v[55:56], v[70:71], v[55:56]
	v_cndmask_b32_e64 v55, 0, v55, s[42:43]
	v_cmp_ngt_f64_e64 s[42:43], -1.0, v[53:54]
	v_cndmask_b32_e64 v56, v80, v56, s[44:45]
	v_cndmask_b32_e64 v56, v60, v56, s[42:43]
	v_cmp_neq_f64_e64 s[42:43], -1.0, v[53:54]
	v_cndmask_b32_e64 v56, v61, v56, s[42:43]
	v_add_f64 v[53:54], v[23:24], v[55:56]
.LBB79_56:
	s_or_b64 exec, exec, s[52:53]
	v_mov_b32_e32 v23, v53
	v_mov_b32_e32 v24, v54
	;; [unrolled: 1-line block ×4, first 2 shown]
.LBB79_57:
	s_or_b64 exec, exec, s[50:51]
	v_and_b32_e32 v60, 16, v59
	v_mov_b32_dpp v53, v55 row_bcast:15 row_mask:0xf bank_mask:0xf
	v_mov_b32_dpp v54, v56 row_bcast:15 row_mask:0xf bank_mask:0xf
	v_cmp_ne_u32_e64 s[42:43], 0, v60
	s_and_saveexec_b64 s[50:51], s[42:43]
	s_cbranch_execz .LBB79_61
; %bb.58:
	v_max_f64 v[55:56], v[53:54], v[53:54]
	v_max_f64 v[60:61], v[23:24], v[23:24]
	v_cmp_u_f64_e64 s[42:43], v[53:54], v[53:54]
	v_cmp_u_f64_e64 s[44:45], v[23:24], v[23:24]
	v_min_f64 v[62:63], v[55:56], v[60:61]
	v_max_f64 v[55:56], v[55:56], v[60:61]
	v_cndmask_b32_e64 v60, v63, v54, s[42:43]
	v_cndmask_b32_e64 v61, v62, v53, s[42:43]
	;; [unrolled: 1-line block ×8, first 2 shown]
	v_cmp_neq_f64_e64 s[42:43], v[55:56], v[23:24]
	v_cmp_class_f64_e64 s[44:45], v[55:56], s33
	s_or_b64 s[42:43], s[42:43], s[44:45]
	s_and_saveexec_b64 s[52:53], s[42:43]
	s_cbranch_execz .LBB79_60
; %bb.59:
	v_add_f64 v[53:54], v[55:56], -v[23:24]
	s_mov_b32 s42, 0x652b82fe
	s_mov_b32 s43, 0x3ff71547
	;; [unrolled: 1-line block ×6, first 2 shown]
	v_mov_b32_e32 v62, 0xfca7ab0c
	v_mul_f64 v[55:56], v[53:54], s[42:43]
	s_mov_b32 s42, 0x6a5dcb37
	v_mov_b32_e32 v63, 0x3e928af3
	s_mov_b32 s43, 0x3e5ade15
	s_mov_b32 s44, 0
	;; [unrolled: 1-line block ×3, first 2 shown]
	v_cmp_ngt_f64_e64 s[44:45], s[44:45], v[53:54]
	v_mov_b32_e32 v80, 0x7ff00000
	v_rndne_f64_e32 v[55:56], v[55:56]
	v_fma_f64 v[60:61], v[55:56], s[54:55], v[53:54]
	s_mov_b32 s55, 0x3fe62e42
	v_fma_f64 v[60:61], v[55:56], s[56:57], v[60:61]
	v_cvt_i32_f64_e32 v55, v[55:56]
	s_mov_b32 s57, 0x3c7abc9e
	v_fma_f64 v[62:63], v[60:61], s[42:43], v[62:63]
	s_mov_b32 s42, 0x623fde64
	s_mov_b32 s43, 0x3ec71dee
	v_fma_f64 v[62:63], v[60:61], v[62:63], s[42:43]
	s_mov_b32 s42, 0x7c89e6b0
	;; [unrolled: 3-line block ×9, first 2 shown]
	s_mov_b32 s43, 0x40900000
	v_cmp_nlt_f64_e64 s[42:43], s[42:43], v[53:54]
	v_fma_f64 v[62:63], v[60:61], v[62:63], 1.0
	v_fma_f64 v[60:61], v[60:61], v[62:63], 1.0
	v_ldexp_f64 v[55:56], v[60:61], v55
	v_cndmask_b32_e64 v56, v80, v56, s[42:43]
	s_and_b64 s[42:43], s[44:45], s[42:43]
	v_cndmask_b32_e64 v54, 0, v56, s[44:45]
	v_cndmask_b32_e64 v53, 0, v55, s[42:43]
	v_add_f64 v[55:56], v[53:54], 1.0
	s_mov_b32 s45, 0x3fe55555
	s_mov_b32 s44, 0x55555555
	v_frexp_mant_f64_e32 v[62:63], v[55:56]
	v_frexp_exp_i32_f64_e32 v66, v[55:56]
	v_add_f64 v[60:61], v[55:56], -1.0
	v_cmp_gt_f64_e64 s[42:43], s[44:45], v[62:63]
	s_mov_b32 s44, 0x55555780
	v_add_f64 v[64:65], v[60:61], -v[55:56]
	v_add_f64 v[60:61], v[53:54], -v[60:61]
	v_subbrev_co_u32_e64 v81, s[42:43], 0, v66, s[42:43]
	v_sub_u32_e32 v66, 0, v81
	v_ldexp_f64 v[55:56], v[55:56], v66
	v_add_f64 v[62:63], v[64:65], 1.0
	s_mov_b32 s42, 0xbf559e2b
	s_mov_b32 s43, 0x3fc3ab76
	v_add_f64 v[64:65], v[55:56], 1.0
	v_add_f64 v[60:61], v[60:61], v[62:63]
	v_add_f64 v[70:71], v[55:56], -1.0
	v_add_f64 v[62:63], v[64:65], -1.0
	v_ldexp_f64 v[60:61], v[60:61], v66
	v_add_f64 v[72:73], v[70:71], 1.0
	v_add_f64 v[62:63], v[55:56], -v[62:63]
	v_add_f64 v[55:56], v[55:56], -v[72:73]
	v_add_f64 v[62:63], v[60:61], v[62:63]
	v_add_f64 v[55:56], v[60:61], v[55:56]
	v_add_f64 v[66:67], v[64:65], v[62:63]
	v_add_f64 v[72:73], v[70:71], v[55:56]
	v_rcp_f64_e32 v[68:69], v[66:67]
	v_add_f64 v[64:65], v[66:67], -v[64:65]
	v_add_f64 v[70:71], v[72:73], -v[70:71]
	;; [unrolled: 1-line block ×4, first 2 shown]
	v_fma_f64 v[74:75], -v[66:67], v[68:69], 1.0
	v_fma_f64 v[68:69], v[74:75], v[68:69], v[68:69]
	v_fma_f64 v[60:61], -v[66:67], v[68:69], 1.0
	v_fma_f64 v[60:61], v[60:61], v[68:69], v[68:69]
	v_mul_f64 v[68:69], v[72:73], v[60:61]
	v_mul_f64 v[74:75], v[66:67], v[68:69]
	v_fma_f64 v[64:65], v[68:69], v[66:67], -v[74:75]
	v_fma_f64 v[64:65], v[68:69], v[62:63], v[64:65]
	v_add_f64 v[76:77], v[74:75], v[64:65]
	v_add_f64 v[78:79], v[72:73], -v[76:77]
	v_add_f64 v[70:71], v[76:77], -v[74:75]
	;; [unrolled: 1-line block ×5, first 2 shown]
	v_add_f64 v[55:56], v[55:56], v[72:73]
	v_add_f64 v[55:56], v[64:65], v[55:56]
	;; [unrolled: 1-line block ×3, first 2 shown]
	v_mul_f64 v[70:71], v[60:61], v[64:65]
	v_add_f64 v[76:77], v[78:79], -v[64:65]
	v_mul_f64 v[72:73], v[66:67], v[70:71]
	v_add_f64 v[55:56], v[55:56], v[76:77]
	v_fma_f64 v[66:67], v[70:71], v[66:67], -v[72:73]
	v_fma_f64 v[62:63], v[70:71], v[62:63], v[66:67]
	v_add_f64 v[66:67], v[72:73], v[62:63]
	v_add_f64 v[74:75], v[64:65], -v[66:67]
	v_add_f64 v[72:73], v[66:67], -v[72:73]
	;; [unrolled: 1-line block ×5, first 2 shown]
	v_mov_b32_e32 v66, 0x6b47b09a
	v_mov_b32_e32 v67, 0x3fc38538
	v_add_f64 v[55:56], v[55:56], v[64:65]
	v_add_f64 v[64:65], v[68:69], v[70:71]
	;; [unrolled: 1-line block ×3, first 2 shown]
	v_add_f64 v[62:63], v[64:65], -v[68:69]
	v_add_f64 v[55:56], v[74:75], v[55:56]
	v_add_f64 v[62:63], v[70:71], -v[62:63]
	v_mul_f64 v[55:56], v[60:61], v[55:56]
	v_add_f64 v[55:56], v[62:63], v[55:56]
	v_add_f64 v[60:61], v[64:65], v[55:56]
	v_mul_f64 v[62:63], v[60:61], v[60:61]
	v_fma_f64 v[66:67], v[62:63], s[42:43], v[66:67]
	s_mov_b32 s42, 0xd7f4df2e
	s_mov_b32 s43, 0x3fc7474d
	v_mul_f64 v[68:69], v[60:61], v[62:63]
	v_fma_f64 v[66:67], v[62:63], v[66:67], s[42:43]
	s_mov_b32 s42, 0x16291751
	s_mov_b32 s43, 0x3fcc71c0
	v_fma_f64 v[66:67], v[62:63], v[66:67], s[42:43]
	s_mov_b32 s42, 0x9b27acf1
	s_mov_b32 s43, 0x3fd24924
	;; [unrolled: 3-line block ×3, first 2 shown]
	v_fma_f64 v[66:67], v[62:63], v[66:67], s[42:43]
	v_cmp_nge_f64_e64 s[42:43], -1.0, v[53:54]
	v_fma_f64 v[62:63], v[62:63], v[66:67], s[44:45]
	v_ldexp_f64 v[66:67], v[60:61], 1
	v_add_f64 v[60:61], v[60:61], -v[64:65]
	s_mov_b32 s44, 0
	s_mov_b32 s45, 0x7ff00000
	v_cmp_neq_f64_e64 s[44:45], s[44:45], v[53:54]
	v_mul_f64 v[62:63], v[68:69], v[62:63]
	v_cvt_f64_i32_e32 v[68:69], v81
	v_add_f64 v[55:56], v[55:56], -v[60:61]
	v_mul_f64 v[70:71], v[68:69], s[54:55]
	s_and_b64 s[42:43], s[42:43], s[44:45]
	v_add_f64 v[64:65], v[66:67], v[62:63]
	v_ldexp_f64 v[55:56], v[55:56], 1
	v_add_f64 v[60:61], v[64:65], -v[66:67]
	v_fma_f64 v[66:67], v[68:69], s[54:55], -v[70:71]
	v_add_f64 v[60:61], v[62:63], -v[60:61]
	v_fma_f64 v[62:63], v[68:69], s[56:57], v[66:67]
	v_add_f64 v[55:56], v[55:56], v[60:61]
	v_add_f64 v[60:61], v[70:71], v[62:63]
	;; [unrolled: 1-line block ×3, first 2 shown]
	v_add_f64 v[70:71], v[60:61], -v[70:71]
	v_add_f64 v[68:69], v[60:61], v[66:67]
	v_add_f64 v[64:65], v[66:67], -v[64:65]
	v_add_f64 v[62:63], v[62:63], -v[70:71]
	;; [unrolled: 1-line block ×6, first 2 shown]
	v_add_f64 v[66:67], v[62:63], v[55:56]
	v_add_f64 v[60:61], v[60:61], -v[74:75]
	v_add_f64 v[60:61], v[64:65], v[60:61]
	v_add_f64 v[64:65], v[66:67], -v[62:63]
	;; [unrolled: 2-line block ×3, first 2 shown]
	v_add_f64 v[55:56], v[55:56], -v[64:65]
	v_add_f64 v[70:71], v[68:69], v[60:61]
	v_add_f64 v[62:63], v[62:63], -v[66:67]
	v_add_f64 v[64:65], v[70:71], -v[68:69]
	v_add_f64 v[55:56], v[55:56], v[62:63]
	v_add_f64 v[60:61], v[60:61], -v[64:65]
	v_add_f64 v[55:56], v[55:56], v[60:61]
	v_mov_b32_e32 v60, 0x7ff80000
	v_mov_b32_e32 v61, 0xfff00000
	v_add_f64 v[55:56], v[70:71], v[55:56]
	v_cndmask_b32_e64 v55, 0, v55, s[42:43]
	v_cmp_ngt_f64_e64 s[42:43], -1.0, v[53:54]
	v_cndmask_b32_e64 v56, v80, v56, s[44:45]
	v_cndmask_b32_e64 v56, v60, v56, s[42:43]
	v_cmp_neq_f64_e64 s[42:43], -1.0, v[53:54]
	v_cndmask_b32_e64 v56, v61, v56, s[42:43]
	v_add_f64 v[53:54], v[23:24], v[55:56]
.LBB79_60:
	s_or_b64 exec, exec, s[52:53]
	v_mov_b32_e32 v23, v53
	v_mov_b32_e32 v55, v53
	;; [unrolled: 1-line block ×4, first 2 shown]
.LBB79_61:
	s_or_b64 exec, exec, s[50:51]
	v_mov_b32_dpp v53, v55 row_bcast:31 row_mask:0xf bank_mask:0xf
	v_mov_b32_dpp v54, v56 row_bcast:31 row_mask:0xf bank_mask:0xf
	v_cmp_lt_u32_e64 s[42:43], 31, v59
	s_and_saveexec_b64 s[50:51], s[42:43]
	s_cbranch_execz .LBB79_65
; %bb.62:
	v_max_f64 v[55:56], v[53:54], v[53:54]
	v_max_f64 v[60:61], v[23:24], v[23:24]
	v_cmp_u_f64_e64 s[42:43], v[53:54], v[53:54]
	v_cmp_u_f64_e64 s[44:45], v[23:24], v[23:24]
	v_min_f64 v[62:63], v[55:56], v[60:61]
	v_max_f64 v[55:56], v[55:56], v[60:61]
	v_cndmask_b32_e64 v60, v63, v54, s[42:43]
	v_cndmask_b32_e64 v61, v62, v53, s[42:43]
	v_cndmask_b32_e64 v62, v56, v54, s[42:43]
	v_cndmask_b32_e64 v63, v55, v53, s[42:43]
	v_cndmask_b32_e64 v56, v60, v24, s[44:45]
	v_cndmask_b32_e64 v55, v61, v23, s[44:45]
	v_cndmask_b32_e64 v24, v62, v24, s[44:45]
	v_cndmask_b32_e64 v23, v63, v23, s[44:45]
	v_cmp_neq_f64_e64 s[42:43], v[55:56], v[23:24]
	v_cmp_class_f64_e64 s[44:45], v[55:56], s33
	s_or_b64 s[42:43], s[42:43], s[44:45]
	s_and_saveexec_b64 s[52:53], s[42:43]
	s_cbranch_execz .LBB79_64
; %bb.63:
	v_add_f64 v[53:54], v[55:56], -v[23:24]
	s_mov_b32 s42, 0x652b82fe
	s_mov_b32 s43, 0x3ff71547
	;; [unrolled: 1-line block ×6, first 2 shown]
	v_mov_b32_e32 v62, 0xfca7ab0c
	v_mul_f64 v[55:56], v[53:54], s[42:43]
	s_mov_b32 s42, 0x6a5dcb37
	v_mov_b32_e32 v63, 0x3e928af3
	s_mov_b32 s43, 0x3e5ade15
	s_mov_b32 s44, 0
	;; [unrolled: 1-line block ×3, first 2 shown]
	v_cmp_ngt_f64_e64 s[44:45], s[44:45], v[53:54]
	v_mov_b32_e32 v80, 0x7ff00000
	v_rndne_f64_e32 v[55:56], v[55:56]
	v_fma_f64 v[60:61], v[55:56], s[54:55], v[53:54]
	s_mov_b32 s55, 0x3fe62e42
	v_fma_f64 v[60:61], v[55:56], s[56:57], v[60:61]
	v_cvt_i32_f64_e32 v55, v[55:56]
	s_mov_b32 s57, 0x3c7abc9e
	v_fma_f64 v[62:63], v[60:61], s[42:43], v[62:63]
	s_mov_b32 s42, 0x623fde64
	s_mov_b32 s43, 0x3ec71dee
	v_fma_f64 v[62:63], v[60:61], v[62:63], s[42:43]
	s_mov_b32 s42, 0x7c89e6b0
	;; [unrolled: 3-line block ×9, first 2 shown]
	s_mov_b32 s43, 0x40900000
	v_cmp_nlt_f64_e64 s[42:43], s[42:43], v[53:54]
	v_fma_f64 v[62:63], v[60:61], v[62:63], 1.0
	v_fma_f64 v[60:61], v[60:61], v[62:63], 1.0
	v_ldexp_f64 v[55:56], v[60:61], v55
	v_cndmask_b32_e64 v56, v80, v56, s[42:43]
	s_and_b64 s[42:43], s[44:45], s[42:43]
	v_cndmask_b32_e64 v54, 0, v56, s[44:45]
	v_cndmask_b32_e64 v53, 0, v55, s[42:43]
	v_add_f64 v[55:56], v[53:54], 1.0
	s_mov_b32 s45, 0x3fe55555
	s_mov_b32 s44, 0x55555555
	v_frexp_mant_f64_e32 v[62:63], v[55:56]
	v_frexp_exp_i32_f64_e32 v66, v[55:56]
	v_add_f64 v[60:61], v[55:56], -1.0
	v_cmp_gt_f64_e64 s[42:43], s[44:45], v[62:63]
	s_mov_b32 s44, 0x55555780
	v_add_f64 v[64:65], v[60:61], -v[55:56]
	v_add_f64 v[60:61], v[53:54], -v[60:61]
	v_subbrev_co_u32_e64 v81, s[42:43], 0, v66, s[42:43]
	v_sub_u32_e32 v66, 0, v81
	v_ldexp_f64 v[55:56], v[55:56], v66
	v_add_f64 v[62:63], v[64:65], 1.0
	s_mov_b32 s42, 0xbf559e2b
	s_mov_b32 s43, 0x3fc3ab76
	v_add_f64 v[64:65], v[55:56], 1.0
	v_add_f64 v[60:61], v[60:61], v[62:63]
	v_add_f64 v[70:71], v[55:56], -1.0
	v_add_f64 v[62:63], v[64:65], -1.0
	v_ldexp_f64 v[60:61], v[60:61], v66
	v_add_f64 v[72:73], v[70:71], 1.0
	v_add_f64 v[62:63], v[55:56], -v[62:63]
	v_add_f64 v[55:56], v[55:56], -v[72:73]
	v_add_f64 v[62:63], v[60:61], v[62:63]
	v_add_f64 v[55:56], v[60:61], v[55:56]
	;; [unrolled: 1-line block ×4, first 2 shown]
	v_rcp_f64_e32 v[68:69], v[66:67]
	v_add_f64 v[64:65], v[66:67], -v[64:65]
	v_add_f64 v[70:71], v[72:73], -v[70:71]
	;; [unrolled: 1-line block ×4, first 2 shown]
	v_fma_f64 v[74:75], -v[66:67], v[68:69], 1.0
	v_fma_f64 v[68:69], v[74:75], v[68:69], v[68:69]
	v_fma_f64 v[60:61], -v[66:67], v[68:69], 1.0
	v_fma_f64 v[60:61], v[60:61], v[68:69], v[68:69]
	v_mul_f64 v[68:69], v[72:73], v[60:61]
	v_mul_f64 v[74:75], v[66:67], v[68:69]
	v_fma_f64 v[64:65], v[68:69], v[66:67], -v[74:75]
	v_fma_f64 v[64:65], v[68:69], v[62:63], v[64:65]
	v_add_f64 v[76:77], v[74:75], v[64:65]
	v_add_f64 v[78:79], v[72:73], -v[76:77]
	v_add_f64 v[70:71], v[76:77], -v[74:75]
	v_add_f64 v[72:73], v[72:73], -v[78:79]
	v_add_f64 v[64:65], v[70:71], -v[64:65]
	v_add_f64 v[72:73], v[72:73], -v[76:77]
	v_add_f64 v[55:56], v[55:56], v[72:73]
	v_add_f64 v[55:56], v[64:65], v[55:56]
	;; [unrolled: 1-line block ×3, first 2 shown]
	v_mul_f64 v[70:71], v[60:61], v[64:65]
	v_add_f64 v[76:77], v[78:79], -v[64:65]
	v_mul_f64 v[72:73], v[66:67], v[70:71]
	v_add_f64 v[55:56], v[55:56], v[76:77]
	v_fma_f64 v[66:67], v[70:71], v[66:67], -v[72:73]
	v_fma_f64 v[62:63], v[70:71], v[62:63], v[66:67]
	v_add_f64 v[66:67], v[72:73], v[62:63]
	v_add_f64 v[74:75], v[64:65], -v[66:67]
	v_add_f64 v[72:73], v[66:67], -v[72:73]
	;; [unrolled: 1-line block ×5, first 2 shown]
	v_mov_b32_e32 v66, 0x6b47b09a
	v_mov_b32_e32 v67, 0x3fc38538
	v_add_f64 v[55:56], v[55:56], v[64:65]
	v_add_f64 v[64:65], v[68:69], v[70:71]
	;; [unrolled: 1-line block ×3, first 2 shown]
	v_add_f64 v[62:63], v[64:65], -v[68:69]
	v_add_f64 v[55:56], v[74:75], v[55:56]
	v_add_f64 v[62:63], v[70:71], -v[62:63]
	v_mul_f64 v[55:56], v[60:61], v[55:56]
	v_add_f64 v[55:56], v[62:63], v[55:56]
	v_add_f64 v[60:61], v[64:65], v[55:56]
	v_mul_f64 v[62:63], v[60:61], v[60:61]
	v_fma_f64 v[66:67], v[62:63], s[42:43], v[66:67]
	s_mov_b32 s42, 0xd7f4df2e
	s_mov_b32 s43, 0x3fc7474d
	v_mul_f64 v[68:69], v[60:61], v[62:63]
	v_fma_f64 v[66:67], v[62:63], v[66:67], s[42:43]
	s_mov_b32 s42, 0x16291751
	s_mov_b32 s43, 0x3fcc71c0
	v_fma_f64 v[66:67], v[62:63], v[66:67], s[42:43]
	s_mov_b32 s42, 0x9b27acf1
	s_mov_b32 s43, 0x3fd24924
	;; [unrolled: 3-line block ×3, first 2 shown]
	v_fma_f64 v[66:67], v[62:63], v[66:67], s[42:43]
	v_cmp_nge_f64_e64 s[42:43], -1.0, v[53:54]
	v_fma_f64 v[62:63], v[62:63], v[66:67], s[44:45]
	v_ldexp_f64 v[66:67], v[60:61], 1
	v_add_f64 v[60:61], v[60:61], -v[64:65]
	s_mov_b32 s44, 0
	s_mov_b32 s45, 0x7ff00000
	v_cmp_neq_f64_e64 s[44:45], s[44:45], v[53:54]
	v_mul_f64 v[62:63], v[68:69], v[62:63]
	v_cvt_f64_i32_e32 v[68:69], v81
	v_add_f64 v[55:56], v[55:56], -v[60:61]
	v_mul_f64 v[70:71], v[68:69], s[54:55]
	s_and_b64 s[42:43], s[42:43], s[44:45]
	v_add_f64 v[64:65], v[66:67], v[62:63]
	v_ldexp_f64 v[55:56], v[55:56], 1
	v_add_f64 v[60:61], v[64:65], -v[66:67]
	v_fma_f64 v[66:67], v[68:69], s[54:55], -v[70:71]
	v_add_f64 v[60:61], v[62:63], -v[60:61]
	v_fma_f64 v[62:63], v[68:69], s[56:57], v[66:67]
	v_add_f64 v[55:56], v[55:56], v[60:61]
	v_add_f64 v[60:61], v[70:71], v[62:63]
	;; [unrolled: 1-line block ×3, first 2 shown]
	v_add_f64 v[70:71], v[60:61], -v[70:71]
	v_add_f64 v[68:69], v[60:61], v[66:67]
	v_add_f64 v[64:65], v[66:67], -v[64:65]
	v_add_f64 v[62:63], v[62:63], -v[70:71]
	;; [unrolled: 1-line block ×6, first 2 shown]
	v_add_f64 v[66:67], v[62:63], v[55:56]
	v_add_f64 v[60:61], v[60:61], -v[74:75]
	v_add_f64 v[60:61], v[64:65], v[60:61]
	v_add_f64 v[64:65], v[66:67], -v[62:63]
	;; [unrolled: 2-line block ×3, first 2 shown]
	v_add_f64 v[55:56], v[55:56], -v[64:65]
	v_add_f64 v[70:71], v[68:69], v[60:61]
	v_add_f64 v[62:63], v[62:63], -v[66:67]
	v_add_f64 v[64:65], v[70:71], -v[68:69]
	v_add_f64 v[55:56], v[55:56], v[62:63]
	v_add_f64 v[60:61], v[60:61], -v[64:65]
	v_add_f64 v[55:56], v[55:56], v[60:61]
	v_mov_b32_e32 v60, 0x7ff80000
	v_mov_b32_e32 v61, 0xfff00000
	v_add_f64 v[55:56], v[70:71], v[55:56]
	v_cndmask_b32_e64 v55, 0, v55, s[42:43]
	v_cmp_ngt_f64_e64 s[42:43], -1.0, v[53:54]
	v_cndmask_b32_e64 v56, v80, v56, s[44:45]
	v_cndmask_b32_e64 v56, v60, v56, s[42:43]
	v_cmp_neq_f64_e64 s[42:43], -1.0, v[53:54]
	v_cndmask_b32_e64 v56, v61, v56, s[42:43]
	v_add_f64 v[53:54], v[23:24], v[55:56]
.LBB79_64:
	s_or_b64 exec, exec, s[52:53]
	v_mov_b32_e32 v23, v53
	v_mov_b32_e32 v24, v54
.LBB79_65:
	s_or_b64 exec, exec, s[50:51]
	v_add_u32_e32 v53, -1, v59
	v_and_b32_e32 v54, 64, v59
	v_cmp_lt_i32_e64 s[42:43], v53, v54
	v_cndmask_b32_e64 v53, v53, v59, s[42:43]
	v_lshlrev_b32_e32 v53, 2, v53
	ds_bpermute_b32 v23, v53, v23
	ds_bpermute_b32 v24, v53, v24
	s_waitcnt lgkmcnt(0)
	v_max_f64 v[53:54], v[23:24], v[23:24]
	v_cmp_u_f64_e64 s[42:43], v[23:24], v[23:24]
	v_min_f64 v[55:56], v[53:54], v[51:52]
	v_max_f64 v[51:52], v[53:54], v[51:52]
	v_cndmask_b32_e64 v53, v55, v23, s[42:43]
	v_cndmask_b32_e64 v54, v56, v24, s[42:43]
	;; [unrolled: 1-line block ×8, first 2 shown]
	v_cmp_neq_f64_e64 s[4:5], v[51:52], v[21:22]
	v_cmp_class_f64_e64 s[42:43], v[51:52], s33
	s_or_b64 s[4:5], s[4:5], s[42:43]
	s_and_saveexec_b64 s[44:45], s[4:5]
	s_cbranch_execz .LBB79_67
; %bb.66:
	v_add_f64 v[23:24], v[51:52], -v[21:22]
	s_mov_b32 s4, 0x652b82fe
	s_mov_b32 s5, 0x3ff71547
	;; [unrolled: 1-line block ×6, first 2 shown]
	v_mov_b32_e32 v55, 0xfca7ab0c
	v_mul_f64 v[51:52], v[23:24], s[4:5]
	s_mov_b32 s4, 0x6a5dcb37
	v_mov_b32_e32 v56, 0x3e928af3
	s_mov_b32 s5, 0x3e5ade15
	s_mov_b32 s42, 0
	;; [unrolled: 1-line block ×3, first 2 shown]
	v_cmp_ngt_f64_e64 s[42:43], s[42:43], v[23:24]
	v_mov_b32_e32 v75, 0x7ff00000
	v_rndne_f64_e32 v[51:52], v[51:52]
	v_fma_f64 v[53:54], v[51:52], s[50:51], v[23:24]
	s_mov_b32 s51, 0x3fe62e42
	v_fma_f64 v[53:54], v[51:52], s[52:53], v[53:54]
	v_cvt_i32_f64_e32 v51, v[51:52]
	s_mov_b32 s53, 0x3c7abc9e
	v_fma_f64 v[55:56], v[53:54], s[4:5], v[55:56]
	s_mov_b32 s4, 0x623fde64
	s_mov_b32 s5, 0x3ec71dee
	v_fma_f64 v[55:56], v[53:54], v[55:56], s[4:5]
	s_mov_b32 s4, 0x7c89e6b0
	;; [unrolled: 3-line block ×9, first 2 shown]
	s_mov_b32 s5, 0x40900000
	v_cmp_nlt_f64_e64 s[4:5], s[4:5], v[23:24]
	v_fma_f64 v[55:56], v[53:54], v[55:56], 1.0
	v_fma_f64 v[53:54], v[53:54], v[55:56], 1.0
	v_ldexp_f64 v[51:52], v[53:54], v51
	v_cndmask_b32_e64 v52, v75, v52, s[4:5]
	s_and_b64 s[4:5], s[42:43], s[4:5]
	v_cndmask_b32_e64 v24, 0, v52, s[42:43]
	v_cndmask_b32_e64 v23, 0, v51, s[4:5]
	v_add_f64 v[51:52], v[23:24], 1.0
	s_mov_b32 s43, 0x3fe55555
	s_mov_b32 s42, 0x55555555
	v_frexp_mant_f64_e32 v[55:56], v[51:52]
	v_frexp_exp_i32_f64_e32 v61, v[51:52]
	v_add_f64 v[53:54], v[51:52], -1.0
	v_cmp_gt_f64_e64 s[4:5], s[42:43], v[55:56]
	s_mov_b32 s42, 0x55555780
	v_add_f64 v[59:60], v[53:54], -v[51:52]
	v_add_f64 v[53:54], v[23:24], -v[53:54]
	v_subbrev_co_u32_e64 v76, s[4:5], 0, v61, s[4:5]
	v_sub_u32_e32 v61, 0, v76
	v_ldexp_f64 v[51:52], v[51:52], v61
	v_add_f64 v[55:56], v[59:60], 1.0
	s_mov_b32 s4, 0xbf559e2b
	s_mov_b32 s5, 0x3fc3ab76
	v_add_f64 v[59:60], v[51:52], 1.0
	v_add_f64 v[53:54], v[53:54], v[55:56]
	v_add_f64 v[65:66], v[51:52], -1.0
	v_add_f64 v[55:56], v[59:60], -1.0
	v_ldexp_f64 v[53:54], v[53:54], v61
	v_add_f64 v[67:68], v[65:66], 1.0
	v_add_f64 v[55:56], v[51:52], -v[55:56]
	v_add_f64 v[51:52], v[51:52], -v[67:68]
	v_add_f64 v[55:56], v[53:54], v[55:56]
	v_add_f64 v[51:52], v[53:54], v[51:52]
	;; [unrolled: 1-line block ×4, first 2 shown]
	v_rcp_f64_e32 v[63:64], v[61:62]
	v_add_f64 v[59:60], v[61:62], -v[59:60]
	v_add_f64 v[65:66], v[67:68], -v[65:66]
	;; [unrolled: 1-line block ×4, first 2 shown]
	v_fma_f64 v[69:70], -v[61:62], v[63:64], 1.0
	v_fma_f64 v[63:64], v[69:70], v[63:64], v[63:64]
	v_fma_f64 v[53:54], -v[61:62], v[63:64], 1.0
	v_fma_f64 v[53:54], v[53:54], v[63:64], v[63:64]
	v_mul_f64 v[63:64], v[67:68], v[53:54]
	v_mul_f64 v[69:70], v[61:62], v[63:64]
	v_fma_f64 v[59:60], v[63:64], v[61:62], -v[69:70]
	v_fma_f64 v[59:60], v[63:64], v[55:56], v[59:60]
	v_add_f64 v[71:72], v[69:70], v[59:60]
	v_add_f64 v[73:74], v[67:68], -v[71:72]
	v_add_f64 v[65:66], v[71:72], -v[69:70]
	;; [unrolled: 1-line block ×5, first 2 shown]
	v_add_f64 v[51:52], v[51:52], v[67:68]
	v_add_f64 v[51:52], v[59:60], v[51:52]
	;; [unrolled: 1-line block ×3, first 2 shown]
	v_mul_f64 v[65:66], v[53:54], v[59:60]
	v_add_f64 v[71:72], v[73:74], -v[59:60]
	v_mul_f64 v[67:68], v[61:62], v[65:66]
	v_add_f64 v[51:52], v[51:52], v[71:72]
	v_fma_f64 v[61:62], v[65:66], v[61:62], -v[67:68]
	v_fma_f64 v[55:56], v[65:66], v[55:56], v[61:62]
	v_add_f64 v[61:62], v[67:68], v[55:56]
	v_add_f64 v[69:70], v[59:60], -v[61:62]
	v_add_f64 v[67:68], v[61:62], -v[67:68]
	v_add_f64 v[59:60], v[59:60], -v[69:70]
	v_add_f64 v[55:56], v[67:68], -v[55:56]
	v_add_f64 v[59:60], v[59:60], -v[61:62]
	v_mov_b32_e32 v61, 0x6b47b09a
	v_mov_b32_e32 v62, 0x3fc38538
	v_add_f64 v[51:52], v[51:52], v[59:60]
	v_add_f64 v[59:60], v[63:64], v[65:66]
	;; [unrolled: 1-line block ×3, first 2 shown]
	v_add_f64 v[55:56], v[59:60], -v[63:64]
	v_add_f64 v[51:52], v[69:70], v[51:52]
	v_add_f64 v[55:56], v[65:66], -v[55:56]
	v_mul_f64 v[51:52], v[53:54], v[51:52]
	v_add_f64 v[51:52], v[55:56], v[51:52]
	v_add_f64 v[53:54], v[59:60], v[51:52]
	v_mul_f64 v[55:56], v[53:54], v[53:54]
	v_fma_f64 v[61:62], v[55:56], s[4:5], v[61:62]
	s_mov_b32 s4, 0xd7f4df2e
	s_mov_b32 s5, 0x3fc7474d
	v_mul_f64 v[63:64], v[53:54], v[55:56]
	v_fma_f64 v[61:62], v[55:56], v[61:62], s[4:5]
	s_mov_b32 s4, 0x16291751
	s_mov_b32 s5, 0x3fcc71c0
	v_fma_f64 v[61:62], v[55:56], v[61:62], s[4:5]
	s_mov_b32 s4, 0x9b27acf1
	s_mov_b32 s5, 0x3fd24924
	;; [unrolled: 3-line block ×3, first 2 shown]
	v_fma_f64 v[61:62], v[55:56], v[61:62], s[4:5]
	v_cmp_nge_f64_e64 s[4:5], -1.0, v[23:24]
	v_fma_f64 v[55:56], v[55:56], v[61:62], s[42:43]
	v_ldexp_f64 v[61:62], v[53:54], 1
	v_add_f64 v[53:54], v[53:54], -v[59:60]
	s_mov_b32 s42, 0
	s_mov_b32 s43, 0x7ff00000
	v_cmp_neq_f64_e64 s[42:43], s[42:43], v[23:24]
	v_mul_f64 v[55:56], v[63:64], v[55:56]
	v_cvt_f64_i32_e32 v[63:64], v76
	v_add_f64 v[51:52], v[51:52], -v[53:54]
	v_mul_f64 v[65:66], v[63:64], s[50:51]
	s_and_b64 s[4:5], s[4:5], s[42:43]
	v_add_f64 v[59:60], v[61:62], v[55:56]
	v_ldexp_f64 v[51:52], v[51:52], 1
	v_add_f64 v[53:54], v[59:60], -v[61:62]
	v_fma_f64 v[61:62], v[63:64], s[50:51], -v[65:66]
	v_add_f64 v[53:54], v[55:56], -v[53:54]
	v_fma_f64 v[55:56], v[63:64], s[52:53], v[61:62]
	v_add_f64 v[51:52], v[51:52], v[53:54]
	v_add_f64 v[53:54], v[65:66], v[55:56]
	v_add_f64 v[61:62], v[59:60], v[51:52]
	v_add_f64 v[65:66], v[53:54], -v[65:66]
	v_add_f64 v[63:64], v[53:54], v[61:62]
	v_add_f64 v[59:60], v[61:62], -v[59:60]
	v_add_f64 v[55:56], v[55:56], -v[65:66]
	;; [unrolled: 1-line block ×6, first 2 shown]
	v_add_f64 v[61:62], v[55:56], v[51:52]
	v_add_f64 v[53:54], v[53:54], -v[69:70]
	v_add_f64 v[53:54], v[59:60], v[53:54]
	v_add_f64 v[59:60], v[61:62], -v[55:56]
	;; [unrolled: 2-line block ×3, first 2 shown]
	v_add_f64 v[51:52], v[51:52], -v[59:60]
	v_add_f64 v[65:66], v[63:64], v[53:54]
	v_add_f64 v[55:56], v[55:56], -v[61:62]
	v_add_f64 v[59:60], v[65:66], -v[63:64]
	v_add_f64 v[51:52], v[51:52], v[55:56]
	v_add_f64 v[53:54], v[53:54], -v[59:60]
	v_add_f64 v[51:52], v[51:52], v[53:54]
	v_mov_b32_e32 v53, 0x7ff80000
	v_mov_b32_e32 v54, 0xfff00000
	v_add_f64 v[51:52], v[65:66], v[51:52]
	v_cndmask_b32_e64 v51, 0, v51, s[4:5]
	v_cmp_ngt_f64_e64 s[4:5], -1.0, v[23:24]
	v_cndmask_b32_e64 v52, v75, v52, s[42:43]
	v_cndmask_b32_e64 v52, v53, v52, s[4:5]
	v_cmp_neq_f64_e64 s[4:5], -1.0, v[23:24]
	v_cndmask_b32_e64 v52, v54, v52, s[4:5]
	v_add_f64 v[23:24], v[21:22], v[51:52]
.LBB79_67:
	s_or_b64 exec, exec, s[44:45]
	v_cmp_eq_u32_e64 s[4:5], 0, v0
	v_cndmask_b32_e64 v24, v24, v50, s[4:5]
	v_cndmask_b32_e64 v23, v23, v49, s[4:5]
	; wave barrier
	ds_write_b64 v58, v[23:24]
	; wave barrier
	ds_read_b64 v[21:22], v58 offset:8
	v_max_f64 v[49:50], v[23:24], v[23:24]
	v_cmp_u_f64_e64 s[4:5], v[23:24], v[23:24]
	s_waitcnt lgkmcnt(0)
	v_max_f64 v[51:52], v[21:22], v[21:22]
	v_cmp_u_f64_e64 s[42:43], v[21:22], v[21:22]
	v_min_f64 v[53:54], v[49:50], v[51:52]
	v_max_f64 v[49:50], v[49:50], v[51:52]
	v_cndmask_b32_e64 v51, v53, v23, s[4:5]
	v_cndmask_b32_e64 v52, v54, v24, s[4:5]
	;; [unrolled: 1-line block ×8, first 2 shown]
	v_cmp_neq_f64_e64 s[4:5], v[49:50], v[21:22]
	v_cmp_class_f64_e64 s[42:43], v[49:50], s33
	s_or_b64 s[4:5], s[4:5], s[42:43]
	s_and_saveexec_b64 s[44:45], s[4:5]
	s_cbranch_execz .LBB79_69
; %bb.68:
	v_add_f64 v[23:24], v[49:50], -v[21:22]
	s_mov_b32 s4, 0x652b82fe
	s_mov_b32 s5, 0x3ff71547
	;; [unrolled: 1-line block ×6, first 2 shown]
	v_mov_b32_e32 v53, 0xfca7ab0c
	v_mul_f64 v[49:50], v[23:24], s[4:5]
	s_mov_b32 s4, 0x6a5dcb37
	v_mov_b32_e32 v54, 0x3e928af3
	s_mov_b32 s5, 0x3e5ade15
	s_mov_b32 s42, 0
	;; [unrolled: 1-line block ×3, first 2 shown]
	v_cmp_ngt_f64_e64 s[42:43], s[42:43], v[23:24]
	v_mov_b32_e32 v73, 0x7ff00000
	v_rndne_f64_e32 v[49:50], v[49:50]
	v_fma_f64 v[51:52], v[49:50], s[50:51], v[23:24]
	s_mov_b32 s51, 0x3fe62e42
	v_fma_f64 v[51:52], v[49:50], s[52:53], v[51:52]
	v_cvt_i32_f64_e32 v49, v[49:50]
	s_mov_b32 s53, 0x3c7abc9e
	v_fma_f64 v[53:54], v[51:52], s[4:5], v[53:54]
	s_mov_b32 s4, 0x623fde64
	s_mov_b32 s5, 0x3ec71dee
	v_fma_f64 v[53:54], v[51:52], v[53:54], s[4:5]
	s_mov_b32 s4, 0x7c89e6b0
	s_mov_b32 s5, 0x3efa0199
	v_fma_f64 v[53:54], v[51:52], v[53:54], s[4:5]
	s_mov_b32 s4, 0x14761f6e
	s_mov_b32 s5, 0x3f2a01a0
	v_fma_f64 v[53:54], v[51:52], v[53:54], s[4:5]
	s_mov_b32 s4, 0x1852b7b0
	s_mov_b32 s5, 0x3f56c16c
	v_fma_f64 v[53:54], v[51:52], v[53:54], s[4:5]
	s_mov_b32 s4, 0x11122322
	s_mov_b32 s5, 0x3f811111
	v_fma_f64 v[53:54], v[51:52], v[53:54], s[4:5]
	s_mov_b32 s4, 0x555502a1
	s_mov_b32 s5, 0x3fa55555
	v_fma_f64 v[53:54], v[51:52], v[53:54], s[4:5]
	s_mov_b32 s4, 0x55555511
	s_mov_b32 s5, 0x3fc55555
	v_fma_f64 v[53:54], v[51:52], v[53:54], s[4:5]
	s_mov_b32 s4, 11
	s_mov_b32 s5, 0x3fe00000
	v_fma_f64 v[53:54], v[51:52], v[53:54], s[4:5]
	s_mov_b32 s4, 0
	s_mov_b32 s5, 0x40900000
	v_cmp_nlt_f64_e64 s[4:5], s[4:5], v[23:24]
	v_fma_f64 v[53:54], v[51:52], v[53:54], 1.0
	v_fma_f64 v[51:52], v[51:52], v[53:54], 1.0
	v_ldexp_f64 v[49:50], v[51:52], v49
	v_cndmask_b32_e64 v50, v73, v50, s[4:5]
	s_and_b64 s[4:5], s[42:43], s[4:5]
	v_cndmask_b32_e64 v24, 0, v50, s[42:43]
	v_cndmask_b32_e64 v23, 0, v49, s[4:5]
	v_add_f64 v[49:50], v[23:24], 1.0
	s_mov_b32 s43, 0x3fe55555
	s_mov_b32 s42, 0x55555555
	v_frexp_mant_f64_e32 v[53:54], v[49:50]
	v_frexp_exp_i32_f64_e32 v59, v[49:50]
	v_add_f64 v[51:52], v[49:50], -1.0
	v_cmp_gt_f64_e64 s[4:5], s[42:43], v[53:54]
	s_mov_b32 s42, 0x55555780
	v_add_f64 v[55:56], v[51:52], -v[49:50]
	v_add_f64 v[51:52], v[23:24], -v[51:52]
	v_subbrev_co_u32_e64 v74, s[4:5], 0, v59, s[4:5]
	v_sub_u32_e32 v59, 0, v74
	v_ldexp_f64 v[49:50], v[49:50], v59
	v_add_f64 v[53:54], v[55:56], 1.0
	s_mov_b32 s4, 0xbf559e2b
	s_mov_b32 s5, 0x3fc3ab76
	v_add_f64 v[55:56], v[49:50], 1.0
	v_add_f64 v[51:52], v[51:52], v[53:54]
	v_add_f64 v[63:64], v[49:50], -1.0
	v_add_f64 v[53:54], v[55:56], -1.0
	v_ldexp_f64 v[51:52], v[51:52], v59
	v_add_f64 v[65:66], v[63:64], 1.0
	v_add_f64 v[53:54], v[49:50], -v[53:54]
	v_add_f64 v[49:50], v[49:50], -v[65:66]
	v_add_f64 v[53:54], v[51:52], v[53:54]
	v_add_f64 v[49:50], v[51:52], v[49:50]
	;; [unrolled: 1-line block ×4, first 2 shown]
	v_rcp_f64_e32 v[61:62], v[59:60]
	v_add_f64 v[55:56], v[59:60], -v[55:56]
	v_add_f64 v[63:64], v[65:66], -v[63:64]
	;; [unrolled: 1-line block ×4, first 2 shown]
	v_fma_f64 v[67:68], -v[59:60], v[61:62], 1.0
	v_fma_f64 v[61:62], v[67:68], v[61:62], v[61:62]
	v_fma_f64 v[51:52], -v[59:60], v[61:62], 1.0
	v_fma_f64 v[51:52], v[51:52], v[61:62], v[61:62]
	v_mul_f64 v[61:62], v[65:66], v[51:52]
	v_mul_f64 v[67:68], v[59:60], v[61:62]
	v_fma_f64 v[55:56], v[61:62], v[59:60], -v[67:68]
	v_fma_f64 v[55:56], v[61:62], v[53:54], v[55:56]
	v_add_f64 v[69:70], v[67:68], v[55:56]
	v_add_f64 v[71:72], v[65:66], -v[69:70]
	v_add_f64 v[63:64], v[69:70], -v[67:68]
	;; [unrolled: 1-line block ×5, first 2 shown]
	v_add_f64 v[49:50], v[49:50], v[65:66]
	v_add_f64 v[49:50], v[55:56], v[49:50]
	v_add_f64 v[55:56], v[71:72], v[49:50]
	v_mul_f64 v[63:64], v[51:52], v[55:56]
	v_add_f64 v[69:70], v[71:72], -v[55:56]
	v_mul_f64 v[65:66], v[59:60], v[63:64]
	v_add_f64 v[49:50], v[49:50], v[69:70]
	v_fma_f64 v[59:60], v[63:64], v[59:60], -v[65:66]
	v_fma_f64 v[53:54], v[63:64], v[53:54], v[59:60]
	v_add_f64 v[59:60], v[65:66], v[53:54]
	v_add_f64 v[67:68], v[55:56], -v[59:60]
	v_add_f64 v[65:66], v[59:60], -v[65:66]
	v_add_f64 v[55:56], v[55:56], -v[67:68]
	v_add_f64 v[53:54], v[65:66], -v[53:54]
	v_add_f64 v[55:56], v[55:56], -v[59:60]
	v_mov_b32_e32 v59, 0x6b47b09a
	v_mov_b32_e32 v60, 0x3fc38538
	v_add_f64 v[49:50], v[49:50], v[55:56]
	v_add_f64 v[55:56], v[61:62], v[63:64]
	;; [unrolled: 1-line block ×3, first 2 shown]
	v_add_f64 v[53:54], v[55:56], -v[61:62]
	v_add_f64 v[49:50], v[67:68], v[49:50]
	v_add_f64 v[53:54], v[63:64], -v[53:54]
	v_mul_f64 v[49:50], v[51:52], v[49:50]
	v_add_f64 v[49:50], v[53:54], v[49:50]
	v_add_f64 v[51:52], v[55:56], v[49:50]
	v_mul_f64 v[53:54], v[51:52], v[51:52]
	v_fma_f64 v[59:60], v[53:54], s[4:5], v[59:60]
	s_mov_b32 s4, 0xd7f4df2e
	s_mov_b32 s5, 0x3fc7474d
	v_mul_f64 v[61:62], v[51:52], v[53:54]
	v_fma_f64 v[59:60], v[53:54], v[59:60], s[4:5]
	s_mov_b32 s4, 0x16291751
	s_mov_b32 s5, 0x3fcc71c0
	v_fma_f64 v[59:60], v[53:54], v[59:60], s[4:5]
	s_mov_b32 s4, 0x9b27acf1
	s_mov_b32 s5, 0x3fd24924
	v_fma_f64 v[59:60], v[53:54], v[59:60], s[4:5]
	s_mov_b32 s4, 0x998ef7b6
	s_mov_b32 s5, 0x3fd99999
	v_fma_f64 v[59:60], v[53:54], v[59:60], s[4:5]
	v_cmp_nge_f64_e64 s[4:5], -1.0, v[23:24]
	v_fma_f64 v[53:54], v[53:54], v[59:60], s[42:43]
	v_ldexp_f64 v[59:60], v[51:52], 1
	v_add_f64 v[51:52], v[51:52], -v[55:56]
	s_mov_b32 s42, 0
	s_mov_b32 s43, 0x7ff00000
	v_cmp_neq_f64_e64 s[42:43], s[42:43], v[23:24]
	v_mul_f64 v[53:54], v[61:62], v[53:54]
	v_cvt_f64_i32_e32 v[61:62], v74
	v_add_f64 v[49:50], v[49:50], -v[51:52]
	v_mul_f64 v[63:64], v[61:62], s[50:51]
	s_and_b64 s[4:5], s[4:5], s[42:43]
	v_add_f64 v[55:56], v[59:60], v[53:54]
	v_ldexp_f64 v[49:50], v[49:50], 1
	v_add_f64 v[51:52], v[55:56], -v[59:60]
	v_fma_f64 v[59:60], v[61:62], s[50:51], -v[63:64]
	v_add_f64 v[51:52], v[53:54], -v[51:52]
	v_fma_f64 v[53:54], v[61:62], s[52:53], v[59:60]
	v_add_f64 v[49:50], v[49:50], v[51:52]
	v_add_f64 v[51:52], v[63:64], v[53:54]
	;; [unrolled: 1-line block ×3, first 2 shown]
	v_add_f64 v[63:64], v[51:52], -v[63:64]
	v_add_f64 v[61:62], v[51:52], v[59:60]
	v_add_f64 v[55:56], v[59:60], -v[55:56]
	v_add_f64 v[53:54], v[53:54], -v[63:64]
	v_add_f64 v[65:66], v[61:62], -v[51:52]
	v_add_f64 v[49:50], v[49:50], -v[55:56]
	v_add_f64 v[67:68], v[61:62], -v[65:66]
	v_add_f64 v[55:56], v[59:60], -v[65:66]
	v_add_f64 v[59:60], v[53:54], v[49:50]
	v_add_f64 v[51:52], v[51:52], -v[67:68]
	v_add_f64 v[51:52], v[55:56], v[51:52]
	v_add_f64 v[55:56], v[59:60], -v[53:54]
	;; [unrolled: 2-line block ×3, first 2 shown]
	v_add_f64 v[49:50], v[49:50], -v[55:56]
	v_add_f64 v[63:64], v[61:62], v[51:52]
	v_add_f64 v[53:54], v[53:54], -v[59:60]
	v_add_f64 v[55:56], v[63:64], -v[61:62]
	v_add_f64 v[49:50], v[49:50], v[53:54]
	v_add_f64 v[51:52], v[51:52], -v[55:56]
	v_add_f64 v[49:50], v[49:50], v[51:52]
	v_mov_b32_e32 v51, 0x7ff80000
	v_mov_b32_e32 v52, 0xfff00000
	v_add_f64 v[49:50], v[63:64], v[49:50]
	v_cndmask_b32_e64 v49, 0, v49, s[4:5]
	v_cmp_ngt_f64_e64 s[4:5], -1.0, v[23:24]
	v_cndmask_b32_e64 v50, v73, v50, s[42:43]
	v_cndmask_b32_e64 v50, v51, v50, s[4:5]
	v_cmp_neq_f64_e64 s[4:5], -1.0, v[23:24]
	v_cndmask_b32_e64 v50, v52, v50, s[4:5]
	v_add_f64 v[23:24], v[21:22], v[49:50]
.LBB79_69:
	s_or_b64 exec, exec, s[44:45]
	ds_write_b64 v58, v[23:24] offset:8
.LBB79_70:
	s_or_b64 exec, exec, s[48:49]
	v_mul_u32_u24_e32 v49, 0x48, v0
	v_cmp_ne_u32_e64 s[4:5], 0, v0
	s_waitcnt lgkmcnt(0)
	s_barrier
	s_and_saveexec_b64 s[42:43], s[4:5]
	s_cbranch_execz .LBB79_74
; %bb.71:
	v_add_u32_e32 v0, -1, v0
	v_lshrrev_b32_e32 v21, 2, v0
	v_and_b32_e32 v21, 0x3ffffff8, v21
	v_lshl_add_u32 v0, v0, 3, v21
	ds_read_b64 v[21:22], v0
	s_waitcnt lgkmcnt(0)
	v_max_f64 v[23:24], v[21:22], v[21:22]
	v_cmp_u_f64_e64 s[4:5], v[21:22], v[21:22]
	v_min_f64 v[43:44], v[23:24], v[47:48]
	v_max_f64 v[23:24], v[23:24], v[47:48]
	v_cndmask_b32_e64 v0, v43, v21, s[4:5]
	v_cndmask_b32_e64 v43, v44, v22, s[4:5]
	;; [unrolled: 1-line block ×8, first 2 shown]
	v_cmp_neq_f64_e64 s[4:5], v[23:24], v[1:2]
	v_cmp_class_f64_e64 s[38:39], v[23:24], s33
	s_or_b64 s[4:5], s[4:5], s[38:39]
	s_and_saveexec_b64 s[44:45], s[4:5]
	s_cbranch_execz .LBB79_73
; %bb.72:
	v_add_f64 v[21:22], v[23:24], -v[1:2]
	s_mov_b32 s4, 0x652b82fe
	s_mov_b32 s5, 0x3ff71547
	s_mov_b32 s49, 0xbfe62e42
	s_mov_b32 s48, 0xfefa39ef
	s_mov_b32 s51, 0xbc7abc9e
	s_mov_b32 s50, 0x3b39803f
	v_mov_b32_e32 v45, 0xfca7ab0c
	v_mul_f64 v[23:24], v[21:22], s[4:5]
	s_mov_b32 s4, 0x6a5dcb37
	v_mov_b32_e32 v46, 0x3e928af3
	s_mov_b32 s5, 0x3e5ade15
	s_mov_b32 s38, 0
	;; [unrolled: 1-line block ×3, first 2 shown]
	v_cmp_ngt_f64_e64 s[38:39], s[38:39], v[21:22]
	v_rndne_f64_e32 v[23:24], v[23:24]
	v_fma_f64 v[43:44], v[23:24], s[48:49], v[21:22]
	v_cvt_i32_f64_e32 v0, v[23:24]
	s_mov_b32 s49, 0x3fe62e42
	v_fma_f64 v[43:44], v[23:24], s[50:51], v[43:44]
	s_mov_b32 s51, 0x3c7abc9e
	v_fma_f64 v[45:46], v[43:44], s[4:5], v[45:46]
	s_mov_b32 s4, 0x623fde64
	s_mov_b32 s5, 0x3ec71dee
	v_fma_f64 v[45:46], v[43:44], v[45:46], s[4:5]
	s_mov_b32 s4, 0x7c89e6b0
	;; [unrolled: 3-line block ×9, first 2 shown]
	s_mov_b32 s5, 0x40900000
	v_cmp_nlt_f64_e64 s[4:5], s[4:5], v[21:22]
	v_fma_f64 v[45:46], v[43:44], v[45:46], 1.0
	v_fma_f64 v[43:44], v[43:44], v[45:46], 1.0
	v_ldexp_f64 v[23:24], v[43:44], v0
	v_mov_b32_e32 v0, 0x7ff00000
	v_cndmask_b32_e64 v24, v0, v24, s[4:5]
	s_and_b64 s[4:5], s[38:39], s[4:5]
	v_cndmask_b32_e64 v22, 0, v24, s[38:39]
	v_cndmask_b32_e64 v21, 0, v23, s[4:5]
	v_add_f64 v[23:24], v[21:22], 1.0
	s_mov_b32 s39, 0x3fe55555
	s_mov_b32 s38, 0x55555555
	v_frexp_mant_f64_e32 v[45:46], v[23:24]
	v_frexp_exp_i32_f64_e32 v50, v[23:24]
	v_add_f64 v[43:44], v[23:24], -1.0
	v_cmp_gt_f64_e64 s[4:5], s[38:39], v[45:46]
	s_mov_b32 s38, 0x55555780
	v_add_f64 v[47:48], v[43:44], -v[23:24]
	v_add_f64 v[43:44], v[21:22], -v[43:44]
	v_subbrev_co_u32_e64 v56, s[4:5], 0, v50, s[4:5]
	v_sub_u32_e32 v50, 0, v56
	v_ldexp_f64 v[23:24], v[23:24], v50
	v_add_f64 v[45:46], v[47:48], 1.0
	s_mov_b32 s4, 0xbf559e2b
	s_mov_b32 s5, 0x3fc3ab76
	v_add_f64 v[47:48], v[23:24], 1.0
	v_add_f64 v[43:44], v[43:44], v[45:46]
	v_add_f64 v[54:55], v[23:24], -1.0
	v_add_f64 v[45:46], v[47:48], -1.0
	v_ldexp_f64 v[43:44], v[43:44], v50
	v_add_f64 v[58:59], v[54:55], 1.0
	v_add_f64 v[45:46], v[23:24], -v[45:46]
	v_add_f64 v[23:24], v[23:24], -v[58:59]
	v_add_f64 v[45:46], v[43:44], v[45:46]
	v_add_f64 v[23:24], v[43:44], v[23:24]
	;; [unrolled: 1-line block ×4, first 2 shown]
	v_rcp_f64_e32 v[52:53], v[50:51]
	v_add_f64 v[47:48], v[50:51], -v[47:48]
	v_add_f64 v[54:55], v[58:59], -v[54:55]
	;; [unrolled: 1-line block ×4, first 2 shown]
	v_fma_f64 v[60:61], -v[50:51], v[52:53], 1.0
	v_fma_f64 v[52:53], v[60:61], v[52:53], v[52:53]
	v_fma_f64 v[43:44], -v[50:51], v[52:53], 1.0
	v_fma_f64 v[43:44], v[43:44], v[52:53], v[52:53]
	v_mul_f64 v[52:53], v[58:59], v[43:44]
	v_mul_f64 v[60:61], v[50:51], v[52:53]
	v_fma_f64 v[47:48], v[52:53], v[50:51], -v[60:61]
	v_fma_f64 v[47:48], v[52:53], v[45:46], v[47:48]
	v_add_f64 v[62:63], v[60:61], v[47:48]
	v_add_f64 v[64:65], v[58:59], -v[62:63]
	v_add_f64 v[54:55], v[62:63], -v[60:61]
	;; [unrolled: 1-line block ×5, first 2 shown]
	v_add_f64 v[23:24], v[23:24], v[58:59]
	v_add_f64 v[23:24], v[47:48], v[23:24]
	v_add_f64 v[47:48], v[64:65], v[23:24]
	v_mul_f64 v[54:55], v[43:44], v[47:48]
	v_add_f64 v[62:63], v[64:65], -v[47:48]
	v_mul_f64 v[58:59], v[50:51], v[54:55]
	v_add_f64 v[23:24], v[23:24], v[62:63]
	v_fma_f64 v[50:51], v[54:55], v[50:51], -v[58:59]
	v_fma_f64 v[45:46], v[54:55], v[45:46], v[50:51]
	v_add_f64 v[50:51], v[58:59], v[45:46]
	v_add_f64 v[60:61], v[47:48], -v[50:51]
	v_add_f64 v[58:59], v[50:51], -v[58:59]
	;; [unrolled: 1-line block ×5, first 2 shown]
	v_mov_b32_e32 v50, 0x6b47b09a
	v_mov_b32_e32 v51, 0x3fc38538
	v_add_f64 v[23:24], v[23:24], v[47:48]
	v_add_f64 v[47:48], v[52:53], v[54:55]
	v_add_f64 v[23:24], v[45:46], v[23:24]
	v_add_f64 v[45:46], v[47:48], -v[52:53]
	v_add_f64 v[23:24], v[60:61], v[23:24]
	v_add_f64 v[45:46], v[54:55], -v[45:46]
	v_mul_f64 v[23:24], v[43:44], v[23:24]
	v_add_f64 v[23:24], v[45:46], v[23:24]
	v_add_f64 v[43:44], v[47:48], v[23:24]
	v_mul_f64 v[45:46], v[43:44], v[43:44]
	v_fma_f64 v[50:51], v[45:46], s[4:5], v[50:51]
	s_mov_b32 s4, 0xd7f4df2e
	s_mov_b32 s5, 0x3fc7474d
	v_mul_f64 v[52:53], v[43:44], v[45:46]
	v_fma_f64 v[50:51], v[45:46], v[50:51], s[4:5]
	s_mov_b32 s4, 0x16291751
	s_mov_b32 s5, 0x3fcc71c0
	v_fma_f64 v[50:51], v[45:46], v[50:51], s[4:5]
	s_mov_b32 s4, 0x9b27acf1
	s_mov_b32 s5, 0x3fd24924
	;; [unrolled: 3-line block ×3, first 2 shown]
	v_fma_f64 v[50:51], v[45:46], v[50:51], s[4:5]
	v_cmp_nge_f64_e64 s[4:5], -1.0, v[21:22]
	v_fma_f64 v[45:46], v[45:46], v[50:51], s[38:39]
	v_ldexp_f64 v[50:51], v[43:44], 1
	v_add_f64 v[43:44], v[43:44], -v[47:48]
	s_mov_b32 s38, 0
	s_mov_b32 s39, 0x7ff00000
	v_cmp_neq_f64_e64 s[38:39], s[38:39], v[21:22]
	v_mul_f64 v[45:46], v[52:53], v[45:46]
	v_cvt_f64_i32_e32 v[52:53], v56
	v_add_f64 v[23:24], v[23:24], -v[43:44]
	v_mul_f64 v[54:55], v[52:53], s[48:49]
	s_and_b64 s[4:5], s[4:5], s[38:39]
	v_add_f64 v[47:48], v[50:51], v[45:46]
	v_ldexp_f64 v[23:24], v[23:24], 1
	v_add_f64 v[43:44], v[47:48], -v[50:51]
	v_fma_f64 v[50:51], v[52:53], s[48:49], -v[54:55]
	v_add_f64 v[43:44], v[45:46], -v[43:44]
	v_fma_f64 v[45:46], v[52:53], s[50:51], v[50:51]
	v_add_f64 v[23:24], v[23:24], v[43:44]
	v_add_f64 v[43:44], v[54:55], v[45:46]
	;; [unrolled: 1-line block ×3, first 2 shown]
	v_add_f64 v[54:55], v[43:44], -v[54:55]
	v_add_f64 v[52:53], v[43:44], v[50:51]
	v_add_f64 v[47:48], v[50:51], -v[47:48]
	v_add_f64 v[45:46], v[45:46], -v[54:55]
	;; [unrolled: 1-line block ×6, first 2 shown]
	v_add_f64 v[50:51], v[45:46], v[23:24]
	v_add_f64 v[43:44], v[43:44], -v[60:61]
	v_add_f64 v[43:44], v[47:48], v[43:44]
	v_add_f64 v[47:48], v[50:51], -v[45:46]
	;; [unrolled: 2-line block ×3, first 2 shown]
	v_add_f64 v[23:24], v[23:24], -v[47:48]
	v_add_f64 v[54:55], v[52:53], v[43:44]
	v_add_f64 v[45:46], v[45:46], -v[50:51]
	v_add_f64 v[47:48], v[54:55], -v[52:53]
	v_add_f64 v[23:24], v[23:24], v[45:46]
	v_add_f64 v[43:44], v[43:44], -v[47:48]
	v_add_f64 v[23:24], v[23:24], v[43:44]
	v_mov_b32_e32 v43, 0x7ff80000
	v_mov_b32_e32 v44, 0xfff00000
	v_add_f64 v[23:24], v[54:55], v[23:24]
	v_cndmask_b32_e64 v23, 0, v23, s[4:5]
	v_cmp_ngt_f64_e64 s[4:5], -1.0, v[21:22]
	v_cndmask_b32_e64 v0, v0, v24, s[38:39]
	v_cndmask_b32_e64 v0, v43, v0, s[4:5]
	v_cmp_neq_f64_e64 s[4:5], -1.0, v[21:22]
	v_cndmask_b32_e64 v24, v44, v0, s[4:5]
	v_add_f64 v[21:22], v[1:2], v[23:24]
.LBB79_73:
	s_or_b64 exec, exec, s[44:45]
	v_max_f64 v[0:1], v[21:22], v[21:22]
	;;#ASMSTART
	;;#ASMEND
	v_min_f64 v[43:44], v[0:1], v[29:30]
	v_max_f64 v[45:46], v[0:1], v[29:30]
	v_mov_b32_e32 v1, v21
	v_mov_b32_e32 v2, v22
.LBB79_74:
	s_or_b64 exec, exec, s[42:43]
	v_cmp_u_f64_e64 s[4:5], v[1:2], v[1:2]
	v_cndmask_b32_e64 v0, v43, v1, s[4:5]
	v_cndmask_b32_e64 v23, v0, v3, s[18:19]
	;; [unrolled: 1-line block ×8, first 2 shown]
	v_cmp_neq_f64_e64 s[4:5], v[23:24], v[21:22]
	v_cmp_class_f64_e64 s[18:19], v[23:24], s33
	v_mov_b32_e32 v4, v2
	v_mov_b32_e32 v3, v1
	s_or_b64 s[4:5], s[4:5], s[18:19]
	s_and_saveexec_b64 s[38:39], s[4:5]
	s_cbranch_execz .LBB79_76
; %bb.75:
	v_add_f64 v[3:4], v[23:24], -v[21:22]
	s_mov_b32 s4, 0x652b82fe
	s_mov_b32 s5, 0x3ff71547
	;; [unrolled: 1-line block ×6, first 2 shown]
	v_mov_b32_e32 v43, 0xfca7ab0c
	v_mul_f64 v[23:24], v[3:4], s[4:5]
	s_mov_b32 s4, 0x6a5dcb37
	v_mov_b32_e32 v44, 0x3e928af3
	s_mov_b32 s5, 0x3e5ade15
	s_mov_b32 s18, 0
	;; [unrolled: 1-line block ×3, first 2 shown]
	v_cmp_ngt_f64_e64 s[18:19], s[18:19], v[3:4]
	v_rndne_f64_e32 v[23:24], v[23:24]
	v_fma_f64 v[29:30], v[23:24], s[42:43], v[3:4]
	v_cvt_i32_f64_e32 v0, v[23:24]
	s_mov_b32 s43, 0x3fe62e42
	v_fma_f64 v[29:30], v[23:24], s[44:45], v[29:30]
	s_mov_b32 s45, 0x3c7abc9e
	v_fma_f64 v[43:44], v[29:30], s[4:5], v[43:44]
	s_mov_b32 s4, 0x623fde64
	s_mov_b32 s5, 0x3ec71dee
	v_fma_f64 v[43:44], v[29:30], v[43:44], s[4:5]
	s_mov_b32 s4, 0x7c89e6b0
	;; [unrolled: 3-line block ×9, first 2 shown]
	s_mov_b32 s5, 0x40900000
	v_cmp_nlt_f64_e64 s[4:5], s[4:5], v[3:4]
	v_fma_f64 v[43:44], v[29:30], v[43:44], 1.0
	v_fma_f64 v[29:30], v[29:30], v[43:44], 1.0
	v_ldexp_f64 v[23:24], v[29:30], v0
	v_mov_b32_e32 v0, 0x7ff00000
	v_cndmask_b32_e64 v24, v0, v24, s[4:5]
	s_and_b64 s[4:5], s[18:19], s[4:5]
	v_cndmask_b32_e64 v4, 0, v24, s[18:19]
	v_cndmask_b32_e64 v3, 0, v23, s[4:5]
	v_add_f64 v[23:24], v[3:4], 1.0
	s_mov_b32 s19, 0x3fe55555
	s_mov_b32 s18, 0x55555555
	v_frexp_mant_f64_e32 v[43:44], v[23:24]
	v_frexp_exp_i32_f64_e32 v47, v[23:24]
	v_add_f64 v[29:30], v[23:24], -1.0
	v_cmp_gt_f64_e64 s[4:5], s[18:19], v[43:44]
	s_mov_b32 s18, 0x55555780
	v_add_f64 v[45:46], v[29:30], -v[23:24]
	v_add_f64 v[29:30], v[3:4], -v[29:30]
	v_subbrev_co_u32_e64 v56, s[4:5], 0, v47, s[4:5]
	v_sub_u32_e32 v47, 0, v56
	v_ldexp_f64 v[23:24], v[23:24], v47
	v_add_f64 v[43:44], v[45:46], 1.0
	s_mov_b32 s4, 0xbf559e2b
	s_mov_b32 s5, 0x3fc3ab76
	v_add_f64 v[45:46], v[23:24], 1.0
	v_add_f64 v[29:30], v[29:30], v[43:44]
	v_add_f64 v[52:53], v[23:24], -1.0
	v_add_f64 v[43:44], v[45:46], -1.0
	v_ldexp_f64 v[29:30], v[29:30], v47
	v_add_f64 v[54:55], v[52:53], 1.0
	v_add_f64 v[43:44], v[23:24], -v[43:44]
	v_add_f64 v[23:24], v[23:24], -v[54:55]
	v_add_f64 v[43:44], v[29:30], v[43:44]
	v_add_f64 v[23:24], v[29:30], v[23:24]
	;; [unrolled: 1-line block ×4, first 2 shown]
	v_rcp_f64_e32 v[50:51], v[47:48]
	v_add_f64 v[45:46], v[47:48], -v[45:46]
	v_add_f64 v[52:53], v[54:55], -v[52:53]
	;; [unrolled: 1-line block ×4, first 2 shown]
	v_fma_f64 v[58:59], -v[47:48], v[50:51], 1.0
	v_fma_f64 v[50:51], v[58:59], v[50:51], v[50:51]
	v_fma_f64 v[29:30], -v[47:48], v[50:51], 1.0
	v_fma_f64 v[29:30], v[29:30], v[50:51], v[50:51]
	v_mul_f64 v[50:51], v[54:55], v[29:30]
	v_mul_f64 v[58:59], v[47:48], v[50:51]
	v_fma_f64 v[45:46], v[50:51], v[47:48], -v[58:59]
	v_fma_f64 v[45:46], v[50:51], v[43:44], v[45:46]
	v_add_f64 v[60:61], v[58:59], v[45:46]
	v_add_f64 v[62:63], v[54:55], -v[60:61]
	v_add_f64 v[52:53], v[60:61], -v[58:59]
	;; [unrolled: 1-line block ×5, first 2 shown]
	v_add_f64 v[23:24], v[23:24], v[54:55]
	v_add_f64 v[23:24], v[45:46], v[23:24]
	;; [unrolled: 1-line block ×3, first 2 shown]
	v_mul_f64 v[52:53], v[29:30], v[45:46]
	v_add_f64 v[60:61], v[62:63], -v[45:46]
	v_mul_f64 v[54:55], v[47:48], v[52:53]
	v_add_f64 v[23:24], v[23:24], v[60:61]
	v_fma_f64 v[47:48], v[52:53], v[47:48], -v[54:55]
	v_fma_f64 v[43:44], v[52:53], v[43:44], v[47:48]
	v_add_f64 v[47:48], v[54:55], v[43:44]
	v_add_f64 v[58:59], v[45:46], -v[47:48]
	v_add_f64 v[54:55], v[47:48], -v[54:55]
	;; [unrolled: 1-line block ×5, first 2 shown]
	v_mov_b32_e32 v47, 0x6b47b09a
	v_mov_b32_e32 v48, 0x3fc38538
	v_add_f64 v[23:24], v[23:24], v[45:46]
	v_add_f64 v[45:46], v[50:51], v[52:53]
	;; [unrolled: 1-line block ×3, first 2 shown]
	v_add_f64 v[43:44], v[45:46], -v[50:51]
	v_add_f64 v[23:24], v[58:59], v[23:24]
	v_add_f64 v[43:44], v[52:53], -v[43:44]
	v_mul_f64 v[23:24], v[29:30], v[23:24]
	v_add_f64 v[23:24], v[43:44], v[23:24]
	v_add_f64 v[29:30], v[45:46], v[23:24]
	v_mul_f64 v[43:44], v[29:30], v[29:30]
	v_fma_f64 v[47:48], v[43:44], s[4:5], v[47:48]
	s_mov_b32 s4, 0xd7f4df2e
	s_mov_b32 s5, 0x3fc7474d
	v_mul_f64 v[50:51], v[29:30], v[43:44]
	v_fma_f64 v[47:48], v[43:44], v[47:48], s[4:5]
	s_mov_b32 s4, 0x16291751
	s_mov_b32 s5, 0x3fcc71c0
	v_fma_f64 v[47:48], v[43:44], v[47:48], s[4:5]
	s_mov_b32 s4, 0x9b27acf1
	s_mov_b32 s5, 0x3fd24924
	;; [unrolled: 3-line block ×3, first 2 shown]
	v_fma_f64 v[47:48], v[43:44], v[47:48], s[4:5]
	v_cmp_nge_f64_e64 s[4:5], -1.0, v[3:4]
	v_fma_f64 v[43:44], v[43:44], v[47:48], s[18:19]
	v_ldexp_f64 v[47:48], v[29:30], 1
	v_add_f64 v[29:30], v[29:30], -v[45:46]
	s_mov_b32 s18, 0
	s_mov_b32 s19, 0x7ff00000
	v_cmp_neq_f64_e64 s[18:19], s[18:19], v[3:4]
	v_mul_f64 v[43:44], v[50:51], v[43:44]
	v_cvt_f64_i32_e32 v[50:51], v56
	v_add_f64 v[23:24], v[23:24], -v[29:30]
	v_mul_f64 v[52:53], v[50:51], s[42:43]
	s_and_b64 s[4:5], s[4:5], s[18:19]
	v_add_f64 v[45:46], v[47:48], v[43:44]
	v_ldexp_f64 v[23:24], v[23:24], 1
	v_add_f64 v[29:30], v[45:46], -v[47:48]
	v_fma_f64 v[47:48], v[50:51], s[42:43], -v[52:53]
	v_add_f64 v[29:30], v[43:44], -v[29:30]
	v_fma_f64 v[43:44], v[50:51], s[44:45], v[47:48]
	v_add_f64 v[23:24], v[23:24], v[29:30]
	v_add_f64 v[29:30], v[52:53], v[43:44]
	;; [unrolled: 1-line block ×3, first 2 shown]
	v_add_f64 v[52:53], v[29:30], -v[52:53]
	v_add_f64 v[50:51], v[29:30], v[47:48]
	v_add_f64 v[45:46], v[47:48], -v[45:46]
	v_add_f64 v[43:44], v[43:44], -v[52:53]
	;; [unrolled: 1-line block ×6, first 2 shown]
	v_add_f64 v[47:48], v[43:44], v[23:24]
	v_add_f64 v[29:30], v[29:30], -v[58:59]
	v_add_f64 v[29:30], v[45:46], v[29:30]
	v_add_f64 v[45:46], v[47:48], -v[43:44]
	;; [unrolled: 2-line block ×3, first 2 shown]
	v_add_f64 v[23:24], v[23:24], -v[45:46]
	v_add_f64 v[52:53], v[50:51], v[29:30]
	v_add_f64 v[43:44], v[43:44], -v[47:48]
	v_add_f64 v[45:46], v[52:53], -v[50:51]
	v_add_f64 v[23:24], v[23:24], v[43:44]
	v_add_f64 v[29:30], v[29:30], -v[45:46]
	v_add_f64 v[23:24], v[23:24], v[29:30]
	v_mov_b32_e32 v29, 0x7ff80000
	v_mov_b32_e32 v30, 0xfff00000
	v_add_f64 v[23:24], v[52:53], v[23:24]
	v_cndmask_b32_e64 v23, 0, v23, s[4:5]
	v_cmp_ngt_f64_e64 s[4:5], -1.0, v[3:4]
	v_cndmask_b32_e64 v0, v0, v24, s[18:19]
	v_cndmask_b32_e64 v0, v29, v0, s[4:5]
	v_cmp_neq_f64_e64 s[4:5], -1.0, v[3:4]
	v_cndmask_b32_e64 v24, v30, v0, s[4:5]
	v_add_f64 v[3:4], v[21:22], v[23:24]
.LBB79_76:
	s_or_b64 exec, exec, s[38:39]
	v_max_f64 v[21:22], v[3:4], v[3:4]
	v_cmp_u_f64_e64 s[4:5], v[3:4], v[3:4]
	v_min_f64 v[23:24], v[21:22], v[25:26]
	v_max_f64 v[21:22], v[21:22], v[25:26]
	v_cndmask_b32_e64 v0, v23, v3, s[4:5]
	v_cndmask_b32_e64 v23, v24, v4, s[4:5]
	;; [unrolled: 1-line block ×8, first 2 shown]
	v_cmp_neq_f64_e64 s[4:5], v[23:24], v[21:22]
	v_cmp_class_f64_e64 s[18:19], v[23:24], s33
	v_mov_b32_e32 v18, v4
	v_mov_b32_e32 v17, v3
	s_or_b64 s[4:5], s[4:5], s[18:19]
	s_and_saveexec_b64 s[22:23], s[4:5]
	s_cbranch_execz .LBB79_78
; %bb.77:
	v_add_f64 v[17:18], v[23:24], -v[21:22]
	s_mov_b32 s4, 0x652b82fe
	s_mov_b32 s5, 0x3ff71547
	;; [unrolled: 1-line block ×6, first 2 shown]
	v_mov_b32_e32 v29, 0xfca7ab0c
	v_mul_f64 v[23:24], v[17:18], s[4:5]
	s_mov_b32 s4, 0x6a5dcb37
	v_mov_b32_e32 v30, 0x3e928af3
	s_mov_b32 s5, 0x3e5ade15
	s_mov_b32 s18, 0
	;; [unrolled: 1-line block ×3, first 2 shown]
	v_cmp_ngt_f64_e64 s[18:19], s[18:19], v[17:18]
	v_rndne_f64_e32 v[23:24], v[23:24]
	v_fma_f64 v[25:26], v[23:24], s[38:39], v[17:18]
	v_cvt_i32_f64_e32 v0, v[23:24]
	s_mov_b32 s39, 0x3fe62e42
	v_fma_f64 v[25:26], v[23:24], s[42:43], v[25:26]
	s_mov_b32 s43, 0x3c7abc9e
	v_fma_f64 v[29:30], v[25:26], s[4:5], v[29:30]
	s_mov_b32 s4, 0x623fde64
	s_mov_b32 s5, 0x3ec71dee
	v_fma_f64 v[29:30], v[25:26], v[29:30], s[4:5]
	s_mov_b32 s4, 0x7c89e6b0
	;; [unrolled: 3-line block ×9, first 2 shown]
	s_mov_b32 s5, 0x40900000
	v_cmp_nlt_f64_e64 s[4:5], s[4:5], v[17:18]
	v_fma_f64 v[29:30], v[25:26], v[29:30], 1.0
	v_fma_f64 v[25:26], v[25:26], v[29:30], 1.0
	v_ldexp_f64 v[23:24], v[25:26], v0
	v_mov_b32_e32 v0, 0x7ff00000
	v_cndmask_b32_e64 v24, v0, v24, s[4:5]
	s_and_b64 s[4:5], s[18:19], s[4:5]
	v_cndmask_b32_e64 v18, 0, v24, s[18:19]
	v_cndmask_b32_e64 v17, 0, v23, s[4:5]
	v_add_f64 v[23:24], v[17:18], 1.0
	s_mov_b32 s19, 0x3fe55555
	s_mov_b32 s18, 0x55555555
	v_frexp_mant_f64_e32 v[29:30], v[23:24]
	v_frexp_exp_i32_f64_e32 v45, v[23:24]
	v_add_f64 v[25:26], v[23:24], -1.0
	v_cmp_gt_f64_e64 s[4:5], s[18:19], v[29:30]
	s_mov_b32 s18, 0x55555780
	v_add_f64 v[43:44], v[25:26], -v[23:24]
	v_add_f64 v[25:26], v[17:18], -v[25:26]
	v_subbrev_co_u32_e64 v56, s[4:5], 0, v45, s[4:5]
	v_sub_u32_e32 v45, 0, v56
	v_ldexp_f64 v[23:24], v[23:24], v45
	v_add_f64 v[29:30], v[43:44], 1.0
	s_mov_b32 s4, 0xbf559e2b
	s_mov_b32 s5, 0x3fc3ab76
	v_add_f64 v[43:44], v[23:24], 1.0
	v_add_f64 v[25:26], v[25:26], v[29:30]
	v_add_f64 v[50:51], v[23:24], -1.0
	v_add_f64 v[29:30], v[43:44], -1.0
	v_ldexp_f64 v[25:26], v[25:26], v45
	v_add_f64 v[52:53], v[50:51], 1.0
	v_add_f64 v[29:30], v[23:24], -v[29:30]
	v_add_f64 v[23:24], v[23:24], -v[52:53]
	v_add_f64 v[29:30], v[25:26], v[29:30]
	v_add_f64 v[23:24], v[25:26], v[23:24]
	;; [unrolled: 1-line block ×4, first 2 shown]
	v_rcp_f64_e32 v[47:48], v[45:46]
	v_add_f64 v[43:44], v[45:46], -v[43:44]
	v_add_f64 v[50:51], v[52:53], -v[50:51]
	;; [unrolled: 1-line block ×4, first 2 shown]
	v_fma_f64 v[54:55], -v[45:46], v[47:48], 1.0
	v_fma_f64 v[47:48], v[54:55], v[47:48], v[47:48]
	v_fma_f64 v[25:26], -v[45:46], v[47:48], 1.0
	v_fma_f64 v[25:26], v[25:26], v[47:48], v[47:48]
	v_mul_f64 v[47:48], v[52:53], v[25:26]
	v_mul_f64 v[54:55], v[45:46], v[47:48]
	v_fma_f64 v[43:44], v[47:48], v[45:46], -v[54:55]
	v_fma_f64 v[43:44], v[47:48], v[29:30], v[43:44]
	v_add_f64 v[58:59], v[54:55], v[43:44]
	v_add_f64 v[60:61], v[52:53], -v[58:59]
	v_add_f64 v[50:51], v[58:59], -v[54:55]
	;; [unrolled: 1-line block ×5, first 2 shown]
	v_add_f64 v[23:24], v[23:24], v[52:53]
	v_add_f64 v[23:24], v[43:44], v[23:24]
	;; [unrolled: 1-line block ×3, first 2 shown]
	v_mul_f64 v[50:51], v[25:26], v[43:44]
	v_add_f64 v[58:59], v[60:61], -v[43:44]
	v_mul_f64 v[52:53], v[45:46], v[50:51]
	v_add_f64 v[23:24], v[23:24], v[58:59]
	v_fma_f64 v[45:46], v[50:51], v[45:46], -v[52:53]
	v_fma_f64 v[29:30], v[50:51], v[29:30], v[45:46]
	v_add_f64 v[45:46], v[52:53], v[29:30]
	v_add_f64 v[54:55], v[43:44], -v[45:46]
	v_add_f64 v[52:53], v[45:46], -v[52:53]
	;; [unrolled: 1-line block ×5, first 2 shown]
	v_mov_b32_e32 v45, 0x6b47b09a
	v_mov_b32_e32 v46, 0x3fc38538
	v_add_f64 v[23:24], v[23:24], v[43:44]
	v_add_f64 v[43:44], v[47:48], v[50:51]
	;; [unrolled: 1-line block ×3, first 2 shown]
	v_add_f64 v[29:30], v[43:44], -v[47:48]
	v_add_f64 v[23:24], v[54:55], v[23:24]
	v_add_f64 v[29:30], v[50:51], -v[29:30]
	v_mul_f64 v[23:24], v[25:26], v[23:24]
	v_add_f64 v[23:24], v[29:30], v[23:24]
	v_add_f64 v[25:26], v[43:44], v[23:24]
	v_mul_f64 v[29:30], v[25:26], v[25:26]
	v_fma_f64 v[45:46], v[29:30], s[4:5], v[45:46]
	s_mov_b32 s4, 0xd7f4df2e
	s_mov_b32 s5, 0x3fc7474d
	v_mul_f64 v[47:48], v[25:26], v[29:30]
	v_fma_f64 v[45:46], v[29:30], v[45:46], s[4:5]
	s_mov_b32 s4, 0x16291751
	s_mov_b32 s5, 0x3fcc71c0
	v_fma_f64 v[45:46], v[29:30], v[45:46], s[4:5]
	s_mov_b32 s4, 0x9b27acf1
	s_mov_b32 s5, 0x3fd24924
	;; [unrolled: 3-line block ×3, first 2 shown]
	v_fma_f64 v[45:46], v[29:30], v[45:46], s[4:5]
	v_cmp_nge_f64_e64 s[4:5], -1.0, v[17:18]
	v_fma_f64 v[29:30], v[29:30], v[45:46], s[18:19]
	v_ldexp_f64 v[45:46], v[25:26], 1
	v_add_f64 v[25:26], v[25:26], -v[43:44]
	s_mov_b32 s18, 0
	s_mov_b32 s19, 0x7ff00000
	v_cmp_neq_f64_e64 s[18:19], s[18:19], v[17:18]
	v_mul_f64 v[29:30], v[47:48], v[29:30]
	v_cvt_f64_i32_e32 v[47:48], v56
	v_add_f64 v[23:24], v[23:24], -v[25:26]
	v_mul_f64 v[50:51], v[47:48], s[38:39]
	s_and_b64 s[4:5], s[4:5], s[18:19]
	v_add_f64 v[43:44], v[45:46], v[29:30]
	v_ldexp_f64 v[23:24], v[23:24], 1
	v_add_f64 v[25:26], v[43:44], -v[45:46]
	v_fma_f64 v[45:46], v[47:48], s[38:39], -v[50:51]
	v_add_f64 v[25:26], v[29:30], -v[25:26]
	v_fma_f64 v[29:30], v[47:48], s[42:43], v[45:46]
	v_add_f64 v[23:24], v[23:24], v[25:26]
	v_add_f64 v[25:26], v[50:51], v[29:30]
	;; [unrolled: 1-line block ×3, first 2 shown]
	v_add_f64 v[50:51], v[25:26], -v[50:51]
	v_add_f64 v[47:48], v[25:26], v[45:46]
	v_add_f64 v[43:44], v[45:46], -v[43:44]
	v_add_f64 v[29:30], v[29:30], -v[50:51]
	;; [unrolled: 1-line block ×6, first 2 shown]
	v_add_f64 v[45:46], v[29:30], v[23:24]
	v_add_f64 v[25:26], v[25:26], -v[54:55]
	v_add_f64 v[25:26], v[43:44], v[25:26]
	v_add_f64 v[43:44], v[45:46], -v[29:30]
	;; [unrolled: 2-line block ×3, first 2 shown]
	v_add_f64 v[23:24], v[23:24], -v[43:44]
	v_add_f64 v[50:51], v[47:48], v[25:26]
	v_add_f64 v[29:30], v[29:30], -v[45:46]
	v_add_f64 v[43:44], v[50:51], -v[47:48]
	v_add_f64 v[23:24], v[23:24], v[29:30]
	v_add_f64 v[25:26], v[25:26], -v[43:44]
	v_add_f64 v[23:24], v[23:24], v[25:26]
	v_mov_b32_e32 v25, 0x7ff80000
	v_mov_b32_e32 v26, 0xfff00000
	v_add_f64 v[23:24], v[50:51], v[23:24]
	v_cndmask_b32_e64 v23, 0, v23, s[4:5]
	v_cmp_ngt_f64_e64 s[4:5], -1.0, v[17:18]
	v_cndmask_b32_e64 v0, v0, v24, s[18:19]
	v_cndmask_b32_e64 v0, v25, v0, s[4:5]
	v_cmp_neq_f64_e64 s[4:5], -1.0, v[17:18]
	v_cndmask_b32_e64 v24, v26, v0, s[4:5]
	v_add_f64 v[17:18], v[21:22], v[23:24]
.LBB79_78:
	s_or_b64 exec, exec, s[22:23]
	v_max_f64 v[21:22], v[17:18], v[17:18]
	v_cmp_u_f64_e64 s[4:5], v[17:18], v[17:18]
	v_min_f64 v[23:24], v[21:22], v[27:28]
	v_max_f64 v[21:22], v[21:22], v[27:28]
	v_cndmask_b32_e64 v0, v23, v17, s[4:5]
	v_cndmask_b32_e64 v23, v24, v18, s[4:5]
	;; [unrolled: 1-line block ×8, first 2 shown]
	v_cmp_neq_f64_e64 s[4:5], v[23:24], v[21:22]
	v_cmp_class_f64_e64 s[18:19], v[23:24], s33
	v_mov_b32_e32 v20, v18
	v_mov_b32_e32 v19, v17
	s_or_b64 s[4:5], s[4:5], s[18:19]
	s_and_saveexec_b64 s[20:21], s[4:5]
	s_cbranch_execz .LBB79_80
; %bb.79:
	v_add_f64 v[19:20], v[23:24], -v[21:22]
	s_mov_b32 s4, 0x652b82fe
	s_mov_b32 s5, 0x3ff71547
	;; [unrolled: 1-line block ×6, first 2 shown]
	v_mov_b32_e32 v27, 0xfca7ab0c
	v_mul_f64 v[23:24], v[19:20], s[4:5]
	s_mov_b32 s4, 0x6a5dcb37
	v_mov_b32_e32 v28, 0x3e928af3
	s_mov_b32 s5, 0x3e5ade15
	s_mov_b32 s18, 0
	;; [unrolled: 1-line block ×3, first 2 shown]
	v_cmp_ngt_f64_e64 s[18:19], s[18:19], v[19:20]
	v_rndne_f64_e32 v[23:24], v[23:24]
	v_fma_f64 v[25:26], v[23:24], s[22:23], v[19:20]
	v_cvt_i32_f64_e32 v0, v[23:24]
	s_mov_b32 s23, 0x3fe62e42
	v_fma_f64 v[25:26], v[23:24], s[38:39], v[25:26]
	s_mov_b32 s39, 0x3c7abc9e
	v_fma_f64 v[27:28], v[25:26], s[4:5], v[27:28]
	s_mov_b32 s4, 0x623fde64
	s_mov_b32 s5, 0x3ec71dee
	v_fma_f64 v[27:28], v[25:26], v[27:28], s[4:5]
	s_mov_b32 s4, 0x7c89e6b0
	;; [unrolled: 3-line block ×9, first 2 shown]
	s_mov_b32 s5, 0x40900000
	v_cmp_nlt_f64_e64 s[4:5], s[4:5], v[19:20]
	v_fma_f64 v[27:28], v[25:26], v[27:28], 1.0
	v_fma_f64 v[25:26], v[25:26], v[27:28], 1.0
	v_ldexp_f64 v[23:24], v[25:26], v0
	v_mov_b32_e32 v0, 0x7ff00000
	v_cndmask_b32_e64 v24, v0, v24, s[4:5]
	s_and_b64 s[4:5], s[18:19], s[4:5]
	v_cndmask_b32_e64 v20, 0, v24, s[18:19]
	v_cndmask_b32_e64 v19, 0, v23, s[4:5]
	v_add_f64 v[23:24], v[19:20], 1.0
	s_mov_b32 s19, 0x3fe55555
	s_mov_b32 s18, 0x55555555
	v_frexp_mant_f64_e32 v[27:28], v[23:24]
	v_frexp_exp_i32_f64_e32 v43, v[23:24]
	v_add_f64 v[25:26], v[23:24], -1.0
	v_cmp_gt_f64_e64 s[4:5], s[18:19], v[27:28]
	s_mov_b32 s18, 0x55555780
	v_add_f64 v[29:30], v[25:26], -v[23:24]
	v_add_f64 v[25:26], v[19:20], -v[25:26]
	v_subbrev_co_u32_e64 v56, s[4:5], 0, v43, s[4:5]
	v_sub_u32_e32 v43, 0, v56
	v_ldexp_f64 v[23:24], v[23:24], v43
	v_add_f64 v[27:28], v[29:30], 1.0
	s_mov_b32 s4, 0xbf559e2b
	s_mov_b32 s5, 0x3fc3ab76
	v_add_f64 v[29:30], v[23:24], 1.0
	v_add_f64 v[25:26], v[25:26], v[27:28]
	v_add_f64 v[47:48], v[23:24], -1.0
	v_add_f64 v[27:28], v[29:30], -1.0
	v_ldexp_f64 v[25:26], v[25:26], v43
	v_add_f64 v[50:51], v[47:48], 1.0
	v_add_f64 v[27:28], v[23:24], -v[27:28]
	v_add_f64 v[23:24], v[23:24], -v[50:51]
	v_add_f64 v[27:28], v[25:26], v[27:28]
	v_add_f64 v[23:24], v[25:26], v[23:24]
	;; [unrolled: 1-line block ×4, first 2 shown]
	v_rcp_f64_e32 v[45:46], v[43:44]
	v_add_f64 v[29:30], v[43:44], -v[29:30]
	v_add_f64 v[47:48], v[50:51], -v[47:48]
	;; [unrolled: 1-line block ×4, first 2 shown]
	v_fma_f64 v[52:53], -v[43:44], v[45:46], 1.0
	v_fma_f64 v[45:46], v[52:53], v[45:46], v[45:46]
	v_fma_f64 v[25:26], -v[43:44], v[45:46], 1.0
	v_fma_f64 v[25:26], v[25:26], v[45:46], v[45:46]
	v_mul_f64 v[45:46], v[50:51], v[25:26]
	v_mul_f64 v[52:53], v[43:44], v[45:46]
	v_fma_f64 v[29:30], v[45:46], v[43:44], -v[52:53]
	v_fma_f64 v[29:30], v[45:46], v[27:28], v[29:30]
	v_add_f64 v[54:55], v[52:53], v[29:30]
	v_add_f64 v[58:59], v[50:51], -v[54:55]
	v_add_f64 v[47:48], v[54:55], -v[52:53]
	;; [unrolled: 1-line block ×5, first 2 shown]
	v_add_f64 v[23:24], v[23:24], v[50:51]
	v_add_f64 v[23:24], v[29:30], v[23:24]
	;; [unrolled: 1-line block ×3, first 2 shown]
	v_mul_f64 v[47:48], v[25:26], v[29:30]
	v_add_f64 v[54:55], v[58:59], -v[29:30]
	v_mul_f64 v[50:51], v[43:44], v[47:48]
	v_add_f64 v[23:24], v[23:24], v[54:55]
	v_fma_f64 v[43:44], v[47:48], v[43:44], -v[50:51]
	v_fma_f64 v[27:28], v[47:48], v[27:28], v[43:44]
	v_add_f64 v[43:44], v[50:51], v[27:28]
	v_add_f64 v[52:53], v[29:30], -v[43:44]
	v_add_f64 v[50:51], v[43:44], -v[50:51]
	;; [unrolled: 1-line block ×5, first 2 shown]
	v_mov_b32_e32 v43, 0x6b47b09a
	v_mov_b32_e32 v44, 0x3fc38538
	v_add_f64 v[23:24], v[23:24], v[29:30]
	v_add_f64 v[29:30], v[45:46], v[47:48]
	;; [unrolled: 1-line block ×3, first 2 shown]
	v_add_f64 v[27:28], v[29:30], -v[45:46]
	v_add_f64 v[23:24], v[52:53], v[23:24]
	v_add_f64 v[27:28], v[47:48], -v[27:28]
	v_mul_f64 v[23:24], v[25:26], v[23:24]
	v_add_f64 v[23:24], v[27:28], v[23:24]
	v_add_f64 v[25:26], v[29:30], v[23:24]
	v_mul_f64 v[27:28], v[25:26], v[25:26]
	v_fma_f64 v[43:44], v[27:28], s[4:5], v[43:44]
	s_mov_b32 s4, 0xd7f4df2e
	s_mov_b32 s5, 0x3fc7474d
	v_mul_f64 v[45:46], v[25:26], v[27:28]
	v_fma_f64 v[43:44], v[27:28], v[43:44], s[4:5]
	s_mov_b32 s4, 0x16291751
	s_mov_b32 s5, 0x3fcc71c0
	v_fma_f64 v[43:44], v[27:28], v[43:44], s[4:5]
	s_mov_b32 s4, 0x9b27acf1
	s_mov_b32 s5, 0x3fd24924
	;; [unrolled: 3-line block ×3, first 2 shown]
	v_fma_f64 v[43:44], v[27:28], v[43:44], s[4:5]
	v_cmp_nge_f64_e64 s[4:5], -1.0, v[19:20]
	v_fma_f64 v[27:28], v[27:28], v[43:44], s[18:19]
	v_ldexp_f64 v[43:44], v[25:26], 1
	v_add_f64 v[25:26], v[25:26], -v[29:30]
	s_mov_b32 s18, 0
	s_mov_b32 s19, 0x7ff00000
	v_cmp_neq_f64_e64 s[18:19], s[18:19], v[19:20]
	v_mul_f64 v[27:28], v[45:46], v[27:28]
	v_cvt_f64_i32_e32 v[45:46], v56
	v_add_f64 v[23:24], v[23:24], -v[25:26]
	v_mul_f64 v[47:48], v[45:46], s[22:23]
	s_and_b64 s[4:5], s[4:5], s[18:19]
	v_add_f64 v[29:30], v[43:44], v[27:28]
	v_ldexp_f64 v[23:24], v[23:24], 1
	v_add_f64 v[25:26], v[29:30], -v[43:44]
	v_fma_f64 v[43:44], v[45:46], s[22:23], -v[47:48]
	v_add_f64 v[25:26], v[27:28], -v[25:26]
	v_fma_f64 v[27:28], v[45:46], s[38:39], v[43:44]
	v_add_f64 v[23:24], v[23:24], v[25:26]
	v_add_f64 v[25:26], v[47:48], v[27:28]
	;; [unrolled: 1-line block ×3, first 2 shown]
	v_add_f64 v[47:48], v[25:26], -v[47:48]
	v_add_f64 v[45:46], v[25:26], v[43:44]
	v_add_f64 v[29:30], v[43:44], -v[29:30]
	v_add_f64 v[27:28], v[27:28], -v[47:48]
	v_add_f64 v[50:51], v[45:46], -v[25:26]
	v_add_f64 v[23:24], v[23:24], -v[29:30]
	v_add_f64 v[52:53], v[45:46], -v[50:51]
	v_add_f64 v[29:30], v[43:44], -v[50:51]
	v_add_f64 v[43:44], v[27:28], v[23:24]
	v_add_f64 v[25:26], v[25:26], -v[52:53]
	v_add_f64 v[25:26], v[29:30], v[25:26]
	v_add_f64 v[29:30], v[43:44], -v[27:28]
	;; [unrolled: 2-line block ×3, first 2 shown]
	v_add_f64 v[23:24], v[23:24], -v[29:30]
	v_add_f64 v[47:48], v[45:46], v[25:26]
	v_add_f64 v[27:28], v[27:28], -v[43:44]
	v_add_f64 v[29:30], v[47:48], -v[45:46]
	v_add_f64 v[23:24], v[23:24], v[27:28]
	v_add_f64 v[25:26], v[25:26], -v[29:30]
	v_add_f64 v[23:24], v[23:24], v[25:26]
	v_mov_b32_e32 v25, 0x7ff80000
	v_mov_b32_e32 v26, 0xfff00000
	v_add_f64 v[23:24], v[47:48], v[23:24]
	v_cndmask_b32_e64 v23, 0, v23, s[4:5]
	v_cmp_ngt_f64_e64 s[4:5], -1.0, v[19:20]
	v_cndmask_b32_e64 v0, v0, v24, s[18:19]
	v_cndmask_b32_e64 v0, v25, v0, s[4:5]
	v_cmp_neq_f64_e64 s[4:5], -1.0, v[19:20]
	v_cndmask_b32_e64 v24, v26, v0, s[4:5]
	v_add_f64 v[19:20], v[21:22], v[23:24]
.LBB79_80:
	s_or_b64 exec, exec, s[20:21]
	v_max_f64 v[21:22], v[19:20], v[19:20]
	v_cmp_u_f64_e64 s[4:5], v[19:20], v[19:20]
	v_min_f64 v[23:24], v[21:22], v[31:32]
	v_max_f64 v[21:22], v[21:22], v[31:32]
	v_cndmask_b32_e64 v0, v23, v19, s[4:5]
	v_cndmask_b32_e64 v23, v24, v20, s[4:5]
	;; [unrolled: 1-line block ×8, first 2 shown]
	v_cmp_neq_f64_e64 s[4:5], v[23:24], v[21:22]
	v_cmp_class_f64_e64 s[18:19], v[23:24], s33
	v_mov_b32_e32 v13, v19
	v_mov_b32_e32 v14, v20
	s_or_b64 s[4:5], s[4:5], s[18:19]
	s_and_saveexec_b64 s[20:21], s[4:5]
	s_cbranch_execz .LBB79_82
; %bb.81:
	v_add_f64 v[13:14], v[23:24], -v[21:22]
	s_mov_b32 s4, 0x652b82fe
	s_mov_b32 s5, 0x3ff71547
	s_mov_b32 s23, 0xbfe62e42
	s_mov_b32 s22, 0xfefa39ef
	s_mov_b32 s27, 0xbc7abc9e
	s_mov_b32 s26, 0x3b39803f
	v_mov_b32_e32 v27, 0xfca7ab0c
	v_mul_f64 v[23:24], v[13:14], s[4:5]
	s_mov_b32 s4, 0x6a5dcb37
	v_mov_b32_e32 v28, 0x3e928af3
	s_mov_b32 s5, 0x3e5ade15
	s_mov_b32 s18, 0
	;; [unrolled: 1-line block ×3, first 2 shown]
	v_cmp_ngt_f64_e64 s[18:19], s[18:19], v[13:14]
	v_rndne_f64_e32 v[23:24], v[23:24]
	v_fma_f64 v[25:26], v[23:24], s[22:23], v[13:14]
	v_cvt_i32_f64_e32 v0, v[23:24]
	s_mov_b32 s23, 0x3fe62e42
	v_fma_f64 v[25:26], v[23:24], s[26:27], v[25:26]
	s_mov_b32 s27, 0x3c7abc9e
	v_fma_f64 v[27:28], v[25:26], s[4:5], v[27:28]
	s_mov_b32 s4, 0x623fde64
	s_mov_b32 s5, 0x3ec71dee
	v_fma_f64 v[27:28], v[25:26], v[27:28], s[4:5]
	s_mov_b32 s4, 0x7c89e6b0
	;; [unrolled: 3-line block ×9, first 2 shown]
	s_mov_b32 s5, 0x40900000
	v_cmp_nlt_f64_e64 s[4:5], s[4:5], v[13:14]
	v_fma_f64 v[27:28], v[25:26], v[27:28], 1.0
	v_fma_f64 v[25:26], v[25:26], v[27:28], 1.0
	v_ldexp_f64 v[23:24], v[25:26], v0
	v_mov_b32_e32 v0, 0x7ff00000
	v_cndmask_b32_e64 v24, v0, v24, s[4:5]
	s_and_b64 s[4:5], s[18:19], s[4:5]
	v_cndmask_b32_e64 v14, 0, v24, s[18:19]
	v_cndmask_b32_e64 v13, 0, v23, s[4:5]
	v_add_f64 v[23:24], v[13:14], 1.0
	s_mov_b32 s19, 0x3fe55555
	s_mov_b32 s18, 0x55555555
	v_frexp_mant_f64_e32 v[27:28], v[23:24]
	v_frexp_exp_i32_f64_e32 v31, v[23:24]
	v_add_f64 v[25:26], v[23:24], -1.0
	v_cmp_gt_f64_e64 s[4:5], s[18:19], v[27:28]
	s_mov_b32 s18, 0x55555780
	v_add_f64 v[29:30], v[25:26], -v[23:24]
	v_add_f64 v[25:26], v[13:14], -v[25:26]
	v_subbrev_co_u32_e64 v56, s[4:5], 0, v31, s[4:5]
	v_sub_u32_e32 v31, 0, v56
	v_ldexp_f64 v[23:24], v[23:24], v31
	v_add_f64 v[27:28], v[29:30], 1.0
	s_mov_b32 s4, 0xbf559e2b
	s_mov_b32 s5, 0x3fc3ab76
	v_add_f64 v[29:30], v[23:24], 1.0
	v_add_f64 v[25:26], v[25:26], v[27:28]
	v_add_f64 v[45:46], v[23:24], -1.0
	v_add_f64 v[27:28], v[29:30], -1.0
	v_ldexp_f64 v[25:26], v[25:26], v31
	v_add_f64 v[47:48], v[45:46], 1.0
	v_add_f64 v[27:28], v[23:24], -v[27:28]
	v_add_f64 v[23:24], v[23:24], -v[47:48]
	v_add_f64 v[27:28], v[25:26], v[27:28]
	v_add_f64 v[23:24], v[25:26], v[23:24]
	v_add_f64 v[31:32], v[29:30], v[27:28]
	v_add_f64 v[47:48], v[45:46], v[23:24]
	v_rcp_f64_e32 v[43:44], v[31:32]
	v_add_f64 v[29:30], v[31:32], -v[29:30]
	v_add_f64 v[45:46], v[47:48], -v[45:46]
	;; [unrolled: 1-line block ×4, first 2 shown]
	v_fma_f64 v[50:51], -v[31:32], v[43:44], 1.0
	v_fma_f64 v[43:44], v[50:51], v[43:44], v[43:44]
	v_fma_f64 v[25:26], -v[31:32], v[43:44], 1.0
	v_fma_f64 v[25:26], v[25:26], v[43:44], v[43:44]
	v_mul_f64 v[43:44], v[47:48], v[25:26]
	v_mul_f64 v[50:51], v[31:32], v[43:44]
	v_fma_f64 v[29:30], v[43:44], v[31:32], -v[50:51]
	v_fma_f64 v[29:30], v[43:44], v[27:28], v[29:30]
	v_add_f64 v[52:53], v[50:51], v[29:30]
	v_add_f64 v[54:55], v[47:48], -v[52:53]
	v_add_f64 v[45:46], v[52:53], -v[50:51]
	;; [unrolled: 1-line block ×5, first 2 shown]
	v_add_f64 v[23:24], v[23:24], v[47:48]
	v_add_f64 v[23:24], v[29:30], v[23:24]
	v_add_f64 v[29:30], v[54:55], v[23:24]
	v_mul_f64 v[45:46], v[25:26], v[29:30]
	v_add_f64 v[52:53], v[54:55], -v[29:30]
	v_mul_f64 v[47:48], v[31:32], v[45:46]
	v_add_f64 v[23:24], v[23:24], v[52:53]
	v_fma_f64 v[31:32], v[45:46], v[31:32], -v[47:48]
	v_fma_f64 v[27:28], v[45:46], v[27:28], v[31:32]
	v_add_f64 v[31:32], v[47:48], v[27:28]
	v_add_f64 v[50:51], v[29:30], -v[31:32]
	v_add_f64 v[47:48], v[31:32], -v[47:48]
	;; [unrolled: 1-line block ×5, first 2 shown]
	v_mov_b32_e32 v31, 0x6b47b09a
	v_mov_b32_e32 v32, 0x3fc38538
	v_add_f64 v[23:24], v[23:24], v[29:30]
	v_add_f64 v[29:30], v[43:44], v[45:46]
	;; [unrolled: 1-line block ×3, first 2 shown]
	v_add_f64 v[27:28], v[29:30], -v[43:44]
	v_add_f64 v[23:24], v[50:51], v[23:24]
	v_add_f64 v[27:28], v[45:46], -v[27:28]
	v_mul_f64 v[23:24], v[25:26], v[23:24]
	v_add_f64 v[23:24], v[27:28], v[23:24]
	v_add_f64 v[25:26], v[29:30], v[23:24]
	v_mul_f64 v[27:28], v[25:26], v[25:26]
	v_fma_f64 v[31:32], v[27:28], s[4:5], v[31:32]
	s_mov_b32 s4, 0xd7f4df2e
	s_mov_b32 s5, 0x3fc7474d
	v_mul_f64 v[43:44], v[25:26], v[27:28]
	v_fma_f64 v[31:32], v[27:28], v[31:32], s[4:5]
	s_mov_b32 s4, 0x16291751
	s_mov_b32 s5, 0x3fcc71c0
	v_fma_f64 v[31:32], v[27:28], v[31:32], s[4:5]
	s_mov_b32 s4, 0x9b27acf1
	s_mov_b32 s5, 0x3fd24924
	;; [unrolled: 3-line block ×3, first 2 shown]
	v_fma_f64 v[31:32], v[27:28], v[31:32], s[4:5]
	v_cmp_nge_f64_e64 s[4:5], -1.0, v[13:14]
	v_fma_f64 v[27:28], v[27:28], v[31:32], s[18:19]
	v_ldexp_f64 v[31:32], v[25:26], 1
	v_add_f64 v[25:26], v[25:26], -v[29:30]
	s_mov_b32 s18, 0
	s_mov_b32 s19, 0x7ff00000
	v_cmp_neq_f64_e64 s[18:19], s[18:19], v[13:14]
	v_mul_f64 v[27:28], v[43:44], v[27:28]
	v_cvt_f64_i32_e32 v[43:44], v56
	v_add_f64 v[23:24], v[23:24], -v[25:26]
	v_mul_f64 v[45:46], v[43:44], s[22:23]
	s_and_b64 s[4:5], s[4:5], s[18:19]
	v_add_f64 v[29:30], v[31:32], v[27:28]
	v_ldexp_f64 v[23:24], v[23:24], 1
	v_add_f64 v[25:26], v[29:30], -v[31:32]
	v_fma_f64 v[31:32], v[43:44], s[22:23], -v[45:46]
	v_add_f64 v[25:26], v[27:28], -v[25:26]
	v_fma_f64 v[27:28], v[43:44], s[26:27], v[31:32]
	v_add_f64 v[23:24], v[23:24], v[25:26]
	v_add_f64 v[25:26], v[45:46], v[27:28]
	;; [unrolled: 1-line block ×3, first 2 shown]
	v_add_f64 v[45:46], v[25:26], -v[45:46]
	v_add_f64 v[43:44], v[25:26], v[31:32]
	v_add_f64 v[29:30], v[31:32], -v[29:30]
	v_add_f64 v[27:28], v[27:28], -v[45:46]
	;; [unrolled: 1-line block ×6, first 2 shown]
	v_add_f64 v[31:32], v[27:28], v[23:24]
	v_add_f64 v[25:26], v[25:26], -v[50:51]
	v_add_f64 v[25:26], v[29:30], v[25:26]
	v_add_f64 v[29:30], v[31:32], -v[27:28]
	;; [unrolled: 2-line block ×3, first 2 shown]
	v_add_f64 v[23:24], v[23:24], -v[29:30]
	v_add_f64 v[45:46], v[43:44], v[25:26]
	v_add_f64 v[27:28], v[27:28], -v[31:32]
	v_add_f64 v[29:30], v[45:46], -v[43:44]
	v_add_f64 v[23:24], v[23:24], v[27:28]
	v_add_f64 v[25:26], v[25:26], -v[29:30]
	v_add_f64 v[23:24], v[23:24], v[25:26]
	v_mov_b32_e32 v25, 0x7ff80000
	v_mov_b32_e32 v26, 0xfff00000
	v_add_f64 v[23:24], v[45:46], v[23:24]
	v_cndmask_b32_e64 v23, 0, v23, s[4:5]
	v_cmp_ngt_f64_e64 s[4:5], -1.0, v[13:14]
	v_cndmask_b32_e64 v0, v0, v24, s[18:19]
	v_cndmask_b32_e64 v0, v25, v0, s[4:5]
	v_cmp_neq_f64_e64 s[4:5], -1.0, v[13:14]
	v_cndmask_b32_e64 v24, v26, v0, s[4:5]
	v_add_f64 v[13:14], v[21:22], v[23:24]
.LBB79_82:
	s_or_b64 exec, exec, s[20:21]
	v_max_f64 v[21:22], v[13:14], v[13:14]
	v_cmp_u_f64_e64 s[4:5], v[13:14], v[13:14]
	s_movk_i32 s26, 0x1f8
	v_min_f64 v[23:24], v[21:22], v[33:34]
	v_max_f64 v[21:22], v[21:22], v[33:34]
	v_cndmask_b32_e64 v0, v23, v13, s[4:5]
	v_cndmask_b32_e64 v23, v24, v14, s[4:5]
	;; [unrolled: 1-line block ×8, first 2 shown]
	v_cmp_neq_f64_e64 s[4:5], v[23:24], v[21:22]
	v_cmp_class_f64_e64 s[18:19], v[23:24], s26
	v_mov_b32_e32 v16, v14
	v_mov_b32_e32 v15, v13
	s_or_b64 s[4:5], s[4:5], s[18:19]
	s_and_saveexec_b64 s[20:21], s[4:5]
	s_cbranch_execz .LBB79_84
; %bb.83:
	v_add_f64 v[15:16], v[23:24], -v[21:22]
	s_mov_b32 s4, 0x652b82fe
	s_mov_b32 s5, 0x3ff71547
	;; [unrolled: 1-line block ×6, first 2 shown]
	v_mov_b32_e32 v27, 0xfca7ab0c
	v_mul_f64 v[23:24], v[15:16], s[4:5]
	s_mov_b32 s4, 0x6a5dcb37
	v_mov_b32_e32 v28, 0x3e928af3
	s_mov_b32 s5, 0x3e5ade15
	s_mov_b32 s18, 0
	;; [unrolled: 1-line block ×3, first 2 shown]
	v_cmp_ngt_f64_e64 s[18:19], s[18:19], v[15:16]
	v_rndne_f64_e32 v[23:24], v[23:24]
	v_fma_f64 v[25:26], v[23:24], s[22:23], v[15:16]
	v_cvt_i32_f64_e32 v0, v[23:24]
	s_mov_b32 s23, 0x3fe62e42
	v_fma_f64 v[25:26], v[23:24], s[24:25], v[25:26]
	s_mov_b32 s25, 0x3c7abc9e
	v_fma_f64 v[27:28], v[25:26], s[4:5], v[27:28]
	s_mov_b32 s4, 0x623fde64
	s_mov_b32 s5, 0x3ec71dee
	v_fma_f64 v[27:28], v[25:26], v[27:28], s[4:5]
	s_mov_b32 s4, 0x7c89e6b0
	;; [unrolled: 3-line block ×9, first 2 shown]
	s_mov_b32 s5, 0x40900000
	v_cmp_nlt_f64_e64 s[4:5], s[4:5], v[15:16]
	v_fma_f64 v[27:28], v[25:26], v[27:28], 1.0
	v_fma_f64 v[25:26], v[25:26], v[27:28], 1.0
	v_ldexp_f64 v[23:24], v[25:26], v0
	v_mov_b32_e32 v0, 0x7ff00000
	v_cndmask_b32_e64 v24, v0, v24, s[4:5]
	s_and_b64 s[4:5], s[18:19], s[4:5]
	v_cndmask_b32_e64 v16, 0, v24, s[18:19]
	v_cndmask_b32_e64 v15, 0, v23, s[4:5]
	v_add_f64 v[23:24], v[15:16], 1.0
	s_mov_b32 s19, 0x3fe55555
	s_mov_b32 s18, 0x55555555
	v_frexp_mant_f64_e32 v[27:28], v[23:24]
	v_frexp_exp_i32_f64_e32 v31, v[23:24]
	v_add_f64 v[25:26], v[23:24], -1.0
	v_cmp_gt_f64_e64 s[4:5], s[18:19], v[27:28]
	s_mov_b32 s18, 0x55555780
	v_add_f64 v[29:30], v[25:26], -v[23:24]
	v_add_f64 v[25:26], v[15:16], -v[25:26]
	v_subbrev_co_u32_e64 v54, s[4:5], 0, v31, s[4:5]
	v_sub_u32_e32 v31, 0, v54
	v_ldexp_f64 v[23:24], v[23:24], v31
	v_add_f64 v[27:28], v[29:30], 1.0
	s_mov_b32 s4, 0xbf559e2b
	s_mov_b32 s5, 0x3fc3ab76
	v_add_f64 v[29:30], v[23:24], 1.0
	v_add_f64 v[25:26], v[25:26], v[27:28]
	v_add_f64 v[43:44], v[23:24], -1.0
	v_add_f64 v[27:28], v[29:30], -1.0
	v_ldexp_f64 v[25:26], v[25:26], v31
	v_add_f64 v[45:46], v[43:44], 1.0
	v_add_f64 v[27:28], v[23:24], -v[27:28]
	v_add_f64 v[23:24], v[23:24], -v[45:46]
	v_add_f64 v[27:28], v[25:26], v[27:28]
	v_add_f64 v[23:24], v[25:26], v[23:24]
	;; [unrolled: 1-line block ×4, first 2 shown]
	v_rcp_f64_e32 v[33:34], v[31:32]
	v_add_f64 v[29:30], v[31:32], -v[29:30]
	v_add_f64 v[43:44], v[45:46], -v[43:44]
	;; [unrolled: 1-line block ×4, first 2 shown]
	v_fma_f64 v[47:48], -v[31:32], v[33:34], 1.0
	v_fma_f64 v[33:34], v[47:48], v[33:34], v[33:34]
	v_fma_f64 v[25:26], -v[31:32], v[33:34], 1.0
	v_fma_f64 v[25:26], v[25:26], v[33:34], v[33:34]
	v_mul_f64 v[33:34], v[45:46], v[25:26]
	v_mul_f64 v[47:48], v[31:32], v[33:34]
	v_fma_f64 v[29:30], v[33:34], v[31:32], -v[47:48]
	v_fma_f64 v[29:30], v[33:34], v[27:28], v[29:30]
	v_add_f64 v[50:51], v[47:48], v[29:30]
	v_add_f64 v[52:53], v[45:46], -v[50:51]
	v_add_f64 v[43:44], v[50:51], -v[47:48]
	;; [unrolled: 1-line block ×5, first 2 shown]
	v_add_f64 v[23:24], v[23:24], v[45:46]
	v_add_f64 v[23:24], v[29:30], v[23:24]
	v_add_f64 v[29:30], v[52:53], v[23:24]
	v_mul_f64 v[43:44], v[25:26], v[29:30]
	v_add_f64 v[50:51], v[52:53], -v[29:30]
	v_mul_f64 v[45:46], v[31:32], v[43:44]
	v_add_f64 v[23:24], v[23:24], v[50:51]
	v_fma_f64 v[31:32], v[43:44], v[31:32], -v[45:46]
	v_fma_f64 v[27:28], v[43:44], v[27:28], v[31:32]
	v_add_f64 v[31:32], v[45:46], v[27:28]
	v_add_f64 v[47:48], v[29:30], -v[31:32]
	v_add_f64 v[45:46], v[31:32], -v[45:46]
	;; [unrolled: 1-line block ×5, first 2 shown]
	v_mov_b32_e32 v31, 0x6b47b09a
	v_mov_b32_e32 v32, 0x3fc38538
	v_add_f64 v[23:24], v[23:24], v[29:30]
	v_add_f64 v[29:30], v[33:34], v[43:44]
	;; [unrolled: 1-line block ×3, first 2 shown]
	v_add_f64 v[27:28], v[29:30], -v[33:34]
	v_add_f64 v[23:24], v[47:48], v[23:24]
	v_add_f64 v[27:28], v[43:44], -v[27:28]
	v_mul_f64 v[23:24], v[25:26], v[23:24]
	v_add_f64 v[23:24], v[27:28], v[23:24]
	v_add_f64 v[25:26], v[29:30], v[23:24]
	v_mul_f64 v[27:28], v[25:26], v[25:26]
	v_fma_f64 v[31:32], v[27:28], s[4:5], v[31:32]
	s_mov_b32 s4, 0xd7f4df2e
	s_mov_b32 s5, 0x3fc7474d
	v_mul_f64 v[33:34], v[25:26], v[27:28]
	v_fma_f64 v[31:32], v[27:28], v[31:32], s[4:5]
	s_mov_b32 s4, 0x16291751
	s_mov_b32 s5, 0x3fcc71c0
	v_fma_f64 v[31:32], v[27:28], v[31:32], s[4:5]
	s_mov_b32 s4, 0x9b27acf1
	s_mov_b32 s5, 0x3fd24924
	;; [unrolled: 3-line block ×3, first 2 shown]
	v_fma_f64 v[31:32], v[27:28], v[31:32], s[4:5]
	v_cmp_nge_f64_e64 s[4:5], -1.0, v[15:16]
	v_fma_f64 v[27:28], v[27:28], v[31:32], s[18:19]
	v_ldexp_f64 v[31:32], v[25:26], 1
	v_add_f64 v[25:26], v[25:26], -v[29:30]
	s_mov_b32 s18, 0
	s_mov_b32 s19, 0x7ff00000
	v_cmp_neq_f64_e64 s[18:19], s[18:19], v[15:16]
	v_mul_f64 v[27:28], v[33:34], v[27:28]
	v_cvt_f64_i32_e32 v[33:34], v54
	v_add_f64 v[23:24], v[23:24], -v[25:26]
	v_mul_f64 v[43:44], v[33:34], s[22:23]
	s_and_b64 s[4:5], s[4:5], s[18:19]
	v_add_f64 v[29:30], v[31:32], v[27:28]
	v_ldexp_f64 v[23:24], v[23:24], 1
	v_add_f64 v[25:26], v[29:30], -v[31:32]
	v_fma_f64 v[31:32], v[33:34], s[22:23], -v[43:44]
	v_add_f64 v[25:26], v[27:28], -v[25:26]
	v_fma_f64 v[27:28], v[33:34], s[24:25], v[31:32]
	v_add_f64 v[23:24], v[23:24], v[25:26]
	v_add_f64 v[25:26], v[43:44], v[27:28]
	;; [unrolled: 1-line block ×3, first 2 shown]
	v_add_f64 v[43:44], v[25:26], -v[43:44]
	v_add_f64 v[33:34], v[25:26], v[31:32]
	v_add_f64 v[29:30], v[31:32], -v[29:30]
	v_add_f64 v[27:28], v[27:28], -v[43:44]
	;; [unrolled: 1-line block ×6, first 2 shown]
	v_add_f64 v[31:32], v[27:28], v[23:24]
	v_add_f64 v[25:26], v[25:26], -v[47:48]
	v_add_f64 v[25:26], v[29:30], v[25:26]
	v_add_f64 v[29:30], v[31:32], -v[27:28]
	;; [unrolled: 2-line block ×3, first 2 shown]
	v_add_f64 v[23:24], v[23:24], -v[29:30]
	v_add_f64 v[43:44], v[33:34], v[25:26]
	v_add_f64 v[27:28], v[27:28], -v[31:32]
	v_add_f64 v[29:30], v[43:44], -v[33:34]
	v_add_f64 v[23:24], v[23:24], v[27:28]
	v_add_f64 v[25:26], v[25:26], -v[29:30]
	v_add_f64 v[23:24], v[23:24], v[25:26]
	v_mov_b32_e32 v25, 0x7ff80000
	v_mov_b32_e32 v26, 0xfff00000
	v_add_f64 v[23:24], v[43:44], v[23:24]
	v_cndmask_b32_e64 v23, 0, v23, s[4:5]
	v_cmp_ngt_f64_e64 s[4:5], -1.0, v[15:16]
	v_cndmask_b32_e64 v0, v0, v24, s[18:19]
	v_cndmask_b32_e64 v0, v25, v0, s[4:5]
	v_cmp_neq_f64_e64 s[4:5], -1.0, v[15:16]
	v_cndmask_b32_e64 v24, v26, v0, s[4:5]
	v_add_f64 v[15:16], v[21:22], v[23:24]
.LBB79_84:
	s_or_b64 exec, exec, s[20:21]
	v_max_f64 v[21:22], v[15:16], v[15:16]
	v_cmp_u_f64_e64 s[4:5], v[15:16], v[15:16]
	v_min_f64 v[23:24], v[21:22], v[35:36]
	v_max_f64 v[21:22], v[21:22], v[35:36]
	v_cndmask_b32_e64 v0, v23, v15, s[4:5]
	v_cndmask_b32_e64 v23, v24, v16, s[4:5]
	;; [unrolled: 1-line block ×8, first 2 shown]
	v_cmp_neq_f64_e64 s[4:5], v[23:24], v[21:22]
	v_cmp_class_f64_e64 s[18:19], v[23:24], s26
	v_mov_b32_e32 v9, v15
	v_mov_b32_e32 v10, v16
	s_or_b64 s[4:5], s[4:5], s[18:19]
	s_and_saveexec_b64 s[20:21], s[4:5]
	s_cbranch_execz .LBB79_86
; %bb.85:
	v_add_f64 v[9:10], v[23:24], -v[21:22]
	s_mov_b32 s4, 0x652b82fe
	s_mov_b32 s5, 0x3ff71547
	;; [unrolled: 1-line block ×6, first 2 shown]
	v_mov_b32_e32 v27, 0xfca7ab0c
	v_mul_f64 v[23:24], v[9:10], s[4:5]
	s_mov_b32 s4, 0x6a5dcb37
	v_mov_b32_e32 v28, 0x3e928af3
	s_mov_b32 s5, 0x3e5ade15
	s_mov_b32 s18, 0
	;; [unrolled: 1-line block ×3, first 2 shown]
	v_cmp_ngt_f64_e64 s[18:19], s[18:19], v[9:10]
	v_rndne_f64_e32 v[23:24], v[23:24]
	v_fma_f64 v[25:26], v[23:24], s[22:23], v[9:10]
	v_cvt_i32_f64_e32 v0, v[23:24]
	s_mov_b32 s23, 0x3fe62e42
	v_fma_f64 v[25:26], v[23:24], s[24:25], v[25:26]
	s_mov_b32 s25, 0x3c7abc9e
	v_fma_f64 v[27:28], v[25:26], s[4:5], v[27:28]
	s_mov_b32 s4, 0x623fde64
	s_mov_b32 s5, 0x3ec71dee
	v_fma_f64 v[27:28], v[25:26], v[27:28], s[4:5]
	s_mov_b32 s4, 0x7c89e6b0
	s_mov_b32 s5, 0x3efa0199
	v_fma_f64 v[27:28], v[25:26], v[27:28], s[4:5]
	s_mov_b32 s4, 0x14761f6e
	s_mov_b32 s5, 0x3f2a01a0
	v_fma_f64 v[27:28], v[25:26], v[27:28], s[4:5]
	s_mov_b32 s4, 0x1852b7b0
	s_mov_b32 s5, 0x3f56c16c
	v_fma_f64 v[27:28], v[25:26], v[27:28], s[4:5]
	s_mov_b32 s4, 0x11122322
	s_mov_b32 s5, 0x3f811111
	v_fma_f64 v[27:28], v[25:26], v[27:28], s[4:5]
	s_mov_b32 s4, 0x555502a1
	s_mov_b32 s5, 0x3fa55555
	v_fma_f64 v[27:28], v[25:26], v[27:28], s[4:5]
	s_mov_b32 s4, 0x55555511
	s_mov_b32 s5, 0x3fc55555
	v_fma_f64 v[27:28], v[25:26], v[27:28], s[4:5]
	s_mov_b32 s4, 11
	s_mov_b32 s5, 0x3fe00000
	v_fma_f64 v[27:28], v[25:26], v[27:28], s[4:5]
	s_mov_b32 s4, 0
	s_mov_b32 s5, 0x40900000
	v_cmp_nlt_f64_e64 s[4:5], s[4:5], v[9:10]
	v_fma_f64 v[27:28], v[25:26], v[27:28], 1.0
	v_fma_f64 v[25:26], v[25:26], v[27:28], 1.0
	v_ldexp_f64 v[23:24], v[25:26], v0
	v_mov_b32_e32 v0, 0x7ff00000
	v_cndmask_b32_e64 v24, v0, v24, s[4:5]
	s_and_b64 s[4:5], s[18:19], s[4:5]
	v_cndmask_b32_e64 v10, 0, v24, s[18:19]
	v_cndmask_b32_e64 v9, 0, v23, s[4:5]
	v_add_f64 v[23:24], v[9:10], 1.0
	s_mov_b32 s19, 0x3fe55555
	s_mov_b32 s18, 0x55555555
	v_frexp_mant_f64_e32 v[27:28], v[23:24]
	v_frexp_exp_i32_f64_e32 v31, v[23:24]
	v_add_f64 v[25:26], v[23:24], -1.0
	v_cmp_gt_f64_e64 s[4:5], s[18:19], v[27:28]
	s_mov_b32 s18, 0x55555780
	v_add_f64 v[29:30], v[25:26], -v[23:24]
	v_add_f64 v[25:26], v[9:10], -v[25:26]
	v_subbrev_co_u32_e64 v52, s[4:5], 0, v31, s[4:5]
	v_sub_u32_e32 v31, 0, v52
	v_ldexp_f64 v[23:24], v[23:24], v31
	v_add_f64 v[27:28], v[29:30], 1.0
	s_mov_b32 s4, 0xbf559e2b
	s_mov_b32 s5, 0x3fc3ab76
	v_add_f64 v[29:30], v[23:24], 1.0
	v_add_f64 v[25:26], v[25:26], v[27:28]
	v_add_f64 v[35:36], v[23:24], -1.0
	v_add_f64 v[27:28], v[29:30], -1.0
	v_ldexp_f64 v[25:26], v[25:26], v31
	v_add_f64 v[43:44], v[35:36], 1.0
	v_add_f64 v[27:28], v[23:24], -v[27:28]
	v_add_f64 v[23:24], v[23:24], -v[43:44]
	v_add_f64 v[27:28], v[25:26], v[27:28]
	v_add_f64 v[23:24], v[25:26], v[23:24]
	;; [unrolled: 1-line block ×4, first 2 shown]
	v_rcp_f64_e32 v[33:34], v[31:32]
	v_add_f64 v[29:30], v[31:32], -v[29:30]
	v_add_f64 v[35:36], v[43:44], -v[35:36]
	;; [unrolled: 1-line block ×4, first 2 shown]
	v_fma_f64 v[45:46], -v[31:32], v[33:34], 1.0
	v_fma_f64 v[33:34], v[45:46], v[33:34], v[33:34]
	v_fma_f64 v[25:26], -v[31:32], v[33:34], 1.0
	v_fma_f64 v[25:26], v[25:26], v[33:34], v[33:34]
	v_mul_f64 v[33:34], v[43:44], v[25:26]
	v_mul_f64 v[45:46], v[31:32], v[33:34]
	v_fma_f64 v[29:30], v[33:34], v[31:32], -v[45:46]
	v_fma_f64 v[29:30], v[33:34], v[27:28], v[29:30]
	v_add_f64 v[47:48], v[45:46], v[29:30]
	v_add_f64 v[50:51], v[43:44], -v[47:48]
	v_add_f64 v[35:36], v[47:48], -v[45:46]
	;; [unrolled: 1-line block ×5, first 2 shown]
	v_add_f64 v[23:24], v[23:24], v[43:44]
	v_add_f64 v[23:24], v[29:30], v[23:24]
	;; [unrolled: 1-line block ×3, first 2 shown]
	v_mul_f64 v[35:36], v[25:26], v[29:30]
	v_add_f64 v[47:48], v[50:51], -v[29:30]
	v_mul_f64 v[43:44], v[31:32], v[35:36]
	v_add_f64 v[23:24], v[23:24], v[47:48]
	v_fma_f64 v[31:32], v[35:36], v[31:32], -v[43:44]
	v_fma_f64 v[27:28], v[35:36], v[27:28], v[31:32]
	v_add_f64 v[31:32], v[43:44], v[27:28]
	v_add_f64 v[45:46], v[29:30], -v[31:32]
	v_add_f64 v[43:44], v[31:32], -v[43:44]
	;; [unrolled: 1-line block ×5, first 2 shown]
	v_mov_b32_e32 v31, 0x6b47b09a
	v_mov_b32_e32 v32, 0x3fc38538
	v_add_f64 v[23:24], v[23:24], v[29:30]
	v_add_f64 v[29:30], v[33:34], v[35:36]
	;; [unrolled: 1-line block ×3, first 2 shown]
	v_add_f64 v[27:28], v[29:30], -v[33:34]
	v_add_f64 v[23:24], v[45:46], v[23:24]
	v_add_f64 v[27:28], v[35:36], -v[27:28]
	v_mul_f64 v[23:24], v[25:26], v[23:24]
	v_add_f64 v[23:24], v[27:28], v[23:24]
	v_add_f64 v[25:26], v[29:30], v[23:24]
	v_mul_f64 v[27:28], v[25:26], v[25:26]
	v_fma_f64 v[31:32], v[27:28], s[4:5], v[31:32]
	s_mov_b32 s4, 0xd7f4df2e
	s_mov_b32 s5, 0x3fc7474d
	v_mul_f64 v[33:34], v[25:26], v[27:28]
	v_fma_f64 v[31:32], v[27:28], v[31:32], s[4:5]
	s_mov_b32 s4, 0x16291751
	s_mov_b32 s5, 0x3fcc71c0
	v_fma_f64 v[31:32], v[27:28], v[31:32], s[4:5]
	s_mov_b32 s4, 0x9b27acf1
	s_mov_b32 s5, 0x3fd24924
	;; [unrolled: 3-line block ×3, first 2 shown]
	v_fma_f64 v[31:32], v[27:28], v[31:32], s[4:5]
	v_cmp_nge_f64_e64 s[4:5], -1.0, v[9:10]
	v_fma_f64 v[27:28], v[27:28], v[31:32], s[18:19]
	v_ldexp_f64 v[31:32], v[25:26], 1
	v_add_f64 v[25:26], v[25:26], -v[29:30]
	s_mov_b32 s18, 0
	s_mov_b32 s19, 0x7ff00000
	v_cmp_neq_f64_e64 s[18:19], s[18:19], v[9:10]
	v_mul_f64 v[27:28], v[33:34], v[27:28]
	v_cvt_f64_i32_e32 v[33:34], v52
	v_add_f64 v[23:24], v[23:24], -v[25:26]
	v_mul_f64 v[35:36], v[33:34], s[22:23]
	s_and_b64 s[4:5], s[4:5], s[18:19]
	v_add_f64 v[29:30], v[31:32], v[27:28]
	v_ldexp_f64 v[23:24], v[23:24], 1
	v_add_f64 v[25:26], v[29:30], -v[31:32]
	v_fma_f64 v[31:32], v[33:34], s[22:23], -v[35:36]
	v_add_f64 v[25:26], v[27:28], -v[25:26]
	v_fma_f64 v[27:28], v[33:34], s[24:25], v[31:32]
	v_add_f64 v[23:24], v[23:24], v[25:26]
	v_add_f64 v[25:26], v[35:36], v[27:28]
	;; [unrolled: 1-line block ×3, first 2 shown]
	v_add_f64 v[35:36], v[25:26], -v[35:36]
	v_add_f64 v[33:34], v[25:26], v[31:32]
	v_add_f64 v[29:30], v[31:32], -v[29:30]
	v_add_f64 v[27:28], v[27:28], -v[35:36]
	v_add_f64 v[43:44], v[33:34], -v[25:26]
	v_add_f64 v[23:24], v[23:24], -v[29:30]
	v_add_f64 v[45:46], v[33:34], -v[43:44]
	v_add_f64 v[29:30], v[31:32], -v[43:44]
	v_add_f64 v[31:32], v[27:28], v[23:24]
	v_add_f64 v[25:26], v[25:26], -v[45:46]
	v_add_f64 v[25:26], v[29:30], v[25:26]
	v_add_f64 v[29:30], v[31:32], -v[27:28]
	;; [unrolled: 2-line block ×3, first 2 shown]
	v_add_f64 v[23:24], v[23:24], -v[29:30]
	v_add_f64 v[35:36], v[33:34], v[25:26]
	v_add_f64 v[27:28], v[27:28], -v[31:32]
	v_add_f64 v[29:30], v[35:36], -v[33:34]
	v_add_f64 v[23:24], v[23:24], v[27:28]
	v_add_f64 v[25:26], v[25:26], -v[29:30]
	v_add_f64 v[23:24], v[23:24], v[25:26]
	v_mov_b32_e32 v25, 0x7ff80000
	v_mov_b32_e32 v26, 0xfff00000
	v_add_f64 v[23:24], v[35:36], v[23:24]
	v_cndmask_b32_e64 v23, 0, v23, s[4:5]
	v_cmp_ngt_f64_e64 s[4:5], -1.0, v[9:10]
	v_cndmask_b32_e64 v0, v0, v24, s[18:19]
	v_cndmask_b32_e64 v0, v25, v0, s[4:5]
	v_cmp_neq_f64_e64 s[4:5], -1.0, v[9:10]
	v_cndmask_b32_e64 v24, v26, v0, s[4:5]
	v_add_f64 v[9:10], v[21:22], v[23:24]
.LBB79_86:
	s_or_b64 exec, exec, s[20:21]
	v_max_f64 v[21:22], v[9:10], v[9:10]
	v_cmp_u_f64_e64 s[4:5], v[9:10], v[9:10]
	v_min_f64 v[23:24], v[21:22], v[37:38]
	v_max_f64 v[21:22], v[21:22], v[37:38]
	v_cndmask_b32_e64 v0, v23, v9, s[4:5]
	v_cndmask_b32_e64 v23, v24, v10, s[4:5]
	v_cndmask_b32_e64 v21, v21, v9, s[4:5]
	v_cndmask_b32_e64 v22, v22, v10, s[4:5]
	v_cndmask_b32_e64 v24, v23, v12, s[28:29]
	v_cndmask_b32_e64 v23, v0, v11, s[28:29]
	v_cndmask_b32_e64 v22, v22, v12, s[28:29]
	v_cndmask_b32_e64 v21, v21, v11, s[28:29]
	v_cmp_neq_f64_e64 s[4:5], v[23:24], v[21:22]
	v_cmp_class_f64_e64 s[18:19], v[23:24], s26
	v_mov_b32_e32 v12, v10
	v_mov_b32_e32 v11, v9
	s_or_b64 s[4:5], s[4:5], s[18:19]
	s_and_saveexec_b64 s[20:21], s[4:5]
	s_cbranch_execz .LBB79_88
; %bb.87:
	v_add_f64 v[11:12], v[23:24], -v[21:22]
	s_mov_b32 s4, 0x652b82fe
	s_mov_b32 s5, 0x3ff71547
	;; [unrolled: 1-line block ×6, first 2 shown]
	v_mov_b32_e32 v27, 0xfca7ab0c
	v_mul_f64 v[23:24], v[11:12], s[4:5]
	s_mov_b32 s4, 0x6a5dcb37
	v_mov_b32_e32 v28, 0x3e928af3
	s_mov_b32 s5, 0x3e5ade15
	s_mov_b32 s18, 0
	;; [unrolled: 1-line block ×3, first 2 shown]
	v_cmp_ngt_f64_e64 s[18:19], s[18:19], v[11:12]
	v_rndne_f64_e32 v[23:24], v[23:24]
	v_fma_f64 v[25:26], v[23:24], s[22:23], v[11:12]
	v_cvt_i32_f64_e32 v0, v[23:24]
	s_mov_b32 s23, 0x3fe62e42
	v_fma_f64 v[25:26], v[23:24], s[24:25], v[25:26]
	s_mov_b32 s25, 0x3c7abc9e
	v_fma_f64 v[27:28], v[25:26], s[4:5], v[27:28]
	s_mov_b32 s4, 0x623fde64
	s_mov_b32 s5, 0x3ec71dee
	v_fma_f64 v[27:28], v[25:26], v[27:28], s[4:5]
	s_mov_b32 s4, 0x7c89e6b0
	;; [unrolled: 3-line block ×9, first 2 shown]
	s_mov_b32 s5, 0x40900000
	v_cmp_nlt_f64_e64 s[4:5], s[4:5], v[11:12]
	v_fma_f64 v[27:28], v[25:26], v[27:28], 1.0
	v_fma_f64 v[25:26], v[25:26], v[27:28], 1.0
	v_ldexp_f64 v[23:24], v[25:26], v0
	v_mov_b32_e32 v0, 0x7ff00000
	v_cndmask_b32_e64 v24, v0, v24, s[4:5]
	s_and_b64 s[4:5], s[18:19], s[4:5]
	v_cndmask_b32_e64 v12, 0, v24, s[18:19]
	v_cndmask_b32_e64 v11, 0, v23, s[4:5]
	v_add_f64 v[23:24], v[11:12], 1.0
	s_mov_b32 s19, 0x3fe55555
	s_mov_b32 s18, 0x55555555
	v_frexp_mant_f64_e32 v[27:28], v[23:24]
	v_frexp_exp_i32_f64_e32 v31, v[23:24]
	v_add_f64 v[25:26], v[23:24], -1.0
	v_cmp_gt_f64_e64 s[4:5], s[18:19], v[27:28]
	s_mov_b32 s18, 0x55555780
	v_add_f64 v[29:30], v[25:26], -v[23:24]
	v_add_f64 v[25:26], v[11:12], -v[25:26]
	v_subbrev_co_u32_e64 v50, s[4:5], 0, v31, s[4:5]
	v_sub_u32_e32 v31, 0, v50
	v_ldexp_f64 v[23:24], v[23:24], v31
	v_add_f64 v[27:28], v[29:30], 1.0
	s_mov_b32 s4, 0xbf559e2b
	s_mov_b32 s5, 0x3fc3ab76
	v_add_f64 v[29:30], v[23:24], 1.0
	v_add_f64 v[25:26], v[25:26], v[27:28]
	v_add_f64 v[35:36], v[23:24], -1.0
	v_add_f64 v[27:28], v[29:30], -1.0
	v_ldexp_f64 v[25:26], v[25:26], v31
	v_add_f64 v[37:38], v[35:36], 1.0
	v_add_f64 v[27:28], v[23:24], -v[27:28]
	v_add_f64 v[23:24], v[23:24], -v[37:38]
	v_add_f64 v[27:28], v[25:26], v[27:28]
	v_add_f64 v[23:24], v[25:26], v[23:24]
	;; [unrolled: 1-line block ×4, first 2 shown]
	v_rcp_f64_e32 v[33:34], v[31:32]
	v_add_f64 v[29:30], v[31:32], -v[29:30]
	v_add_f64 v[35:36], v[37:38], -v[35:36]
	;; [unrolled: 1-line block ×4, first 2 shown]
	v_fma_f64 v[43:44], -v[31:32], v[33:34], 1.0
	v_fma_f64 v[33:34], v[43:44], v[33:34], v[33:34]
	v_fma_f64 v[25:26], -v[31:32], v[33:34], 1.0
	v_fma_f64 v[25:26], v[25:26], v[33:34], v[33:34]
	v_mul_f64 v[33:34], v[37:38], v[25:26]
	v_mul_f64 v[43:44], v[31:32], v[33:34]
	v_fma_f64 v[29:30], v[33:34], v[31:32], -v[43:44]
	v_fma_f64 v[29:30], v[33:34], v[27:28], v[29:30]
	v_add_f64 v[45:46], v[43:44], v[29:30]
	v_add_f64 v[47:48], v[37:38], -v[45:46]
	v_add_f64 v[35:36], v[45:46], -v[43:44]
	;; [unrolled: 1-line block ×5, first 2 shown]
	v_add_f64 v[23:24], v[23:24], v[37:38]
	v_add_f64 v[23:24], v[29:30], v[23:24]
	;; [unrolled: 1-line block ×3, first 2 shown]
	v_mul_f64 v[35:36], v[25:26], v[29:30]
	v_add_f64 v[45:46], v[47:48], -v[29:30]
	v_mul_f64 v[37:38], v[31:32], v[35:36]
	v_add_f64 v[23:24], v[23:24], v[45:46]
	v_fma_f64 v[31:32], v[35:36], v[31:32], -v[37:38]
	v_fma_f64 v[27:28], v[35:36], v[27:28], v[31:32]
	v_add_f64 v[31:32], v[37:38], v[27:28]
	v_add_f64 v[43:44], v[29:30], -v[31:32]
	v_add_f64 v[37:38], v[31:32], -v[37:38]
	;; [unrolled: 1-line block ×5, first 2 shown]
	v_mov_b32_e32 v31, 0x6b47b09a
	v_mov_b32_e32 v32, 0x3fc38538
	v_add_f64 v[23:24], v[23:24], v[29:30]
	v_add_f64 v[29:30], v[33:34], v[35:36]
	;; [unrolled: 1-line block ×3, first 2 shown]
	v_add_f64 v[27:28], v[29:30], -v[33:34]
	v_add_f64 v[23:24], v[43:44], v[23:24]
	v_add_f64 v[27:28], v[35:36], -v[27:28]
	v_mul_f64 v[23:24], v[25:26], v[23:24]
	v_add_f64 v[23:24], v[27:28], v[23:24]
	v_add_f64 v[25:26], v[29:30], v[23:24]
	v_mul_f64 v[27:28], v[25:26], v[25:26]
	v_fma_f64 v[31:32], v[27:28], s[4:5], v[31:32]
	s_mov_b32 s4, 0xd7f4df2e
	s_mov_b32 s5, 0x3fc7474d
	v_mul_f64 v[33:34], v[25:26], v[27:28]
	v_fma_f64 v[31:32], v[27:28], v[31:32], s[4:5]
	s_mov_b32 s4, 0x16291751
	s_mov_b32 s5, 0x3fcc71c0
	v_fma_f64 v[31:32], v[27:28], v[31:32], s[4:5]
	s_mov_b32 s4, 0x9b27acf1
	s_mov_b32 s5, 0x3fd24924
	;; [unrolled: 3-line block ×3, first 2 shown]
	v_fma_f64 v[31:32], v[27:28], v[31:32], s[4:5]
	v_cmp_nge_f64_e64 s[4:5], -1.0, v[11:12]
	v_fma_f64 v[27:28], v[27:28], v[31:32], s[18:19]
	v_ldexp_f64 v[31:32], v[25:26], 1
	v_add_f64 v[25:26], v[25:26], -v[29:30]
	s_mov_b32 s18, 0
	s_mov_b32 s19, 0x7ff00000
	v_cmp_neq_f64_e64 s[18:19], s[18:19], v[11:12]
	v_mul_f64 v[27:28], v[33:34], v[27:28]
	v_cvt_f64_i32_e32 v[33:34], v50
	v_add_f64 v[23:24], v[23:24], -v[25:26]
	v_mul_f64 v[35:36], v[33:34], s[22:23]
	s_and_b64 s[4:5], s[4:5], s[18:19]
	v_add_f64 v[29:30], v[31:32], v[27:28]
	v_ldexp_f64 v[23:24], v[23:24], 1
	v_add_f64 v[25:26], v[29:30], -v[31:32]
	v_fma_f64 v[31:32], v[33:34], s[22:23], -v[35:36]
	v_add_f64 v[25:26], v[27:28], -v[25:26]
	v_fma_f64 v[27:28], v[33:34], s[24:25], v[31:32]
	v_add_f64 v[23:24], v[23:24], v[25:26]
	v_add_f64 v[25:26], v[35:36], v[27:28]
	;; [unrolled: 1-line block ×3, first 2 shown]
	v_add_f64 v[35:36], v[25:26], -v[35:36]
	v_add_f64 v[33:34], v[25:26], v[31:32]
	v_add_f64 v[29:30], v[31:32], -v[29:30]
	v_add_f64 v[27:28], v[27:28], -v[35:36]
	;; [unrolled: 1-line block ×6, first 2 shown]
	v_add_f64 v[31:32], v[27:28], v[23:24]
	v_add_f64 v[25:26], v[25:26], -v[43:44]
	v_add_f64 v[25:26], v[29:30], v[25:26]
	v_add_f64 v[29:30], v[31:32], -v[27:28]
	;; [unrolled: 2-line block ×3, first 2 shown]
	v_add_f64 v[23:24], v[23:24], -v[29:30]
	v_add_f64 v[35:36], v[33:34], v[25:26]
	v_add_f64 v[27:28], v[27:28], -v[31:32]
	v_add_f64 v[29:30], v[35:36], -v[33:34]
	v_add_f64 v[23:24], v[23:24], v[27:28]
	v_add_f64 v[25:26], v[25:26], -v[29:30]
	v_add_f64 v[23:24], v[23:24], v[25:26]
	v_mov_b32_e32 v25, 0x7ff80000
	v_mov_b32_e32 v26, 0xfff00000
	v_add_f64 v[23:24], v[35:36], v[23:24]
	v_cndmask_b32_e64 v23, 0, v23, s[4:5]
	v_cmp_ngt_f64_e64 s[4:5], -1.0, v[11:12]
	v_cndmask_b32_e64 v0, v0, v24, s[18:19]
	v_cndmask_b32_e64 v0, v25, v0, s[4:5]
	v_cmp_neq_f64_e64 s[4:5], -1.0, v[11:12]
	v_cndmask_b32_e64 v24, v26, v0, s[4:5]
	v_add_f64 v[11:12], v[21:22], v[23:24]
.LBB79_88:
	s_or_b64 exec, exec, s[20:21]
	v_max_f64 v[21:22], v[11:12], v[11:12]
	v_cmp_u_f64_e64 s[4:5], v[11:12], v[11:12]
	v_min_f64 v[23:24], v[21:22], v[39:40]
	v_max_f64 v[21:22], v[21:22], v[39:40]
	v_cndmask_b32_e64 v0, v23, v11, s[4:5]
	v_cndmask_b32_e64 v23, v24, v12, s[4:5]
	v_cndmask_b32_e64 v21, v21, v11, s[4:5]
	v_cndmask_b32_e64 v22, v22, v12, s[4:5]
	v_cndmask_b32_e64 v24, v23, v6, s[36:37]
	v_cndmask_b32_e64 v23, v0, v5, s[36:37]
	v_cndmask_b32_e64 v22, v22, v6, s[36:37]
	v_cndmask_b32_e64 v21, v21, v5, s[36:37]
	v_cmp_neq_f64_e64 s[4:5], v[23:24], v[21:22]
	v_cmp_class_f64_e64 s[18:19], v[23:24], s26
	v_mov_b32_e32 v5, v11
	v_mov_b32_e32 v6, v12
	s_or_b64 s[4:5], s[4:5], s[18:19]
	s_and_saveexec_b64 s[20:21], s[4:5]
	s_cbranch_execz .LBB79_90
; %bb.89:
	v_add_f64 v[5:6], v[23:24], -v[21:22]
	s_mov_b32 s4, 0x652b82fe
	s_mov_b32 s5, 0x3ff71547
	;; [unrolled: 1-line block ×6, first 2 shown]
	v_mov_b32_e32 v27, 0xfca7ab0c
	v_mul_f64 v[23:24], v[5:6], s[4:5]
	s_mov_b32 s4, 0x6a5dcb37
	v_mov_b32_e32 v28, 0x3e928af3
	s_mov_b32 s5, 0x3e5ade15
	s_mov_b32 s18, 0
	;; [unrolled: 1-line block ×3, first 2 shown]
	v_cmp_ngt_f64_e64 s[18:19], s[18:19], v[5:6]
	v_rndne_f64_e32 v[23:24], v[23:24]
	v_fma_f64 v[25:26], v[23:24], s[22:23], v[5:6]
	v_cvt_i32_f64_e32 v0, v[23:24]
	s_mov_b32 s23, 0x3fe62e42
	v_fma_f64 v[25:26], v[23:24], s[24:25], v[25:26]
	s_mov_b32 s25, 0x3c7abc9e
	v_fma_f64 v[27:28], v[25:26], s[4:5], v[27:28]
	s_mov_b32 s4, 0x623fde64
	s_mov_b32 s5, 0x3ec71dee
	v_fma_f64 v[27:28], v[25:26], v[27:28], s[4:5]
	s_mov_b32 s4, 0x7c89e6b0
	;; [unrolled: 3-line block ×9, first 2 shown]
	s_mov_b32 s5, 0x40900000
	v_cmp_nlt_f64_e64 s[4:5], s[4:5], v[5:6]
	v_fma_f64 v[27:28], v[25:26], v[27:28], 1.0
	v_fma_f64 v[25:26], v[25:26], v[27:28], 1.0
	v_ldexp_f64 v[23:24], v[25:26], v0
	v_mov_b32_e32 v0, 0x7ff00000
	v_cndmask_b32_e64 v24, v0, v24, s[4:5]
	s_and_b64 s[4:5], s[18:19], s[4:5]
	v_cndmask_b32_e64 v6, 0, v24, s[18:19]
	v_cndmask_b32_e64 v5, 0, v23, s[4:5]
	v_add_f64 v[23:24], v[5:6], 1.0
	s_mov_b32 s19, 0x3fe55555
	s_mov_b32 s18, 0x55555555
	v_frexp_mant_f64_e32 v[27:28], v[23:24]
	v_frexp_exp_i32_f64_e32 v31, v[23:24]
	v_add_f64 v[25:26], v[23:24], -1.0
	v_cmp_gt_f64_e64 s[4:5], s[18:19], v[27:28]
	s_mov_b32 s18, 0x55555780
	v_add_f64 v[29:30], v[25:26], -v[23:24]
	v_add_f64 v[25:26], v[5:6], -v[25:26]
	v_subbrev_co_u32_e64 v47, s[4:5], 0, v31, s[4:5]
	v_sub_u32_e32 v31, 0, v47
	v_ldexp_f64 v[23:24], v[23:24], v31
	v_add_f64 v[27:28], v[29:30], 1.0
	s_mov_b32 s4, 0xbf559e2b
	s_mov_b32 s5, 0x3fc3ab76
	v_add_f64 v[29:30], v[23:24], 1.0
	v_add_f64 v[25:26], v[25:26], v[27:28]
	v_add_f64 v[35:36], v[23:24], -1.0
	v_add_f64 v[27:28], v[29:30], -1.0
	v_ldexp_f64 v[25:26], v[25:26], v31
	v_add_f64 v[37:38], v[35:36], 1.0
	v_add_f64 v[27:28], v[23:24], -v[27:28]
	v_add_f64 v[23:24], v[23:24], -v[37:38]
	v_add_f64 v[27:28], v[25:26], v[27:28]
	v_add_f64 v[23:24], v[25:26], v[23:24]
	;; [unrolled: 1-line block ×4, first 2 shown]
	v_rcp_f64_e32 v[33:34], v[31:32]
	v_add_f64 v[29:30], v[31:32], -v[29:30]
	v_add_f64 v[35:36], v[37:38], -v[35:36]
	;; [unrolled: 1-line block ×4, first 2 shown]
	v_fma_f64 v[39:40], -v[31:32], v[33:34], 1.0
	v_fma_f64 v[33:34], v[39:40], v[33:34], v[33:34]
	v_fma_f64 v[25:26], -v[31:32], v[33:34], 1.0
	v_fma_f64 v[25:26], v[25:26], v[33:34], v[33:34]
	v_mul_f64 v[33:34], v[37:38], v[25:26]
	v_mul_f64 v[39:40], v[31:32], v[33:34]
	v_fma_f64 v[29:30], v[33:34], v[31:32], -v[39:40]
	v_fma_f64 v[29:30], v[33:34], v[27:28], v[29:30]
	v_add_f64 v[43:44], v[39:40], v[29:30]
	v_add_f64 v[45:46], v[37:38], -v[43:44]
	v_add_f64 v[35:36], v[43:44], -v[39:40]
	;; [unrolled: 1-line block ×5, first 2 shown]
	v_add_f64 v[23:24], v[23:24], v[37:38]
	v_add_f64 v[23:24], v[29:30], v[23:24]
	;; [unrolled: 1-line block ×3, first 2 shown]
	v_mul_f64 v[35:36], v[25:26], v[29:30]
	v_add_f64 v[43:44], v[45:46], -v[29:30]
	v_mul_f64 v[37:38], v[31:32], v[35:36]
	v_add_f64 v[23:24], v[23:24], v[43:44]
	v_fma_f64 v[31:32], v[35:36], v[31:32], -v[37:38]
	v_fma_f64 v[27:28], v[35:36], v[27:28], v[31:32]
	v_add_f64 v[31:32], v[37:38], v[27:28]
	v_add_f64 v[39:40], v[29:30], -v[31:32]
	v_add_f64 v[37:38], v[31:32], -v[37:38]
	;; [unrolled: 1-line block ×5, first 2 shown]
	v_mov_b32_e32 v31, 0x6b47b09a
	v_mov_b32_e32 v32, 0x3fc38538
	v_add_f64 v[23:24], v[23:24], v[29:30]
	v_add_f64 v[29:30], v[33:34], v[35:36]
	;; [unrolled: 1-line block ×3, first 2 shown]
	v_add_f64 v[27:28], v[29:30], -v[33:34]
	v_add_f64 v[23:24], v[39:40], v[23:24]
	v_add_f64 v[27:28], v[35:36], -v[27:28]
	v_mul_f64 v[23:24], v[25:26], v[23:24]
	v_add_f64 v[23:24], v[27:28], v[23:24]
	v_add_f64 v[25:26], v[29:30], v[23:24]
	v_mul_f64 v[27:28], v[25:26], v[25:26]
	v_fma_f64 v[31:32], v[27:28], s[4:5], v[31:32]
	s_mov_b32 s4, 0xd7f4df2e
	s_mov_b32 s5, 0x3fc7474d
	v_mul_f64 v[33:34], v[25:26], v[27:28]
	v_fma_f64 v[31:32], v[27:28], v[31:32], s[4:5]
	s_mov_b32 s4, 0x16291751
	s_mov_b32 s5, 0x3fcc71c0
	v_fma_f64 v[31:32], v[27:28], v[31:32], s[4:5]
	s_mov_b32 s4, 0x9b27acf1
	s_mov_b32 s5, 0x3fd24924
	;; [unrolled: 3-line block ×3, first 2 shown]
	v_fma_f64 v[31:32], v[27:28], v[31:32], s[4:5]
	v_cmp_nge_f64_e64 s[4:5], -1.0, v[5:6]
	v_fma_f64 v[27:28], v[27:28], v[31:32], s[18:19]
	v_ldexp_f64 v[31:32], v[25:26], 1
	v_add_f64 v[25:26], v[25:26], -v[29:30]
	s_mov_b32 s18, 0
	s_mov_b32 s19, 0x7ff00000
	v_cmp_neq_f64_e64 s[18:19], s[18:19], v[5:6]
	v_mul_f64 v[27:28], v[33:34], v[27:28]
	v_cvt_f64_i32_e32 v[33:34], v47
	v_add_f64 v[23:24], v[23:24], -v[25:26]
	v_mul_f64 v[35:36], v[33:34], s[22:23]
	s_and_b64 s[4:5], s[4:5], s[18:19]
	v_add_f64 v[29:30], v[31:32], v[27:28]
	v_ldexp_f64 v[23:24], v[23:24], 1
	v_add_f64 v[25:26], v[29:30], -v[31:32]
	v_fma_f64 v[31:32], v[33:34], s[22:23], -v[35:36]
	v_add_f64 v[25:26], v[27:28], -v[25:26]
	v_fma_f64 v[27:28], v[33:34], s[24:25], v[31:32]
	v_add_f64 v[23:24], v[23:24], v[25:26]
	v_add_f64 v[25:26], v[35:36], v[27:28]
	;; [unrolled: 1-line block ×3, first 2 shown]
	v_add_f64 v[35:36], v[25:26], -v[35:36]
	v_add_f64 v[33:34], v[25:26], v[31:32]
	v_add_f64 v[29:30], v[31:32], -v[29:30]
	v_add_f64 v[27:28], v[27:28], -v[35:36]
	;; [unrolled: 1-line block ×6, first 2 shown]
	v_add_f64 v[31:32], v[27:28], v[23:24]
	v_add_f64 v[25:26], v[25:26], -v[39:40]
	v_add_f64 v[25:26], v[29:30], v[25:26]
	v_add_f64 v[29:30], v[31:32], -v[27:28]
	;; [unrolled: 2-line block ×3, first 2 shown]
	v_add_f64 v[23:24], v[23:24], -v[29:30]
	v_add_f64 v[35:36], v[33:34], v[25:26]
	v_add_f64 v[27:28], v[27:28], -v[31:32]
	v_add_f64 v[29:30], v[35:36], -v[33:34]
	v_add_f64 v[23:24], v[23:24], v[27:28]
	v_add_f64 v[25:26], v[25:26], -v[29:30]
	v_add_f64 v[23:24], v[23:24], v[25:26]
	v_mov_b32_e32 v25, 0x7ff80000
	v_mov_b32_e32 v26, 0xfff00000
	v_add_f64 v[23:24], v[35:36], v[23:24]
	v_cndmask_b32_e64 v23, 0, v23, s[4:5]
	v_cmp_ngt_f64_e64 s[4:5], -1.0, v[5:6]
	v_cndmask_b32_e64 v0, v0, v24, s[18:19]
	v_cndmask_b32_e64 v0, v25, v0, s[4:5]
	v_cmp_neq_f64_e64 s[4:5], -1.0, v[5:6]
	v_cndmask_b32_e64 v24, v26, v0, s[4:5]
	v_add_f64 v[5:6], v[21:22], v[23:24]
.LBB79_90:
	s_or_b64 exec, exec, s[20:21]
	v_max_f64 v[21:22], v[5:6], v[5:6]
	v_cmp_u_f64_e64 s[4:5], v[5:6], v[5:6]
	s_movk_i32 s18, 0x1f8
	v_min_f64 v[23:24], v[21:22], v[41:42]
	v_max_f64 v[21:22], v[21:22], v[41:42]
	v_cndmask_b32_e64 v0, v23, v5, s[4:5]
	v_cndmask_b32_e64 v23, v24, v6, s[4:5]
	v_cndmask_b32_e64 v21, v21, v5, s[4:5]
	v_cndmask_b32_e64 v22, v22, v6, s[4:5]
	v_cndmask_b32_e64 v24, v23, v8, s[34:35]
	v_cndmask_b32_e64 v23, v0, v7, s[34:35]
	v_cndmask_b32_e64 v22, v22, v8, s[34:35]
	v_cndmask_b32_e64 v21, v21, v7, s[34:35]
	v_cmp_neq_f64_e64 s[4:5], v[23:24], v[21:22]
	v_cmp_class_f64_e64 s[18:19], v[23:24], s18
	v_mov_b32_e32 v8, v6
	v_mov_b32_e32 v7, v5
	s_or_b64 s[4:5], s[4:5], s[18:19]
	s_and_saveexec_b64 s[20:21], s[4:5]
	s_cbranch_execz .LBB79_92
; %bb.91:
	v_add_f64 v[7:8], v[23:24], -v[21:22]
	s_mov_b32 s4, 0x652b82fe
	s_mov_b32 s5, 0x3ff71547
	;; [unrolled: 1-line block ×6, first 2 shown]
	v_mov_b32_e32 v27, 0xfca7ab0c
	v_mul_f64 v[23:24], v[7:8], s[4:5]
	s_mov_b32 s4, 0x6a5dcb37
	v_mov_b32_e32 v28, 0x3e928af3
	s_mov_b32 s5, 0x3e5ade15
	s_mov_b32 s18, 0
	;; [unrolled: 1-line block ×3, first 2 shown]
	v_cmp_ngt_f64_e64 s[18:19], s[18:19], v[7:8]
	v_rndne_f64_e32 v[23:24], v[23:24]
	v_fma_f64 v[25:26], v[23:24], s[22:23], v[7:8]
	v_cvt_i32_f64_e32 v0, v[23:24]
	s_mov_b32 s23, 0x3fe62e42
	v_fma_f64 v[25:26], v[23:24], s[24:25], v[25:26]
	s_mov_b32 s25, 0x3c7abc9e
	v_fma_f64 v[27:28], v[25:26], s[4:5], v[27:28]
	s_mov_b32 s4, 0x623fde64
	s_mov_b32 s5, 0x3ec71dee
	v_fma_f64 v[27:28], v[25:26], v[27:28], s[4:5]
	s_mov_b32 s4, 0x7c89e6b0
	;; [unrolled: 3-line block ×9, first 2 shown]
	s_mov_b32 s5, 0x40900000
	v_cmp_nlt_f64_e64 s[4:5], s[4:5], v[7:8]
	v_fma_f64 v[27:28], v[25:26], v[27:28], 1.0
	v_fma_f64 v[25:26], v[25:26], v[27:28], 1.0
	v_ldexp_f64 v[23:24], v[25:26], v0
	v_mov_b32_e32 v0, 0x7ff00000
	v_cndmask_b32_e64 v24, v0, v24, s[4:5]
	s_and_b64 s[4:5], s[18:19], s[4:5]
	v_cndmask_b32_e64 v8, 0, v24, s[18:19]
	v_cndmask_b32_e64 v7, 0, v23, s[4:5]
	v_add_f64 v[23:24], v[7:8], 1.0
	s_mov_b32 s19, 0x3fe55555
	s_mov_b32 s18, 0x55555555
	v_frexp_mant_f64_e32 v[27:28], v[23:24]
	v_frexp_exp_i32_f64_e32 v31, v[23:24]
	v_add_f64 v[25:26], v[23:24], -1.0
	v_cmp_gt_f64_e64 s[4:5], s[18:19], v[27:28]
	s_mov_b32 s18, 0x55555780
	v_add_f64 v[29:30], v[25:26], -v[23:24]
	v_add_f64 v[25:26], v[7:8], -v[25:26]
	v_subbrev_co_u32_e64 v45, s[4:5], 0, v31, s[4:5]
	v_sub_u32_e32 v31, 0, v45
	v_ldexp_f64 v[23:24], v[23:24], v31
	v_add_f64 v[27:28], v[29:30], 1.0
	s_mov_b32 s4, 0xbf559e2b
	s_mov_b32 s5, 0x3fc3ab76
	v_add_f64 v[29:30], v[23:24], 1.0
	v_add_f64 v[25:26], v[25:26], v[27:28]
	v_add_f64 v[35:36], v[23:24], -1.0
	v_add_f64 v[27:28], v[29:30], -1.0
	v_ldexp_f64 v[25:26], v[25:26], v31
	v_add_f64 v[37:38], v[35:36], 1.0
	v_add_f64 v[27:28], v[23:24], -v[27:28]
	v_add_f64 v[23:24], v[23:24], -v[37:38]
	v_add_f64 v[27:28], v[25:26], v[27:28]
	v_add_f64 v[23:24], v[25:26], v[23:24]
	;; [unrolled: 1-line block ×4, first 2 shown]
	v_rcp_f64_e32 v[33:34], v[31:32]
	v_add_f64 v[29:30], v[31:32], -v[29:30]
	v_add_f64 v[35:36], v[37:38], -v[35:36]
	;; [unrolled: 1-line block ×4, first 2 shown]
	v_fma_f64 v[39:40], -v[31:32], v[33:34], 1.0
	v_fma_f64 v[33:34], v[39:40], v[33:34], v[33:34]
	v_fma_f64 v[25:26], -v[31:32], v[33:34], 1.0
	v_fma_f64 v[25:26], v[25:26], v[33:34], v[33:34]
	v_mul_f64 v[33:34], v[37:38], v[25:26]
	v_mul_f64 v[39:40], v[31:32], v[33:34]
	v_fma_f64 v[29:30], v[33:34], v[31:32], -v[39:40]
	v_fma_f64 v[29:30], v[33:34], v[27:28], v[29:30]
	v_add_f64 v[41:42], v[39:40], v[29:30]
	v_add_f64 v[43:44], v[37:38], -v[41:42]
	v_add_f64 v[35:36], v[41:42], -v[39:40]
	;; [unrolled: 1-line block ×5, first 2 shown]
	v_add_f64 v[23:24], v[23:24], v[37:38]
	v_add_f64 v[23:24], v[29:30], v[23:24]
	;; [unrolled: 1-line block ×3, first 2 shown]
	v_mul_f64 v[35:36], v[25:26], v[29:30]
	v_add_f64 v[41:42], v[43:44], -v[29:30]
	v_mul_f64 v[37:38], v[31:32], v[35:36]
	v_add_f64 v[23:24], v[23:24], v[41:42]
	v_fma_f64 v[31:32], v[35:36], v[31:32], -v[37:38]
	v_fma_f64 v[27:28], v[35:36], v[27:28], v[31:32]
	v_add_f64 v[31:32], v[37:38], v[27:28]
	v_add_f64 v[39:40], v[29:30], -v[31:32]
	v_add_f64 v[37:38], v[31:32], -v[37:38]
	;; [unrolled: 1-line block ×5, first 2 shown]
	v_mov_b32_e32 v31, 0x6b47b09a
	v_mov_b32_e32 v32, 0x3fc38538
	v_add_f64 v[23:24], v[23:24], v[29:30]
	v_add_f64 v[29:30], v[33:34], v[35:36]
	;; [unrolled: 1-line block ×3, first 2 shown]
	v_add_f64 v[27:28], v[29:30], -v[33:34]
	v_add_f64 v[23:24], v[39:40], v[23:24]
	v_add_f64 v[27:28], v[35:36], -v[27:28]
	v_mul_f64 v[23:24], v[25:26], v[23:24]
	v_add_f64 v[23:24], v[27:28], v[23:24]
	v_add_f64 v[25:26], v[29:30], v[23:24]
	v_mul_f64 v[27:28], v[25:26], v[25:26]
	v_fma_f64 v[31:32], v[27:28], s[4:5], v[31:32]
	s_mov_b32 s4, 0xd7f4df2e
	s_mov_b32 s5, 0x3fc7474d
	v_mul_f64 v[33:34], v[25:26], v[27:28]
	v_fma_f64 v[31:32], v[27:28], v[31:32], s[4:5]
	s_mov_b32 s4, 0x16291751
	s_mov_b32 s5, 0x3fcc71c0
	v_fma_f64 v[31:32], v[27:28], v[31:32], s[4:5]
	s_mov_b32 s4, 0x9b27acf1
	s_mov_b32 s5, 0x3fd24924
	;; [unrolled: 3-line block ×3, first 2 shown]
	v_fma_f64 v[31:32], v[27:28], v[31:32], s[4:5]
	v_cmp_nge_f64_e64 s[4:5], -1.0, v[7:8]
	v_fma_f64 v[27:28], v[27:28], v[31:32], s[18:19]
	v_ldexp_f64 v[31:32], v[25:26], 1
	v_add_f64 v[25:26], v[25:26], -v[29:30]
	s_mov_b32 s18, 0
	s_mov_b32 s19, 0x7ff00000
	v_cmp_neq_f64_e64 s[18:19], s[18:19], v[7:8]
	v_mul_f64 v[27:28], v[33:34], v[27:28]
	v_cvt_f64_i32_e32 v[33:34], v45
	v_add_f64 v[23:24], v[23:24], -v[25:26]
	v_mul_f64 v[35:36], v[33:34], s[22:23]
	s_and_b64 s[4:5], s[4:5], s[18:19]
	v_add_f64 v[29:30], v[31:32], v[27:28]
	v_ldexp_f64 v[23:24], v[23:24], 1
	v_add_f64 v[25:26], v[29:30], -v[31:32]
	v_fma_f64 v[31:32], v[33:34], s[22:23], -v[35:36]
	v_add_f64 v[25:26], v[27:28], -v[25:26]
	v_fma_f64 v[27:28], v[33:34], s[24:25], v[31:32]
	v_add_f64 v[23:24], v[23:24], v[25:26]
	v_add_f64 v[25:26], v[35:36], v[27:28]
	;; [unrolled: 1-line block ×3, first 2 shown]
	v_add_f64 v[35:36], v[25:26], -v[35:36]
	v_add_f64 v[33:34], v[25:26], v[31:32]
	v_add_f64 v[29:30], v[31:32], -v[29:30]
	v_add_f64 v[27:28], v[27:28], -v[35:36]
	;; [unrolled: 1-line block ×6, first 2 shown]
	v_add_f64 v[31:32], v[27:28], v[23:24]
	v_add_f64 v[25:26], v[25:26], -v[39:40]
	v_add_f64 v[25:26], v[29:30], v[25:26]
	v_add_f64 v[29:30], v[31:32], -v[27:28]
	;; [unrolled: 2-line block ×3, first 2 shown]
	v_add_f64 v[23:24], v[23:24], -v[29:30]
	v_add_f64 v[35:36], v[33:34], v[25:26]
	v_add_f64 v[27:28], v[27:28], -v[31:32]
	v_add_f64 v[29:30], v[35:36], -v[33:34]
	v_add_f64 v[23:24], v[23:24], v[27:28]
	v_add_f64 v[25:26], v[25:26], -v[29:30]
	v_add_f64 v[23:24], v[23:24], v[25:26]
	v_mov_b32_e32 v25, 0x7ff80000
	v_mov_b32_e32 v26, 0xfff00000
	v_add_f64 v[23:24], v[35:36], v[23:24]
	v_cndmask_b32_e64 v23, 0, v23, s[4:5]
	v_cmp_ngt_f64_e64 s[4:5], -1.0, v[7:8]
	v_cndmask_b32_e64 v0, v0, v24, s[18:19]
	v_cndmask_b32_e64 v0, v25, v0, s[4:5]
	v_cmp_neq_f64_e64 s[4:5], -1.0, v[7:8]
	v_cndmask_b32_e64 v24, v26, v0, s[4:5]
	v_add_f64 v[7:8], v[21:22], v[23:24]
.LBB79_92:
	s_or_b64 exec, exec, s[20:21]
	v_add_u32_e32 v0, v57, v49
	s_barrier
	ds_write_b128 v0, v[1:4]
	ds_write_b128 v0, v[17:20] offset:16
	ds_write_b128 v0, v[13:16] offset:32
	;; [unrolled: 1-line block ×4, first 2 shown]
	s_waitcnt lgkmcnt(0)
	s_barrier
	ds_read2st64_b64 v[12:15], v57 offset0:2 offset1:4
	ds_read2st64_b64 v[8:11], v57 offset0:6 offset1:8
	;; [unrolled: 1-line block ×4, first 2 shown]
	ds_read_b64 v[16:17], v57 offset:9216
	v_mov_b32_e32 v19, s47
	v_add_co_u32_e64 v18, s[4:5], s46, v57
	v_addc_co_u32_e64 v19, s[4:5], 0, v19, s[4:5]
	s_and_saveexec_b64 s[4:5], vcc
	s_cbranch_execnz .LBB79_103
; %bb.93:
	s_or_b64 exec, exec, s[4:5]
	s_and_saveexec_b64 s[4:5], s[0:1]
	s_cbranch_execnz .LBB79_104
.LBB79_94:
	s_or_b64 exec, exec, s[4:5]
	s_and_saveexec_b64 s[0:1], s[2:3]
	s_cbranch_execnz .LBB79_105
.LBB79_95:
	s_or_b64 exec, exec, s[0:1]
	s_and_saveexec_b64 s[0:1], s[40:41]
	s_cbranch_execnz .LBB79_106
.LBB79_96:
	s_or_b64 exec, exec, s[0:1]
	s_and_saveexec_b64 s[0:1], s[6:7]
	s_cbranch_execnz .LBB79_107
.LBB79_97:
	s_or_b64 exec, exec, s[0:1]
	s_and_saveexec_b64 s[0:1], s[8:9]
	s_cbranch_execnz .LBB79_108
.LBB79_98:
	s_or_b64 exec, exec, s[0:1]
	s_and_saveexec_b64 s[0:1], s[10:11]
	s_cbranch_execnz .LBB79_109
.LBB79_99:
	s_or_b64 exec, exec, s[0:1]
	s_and_saveexec_b64 s[0:1], s[12:13]
	s_cbranch_execnz .LBB79_110
.LBB79_100:
	s_or_b64 exec, exec, s[0:1]
	s_and_saveexec_b64 s[0:1], s[14:15]
	s_cbranch_execnz .LBB79_111
.LBB79_101:
	s_or_b64 exec, exec, s[0:1]
	s_and_saveexec_b64 s[0:1], s[16:17]
	s_cbranch_execnz .LBB79_112
.LBB79_102:
	s_endpgm
.LBB79_103:
	ds_read_b64 v[20:21], v57
	s_waitcnt lgkmcnt(0)
	global_store_dwordx2 v[18:19], v[20:21], off
	s_or_b64 exec, exec, s[4:5]
	s_and_saveexec_b64 s[4:5], s[0:1]
	s_cbranch_execz .LBB79_94
.LBB79_104:
	s_waitcnt lgkmcnt(4)
	global_store_dwordx2 v[18:19], v[12:13], off offset:1024
	s_or_b64 exec, exec, s[4:5]
	s_and_saveexec_b64 s[0:1], s[2:3]
	s_cbranch_execz .LBB79_95
.LBB79_105:
	s_waitcnt lgkmcnt(4)
	global_store_dwordx2 v[18:19], v[14:15], off offset:2048
	s_or_b64 exec, exec, s[0:1]
	s_and_saveexec_b64 s[0:1], s[40:41]
	s_cbranch_execz .LBB79_96
.LBB79_106:
	s_waitcnt lgkmcnt(3)
	global_store_dwordx2 v[18:19], v[8:9], off offset:3072
	s_or_b64 exec, exec, s[0:1]
	s_and_saveexec_b64 s[0:1], s[6:7]
	s_cbranch_execz .LBB79_97
.LBB79_107:
	s_waitcnt lgkmcnt(3)
	v_add_co_u32_e32 v8, vcc, 0x1000, v18
	v_addc_co_u32_e32 v9, vcc, 0, v19, vcc
	global_store_dwordx2 v[8:9], v[10:11], off
	s_or_b64 exec, exec, s[0:1]
	s_and_saveexec_b64 s[0:1], s[8:9]
	s_cbranch_execz .LBB79_98
.LBB79_108:
	s_waitcnt lgkmcnt(3)
	v_add_co_u32_e32 v8, vcc, 0x1000, v18
	v_addc_co_u32_e32 v9, vcc, 0, v19, vcc
	s_waitcnt lgkmcnt(2)
	global_store_dwordx2 v[8:9], v[4:5], off offset:1024
	s_or_b64 exec, exec, s[0:1]
	s_and_saveexec_b64 s[0:1], s[10:11]
	s_cbranch_execz .LBB79_99
.LBB79_109:
	s_waitcnt lgkmcnt(2)
	v_add_co_u32_e32 v4, vcc, 0x1000, v18
	v_addc_co_u32_e32 v5, vcc, 0, v19, vcc
	global_store_dwordx2 v[4:5], v[6:7], off offset:2048
	s_or_b64 exec, exec, s[0:1]
	s_and_saveexec_b64 s[0:1], s[12:13]
	s_cbranch_execz .LBB79_100
.LBB79_110:
	s_waitcnt lgkmcnt(2)
	v_add_co_u32_e32 v4, vcc, 0x1000, v18
	v_addc_co_u32_e32 v5, vcc, 0, v19, vcc
	s_waitcnt lgkmcnt(1)
	global_store_dwordx2 v[4:5], v[0:1], off offset:3072
	s_or_b64 exec, exec, s[0:1]
	s_and_saveexec_b64 s[0:1], s[14:15]
	s_cbranch_execz .LBB79_101
.LBB79_111:
	s_waitcnt lgkmcnt(1)
	v_add_co_u32_e32 v0, vcc, 0x2000, v18
	v_addc_co_u32_e32 v1, vcc, 0, v19, vcc
	global_store_dwordx2 v[0:1], v[2:3], off
	s_or_b64 exec, exec, s[0:1]
	s_and_saveexec_b64 s[0:1], s[16:17]
	s_cbranch_execz .LBB79_102
.LBB79_112:
	s_waitcnt lgkmcnt(1)
	v_add_co_u32_e32 v0, vcc, 0x2000, v18
	v_addc_co_u32_e32 v1, vcc, 0, v19, vcc
	s_waitcnt lgkmcnt(0)
	global_store_dwordx2 v[0:1], v[16:17], off offset:1024
	s_endpgm
	.section	.rodata,"a",@progbits
	.p2align	6, 0x0
	.amdhsa_kernel _ZN7rocprim17ROCPRIM_400000_NS6detail17trampoline_kernelINS0_14default_configENS1_20scan_config_selectorIdEEZZNS1_9scan_implILNS1_25lookback_scan_determinismE0ELb0ELb0ES3_PKdPddZZZN2at6native31launch_logcumsumexp_cuda_kernelERKNSB_10TensorBaseESF_lENKUlvE_clEvENKUlvE_clEvEUlddE_dEEDaPvRmT3_T4_T5_mT6_P12ihipStream_tbENKUlT_T0_E_clISt17integral_constantIbLb0EESV_IbLb1EEEEDaSR_SS_EUlSR_E0_NS1_11comp_targetILNS1_3genE2ELNS1_11target_archE906ELNS1_3gpuE6ELNS1_3repE0EEENS1_30default_config_static_selectorELNS0_4arch9wavefront6targetE1EEEvT1_
		.amdhsa_group_segment_fixed_size 10240
		.amdhsa_private_segment_fixed_size 0
		.amdhsa_kernarg_size 40
		.amdhsa_user_sgpr_count 6
		.amdhsa_user_sgpr_private_segment_buffer 1
		.amdhsa_user_sgpr_dispatch_ptr 0
		.amdhsa_user_sgpr_queue_ptr 0
		.amdhsa_user_sgpr_kernarg_segment_ptr 1
		.amdhsa_user_sgpr_dispatch_id 0
		.amdhsa_user_sgpr_flat_scratch_init 0
		.amdhsa_user_sgpr_private_segment_size 0
		.amdhsa_uses_dynamic_stack 0
		.amdhsa_system_sgpr_private_segment_wavefront_offset 0
		.amdhsa_system_sgpr_workgroup_id_x 1
		.amdhsa_system_sgpr_workgroup_id_y 0
		.amdhsa_system_sgpr_workgroup_id_z 0
		.amdhsa_system_sgpr_workgroup_info 0
		.amdhsa_system_vgpr_workitem_id 0
		.amdhsa_next_free_vgpr 82
		.amdhsa_next_free_sgpr 98
		.amdhsa_reserve_vcc 1
		.amdhsa_reserve_flat_scratch 0
		.amdhsa_float_round_mode_32 0
		.amdhsa_float_round_mode_16_64 0
		.amdhsa_float_denorm_mode_32 3
		.amdhsa_float_denorm_mode_16_64 3
		.amdhsa_dx10_clamp 1
		.amdhsa_ieee_mode 1
		.amdhsa_fp16_overflow 0
		.amdhsa_exception_fp_ieee_invalid_op 0
		.amdhsa_exception_fp_denorm_src 0
		.amdhsa_exception_fp_ieee_div_zero 0
		.amdhsa_exception_fp_ieee_overflow 0
		.amdhsa_exception_fp_ieee_underflow 0
		.amdhsa_exception_fp_ieee_inexact 0
		.amdhsa_exception_int_div_zero 0
	.end_amdhsa_kernel
	.section	.text._ZN7rocprim17ROCPRIM_400000_NS6detail17trampoline_kernelINS0_14default_configENS1_20scan_config_selectorIdEEZZNS1_9scan_implILNS1_25lookback_scan_determinismE0ELb0ELb0ES3_PKdPddZZZN2at6native31launch_logcumsumexp_cuda_kernelERKNSB_10TensorBaseESF_lENKUlvE_clEvENKUlvE_clEvEUlddE_dEEDaPvRmT3_T4_T5_mT6_P12ihipStream_tbENKUlT_T0_E_clISt17integral_constantIbLb0EESV_IbLb1EEEEDaSR_SS_EUlSR_E0_NS1_11comp_targetILNS1_3genE2ELNS1_11target_archE906ELNS1_3gpuE6ELNS1_3repE0EEENS1_30default_config_static_selectorELNS0_4arch9wavefront6targetE1EEEvT1_,"axG",@progbits,_ZN7rocprim17ROCPRIM_400000_NS6detail17trampoline_kernelINS0_14default_configENS1_20scan_config_selectorIdEEZZNS1_9scan_implILNS1_25lookback_scan_determinismE0ELb0ELb0ES3_PKdPddZZZN2at6native31launch_logcumsumexp_cuda_kernelERKNSB_10TensorBaseESF_lENKUlvE_clEvENKUlvE_clEvEUlddE_dEEDaPvRmT3_T4_T5_mT6_P12ihipStream_tbENKUlT_T0_E_clISt17integral_constantIbLb0EESV_IbLb1EEEEDaSR_SS_EUlSR_E0_NS1_11comp_targetILNS1_3genE2ELNS1_11target_archE906ELNS1_3gpuE6ELNS1_3repE0EEENS1_30default_config_static_selectorELNS0_4arch9wavefront6targetE1EEEvT1_,comdat
.Lfunc_end79:
	.size	_ZN7rocprim17ROCPRIM_400000_NS6detail17trampoline_kernelINS0_14default_configENS1_20scan_config_selectorIdEEZZNS1_9scan_implILNS1_25lookback_scan_determinismE0ELb0ELb0ES3_PKdPddZZZN2at6native31launch_logcumsumexp_cuda_kernelERKNSB_10TensorBaseESF_lENKUlvE_clEvENKUlvE_clEvEUlddE_dEEDaPvRmT3_T4_T5_mT6_P12ihipStream_tbENKUlT_T0_E_clISt17integral_constantIbLb0EESV_IbLb1EEEEDaSR_SS_EUlSR_E0_NS1_11comp_targetILNS1_3genE2ELNS1_11target_archE906ELNS1_3gpuE6ELNS1_3repE0EEENS1_30default_config_static_selectorELNS0_4arch9wavefront6targetE1EEEvT1_, .Lfunc_end79-_ZN7rocprim17ROCPRIM_400000_NS6detail17trampoline_kernelINS0_14default_configENS1_20scan_config_selectorIdEEZZNS1_9scan_implILNS1_25lookback_scan_determinismE0ELb0ELb0ES3_PKdPddZZZN2at6native31launch_logcumsumexp_cuda_kernelERKNSB_10TensorBaseESF_lENKUlvE_clEvENKUlvE_clEvEUlddE_dEEDaPvRmT3_T4_T5_mT6_P12ihipStream_tbENKUlT_T0_E_clISt17integral_constantIbLb0EESV_IbLb1EEEEDaSR_SS_EUlSR_E0_NS1_11comp_targetILNS1_3genE2ELNS1_11target_archE906ELNS1_3gpuE6ELNS1_3repE0EEENS1_30default_config_static_selectorELNS0_4arch9wavefront6targetE1EEEvT1_
                                        ; -- End function
	.set _ZN7rocprim17ROCPRIM_400000_NS6detail17trampoline_kernelINS0_14default_configENS1_20scan_config_selectorIdEEZZNS1_9scan_implILNS1_25lookback_scan_determinismE0ELb0ELb0ES3_PKdPddZZZN2at6native31launch_logcumsumexp_cuda_kernelERKNSB_10TensorBaseESF_lENKUlvE_clEvENKUlvE_clEvEUlddE_dEEDaPvRmT3_T4_T5_mT6_P12ihipStream_tbENKUlT_T0_E_clISt17integral_constantIbLb0EESV_IbLb1EEEEDaSR_SS_EUlSR_E0_NS1_11comp_targetILNS1_3genE2ELNS1_11target_archE906ELNS1_3gpuE6ELNS1_3repE0EEENS1_30default_config_static_selectorELNS0_4arch9wavefront6targetE1EEEvT1_.num_vgpr, 82
	.set _ZN7rocprim17ROCPRIM_400000_NS6detail17trampoline_kernelINS0_14default_configENS1_20scan_config_selectorIdEEZZNS1_9scan_implILNS1_25lookback_scan_determinismE0ELb0ELb0ES3_PKdPddZZZN2at6native31launch_logcumsumexp_cuda_kernelERKNSB_10TensorBaseESF_lENKUlvE_clEvENKUlvE_clEvEUlddE_dEEDaPvRmT3_T4_T5_mT6_P12ihipStream_tbENKUlT_T0_E_clISt17integral_constantIbLb0EESV_IbLb1EEEEDaSR_SS_EUlSR_E0_NS1_11comp_targetILNS1_3genE2ELNS1_11target_archE906ELNS1_3gpuE6ELNS1_3repE0EEENS1_30default_config_static_selectorELNS0_4arch9wavefront6targetE1EEEvT1_.num_agpr, 0
	.set _ZN7rocprim17ROCPRIM_400000_NS6detail17trampoline_kernelINS0_14default_configENS1_20scan_config_selectorIdEEZZNS1_9scan_implILNS1_25lookback_scan_determinismE0ELb0ELb0ES3_PKdPddZZZN2at6native31launch_logcumsumexp_cuda_kernelERKNSB_10TensorBaseESF_lENKUlvE_clEvENKUlvE_clEvEUlddE_dEEDaPvRmT3_T4_T5_mT6_P12ihipStream_tbENKUlT_T0_E_clISt17integral_constantIbLb0EESV_IbLb1EEEEDaSR_SS_EUlSR_E0_NS1_11comp_targetILNS1_3genE2ELNS1_11target_archE906ELNS1_3gpuE6ELNS1_3repE0EEENS1_30default_config_static_selectorELNS0_4arch9wavefront6targetE1EEEvT1_.numbered_sgpr, 58
	.set _ZN7rocprim17ROCPRIM_400000_NS6detail17trampoline_kernelINS0_14default_configENS1_20scan_config_selectorIdEEZZNS1_9scan_implILNS1_25lookback_scan_determinismE0ELb0ELb0ES3_PKdPddZZZN2at6native31launch_logcumsumexp_cuda_kernelERKNSB_10TensorBaseESF_lENKUlvE_clEvENKUlvE_clEvEUlddE_dEEDaPvRmT3_T4_T5_mT6_P12ihipStream_tbENKUlT_T0_E_clISt17integral_constantIbLb0EESV_IbLb1EEEEDaSR_SS_EUlSR_E0_NS1_11comp_targetILNS1_3genE2ELNS1_11target_archE906ELNS1_3gpuE6ELNS1_3repE0EEENS1_30default_config_static_selectorELNS0_4arch9wavefront6targetE1EEEvT1_.num_named_barrier, 0
	.set _ZN7rocprim17ROCPRIM_400000_NS6detail17trampoline_kernelINS0_14default_configENS1_20scan_config_selectorIdEEZZNS1_9scan_implILNS1_25lookback_scan_determinismE0ELb0ELb0ES3_PKdPddZZZN2at6native31launch_logcumsumexp_cuda_kernelERKNSB_10TensorBaseESF_lENKUlvE_clEvENKUlvE_clEvEUlddE_dEEDaPvRmT3_T4_T5_mT6_P12ihipStream_tbENKUlT_T0_E_clISt17integral_constantIbLb0EESV_IbLb1EEEEDaSR_SS_EUlSR_E0_NS1_11comp_targetILNS1_3genE2ELNS1_11target_archE906ELNS1_3gpuE6ELNS1_3repE0EEENS1_30default_config_static_selectorELNS0_4arch9wavefront6targetE1EEEvT1_.private_seg_size, 0
	.set _ZN7rocprim17ROCPRIM_400000_NS6detail17trampoline_kernelINS0_14default_configENS1_20scan_config_selectorIdEEZZNS1_9scan_implILNS1_25lookback_scan_determinismE0ELb0ELb0ES3_PKdPddZZZN2at6native31launch_logcumsumexp_cuda_kernelERKNSB_10TensorBaseESF_lENKUlvE_clEvENKUlvE_clEvEUlddE_dEEDaPvRmT3_T4_T5_mT6_P12ihipStream_tbENKUlT_T0_E_clISt17integral_constantIbLb0EESV_IbLb1EEEEDaSR_SS_EUlSR_E0_NS1_11comp_targetILNS1_3genE2ELNS1_11target_archE906ELNS1_3gpuE6ELNS1_3repE0EEENS1_30default_config_static_selectorELNS0_4arch9wavefront6targetE1EEEvT1_.uses_vcc, 1
	.set _ZN7rocprim17ROCPRIM_400000_NS6detail17trampoline_kernelINS0_14default_configENS1_20scan_config_selectorIdEEZZNS1_9scan_implILNS1_25lookback_scan_determinismE0ELb0ELb0ES3_PKdPddZZZN2at6native31launch_logcumsumexp_cuda_kernelERKNSB_10TensorBaseESF_lENKUlvE_clEvENKUlvE_clEvEUlddE_dEEDaPvRmT3_T4_T5_mT6_P12ihipStream_tbENKUlT_T0_E_clISt17integral_constantIbLb0EESV_IbLb1EEEEDaSR_SS_EUlSR_E0_NS1_11comp_targetILNS1_3genE2ELNS1_11target_archE906ELNS1_3gpuE6ELNS1_3repE0EEENS1_30default_config_static_selectorELNS0_4arch9wavefront6targetE1EEEvT1_.uses_flat_scratch, 0
	.set _ZN7rocprim17ROCPRIM_400000_NS6detail17trampoline_kernelINS0_14default_configENS1_20scan_config_selectorIdEEZZNS1_9scan_implILNS1_25lookback_scan_determinismE0ELb0ELb0ES3_PKdPddZZZN2at6native31launch_logcumsumexp_cuda_kernelERKNSB_10TensorBaseESF_lENKUlvE_clEvENKUlvE_clEvEUlddE_dEEDaPvRmT3_T4_T5_mT6_P12ihipStream_tbENKUlT_T0_E_clISt17integral_constantIbLb0EESV_IbLb1EEEEDaSR_SS_EUlSR_E0_NS1_11comp_targetILNS1_3genE2ELNS1_11target_archE906ELNS1_3gpuE6ELNS1_3repE0EEENS1_30default_config_static_selectorELNS0_4arch9wavefront6targetE1EEEvT1_.has_dyn_sized_stack, 0
	.set _ZN7rocprim17ROCPRIM_400000_NS6detail17trampoline_kernelINS0_14default_configENS1_20scan_config_selectorIdEEZZNS1_9scan_implILNS1_25lookback_scan_determinismE0ELb0ELb0ES3_PKdPddZZZN2at6native31launch_logcumsumexp_cuda_kernelERKNSB_10TensorBaseESF_lENKUlvE_clEvENKUlvE_clEvEUlddE_dEEDaPvRmT3_T4_T5_mT6_P12ihipStream_tbENKUlT_T0_E_clISt17integral_constantIbLb0EESV_IbLb1EEEEDaSR_SS_EUlSR_E0_NS1_11comp_targetILNS1_3genE2ELNS1_11target_archE906ELNS1_3gpuE6ELNS1_3repE0EEENS1_30default_config_static_selectorELNS0_4arch9wavefront6targetE1EEEvT1_.has_recursion, 0
	.set _ZN7rocprim17ROCPRIM_400000_NS6detail17trampoline_kernelINS0_14default_configENS1_20scan_config_selectorIdEEZZNS1_9scan_implILNS1_25lookback_scan_determinismE0ELb0ELb0ES3_PKdPddZZZN2at6native31launch_logcumsumexp_cuda_kernelERKNSB_10TensorBaseESF_lENKUlvE_clEvENKUlvE_clEvEUlddE_dEEDaPvRmT3_T4_T5_mT6_P12ihipStream_tbENKUlT_T0_E_clISt17integral_constantIbLb0EESV_IbLb1EEEEDaSR_SS_EUlSR_E0_NS1_11comp_targetILNS1_3genE2ELNS1_11target_archE906ELNS1_3gpuE6ELNS1_3repE0EEENS1_30default_config_static_selectorELNS0_4arch9wavefront6targetE1EEEvT1_.has_indirect_call, 0
	.section	.AMDGPU.csdata,"",@progbits
; Kernel info:
; codeLenInByte = 48396
; TotalNumSgprs: 62
; NumVgprs: 82
; ScratchSize: 0
; MemoryBound: 0
; FloatMode: 240
; IeeeMode: 1
; LDSByteSize: 10240 bytes/workgroup (compile time only)
; SGPRBlocks: 12
; VGPRBlocks: 20
; NumSGPRsForWavesPerEU: 102
; NumVGPRsForWavesPerEU: 82
; Occupancy: 3
; WaveLimiterHint : 0
; COMPUTE_PGM_RSRC2:SCRATCH_EN: 0
; COMPUTE_PGM_RSRC2:USER_SGPR: 6
; COMPUTE_PGM_RSRC2:TRAP_HANDLER: 0
; COMPUTE_PGM_RSRC2:TGID_X_EN: 1
; COMPUTE_PGM_RSRC2:TGID_Y_EN: 0
; COMPUTE_PGM_RSRC2:TGID_Z_EN: 0
; COMPUTE_PGM_RSRC2:TIDIG_COMP_CNT: 0
	.section	.text._ZN7rocprim17ROCPRIM_400000_NS6detail17trampoline_kernelINS0_14default_configENS1_20scan_config_selectorIdEEZZNS1_9scan_implILNS1_25lookback_scan_determinismE0ELb0ELb0ES3_PKdPddZZZN2at6native31launch_logcumsumexp_cuda_kernelERKNSB_10TensorBaseESF_lENKUlvE_clEvENKUlvE_clEvEUlddE_dEEDaPvRmT3_T4_T5_mT6_P12ihipStream_tbENKUlT_T0_E_clISt17integral_constantIbLb0EESV_IbLb1EEEEDaSR_SS_EUlSR_E0_NS1_11comp_targetILNS1_3genE10ELNS1_11target_archE1201ELNS1_3gpuE5ELNS1_3repE0EEENS1_30default_config_static_selectorELNS0_4arch9wavefront6targetE1EEEvT1_,"axG",@progbits,_ZN7rocprim17ROCPRIM_400000_NS6detail17trampoline_kernelINS0_14default_configENS1_20scan_config_selectorIdEEZZNS1_9scan_implILNS1_25lookback_scan_determinismE0ELb0ELb0ES3_PKdPddZZZN2at6native31launch_logcumsumexp_cuda_kernelERKNSB_10TensorBaseESF_lENKUlvE_clEvENKUlvE_clEvEUlddE_dEEDaPvRmT3_T4_T5_mT6_P12ihipStream_tbENKUlT_T0_E_clISt17integral_constantIbLb0EESV_IbLb1EEEEDaSR_SS_EUlSR_E0_NS1_11comp_targetILNS1_3genE10ELNS1_11target_archE1201ELNS1_3gpuE5ELNS1_3repE0EEENS1_30default_config_static_selectorELNS0_4arch9wavefront6targetE1EEEvT1_,comdat
	.globl	_ZN7rocprim17ROCPRIM_400000_NS6detail17trampoline_kernelINS0_14default_configENS1_20scan_config_selectorIdEEZZNS1_9scan_implILNS1_25lookback_scan_determinismE0ELb0ELb0ES3_PKdPddZZZN2at6native31launch_logcumsumexp_cuda_kernelERKNSB_10TensorBaseESF_lENKUlvE_clEvENKUlvE_clEvEUlddE_dEEDaPvRmT3_T4_T5_mT6_P12ihipStream_tbENKUlT_T0_E_clISt17integral_constantIbLb0EESV_IbLb1EEEEDaSR_SS_EUlSR_E0_NS1_11comp_targetILNS1_3genE10ELNS1_11target_archE1201ELNS1_3gpuE5ELNS1_3repE0EEENS1_30default_config_static_selectorELNS0_4arch9wavefront6targetE1EEEvT1_ ; -- Begin function _ZN7rocprim17ROCPRIM_400000_NS6detail17trampoline_kernelINS0_14default_configENS1_20scan_config_selectorIdEEZZNS1_9scan_implILNS1_25lookback_scan_determinismE0ELb0ELb0ES3_PKdPddZZZN2at6native31launch_logcumsumexp_cuda_kernelERKNSB_10TensorBaseESF_lENKUlvE_clEvENKUlvE_clEvEUlddE_dEEDaPvRmT3_T4_T5_mT6_P12ihipStream_tbENKUlT_T0_E_clISt17integral_constantIbLb0EESV_IbLb1EEEEDaSR_SS_EUlSR_E0_NS1_11comp_targetILNS1_3genE10ELNS1_11target_archE1201ELNS1_3gpuE5ELNS1_3repE0EEENS1_30default_config_static_selectorELNS0_4arch9wavefront6targetE1EEEvT1_
	.p2align	8
	.type	_ZN7rocprim17ROCPRIM_400000_NS6detail17trampoline_kernelINS0_14default_configENS1_20scan_config_selectorIdEEZZNS1_9scan_implILNS1_25lookback_scan_determinismE0ELb0ELb0ES3_PKdPddZZZN2at6native31launch_logcumsumexp_cuda_kernelERKNSB_10TensorBaseESF_lENKUlvE_clEvENKUlvE_clEvEUlddE_dEEDaPvRmT3_T4_T5_mT6_P12ihipStream_tbENKUlT_T0_E_clISt17integral_constantIbLb0EESV_IbLb1EEEEDaSR_SS_EUlSR_E0_NS1_11comp_targetILNS1_3genE10ELNS1_11target_archE1201ELNS1_3gpuE5ELNS1_3repE0EEENS1_30default_config_static_selectorELNS0_4arch9wavefront6targetE1EEEvT1_,@function
_ZN7rocprim17ROCPRIM_400000_NS6detail17trampoline_kernelINS0_14default_configENS1_20scan_config_selectorIdEEZZNS1_9scan_implILNS1_25lookback_scan_determinismE0ELb0ELb0ES3_PKdPddZZZN2at6native31launch_logcumsumexp_cuda_kernelERKNSB_10TensorBaseESF_lENKUlvE_clEvENKUlvE_clEvEUlddE_dEEDaPvRmT3_T4_T5_mT6_P12ihipStream_tbENKUlT_T0_E_clISt17integral_constantIbLb0EESV_IbLb1EEEEDaSR_SS_EUlSR_E0_NS1_11comp_targetILNS1_3genE10ELNS1_11target_archE1201ELNS1_3gpuE5ELNS1_3repE0EEENS1_30default_config_static_selectorELNS0_4arch9wavefront6targetE1EEEvT1_: ; @_ZN7rocprim17ROCPRIM_400000_NS6detail17trampoline_kernelINS0_14default_configENS1_20scan_config_selectorIdEEZZNS1_9scan_implILNS1_25lookback_scan_determinismE0ELb0ELb0ES3_PKdPddZZZN2at6native31launch_logcumsumexp_cuda_kernelERKNSB_10TensorBaseESF_lENKUlvE_clEvENKUlvE_clEvEUlddE_dEEDaPvRmT3_T4_T5_mT6_P12ihipStream_tbENKUlT_T0_E_clISt17integral_constantIbLb0EESV_IbLb1EEEEDaSR_SS_EUlSR_E0_NS1_11comp_targetILNS1_3genE10ELNS1_11target_archE1201ELNS1_3gpuE5ELNS1_3repE0EEENS1_30default_config_static_selectorELNS0_4arch9wavefront6targetE1EEEvT1_
; %bb.0:
	.section	.rodata,"a",@progbits
	.p2align	6, 0x0
	.amdhsa_kernel _ZN7rocprim17ROCPRIM_400000_NS6detail17trampoline_kernelINS0_14default_configENS1_20scan_config_selectorIdEEZZNS1_9scan_implILNS1_25lookback_scan_determinismE0ELb0ELb0ES3_PKdPddZZZN2at6native31launch_logcumsumexp_cuda_kernelERKNSB_10TensorBaseESF_lENKUlvE_clEvENKUlvE_clEvEUlddE_dEEDaPvRmT3_T4_T5_mT6_P12ihipStream_tbENKUlT_T0_E_clISt17integral_constantIbLb0EESV_IbLb1EEEEDaSR_SS_EUlSR_E0_NS1_11comp_targetILNS1_3genE10ELNS1_11target_archE1201ELNS1_3gpuE5ELNS1_3repE0EEENS1_30default_config_static_selectorELNS0_4arch9wavefront6targetE1EEEvT1_
		.amdhsa_group_segment_fixed_size 0
		.amdhsa_private_segment_fixed_size 0
		.amdhsa_kernarg_size 40
		.amdhsa_user_sgpr_count 6
		.amdhsa_user_sgpr_private_segment_buffer 1
		.amdhsa_user_sgpr_dispatch_ptr 0
		.amdhsa_user_sgpr_queue_ptr 0
		.amdhsa_user_sgpr_kernarg_segment_ptr 1
		.amdhsa_user_sgpr_dispatch_id 0
		.amdhsa_user_sgpr_flat_scratch_init 0
		.amdhsa_user_sgpr_private_segment_size 0
		.amdhsa_uses_dynamic_stack 0
		.amdhsa_system_sgpr_private_segment_wavefront_offset 0
		.amdhsa_system_sgpr_workgroup_id_x 1
		.amdhsa_system_sgpr_workgroup_id_y 0
		.amdhsa_system_sgpr_workgroup_id_z 0
		.amdhsa_system_sgpr_workgroup_info 0
		.amdhsa_system_vgpr_workitem_id 0
		.amdhsa_next_free_vgpr 1
		.amdhsa_next_free_sgpr 0
		.amdhsa_reserve_vcc 0
		.amdhsa_reserve_flat_scratch 0
		.amdhsa_float_round_mode_32 0
		.amdhsa_float_round_mode_16_64 0
		.amdhsa_float_denorm_mode_32 3
		.amdhsa_float_denorm_mode_16_64 3
		.amdhsa_dx10_clamp 1
		.amdhsa_ieee_mode 1
		.amdhsa_fp16_overflow 0
		.amdhsa_exception_fp_ieee_invalid_op 0
		.amdhsa_exception_fp_denorm_src 0
		.amdhsa_exception_fp_ieee_div_zero 0
		.amdhsa_exception_fp_ieee_overflow 0
		.amdhsa_exception_fp_ieee_underflow 0
		.amdhsa_exception_fp_ieee_inexact 0
		.amdhsa_exception_int_div_zero 0
	.end_amdhsa_kernel
	.section	.text._ZN7rocprim17ROCPRIM_400000_NS6detail17trampoline_kernelINS0_14default_configENS1_20scan_config_selectorIdEEZZNS1_9scan_implILNS1_25lookback_scan_determinismE0ELb0ELb0ES3_PKdPddZZZN2at6native31launch_logcumsumexp_cuda_kernelERKNSB_10TensorBaseESF_lENKUlvE_clEvENKUlvE_clEvEUlddE_dEEDaPvRmT3_T4_T5_mT6_P12ihipStream_tbENKUlT_T0_E_clISt17integral_constantIbLb0EESV_IbLb1EEEEDaSR_SS_EUlSR_E0_NS1_11comp_targetILNS1_3genE10ELNS1_11target_archE1201ELNS1_3gpuE5ELNS1_3repE0EEENS1_30default_config_static_selectorELNS0_4arch9wavefront6targetE1EEEvT1_,"axG",@progbits,_ZN7rocprim17ROCPRIM_400000_NS6detail17trampoline_kernelINS0_14default_configENS1_20scan_config_selectorIdEEZZNS1_9scan_implILNS1_25lookback_scan_determinismE0ELb0ELb0ES3_PKdPddZZZN2at6native31launch_logcumsumexp_cuda_kernelERKNSB_10TensorBaseESF_lENKUlvE_clEvENKUlvE_clEvEUlddE_dEEDaPvRmT3_T4_T5_mT6_P12ihipStream_tbENKUlT_T0_E_clISt17integral_constantIbLb0EESV_IbLb1EEEEDaSR_SS_EUlSR_E0_NS1_11comp_targetILNS1_3genE10ELNS1_11target_archE1201ELNS1_3gpuE5ELNS1_3repE0EEENS1_30default_config_static_selectorELNS0_4arch9wavefront6targetE1EEEvT1_,comdat
.Lfunc_end80:
	.size	_ZN7rocprim17ROCPRIM_400000_NS6detail17trampoline_kernelINS0_14default_configENS1_20scan_config_selectorIdEEZZNS1_9scan_implILNS1_25lookback_scan_determinismE0ELb0ELb0ES3_PKdPddZZZN2at6native31launch_logcumsumexp_cuda_kernelERKNSB_10TensorBaseESF_lENKUlvE_clEvENKUlvE_clEvEUlddE_dEEDaPvRmT3_T4_T5_mT6_P12ihipStream_tbENKUlT_T0_E_clISt17integral_constantIbLb0EESV_IbLb1EEEEDaSR_SS_EUlSR_E0_NS1_11comp_targetILNS1_3genE10ELNS1_11target_archE1201ELNS1_3gpuE5ELNS1_3repE0EEENS1_30default_config_static_selectorELNS0_4arch9wavefront6targetE1EEEvT1_, .Lfunc_end80-_ZN7rocprim17ROCPRIM_400000_NS6detail17trampoline_kernelINS0_14default_configENS1_20scan_config_selectorIdEEZZNS1_9scan_implILNS1_25lookback_scan_determinismE0ELb0ELb0ES3_PKdPddZZZN2at6native31launch_logcumsumexp_cuda_kernelERKNSB_10TensorBaseESF_lENKUlvE_clEvENKUlvE_clEvEUlddE_dEEDaPvRmT3_T4_T5_mT6_P12ihipStream_tbENKUlT_T0_E_clISt17integral_constantIbLb0EESV_IbLb1EEEEDaSR_SS_EUlSR_E0_NS1_11comp_targetILNS1_3genE10ELNS1_11target_archE1201ELNS1_3gpuE5ELNS1_3repE0EEENS1_30default_config_static_selectorELNS0_4arch9wavefront6targetE1EEEvT1_
                                        ; -- End function
	.set _ZN7rocprim17ROCPRIM_400000_NS6detail17trampoline_kernelINS0_14default_configENS1_20scan_config_selectorIdEEZZNS1_9scan_implILNS1_25lookback_scan_determinismE0ELb0ELb0ES3_PKdPddZZZN2at6native31launch_logcumsumexp_cuda_kernelERKNSB_10TensorBaseESF_lENKUlvE_clEvENKUlvE_clEvEUlddE_dEEDaPvRmT3_T4_T5_mT6_P12ihipStream_tbENKUlT_T0_E_clISt17integral_constantIbLb0EESV_IbLb1EEEEDaSR_SS_EUlSR_E0_NS1_11comp_targetILNS1_3genE10ELNS1_11target_archE1201ELNS1_3gpuE5ELNS1_3repE0EEENS1_30default_config_static_selectorELNS0_4arch9wavefront6targetE1EEEvT1_.num_vgpr, 0
	.set _ZN7rocprim17ROCPRIM_400000_NS6detail17trampoline_kernelINS0_14default_configENS1_20scan_config_selectorIdEEZZNS1_9scan_implILNS1_25lookback_scan_determinismE0ELb0ELb0ES3_PKdPddZZZN2at6native31launch_logcumsumexp_cuda_kernelERKNSB_10TensorBaseESF_lENKUlvE_clEvENKUlvE_clEvEUlddE_dEEDaPvRmT3_T4_T5_mT6_P12ihipStream_tbENKUlT_T0_E_clISt17integral_constantIbLb0EESV_IbLb1EEEEDaSR_SS_EUlSR_E0_NS1_11comp_targetILNS1_3genE10ELNS1_11target_archE1201ELNS1_3gpuE5ELNS1_3repE0EEENS1_30default_config_static_selectorELNS0_4arch9wavefront6targetE1EEEvT1_.num_agpr, 0
	.set _ZN7rocprim17ROCPRIM_400000_NS6detail17trampoline_kernelINS0_14default_configENS1_20scan_config_selectorIdEEZZNS1_9scan_implILNS1_25lookback_scan_determinismE0ELb0ELb0ES3_PKdPddZZZN2at6native31launch_logcumsumexp_cuda_kernelERKNSB_10TensorBaseESF_lENKUlvE_clEvENKUlvE_clEvEUlddE_dEEDaPvRmT3_T4_T5_mT6_P12ihipStream_tbENKUlT_T0_E_clISt17integral_constantIbLb0EESV_IbLb1EEEEDaSR_SS_EUlSR_E0_NS1_11comp_targetILNS1_3genE10ELNS1_11target_archE1201ELNS1_3gpuE5ELNS1_3repE0EEENS1_30default_config_static_selectorELNS0_4arch9wavefront6targetE1EEEvT1_.numbered_sgpr, 0
	.set _ZN7rocprim17ROCPRIM_400000_NS6detail17trampoline_kernelINS0_14default_configENS1_20scan_config_selectorIdEEZZNS1_9scan_implILNS1_25lookback_scan_determinismE0ELb0ELb0ES3_PKdPddZZZN2at6native31launch_logcumsumexp_cuda_kernelERKNSB_10TensorBaseESF_lENKUlvE_clEvENKUlvE_clEvEUlddE_dEEDaPvRmT3_T4_T5_mT6_P12ihipStream_tbENKUlT_T0_E_clISt17integral_constantIbLb0EESV_IbLb1EEEEDaSR_SS_EUlSR_E0_NS1_11comp_targetILNS1_3genE10ELNS1_11target_archE1201ELNS1_3gpuE5ELNS1_3repE0EEENS1_30default_config_static_selectorELNS0_4arch9wavefront6targetE1EEEvT1_.num_named_barrier, 0
	.set _ZN7rocprim17ROCPRIM_400000_NS6detail17trampoline_kernelINS0_14default_configENS1_20scan_config_selectorIdEEZZNS1_9scan_implILNS1_25lookback_scan_determinismE0ELb0ELb0ES3_PKdPddZZZN2at6native31launch_logcumsumexp_cuda_kernelERKNSB_10TensorBaseESF_lENKUlvE_clEvENKUlvE_clEvEUlddE_dEEDaPvRmT3_T4_T5_mT6_P12ihipStream_tbENKUlT_T0_E_clISt17integral_constantIbLb0EESV_IbLb1EEEEDaSR_SS_EUlSR_E0_NS1_11comp_targetILNS1_3genE10ELNS1_11target_archE1201ELNS1_3gpuE5ELNS1_3repE0EEENS1_30default_config_static_selectorELNS0_4arch9wavefront6targetE1EEEvT1_.private_seg_size, 0
	.set _ZN7rocprim17ROCPRIM_400000_NS6detail17trampoline_kernelINS0_14default_configENS1_20scan_config_selectorIdEEZZNS1_9scan_implILNS1_25lookback_scan_determinismE0ELb0ELb0ES3_PKdPddZZZN2at6native31launch_logcumsumexp_cuda_kernelERKNSB_10TensorBaseESF_lENKUlvE_clEvENKUlvE_clEvEUlddE_dEEDaPvRmT3_T4_T5_mT6_P12ihipStream_tbENKUlT_T0_E_clISt17integral_constantIbLb0EESV_IbLb1EEEEDaSR_SS_EUlSR_E0_NS1_11comp_targetILNS1_3genE10ELNS1_11target_archE1201ELNS1_3gpuE5ELNS1_3repE0EEENS1_30default_config_static_selectorELNS0_4arch9wavefront6targetE1EEEvT1_.uses_vcc, 0
	.set _ZN7rocprim17ROCPRIM_400000_NS6detail17trampoline_kernelINS0_14default_configENS1_20scan_config_selectorIdEEZZNS1_9scan_implILNS1_25lookback_scan_determinismE0ELb0ELb0ES3_PKdPddZZZN2at6native31launch_logcumsumexp_cuda_kernelERKNSB_10TensorBaseESF_lENKUlvE_clEvENKUlvE_clEvEUlddE_dEEDaPvRmT3_T4_T5_mT6_P12ihipStream_tbENKUlT_T0_E_clISt17integral_constantIbLb0EESV_IbLb1EEEEDaSR_SS_EUlSR_E0_NS1_11comp_targetILNS1_3genE10ELNS1_11target_archE1201ELNS1_3gpuE5ELNS1_3repE0EEENS1_30default_config_static_selectorELNS0_4arch9wavefront6targetE1EEEvT1_.uses_flat_scratch, 0
	.set _ZN7rocprim17ROCPRIM_400000_NS6detail17trampoline_kernelINS0_14default_configENS1_20scan_config_selectorIdEEZZNS1_9scan_implILNS1_25lookback_scan_determinismE0ELb0ELb0ES3_PKdPddZZZN2at6native31launch_logcumsumexp_cuda_kernelERKNSB_10TensorBaseESF_lENKUlvE_clEvENKUlvE_clEvEUlddE_dEEDaPvRmT3_T4_T5_mT6_P12ihipStream_tbENKUlT_T0_E_clISt17integral_constantIbLb0EESV_IbLb1EEEEDaSR_SS_EUlSR_E0_NS1_11comp_targetILNS1_3genE10ELNS1_11target_archE1201ELNS1_3gpuE5ELNS1_3repE0EEENS1_30default_config_static_selectorELNS0_4arch9wavefront6targetE1EEEvT1_.has_dyn_sized_stack, 0
	.set _ZN7rocprim17ROCPRIM_400000_NS6detail17trampoline_kernelINS0_14default_configENS1_20scan_config_selectorIdEEZZNS1_9scan_implILNS1_25lookback_scan_determinismE0ELb0ELb0ES3_PKdPddZZZN2at6native31launch_logcumsumexp_cuda_kernelERKNSB_10TensorBaseESF_lENKUlvE_clEvENKUlvE_clEvEUlddE_dEEDaPvRmT3_T4_T5_mT6_P12ihipStream_tbENKUlT_T0_E_clISt17integral_constantIbLb0EESV_IbLb1EEEEDaSR_SS_EUlSR_E0_NS1_11comp_targetILNS1_3genE10ELNS1_11target_archE1201ELNS1_3gpuE5ELNS1_3repE0EEENS1_30default_config_static_selectorELNS0_4arch9wavefront6targetE1EEEvT1_.has_recursion, 0
	.set _ZN7rocprim17ROCPRIM_400000_NS6detail17trampoline_kernelINS0_14default_configENS1_20scan_config_selectorIdEEZZNS1_9scan_implILNS1_25lookback_scan_determinismE0ELb0ELb0ES3_PKdPddZZZN2at6native31launch_logcumsumexp_cuda_kernelERKNSB_10TensorBaseESF_lENKUlvE_clEvENKUlvE_clEvEUlddE_dEEDaPvRmT3_T4_T5_mT6_P12ihipStream_tbENKUlT_T0_E_clISt17integral_constantIbLb0EESV_IbLb1EEEEDaSR_SS_EUlSR_E0_NS1_11comp_targetILNS1_3genE10ELNS1_11target_archE1201ELNS1_3gpuE5ELNS1_3repE0EEENS1_30default_config_static_selectorELNS0_4arch9wavefront6targetE1EEEvT1_.has_indirect_call, 0
	.section	.AMDGPU.csdata,"",@progbits
; Kernel info:
; codeLenInByte = 0
; TotalNumSgprs: 4
; NumVgprs: 0
; ScratchSize: 0
; MemoryBound: 0
; FloatMode: 240
; IeeeMode: 1
; LDSByteSize: 0 bytes/workgroup (compile time only)
; SGPRBlocks: 0
; VGPRBlocks: 0
; NumSGPRsForWavesPerEU: 4
; NumVGPRsForWavesPerEU: 1
; Occupancy: 10
; WaveLimiterHint : 0
; COMPUTE_PGM_RSRC2:SCRATCH_EN: 0
; COMPUTE_PGM_RSRC2:USER_SGPR: 6
; COMPUTE_PGM_RSRC2:TRAP_HANDLER: 0
; COMPUTE_PGM_RSRC2:TGID_X_EN: 1
; COMPUTE_PGM_RSRC2:TGID_Y_EN: 0
; COMPUTE_PGM_RSRC2:TGID_Z_EN: 0
; COMPUTE_PGM_RSRC2:TIDIG_COMP_CNT: 0
	.section	.text._ZN7rocprim17ROCPRIM_400000_NS6detail17trampoline_kernelINS0_14default_configENS1_20scan_config_selectorIdEEZZNS1_9scan_implILNS1_25lookback_scan_determinismE0ELb0ELb0ES3_PKdPddZZZN2at6native31launch_logcumsumexp_cuda_kernelERKNSB_10TensorBaseESF_lENKUlvE_clEvENKUlvE_clEvEUlddE_dEEDaPvRmT3_T4_T5_mT6_P12ihipStream_tbENKUlT_T0_E_clISt17integral_constantIbLb0EESV_IbLb1EEEEDaSR_SS_EUlSR_E0_NS1_11comp_targetILNS1_3genE10ELNS1_11target_archE1200ELNS1_3gpuE4ELNS1_3repE0EEENS1_30default_config_static_selectorELNS0_4arch9wavefront6targetE1EEEvT1_,"axG",@progbits,_ZN7rocprim17ROCPRIM_400000_NS6detail17trampoline_kernelINS0_14default_configENS1_20scan_config_selectorIdEEZZNS1_9scan_implILNS1_25lookback_scan_determinismE0ELb0ELb0ES3_PKdPddZZZN2at6native31launch_logcumsumexp_cuda_kernelERKNSB_10TensorBaseESF_lENKUlvE_clEvENKUlvE_clEvEUlddE_dEEDaPvRmT3_T4_T5_mT6_P12ihipStream_tbENKUlT_T0_E_clISt17integral_constantIbLb0EESV_IbLb1EEEEDaSR_SS_EUlSR_E0_NS1_11comp_targetILNS1_3genE10ELNS1_11target_archE1200ELNS1_3gpuE4ELNS1_3repE0EEENS1_30default_config_static_selectorELNS0_4arch9wavefront6targetE1EEEvT1_,comdat
	.globl	_ZN7rocprim17ROCPRIM_400000_NS6detail17trampoline_kernelINS0_14default_configENS1_20scan_config_selectorIdEEZZNS1_9scan_implILNS1_25lookback_scan_determinismE0ELb0ELb0ES3_PKdPddZZZN2at6native31launch_logcumsumexp_cuda_kernelERKNSB_10TensorBaseESF_lENKUlvE_clEvENKUlvE_clEvEUlddE_dEEDaPvRmT3_T4_T5_mT6_P12ihipStream_tbENKUlT_T0_E_clISt17integral_constantIbLb0EESV_IbLb1EEEEDaSR_SS_EUlSR_E0_NS1_11comp_targetILNS1_3genE10ELNS1_11target_archE1200ELNS1_3gpuE4ELNS1_3repE0EEENS1_30default_config_static_selectorELNS0_4arch9wavefront6targetE1EEEvT1_ ; -- Begin function _ZN7rocprim17ROCPRIM_400000_NS6detail17trampoline_kernelINS0_14default_configENS1_20scan_config_selectorIdEEZZNS1_9scan_implILNS1_25lookback_scan_determinismE0ELb0ELb0ES3_PKdPddZZZN2at6native31launch_logcumsumexp_cuda_kernelERKNSB_10TensorBaseESF_lENKUlvE_clEvENKUlvE_clEvEUlddE_dEEDaPvRmT3_T4_T5_mT6_P12ihipStream_tbENKUlT_T0_E_clISt17integral_constantIbLb0EESV_IbLb1EEEEDaSR_SS_EUlSR_E0_NS1_11comp_targetILNS1_3genE10ELNS1_11target_archE1200ELNS1_3gpuE4ELNS1_3repE0EEENS1_30default_config_static_selectorELNS0_4arch9wavefront6targetE1EEEvT1_
	.p2align	8
	.type	_ZN7rocprim17ROCPRIM_400000_NS6detail17trampoline_kernelINS0_14default_configENS1_20scan_config_selectorIdEEZZNS1_9scan_implILNS1_25lookback_scan_determinismE0ELb0ELb0ES3_PKdPddZZZN2at6native31launch_logcumsumexp_cuda_kernelERKNSB_10TensorBaseESF_lENKUlvE_clEvENKUlvE_clEvEUlddE_dEEDaPvRmT3_T4_T5_mT6_P12ihipStream_tbENKUlT_T0_E_clISt17integral_constantIbLb0EESV_IbLb1EEEEDaSR_SS_EUlSR_E0_NS1_11comp_targetILNS1_3genE10ELNS1_11target_archE1200ELNS1_3gpuE4ELNS1_3repE0EEENS1_30default_config_static_selectorELNS0_4arch9wavefront6targetE1EEEvT1_,@function
_ZN7rocprim17ROCPRIM_400000_NS6detail17trampoline_kernelINS0_14default_configENS1_20scan_config_selectorIdEEZZNS1_9scan_implILNS1_25lookback_scan_determinismE0ELb0ELb0ES3_PKdPddZZZN2at6native31launch_logcumsumexp_cuda_kernelERKNSB_10TensorBaseESF_lENKUlvE_clEvENKUlvE_clEvEUlddE_dEEDaPvRmT3_T4_T5_mT6_P12ihipStream_tbENKUlT_T0_E_clISt17integral_constantIbLb0EESV_IbLb1EEEEDaSR_SS_EUlSR_E0_NS1_11comp_targetILNS1_3genE10ELNS1_11target_archE1200ELNS1_3gpuE4ELNS1_3repE0EEENS1_30default_config_static_selectorELNS0_4arch9wavefront6targetE1EEEvT1_: ; @_ZN7rocprim17ROCPRIM_400000_NS6detail17trampoline_kernelINS0_14default_configENS1_20scan_config_selectorIdEEZZNS1_9scan_implILNS1_25lookback_scan_determinismE0ELb0ELb0ES3_PKdPddZZZN2at6native31launch_logcumsumexp_cuda_kernelERKNSB_10TensorBaseESF_lENKUlvE_clEvENKUlvE_clEvEUlddE_dEEDaPvRmT3_T4_T5_mT6_P12ihipStream_tbENKUlT_T0_E_clISt17integral_constantIbLb0EESV_IbLb1EEEEDaSR_SS_EUlSR_E0_NS1_11comp_targetILNS1_3genE10ELNS1_11target_archE1200ELNS1_3gpuE4ELNS1_3repE0EEENS1_30default_config_static_selectorELNS0_4arch9wavefront6targetE1EEEvT1_
; %bb.0:
	.section	.rodata,"a",@progbits
	.p2align	6, 0x0
	.amdhsa_kernel _ZN7rocprim17ROCPRIM_400000_NS6detail17trampoline_kernelINS0_14default_configENS1_20scan_config_selectorIdEEZZNS1_9scan_implILNS1_25lookback_scan_determinismE0ELb0ELb0ES3_PKdPddZZZN2at6native31launch_logcumsumexp_cuda_kernelERKNSB_10TensorBaseESF_lENKUlvE_clEvENKUlvE_clEvEUlddE_dEEDaPvRmT3_T4_T5_mT6_P12ihipStream_tbENKUlT_T0_E_clISt17integral_constantIbLb0EESV_IbLb1EEEEDaSR_SS_EUlSR_E0_NS1_11comp_targetILNS1_3genE10ELNS1_11target_archE1200ELNS1_3gpuE4ELNS1_3repE0EEENS1_30default_config_static_selectorELNS0_4arch9wavefront6targetE1EEEvT1_
		.amdhsa_group_segment_fixed_size 0
		.amdhsa_private_segment_fixed_size 0
		.amdhsa_kernarg_size 40
		.amdhsa_user_sgpr_count 6
		.amdhsa_user_sgpr_private_segment_buffer 1
		.amdhsa_user_sgpr_dispatch_ptr 0
		.amdhsa_user_sgpr_queue_ptr 0
		.amdhsa_user_sgpr_kernarg_segment_ptr 1
		.amdhsa_user_sgpr_dispatch_id 0
		.amdhsa_user_sgpr_flat_scratch_init 0
		.amdhsa_user_sgpr_private_segment_size 0
		.amdhsa_uses_dynamic_stack 0
		.amdhsa_system_sgpr_private_segment_wavefront_offset 0
		.amdhsa_system_sgpr_workgroup_id_x 1
		.amdhsa_system_sgpr_workgroup_id_y 0
		.amdhsa_system_sgpr_workgroup_id_z 0
		.amdhsa_system_sgpr_workgroup_info 0
		.amdhsa_system_vgpr_workitem_id 0
		.amdhsa_next_free_vgpr 1
		.amdhsa_next_free_sgpr 0
		.amdhsa_reserve_vcc 0
		.amdhsa_reserve_flat_scratch 0
		.amdhsa_float_round_mode_32 0
		.amdhsa_float_round_mode_16_64 0
		.amdhsa_float_denorm_mode_32 3
		.amdhsa_float_denorm_mode_16_64 3
		.amdhsa_dx10_clamp 1
		.amdhsa_ieee_mode 1
		.amdhsa_fp16_overflow 0
		.amdhsa_exception_fp_ieee_invalid_op 0
		.amdhsa_exception_fp_denorm_src 0
		.amdhsa_exception_fp_ieee_div_zero 0
		.amdhsa_exception_fp_ieee_overflow 0
		.amdhsa_exception_fp_ieee_underflow 0
		.amdhsa_exception_fp_ieee_inexact 0
		.amdhsa_exception_int_div_zero 0
	.end_amdhsa_kernel
	.section	.text._ZN7rocprim17ROCPRIM_400000_NS6detail17trampoline_kernelINS0_14default_configENS1_20scan_config_selectorIdEEZZNS1_9scan_implILNS1_25lookback_scan_determinismE0ELb0ELb0ES3_PKdPddZZZN2at6native31launch_logcumsumexp_cuda_kernelERKNSB_10TensorBaseESF_lENKUlvE_clEvENKUlvE_clEvEUlddE_dEEDaPvRmT3_T4_T5_mT6_P12ihipStream_tbENKUlT_T0_E_clISt17integral_constantIbLb0EESV_IbLb1EEEEDaSR_SS_EUlSR_E0_NS1_11comp_targetILNS1_3genE10ELNS1_11target_archE1200ELNS1_3gpuE4ELNS1_3repE0EEENS1_30default_config_static_selectorELNS0_4arch9wavefront6targetE1EEEvT1_,"axG",@progbits,_ZN7rocprim17ROCPRIM_400000_NS6detail17trampoline_kernelINS0_14default_configENS1_20scan_config_selectorIdEEZZNS1_9scan_implILNS1_25lookback_scan_determinismE0ELb0ELb0ES3_PKdPddZZZN2at6native31launch_logcumsumexp_cuda_kernelERKNSB_10TensorBaseESF_lENKUlvE_clEvENKUlvE_clEvEUlddE_dEEDaPvRmT3_T4_T5_mT6_P12ihipStream_tbENKUlT_T0_E_clISt17integral_constantIbLb0EESV_IbLb1EEEEDaSR_SS_EUlSR_E0_NS1_11comp_targetILNS1_3genE10ELNS1_11target_archE1200ELNS1_3gpuE4ELNS1_3repE0EEENS1_30default_config_static_selectorELNS0_4arch9wavefront6targetE1EEEvT1_,comdat
.Lfunc_end81:
	.size	_ZN7rocprim17ROCPRIM_400000_NS6detail17trampoline_kernelINS0_14default_configENS1_20scan_config_selectorIdEEZZNS1_9scan_implILNS1_25lookback_scan_determinismE0ELb0ELb0ES3_PKdPddZZZN2at6native31launch_logcumsumexp_cuda_kernelERKNSB_10TensorBaseESF_lENKUlvE_clEvENKUlvE_clEvEUlddE_dEEDaPvRmT3_T4_T5_mT6_P12ihipStream_tbENKUlT_T0_E_clISt17integral_constantIbLb0EESV_IbLb1EEEEDaSR_SS_EUlSR_E0_NS1_11comp_targetILNS1_3genE10ELNS1_11target_archE1200ELNS1_3gpuE4ELNS1_3repE0EEENS1_30default_config_static_selectorELNS0_4arch9wavefront6targetE1EEEvT1_, .Lfunc_end81-_ZN7rocprim17ROCPRIM_400000_NS6detail17trampoline_kernelINS0_14default_configENS1_20scan_config_selectorIdEEZZNS1_9scan_implILNS1_25lookback_scan_determinismE0ELb0ELb0ES3_PKdPddZZZN2at6native31launch_logcumsumexp_cuda_kernelERKNSB_10TensorBaseESF_lENKUlvE_clEvENKUlvE_clEvEUlddE_dEEDaPvRmT3_T4_T5_mT6_P12ihipStream_tbENKUlT_T0_E_clISt17integral_constantIbLb0EESV_IbLb1EEEEDaSR_SS_EUlSR_E0_NS1_11comp_targetILNS1_3genE10ELNS1_11target_archE1200ELNS1_3gpuE4ELNS1_3repE0EEENS1_30default_config_static_selectorELNS0_4arch9wavefront6targetE1EEEvT1_
                                        ; -- End function
	.set _ZN7rocprim17ROCPRIM_400000_NS6detail17trampoline_kernelINS0_14default_configENS1_20scan_config_selectorIdEEZZNS1_9scan_implILNS1_25lookback_scan_determinismE0ELb0ELb0ES3_PKdPddZZZN2at6native31launch_logcumsumexp_cuda_kernelERKNSB_10TensorBaseESF_lENKUlvE_clEvENKUlvE_clEvEUlddE_dEEDaPvRmT3_T4_T5_mT6_P12ihipStream_tbENKUlT_T0_E_clISt17integral_constantIbLb0EESV_IbLb1EEEEDaSR_SS_EUlSR_E0_NS1_11comp_targetILNS1_3genE10ELNS1_11target_archE1200ELNS1_3gpuE4ELNS1_3repE0EEENS1_30default_config_static_selectorELNS0_4arch9wavefront6targetE1EEEvT1_.num_vgpr, 0
	.set _ZN7rocprim17ROCPRIM_400000_NS6detail17trampoline_kernelINS0_14default_configENS1_20scan_config_selectorIdEEZZNS1_9scan_implILNS1_25lookback_scan_determinismE0ELb0ELb0ES3_PKdPddZZZN2at6native31launch_logcumsumexp_cuda_kernelERKNSB_10TensorBaseESF_lENKUlvE_clEvENKUlvE_clEvEUlddE_dEEDaPvRmT3_T4_T5_mT6_P12ihipStream_tbENKUlT_T0_E_clISt17integral_constantIbLb0EESV_IbLb1EEEEDaSR_SS_EUlSR_E0_NS1_11comp_targetILNS1_3genE10ELNS1_11target_archE1200ELNS1_3gpuE4ELNS1_3repE0EEENS1_30default_config_static_selectorELNS0_4arch9wavefront6targetE1EEEvT1_.num_agpr, 0
	.set _ZN7rocprim17ROCPRIM_400000_NS6detail17trampoline_kernelINS0_14default_configENS1_20scan_config_selectorIdEEZZNS1_9scan_implILNS1_25lookback_scan_determinismE0ELb0ELb0ES3_PKdPddZZZN2at6native31launch_logcumsumexp_cuda_kernelERKNSB_10TensorBaseESF_lENKUlvE_clEvENKUlvE_clEvEUlddE_dEEDaPvRmT3_T4_T5_mT6_P12ihipStream_tbENKUlT_T0_E_clISt17integral_constantIbLb0EESV_IbLb1EEEEDaSR_SS_EUlSR_E0_NS1_11comp_targetILNS1_3genE10ELNS1_11target_archE1200ELNS1_3gpuE4ELNS1_3repE0EEENS1_30default_config_static_selectorELNS0_4arch9wavefront6targetE1EEEvT1_.numbered_sgpr, 0
	.set _ZN7rocprim17ROCPRIM_400000_NS6detail17trampoline_kernelINS0_14default_configENS1_20scan_config_selectorIdEEZZNS1_9scan_implILNS1_25lookback_scan_determinismE0ELb0ELb0ES3_PKdPddZZZN2at6native31launch_logcumsumexp_cuda_kernelERKNSB_10TensorBaseESF_lENKUlvE_clEvENKUlvE_clEvEUlddE_dEEDaPvRmT3_T4_T5_mT6_P12ihipStream_tbENKUlT_T0_E_clISt17integral_constantIbLb0EESV_IbLb1EEEEDaSR_SS_EUlSR_E0_NS1_11comp_targetILNS1_3genE10ELNS1_11target_archE1200ELNS1_3gpuE4ELNS1_3repE0EEENS1_30default_config_static_selectorELNS0_4arch9wavefront6targetE1EEEvT1_.num_named_barrier, 0
	.set _ZN7rocprim17ROCPRIM_400000_NS6detail17trampoline_kernelINS0_14default_configENS1_20scan_config_selectorIdEEZZNS1_9scan_implILNS1_25lookback_scan_determinismE0ELb0ELb0ES3_PKdPddZZZN2at6native31launch_logcumsumexp_cuda_kernelERKNSB_10TensorBaseESF_lENKUlvE_clEvENKUlvE_clEvEUlddE_dEEDaPvRmT3_T4_T5_mT6_P12ihipStream_tbENKUlT_T0_E_clISt17integral_constantIbLb0EESV_IbLb1EEEEDaSR_SS_EUlSR_E0_NS1_11comp_targetILNS1_3genE10ELNS1_11target_archE1200ELNS1_3gpuE4ELNS1_3repE0EEENS1_30default_config_static_selectorELNS0_4arch9wavefront6targetE1EEEvT1_.private_seg_size, 0
	.set _ZN7rocprim17ROCPRIM_400000_NS6detail17trampoline_kernelINS0_14default_configENS1_20scan_config_selectorIdEEZZNS1_9scan_implILNS1_25lookback_scan_determinismE0ELb0ELb0ES3_PKdPddZZZN2at6native31launch_logcumsumexp_cuda_kernelERKNSB_10TensorBaseESF_lENKUlvE_clEvENKUlvE_clEvEUlddE_dEEDaPvRmT3_T4_T5_mT6_P12ihipStream_tbENKUlT_T0_E_clISt17integral_constantIbLb0EESV_IbLb1EEEEDaSR_SS_EUlSR_E0_NS1_11comp_targetILNS1_3genE10ELNS1_11target_archE1200ELNS1_3gpuE4ELNS1_3repE0EEENS1_30default_config_static_selectorELNS0_4arch9wavefront6targetE1EEEvT1_.uses_vcc, 0
	.set _ZN7rocprim17ROCPRIM_400000_NS6detail17trampoline_kernelINS0_14default_configENS1_20scan_config_selectorIdEEZZNS1_9scan_implILNS1_25lookback_scan_determinismE0ELb0ELb0ES3_PKdPddZZZN2at6native31launch_logcumsumexp_cuda_kernelERKNSB_10TensorBaseESF_lENKUlvE_clEvENKUlvE_clEvEUlddE_dEEDaPvRmT3_T4_T5_mT6_P12ihipStream_tbENKUlT_T0_E_clISt17integral_constantIbLb0EESV_IbLb1EEEEDaSR_SS_EUlSR_E0_NS1_11comp_targetILNS1_3genE10ELNS1_11target_archE1200ELNS1_3gpuE4ELNS1_3repE0EEENS1_30default_config_static_selectorELNS0_4arch9wavefront6targetE1EEEvT1_.uses_flat_scratch, 0
	.set _ZN7rocprim17ROCPRIM_400000_NS6detail17trampoline_kernelINS0_14default_configENS1_20scan_config_selectorIdEEZZNS1_9scan_implILNS1_25lookback_scan_determinismE0ELb0ELb0ES3_PKdPddZZZN2at6native31launch_logcumsumexp_cuda_kernelERKNSB_10TensorBaseESF_lENKUlvE_clEvENKUlvE_clEvEUlddE_dEEDaPvRmT3_T4_T5_mT6_P12ihipStream_tbENKUlT_T0_E_clISt17integral_constantIbLb0EESV_IbLb1EEEEDaSR_SS_EUlSR_E0_NS1_11comp_targetILNS1_3genE10ELNS1_11target_archE1200ELNS1_3gpuE4ELNS1_3repE0EEENS1_30default_config_static_selectorELNS0_4arch9wavefront6targetE1EEEvT1_.has_dyn_sized_stack, 0
	.set _ZN7rocprim17ROCPRIM_400000_NS6detail17trampoline_kernelINS0_14default_configENS1_20scan_config_selectorIdEEZZNS1_9scan_implILNS1_25lookback_scan_determinismE0ELb0ELb0ES3_PKdPddZZZN2at6native31launch_logcumsumexp_cuda_kernelERKNSB_10TensorBaseESF_lENKUlvE_clEvENKUlvE_clEvEUlddE_dEEDaPvRmT3_T4_T5_mT6_P12ihipStream_tbENKUlT_T0_E_clISt17integral_constantIbLb0EESV_IbLb1EEEEDaSR_SS_EUlSR_E0_NS1_11comp_targetILNS1_3genE10ELNS1_11target_archE1200ELNS1_3gpuE4ELNS1_3repE0EEENS1_30default_config_static_selectorELNS0_4arch9wavefront6targetE1EEEvT1_.has_recursion, 0
	.set _ZN7rocprim17ROCPRIM_400000_NS6detail17trampoline_kernelINS0_14default_configENS1_20scan_config_selectorIdEEZZNS1_9scan_implILNS1_25lookback_scan_determinismE0ELb0ELb0ES3_PKdPddZZZN2at6native31launch_logcumsumexp_cuda_kernelERKNSB_10TensorBaseESF_lENKUlvE_clEvENKUlvE_clEvEUlddE_dEEDaPvRmT3_T4_T5_mT6_P12ihipStream_tbENKUlT_T0_E_clISt17integral_constantIbLb0EESV_IbLb1EEEEDaSR_SS_EUlSR_E0_NS1_11comp_targetILNS1_3genE10ELNS1_11target_archE1200ELNS1_3gpuE4ELNS1_3repE0EEENS1_30default_config_static_selectorELNS0_4arch9wavefront6targetE1EEEvT1_.has_indirect_call, 0
	.section	.AMDGPU.csdata,"",@progbits
; Kernel info:
; codeLenInByte = 0
; TotalNumSgprs: 4
; NumVgprs: 0
; ScratchSize: 0
; MemoryBound: 0
; FloatMode: 240
; IeeeMode: 1
; LDSByteSize: 0 bytes/workgroup (compile time only)
; SGPRBlocks: 0
; VGPRBlocks: 0
; NumSGPRsForWavesPerEU: 4
; NumVGPRsForWavesPerEU: 1
; Occupancy: 10
; WaveLimiterHint : 0
; COMPUTE_PGM_RSRC2:SCRATCH_EN: 0
; COMPUTE_PGM_RSRC2:USER_SGPR: 6
; COMPUTE_PGM_RSRC2:TRAP_HANDLER: 0
; COMPUTE_PGM_RSRC2:TGID_X_EN: 1
; COMPUTE_PGM_RSRC2:TGID_Y_EN: 0
; COMPUTE_PGM_RSRC2:TGID_Z_EN: 0
; COMPUTE_PGM_RSRC2:TIDIG_COMP_CNT: 0
	.section	.text._ZN7rocprim17ROCPRIM_400000_NS6detail17trampoline_kernelINS0_14default_configENS1_20scan_config_selectorIdEEZZNS1_9scan_implILNS1_25lookback_scan_determinismE0ELb0ELb0ES3_PKdPddZZZN2at6native31launch_logcumsumexp_cuda_kernelERKNSB_10TensorBaseESF_lENKUlvE_clEvENKUlvE_clEvEUlddE_dEEDaPvRmT3_T4_T5_mT6_P12ihipStream_tbENKUlT_T0_E_clISt17integral_constantIbLb0EESV_IbLb1EEEEDaSR_SS_EUlSR_E0_NS1_11comp_targetILNS1_3genE9ELNS1_11target_archE1100ELNS1_3gpuE3ELNS1_3repE0EEENS1_30default_config_static_selectorELNS0_4arch9wavefront6targetE1EEEvT1_,"axG",@progbits,_ZN7rocprim17ROCPRIM_400000_NS6detail17trampoline_kernelINS0_14default_configENS1_20scan_config_selectorIdEEZZNS1_9scan_implILNS1_25lookback_scan_determinismE0ELb0ELb0ES3_PKdPddZZZN2at6native31launch_logcumsumexp_cuda_kernelERKNSB_10TensorBaseESF_lENKUlvE_clEvENKUlvE_clEvEUlddE_dEEDaPvRmT3_T4_T5_mT6_P12ihipStream_tbENKUlT_T0_E_clISt17integral_constantIbLb0EESV_IbLb1EEEEDaSR_SS_EUlSR_E0_NS1_11comp_targetILNS1_3genE9ELNS1_11target_archE1100ELNS1_3gpuE3ELNS1_3repE0EEENS1_30default_config_static_selectorELNS0_4arch9wavefront6targetE1EEEvT1_,comdat
	.globl	_ZN7rocprim17ROCPRIM_400000_NS6detail17trampoline_kernelINS0_14default_configENS1_20scan_config_selectorIdEEZZNS1_9scan_implILNS1_25lookback_scan_determinismE0ELb0ELb0ES3_PKdPddZZZN2at6native31launch_logcumsumexp_cuda_kernelERKNSB_10TensorBaseESF_lENKUlvE_clEvENKUlvE_clEvEUlddE_dEEDaPvRmT3_T4_T5_mT6_P12ihipStream_tbENKUlT_T0_E_clISt17integral_constantIbLb0EESV_IbLb1EEEEDaSR_SS_EUlSR_E0_NS1_11comp_targetILNS1_3genE9ELNS1_11target_archE1100ELNS1_3gpuE3ELNS1_3repE0EEENS1_30default_config_static_selectorELNS0_4arch9wavefront6targetE1EEEvT1_ ; -- Begin function _ZN7rocprim17ROCPRIM_400000_NS6detail17trampoline_kernelINS0_14default_configENS1_20scan_config_selectorIdEEZZNS1_9scan_implILNS1_25lookback_scan_determinismE0ELb0ELb0ES3_PKdPddZZZN2at6native31launch_logcumsumexp_cuda_kernelERKNSB_10TensorBaseESF_lENKUlvE_clEvENKUlvE_clEvEUlddE_dEEDaPvRmT3_T4_T5_mT6_P12ihipStream_tbENKUlT_T0_E_clISt17integral_constantIbLb0EESV_IbLb1EEEEDaSR_SS_EUlSR_E0_NS1_11comp_targetILNS1_3genE9ELNS1_11target_archE1100ELNS1_3gpuE3ELNS1_3repE0EEENS1_30default_config_static_selectorELNS0_4arch9wavefront6targetE1EEEvT1_
	.p2align	8
	.type	_ZN7rocprim17ROCPRIM_400000_NS6detail17trampoline_kernelINS0_14default_configENS1_20scan_config_selectorIdEEZZNS1_9scan_implILNS1_25lookback_scan_determinismE0ELb0ELb0ES3_PKdPddZZZN2at6native31launch_logcumsumexp_cuda_kernelERKNSB_10TensorBaseESF_lENKUlvE_clEvENKUlvE_clEvEUlddE_dEEDaPvRmT3_T4_T5_mT6_P12ihipStream_tbENKUlT_T0_E_clISt17integral_constantIbLb0EESV_IbLb1EEEEDaSR_SS_EUlSR_E0_NS1_11comp_targetILNS1_3genE9ELNS1_11target_archE1100ELNS1_3gpuE3ELNS1_3repE0EEENS1_30default_config_static_selectorELNS0_4arch9wavefront6targetE1EEEvT1_,@function
_ZN7rocprim17ROCPRIM_400000_NS6detail17trampoline_kernelINS0_14default_configENS1_20scan_config_selectorIdEEZZNS1_9scan_implILNS1_25lookback_scan_determinismE0ELb0ELb0ES3_PKdPddZZZN2at6native31launch_logcumsumexp_cuda_kernelERKNSB_10TensorBaseESF_lENKUlvE_clEvENKUlvE_clEvEUlddE_dEEDaPvRmT3_T4_T5_mT6_P12ihipStream_tbENKUlT_T0_E_clISt17integral_constantIbLb0EESV_IbLb1EEEEDaSR_SS_EUlSR_E0_NS1_11comp_targetILNS1_3genE9ELNS1_11target_archE1100ELNS1_3gpuE3ELNS1_3repE0EEENS1_30default_config_static_selectorELNS0_4arch9wavefront6targetE1EEEvT1_: ; @_ZN7rocprim17ROCPRIM_400000_NS6detail17trampoline_kernelINS0_14default_configENS1_20scan_config_selectorIdEEZZNS1_9scan_implILNS1_25lookback_scan_determinismE0ELb0ELb0ES3_PKdPddZZZN2at6native31launch_logcumsumexp_cuda_kernelERKNSB_10TensorBaseESF_lENKUlvE_clEvENKUlvE_clEvEUlddE_dEEDaPvRmT3_T4_T5_mT6_P12ihipStream_tbENKUlT_T0_E_clISt17integral_constantIbLb0EESV_IbLb1EEEEDaSR_SS_EUlSR_E0_NS1_11comp_targetILNS1_3genE9ELNS1_11target_archE1100ELNS1_3gpuE3ELNS1_3repE0EEENS1_30default_config_static_selectorELNS0_4arch9wavefront6targetE1EEEvT1_
; %bb.0:
	.section	.rodata,"a",@progbits
	.p2align	6, 0x0
	.amdhsa_kernel _ZN7rocprim17ROCPRIM_400000_NS6detail17trampoline_kernelINS0_14default_configENS1_20scan_config_selectorIdEEZZNS1_9scan_implILNS1_25lookback_scan_determinismE0ELb0ELb0ES3_PKdPddZZZN2at6native31launch_logcumsumexp_cuda_kernelERKNSB_10TensorBaseESF_lENKUlvE_clEvENKUlvE_clEvEUlddE_dEEDaPvRmT3_T4_T5_mT6_P12ihipStream_tbENKUlT_T0_E_clISt17integral_constantIbLb0EESV_IbLb1EEEEDaSR_SS_EUlSR_E0_NS1_11comp_targetILNS1_3genE9ELNS1_11target_archE1100ELNS1_3gpuE3ELNS1_3repE0EEENS1_30default_config_static_selectorELNS0_4arch9wavefront6targetE1EEEvT1_
		.amdhsa_group_segment_fixed_size 0
		.amdhsa_private_segment_fixed_size 0
		.amdhsa_kernarg_size 40
		.amdhsa_user_sgpr_count 6
		.amdhsa_user_sgpr_private_segment_buffer 1
		.amdhsa_user_sgpr_dispatch_ptr 0
		.amdhsa_user_sgpr_queue_ptr 0
		.amdhsa_user_sgpr_kernarg_segment_ptr 1
		.amdhsa_user_sgpr_dispatch_id 0
		.amdhsa_user_sgpr_flat_scratch_init 0
		.amdhsa_user_sgpr_private_segment_size 0
		.amdhsa_uses_dynamic_stack 0
		.amdhsa_system_sgpr_private_segment_wavefront_offset 0
		.amdhsa_system_sgpr_workgroup_id_x 1
		.amdhsa_system_sgpr_workgroup_id_y 0
		.amdhsa_system_sgpr_workgroup_id_z 0
		.amdhsa_system_sgpr_workgroup_info 0
		.amdhsa_system_vgpr_workitem_id 0
		.amdhsa_next_free_vgpr 1
		.amdhsa_next_free_sgpr 0
		.amdhsa_reserve_vcc 0
		.amdhsa_reserve_flat_scratch 0
		.amdhsa_float_round_mode_32 0
		.amdhsa_float_round_mode_16_64 0
		.amdhsa_float_denorm_mode_32 3
		.amdhsa_float_denorm_mode_16_64 3
		.amdhsa_dx10_clamp 1
		.amdhsa_ieee_mode 1
		.amdhsa_fp16_overflow 0
		.amdhsa_exception_fp_ieee_invalid_op 0
		.amdhsa_exception_fp_denorm_src 0
		.amdhsa_exception_fp_ieee_div_zero 0
		.amdhsa_exception_fp_ieee_overflow 0
		.amdhsa_exception_fp_ieee_underflow 0
		.amdhsa_exception_fp_ieee_inexact 0
		.amdhsa_exception_int_div_zero 0
	.end_amdhsa_kernel
	.section	.text._ZN7rocprim17ROCPRIM_400000_NS6detail17trampoline_kernelINS0_14default_configENS1_20scan_config_selectorIdEEZZNS1_9scan_implILNS1_25lookback_scan_determinismE0ELb0ELb0ES3_PKdPddZZZN2at6native31launch_logcumsumexp_cuda_kernelERKNSB_10TensorBaseESF_lENKUlvE_clEvENKUlvE_clEvEUlddE_dEEDaPvRmT3_T4_T5_mT6_P12ihipStream_tbENKUlT_T0_E_clISt17integral_constantIbLb0EESV_IbLb1EEEEDaSR_SS_EUlSR_E0_NS1_11comp_targetILNS1_3genE9ELNS1_11target_archE1100ELNS1_3gpuE3ELNS1_3repE0EEENS1_30default_config_static_selectorELNS0_4arch9wavefront6targetE1EEEvT1_,"axG",@progbits,_ZN7rocprim17ROCPRIM_400000_NS6detail17trampoline_kernelINS0_14default_configENS1_20scan_config_selectorIdEEZZNS1_9scan_implILNS1_25lookback_scan_determinismE0ELb0ELb0ES3_PKdPddZZZN2at6native31launch_logcumsumexp_cuda_kernelERKNSB_10TensorBaseESF_lENKUlvE_clEvENKUlvE_clEvEUlddE_dEEDaPvRmT3_T4_T5_mT6_P12ihipStream_tbENKUlT_T0_E_clISt17integral_constantIbLb0EESV_IbLb1EEEEDaSR_SS_EUlSR_E0_NS1_11comp_targetILNS1_3genE9ELNS1_11target_archE1100ELNS1_3gpuE3ELNS1_3repE0EEENS1_30default_config_static_selectorELNS0_4arch9wavefront6targetE1EEEvT1_,comdat
.Lfunc_end82:
	.size	_ZN7rocprim17ROCPRIM_400000_NS6detail17trampoline_kernelINS0_14default_configENS1_20scan_config_selectorIdEEZZNS1_9scan_implILNS1_25lookback_scan_determinismE0ELb0ELb0ES3_PKdPddZZZN2at6native31launch_logcumsumexp_cuda_kernelERKNSB_10TensorBaseESF_lENKUlvE_clEvENKUlvE_clEvEUlddE_dEEDaPvRmT3_T4_T5_mT6_P12ihipStream_tbENKUlT_T0_E_clISt17integral_constantIbLb0EESV_IbLb1EEEEDaSR_SS_EUlSR_E0_NS1_11comp_targetILNS1_3genE9ELNS1_11target_archE1100ELNS1_3gpuE3ELNS1_3repE0EEENS1_30default_config_static_selectorELNS0_4arch9wavefront6targetE1EEEvT1_, .Lfunc_end82-_ZN7rocprim17ROCPRIM_400000_NS6detail17trampoline_kernelINS0_14default_configENS1_20scan_config_selectorIdEEZZNS1_9scan_implILNS1_25lookback_scan_determinismE0ELb0ELb0ES3_PKdPddZZZN2at6native31launch_logcumsumexp_cuda_kernelERKNSB_10TensorBaseESF_lENKUlvE_clEvENKUlvE_clEvEUlddE_dEEDaPvRmT3_T4_T5_mT6_P12ihipStream_tbENKUlT_T0_E_clISt17integral_constantIbLb0EESV_IbLb1EEEEDaSR_SS_EUlSR_E0_NS1_11comp_targetILNS1_3genE9ELNS1_11target_archE1100ELNS1_3gpuE3ELNS1_3repE0EEENS1_30default_config_static_selectorELNS0_4arch9wavefront6targetE1EEEvT1_
                                        ; -- End function
	.set _ZN7rocprim17ROCPRIM_400000_NS6detail17trampoline_kernelINS0_14default_configENS1_20scan_config_selectorIdEEZZNS1_9scan_implILNS1_25lookback_scan_determinismE0ELb0ELb0ES3_PKdPddZZZN2at6native31launch_logcumsumexp_cuda_kernelERKNSB_10TensorBaseESF_lENKUlvE_clEvENKUlvE_clEvEUlddE_dEEDaPvRmT3_T4_T5_mT6_P12ihipStream_tbENKUlT_T0_E_clISt17integral_constantIbLb0EESV_IbLb1EEEEDaSR_SS_EUlSR_E0_NS1_11comp_targetILNS1_3genE9ELNS1_11target_archE1100ELNS1_3gpuE3ELNS1_3repE0EEENS1_30default_config_static_selectorELNS0_4arch9wavefront6targetE1EEEvT1_.num_vgpr, 0
	.set _ZN7rocprim17ROCPRIM_400000_NS6detail17trampoline_kernelINS0_14default_configENS1_20scan_config_selectorIdEEZZNS1_9scan_implILNS1_25lookback_scan_determinismE0ELb0ELb0ES3_PKdPddZZZN2at6native31launch_logcumsumexp_cuda_kernelERKNSB_10TensorBaseESF_lENKUlvE_clEvENKUlvE_clEvEUlddE_dEEDaPvRmT3_T4_T5_mT6_P12ihipStream_tbENKUlT_T0_E_clISt17integral_constantIbLb0EESV_IbLb1EEEEDaSR_SS_EUlSR_E0_NS1_11comp_targetILNS1_3genE9ELNS1_11target_archE1100ELNS1_3gpuE3ELNS1_3repE0EEENS1_30default_config_static_selectorELNS0_4arch9wavefront6targetE1EEEvT1_.num_agpr, 0
	.set _ZN7rocprim17ROCPRIM_400000_NS6detail17trampoline_kernelINS0_14default_configENS1_20scan_config_selectorIdEEZZNS1_9scan_implILNS1_25lookback_scan_determinismE0ELb0ELb0ES3_PKdPddZZZN2at6native31launch_logcumsumexp_cuda_kernelERKNSB_10TensorBaseESF_lENKUlvE_clEvENKUlvE_clEvEUlddE_dEEDaPvRmT3_T4_T5_mT6_P12ihipStream_tbENKUlT_T0_E_clISt17integral_constantIbLb0EESV_IbLb1EEEEDaSR_SS_EUlSR_E0_NS1_11comp_targetILNS1_3genE9ELNS1_11target_archE1100ELNS1_3gpuE3ELNS1_3repE0EEENS1_30default_config_static_selectorELNS0_4arch9wavefront6targetE1EEEvT1_.numbered_sgpr, 0
	.set _ZN7rocprim17ROCPRIM_400000_NS6detail17trampoline_kernelINS0_14default_configENS1_20scan_config_selectorIdEEZZNS1_9scan_implILNS1_25lookback_scan_determinismE0ELb0ELb0ES3_PKdPddZZZN2at6native31launch_logcumsumexp_cuda_kernelERKNSB_10TensorBaseESF_lENKUlvE_clEvENKUlvE_clEvEUlddE_dEEDaPvRmT3_T4_T5_mT6_P12ihipStream_tbENKUlT_T0_E_clISt17integral_constantIbLb0EESV_IbLb1EEEEDaSR_SS_EUlSR_E0_NS1_11comp_targetILNS1_3genE9ELNS1_11target_archE1100ELNS1_3gpuE3ELNS1_3repE0EEENS1_30default_config_static_selectorELNS0_4arch9wavefront6targetE1EEEvT1_.num_named_barrier, 0
	.set _ZN7rocprim17ROCPRIM_400000_NS6detail17trampoline_kernelINS0_14default_configENS1_20scan_config_selectorIdEEZZNS1_9scan_implILNS1_25lookback_scan_determinismE0ELb0ELb0ES3_PKdPddZZZN2at6native31launch_logcumsumexp_cuda_kernelERKNSB_10TensorBaseESF_lENKUlvE_clEvENKUlvE_clEvEUlddE_dEEDaPvRmT3_T4_T5_mT6_P12ihipStream_tbENKUlT_T0_E_clISt17integral_constantIbLb0EESV_IbLb1EEEEDaSR_SS_EUlSR_E0_NS1_11comp_targetILNS1_3genE9ELNS1_11target_archE1100ELNS1_3gpuE3ELNS1_3repE0EEENS1_30default_config_static_selectorELNS0_4arch9wavefront6targetE1EEEvT1_.private_seg_size, 0
	.set _ZN7rocprim17ROCPRIM_400000_NS6detail17trampoline_kernelINS0_14default_configENS1_20scan_config_selectorIdEEZZNS1_9scan_implILNS1_25lookback_scan_determinismE0ELb0ELb0ES3_PKdPddZZZN2at6native31launch_logcumsumexp_cuda_kernelERKNSB_10TensorBaseESF_lENKUlvE_clEvENKUlvE_clEvEUlddE_dEEDaPvRmT3_T4_T5_mT6_P12ihipStream_tbENKUlT_T0_E_clISt17integral_constantIbLb0EESV_IbLb1EEEEDaSR_SS_EUlSR_E0_NS1_11comp_targetILNS1_3genE9ELNS1_11target_archE1100ELNS1_3gpuE3ELNS1_3repE0EEENS1_30default_config_static_selectorELNS0_4arch9wavefront6targetE1EEEvT1_.uses_vcc, 0
	.set _ZN7rocprim17ROCPRIM_400000_NS6detail17trampoline_kernelINS0_14default_configENS1_20scan_config_selectorIdEEZZNS1_9scan_implILNS1_25lookback_scan_determinismE0ELb0ELb0ES3_PKdPddZZZN2at6native31launch_logcumsumexp_cuda_kernelERKNSB_10TensorBaseESF_lENKUlvE_clEvENKUlvE_clEvEUlddE_dEEDaPvRmT3_T4_T5_mT6_P12ihipStream_tbENKUlT_T0_E_clISt17integral_constantIbLb0EESV_IbLb1EEEEDaSR_SS_EUlSR_E0_NS1_11comp_targetILNS1_3genE9ELNS1_11target_archE1100ELNS1_3gpuE3ELNS1_3repE0EEENS1_30default_config_static_selectorELNS0_4arch9wavefront6targetE1EEEvT1_.uses_flat_scratch, 0
	.set _ZN7rocprim17ROCPRIM_400000_NS6detail17trampoline_kernelINS0_14default_configENS1_20scan_config_selectorIdEEZZNS1_9scan_implILNS1_25lookback_scan_determinismE0ELb0ELb0ES3_PKdPddZZZN2at6native31launch_logcumsumexp_cuda_kernelERKNSB_10TensorBaseESF_lENKUlvE_clEvENKUlvE_clEvEUlddE_dEEDaPvRmT3_T4_T5_mT6_P12ihipStream_tbENKUlT_T0_E_clISt17integral_constantIbLb0EESV_IbLb1EEEEDaSR_SS_EUlSR_E0_NS1_11comp_targetILNS1_3genE9ELNS1_11target_archE1100ELNS1_3gpuE3ELNS1_3repE0EEENS1_30default_config_static_selectorELNS0_4arch9wavefront6targetE1EEEvT1_.has_dyn_sized_stack, 0
	.set _ZN7rocprim17ROCPRIM_400000_NS6detail17trampoline_kernelINS0_14default_configENS1_20scan_config_selectorIdEEZZNS1_9scan_implILNS1_25lookback_scan_determinismE0ELb0ELb0ES3_PKdPddZZZN2at6native31launch_logcumsumexp_cuda_kernelERKNSB_10TensorBaseESF_lENKUlvE_clEvENKUlvE_clEvEUlddE_dEEDaPvRmT3_T4_T5_mT6_P12ihipStream_tbENKUlT_T0_E_clISt17integral_constantIbLb0EESV_IbLb1EEEEDaSR_SS_EUlSR_E0_NS1_11comp_targetILNS1_3genE9ELNS1_11target_archE1100ELNS1_3gpuE3ELNS1_3repE0EEENS1_30default_config_static_selectorELNS0_4arch9wavefront6targetE1EEEvT1_.has_recursion, 0
	.set _ZN7rocprim17ROCPRIM_400000_NS6detail17trampoline_kernelINS0_14default_configENS1_20scan_config_selectorIdEEZZNS1_9scan_implILNS1_25lookback_scan_determinismE0ELb0ELb0ES3_PKdPddZZZN2at6native31launch_logcumsumexp_cuda_kernelERKNSB_10TensorBaseESF_lENKUlvE_clEvENKUlvE_clEvEUlddE_dEEDaPvRmT3_T4_T5_mT6_P12ihipStream_tbENKUlT_T0_E_clISt17integral_constantIbLb0EESV_IbLb1EEEEDaSR_SS_EUlSR_E0_NS1_11comp_targetILNS1_3genE9ELNS1_11target_archE1100ELNS1_3gpuE3ELNS1_3repE0EEENS1_30default_config_static_selectorELNS0_4arch9wavefront6targetE1EEEvT1_.has_indirect_call, 0
	.section	.AMDGPU.csdata,"",@progbits
; Kernel info:
; codeLenInByte = 0
; TotalNumSgprs: 4
; NumVgprs: 0
; ScratchSize: 0
; MemoryBound: 0
; FloatMode: 240
; IeeeMode: 1
; LDSByteSize: 0 bytes/workgroup (compile time only)
; SGPRBlocks: 0
; VGPRBlocks: 0
; NumSGPRsForWavesPerEU: 4
; NumVGPRsForWavesPerEU: 1
; Occupancy: 10
; WaveLimiterHint : 0
; COMPUTE_PGM_RSRC2:SCRATCH_EN: 0
; COMPUTE_PGM_RSRC2:USER_SGPR: 6
; COMPUTE_PGM_RSRC2:TRAP_HANDLER: 0
; COMPUTE_PGM_RSRC2:TGID_X_EN: 1
; COMPUTE_PGM_RSRC2:TGID_Y_EN: 0
; COMPUTE_PGM_RSRC2:TGID_Z_EN: 0
; COMPUTE_PGM_RSRC2:TIDIG_COMP_CNT: 0
	.section	.text._ZN7rocprim17ROCPRIM_400000_NS6detail17trampoline_kernelINS0_14default_configENS1_20scan_config_selectorIdEEZZNS1_9scan_implILNS1_25lookback_scan_determinismE0ELb0ELb0ES3_PKdPddZZZN2at6native31launch_logcumsumexp_cuda_kernelERKNSB_10TensorBaseESF_lENKUlvE_clEvENKUlvE_clEvEUlddE_dEEDaPvRmT3_T4_T5_mT6_P12ihipStream_tbENKUlT_T0_E_clISt17integral_constantIbLb0EESV_IbLb1EEEEDaSR_SS_EUlSR_E0_NS1_11comp_targetILNS1_3genE8ELNS1_11target_archE1030ELNS1_3gpuE2ELNS1_3repE0EEENS1_30default_config_static_selectorELNS0_4arch9wavefront6targetE1EEEvT1_,"axG",@progbits,_ZN7rocprim17ROCPRIM_400000_NS6detail17trampoline_kernelINS0_14default_configENS1_20scan_config_selectorIdEEZZNS1_9scan_implILNS1_25lookback_scan_determinismE0ELb0ELb0ES3_PKdPddZZZN2at6native31launch_logcumsumexp_cuda_kernelERKNSB_10TensorBaseESF_lENKUlvE_clEvENKUlvE_clEvEUlddE_dEEDaPvRmT3_T4_T5_mT6_P12ihipStream_tbENKUlT_T0_E_clISt17integral_constantIbLb0EESV_IbLb1EEEEDaSR_SS_EUlSR_E0_NS1_11comp_targetILNS1_3genE8ELNS1_11target_archE1030ELNS1_3gpuE2ELNS1_3repE0EEENS1_30default_config_static_selectorELNS0_4arch9wavefront6targetE1EEEvT1_,comdat
	.globl	_ZN7rocprim17ROCPRIM_400000_NS6detail17trampoline_kernelINS0_14default_configENS1_20scan_config_selectorIdEEZZNS1_9scan_implILNS1_25lookback_scan_determinismE0ELb0ELb0ES3_PKdPddZZZN2at6native31launch_logcumsumexp_cuda_kernelERKNSB_10TensorBaseESF_lENKUlvE_clEvENKUlvE_clEvEUlddE_dEEDaPvRmT3_T4_T5_mT6_P12ihipStream_tbENKUlT_T0_E_clISt17integral_constantIbLb0EESV_IbLb1EEEEDaSR_SS_EUlSR_E0_NS1_11comp_targetILNS1_3genE8ELNS1_11target_archE1030ELNS1_3gpuE2ELNS1_3repE0EEENS1_30default_config_static_selectorELNS0_4arch9wavefront6targetE1EEEvT1_ ; -- Begin function _ZN7rocprim17ROCPRIM_400000_NS6detail17trampoline_kernelINS0_14default_configENS1_20scan_config_selectorIdEEZZNS1_9scan_implILNS1_25lookback_scan_determinismE0ELb0ELb0ES3_PKdPddZZZN2at6native31launch_logcumsumexp_cuda_kernelERKNSB_10TensorBaseESF_lENKUlvE_clEvENKUlvE_clEvEUlddE_dEEDaPvRmT3_T4_T5_mT6_P12ihipStream_tbENKUlT_T0_E_clISt17integral_constantIbLb0EESV_IbLb1EEEEDaSR_SS_EUlSR_E0_NS1_11comp_targetILNS1_3genE8ELNS1_11target_archE1030ELNS1_3gpuE2ELNS1_3repE0EEENS1_30default_config_static_selectorELNS0_4arch9wavefront6targetE1EEEvT1_
	.p2align	8
	.type	_ZN7rocprim17ROCPRIM_400000_NS6detail17trampoline_kernelINS0_14default_configENS1_20scan_config_selectorIdEEZZNS1_9scan_implILNS1_25lookback_scan_determinismE0ELb0ELb0ES3_PKdPddZZZN2at6native31launch_logcumsumexp_cuda_kernelERKNSB_10TensorBaseESF_lENKUlvE_clEvENKUlvE_clEvEUlddE_dEEDaPvRmT3_T4_T5_mT6_P12ihipStream_tbENKUlT_T0_E_clISt17integral_constantIbLb0EESV_IbLb1EEEEDaSR_SS_EUlSR_E0_NS1_11comp_targetILNS1_3genE8ELNS1_11target_archE1030ELNS1_3gpuE2ELNS1_3repE0EEENS1_30default_config_static_selectorELNS0_4arch9wavefront6targetE1EEEvT1_,@function
_ZN7rocprim17ROCPRIM_400000_NS6detail17trampoline_kernelINS0_14default_configENS1_20scan_config_selectorIdEEZZNS1_9scan_implILNS1_25lookback_scan_determinismE0ELb0ELb0ES3_PKdPddZZZN2at6native31launch_logcumsumexp_cuda_kernelERKNSB_10TensorBaseESF_lENKUlvE_clEvENKUlvE_clEvEUlddE_dEEDaPvRmT3_T4_T5_mT6_P12ihipStream_tbENKUlT_T0_E_clISt17integral_constantIbLb0EESV_IbLb1EEEEDaSR_SS_EUlSR_E0_NS1_11comp_targetILNS1_3genE8ELNS1_11target_archE1030ELNS1_3gpuE2ELNS1_3repE0EEENS1_30default_config_static_selectorELNS0_4arch9wavefront6targetE1EEEvT1_: ; @_ZN7rocprim17ROCPRIM_400000_NS6detail17trampoline_kernelINS0_14default_configENS1_20scan_config_selectorIdEEZZNS1_9scan_implILNS1_25lookback_scan_determinismE0ELb0ELb0ES3_PKdPddZZZN2at6native31launch_logcumsumexp_cuda_kernelERKNSB_10TensorBaseESF_lENKUlvE_clEvENKUlvE_clEvEUlddE_dEEDaPvRmT3_T4_T5_mT6_P12ihipStream_tbENKUlT_T0_E_clISt17integral_constantIbLb0EESV_IbLb1EEEEDaSR_SS_EUlSR_E0_NS1_11comp_targetILNS1_3genE8ELNS1_11target_archE1030ELNS1_3gpuE2ELNS1_3repE0EEENS1_30default_config_static_selectorELNS0_4arch9wavefront6targetE1EEEvT1_
; %bb.0:
	.section	.rodata,"a",@progbits
	.p2align	6, 0x0
	.amdhsa_kernel _ZN7rocprim17ROCPRIM_400000_NS6detail17trampoline_kernelINS0_14default_configENS1_20scan_config_selectorIdEEZZNS1_9scan_implILNS1_25lookback_scan_determinismE0ELb0ELb0ES3_PKdPddZZZN2at6native31launch_logcumsumexp_cuda_kernelERKNSB_10TensorBaseESF_lENKUlvE_clEvENKUlvE_clEvEUlddE_dEEDaPvRmT3_T4_T5_mT6_P12ihipStream_tbENKUlT_T0_E_clISt17integral_constantIbLb0EESV_IbLb1EEEEDaSR_SS_EUlSR_E0_NS1_11comp_targetILNS1_3genE8ELNS1_11target_archE1030ELNS1_3gpuE2ELNS1_3repE0EEENS1_30default_config_static_selectorELNS0_4arch9wavefront6targetE1EEEvT1_
		.amdhsa_group_segment_fixed_size 0
		.amdhsa_private_segment_fixed_size 0
		.amdhsa_kernarg_size 40
		.amdhsa_user_sgpr_count 6
		.amdhsa_user_sgpr_private_segment_buffer 1
		.amdhsa_user_sgpr_dispatch_ptr 0
		.amdhsa_user_sgpr_queue_ptr 0
		.amdhsa_user_sgpr_kernarg_segment_ptr 1
		.amdhsa_user_sgpr_dispatch_id 0
		.amdhsa_user_sgpr_flat_scratch_init 0
		.amdhsa_user_sgpr_private_segment_size 0
		.amdhsa_uses_dynamic_stack 0
		.amdhsa_system_sgpr_private_segment_wavefront_offset 0
		.amdhsa_system_sgpr_workgroup_id_x 1
		.amdhsa_system_sgpr_workgroup_id_y 0
		.amdhsa_system_sgpr_workgroup_id_z 0
		.amdhsa_system_sgpr_workgroup_info 0
		.amdhsa_system_vgpr_workitem_id 0
		.amdhsa_next_free_vgpr 1
		.amdhsa_next_free_sgpr 0
		.amdhsa_reserve_vcc 0
		.amdhsa_reserve_flat_scratch 0
		.amdhsa_float_round_mode_32 0
		.amdhsa_float_round_mode_16_64 0
		.amdhsa_float_denorm_mode_32 3
		.amdhsa_float_denorm_mode_16_64 3
		.amdhsa_dx10_clamp 1
		.amdhsa_ieee_mode 1
		.amdhsa_fp16_overflow 0
		.amdhsa_exception_fp_ieee_invalid_op 0
		.amdhsa_exception_fp_denorm_src 0
		.amdhsa_exception_fp_ieee_div_zero 0
		.amdhsa_exception_fp_ieee_overflow 0
		.amdhsa_exception_fp_ieee_underflow 0
		.amdhsa_exception_fp_ieee_inexact 0
		.amdhsa_exception_int_div_zero 0
	.end_amdhsa_kernel
	.section	.text._ZN7rocprim17ROCPRIM_400000_NS6detail17trampoline_kernelINS0_14default_configENS1_20scan_config_selectorIdEEZZNS1_9scan_implILNS1_25lookback_scan_determinismE0ELb0ELb0ES3_PKdPddZZZN2at6native31launch_logcumsumexp_cuda_kernelERKNSB_10TensorBaseESF_lENKUlvE_clEvENKUlvE_clEvEUlddE_dEEDaPvRmT3_T4_T5_mT6_P12ihipStream_tbENKUlT_T0_E_clISt17integral_constantIbLb0EESV_IbLb1EEEEDaSR_SS_EUlSR_E0_NS1_11comp_targetILNS1_3genE8ELNS1_11target_archE1030ELNS1_3gpuE2ELNS1_3repE0EEENS1_30default_config_static_selectorELNS0_4arch9wavefront6targetE1EEEvT1_,"axG",@progbits,_ZN7rocprim17ROCPRIM_400000_NS6detail17trampoline_kernelINS0_14default_configENS1_20scan_config_selectorIdEEZZNS1_9scan_implILNS1_25lookback_scan_determinismE0ELb0ELb0ES3_PKdPddZZZN2at6native31launch_logcumsumexp_cuda_kernelERKNSB_10TensorBaseESF_lENKUlvE_clEvENKUlvE_clEvEUlddE_dEEDaPvRmT3_T4_T5_mT6_P12ihipStream_tbENKUlT_T0_E_clISt17integral_constantIbLb0EESV_IbLb1EEEEDaSR_SS_EUlSR_E0_NS1_11comp_targetILNS1_3genE8ELNS1_11target_archE1030ELNS1_3gpuE2ELNS1_3repE0EEENS1_30default_config_static_selectorELNS0_4arch9wavefront6targetE1EEEvT1_,comdat
.Lfunc_end83:
	.size	_ZN7rocprim17ROCPRIM_400000_NS6detail17trampoline_kernelINS0_14default_configENS1_20scan_config_selectorIdEEZZNS1_9scan_implILNS1_25lookback_scan_determinismE0ELb0ELb0ES3_PKdPddZZZN2at6native31launch_logcumsumexp_cuda_kernelERKNSB_10TensorBaseESF_lENKUlvE_clEvENKUlvE_clEvEUlddE_dEEDaPvRmT3_T4_T5_mT6_P12ihipStream_tbENKUlT_T0_E_clISt17integral_constantIbLb0EESV_IbLb1EEEEDaSR_SS_EUlSR_E0_NS1_11comp_targetILNS1_3genE8ELNS1_11target_archE1030ELNS1_3gpuE2ELNS1_3repE0EEENS1_30default_config_static_selectorELNS0_4arch9wavefront6targetE1EEEvT1_, .Lfunc_end83-_ZN7rocprim17ROCPRIM_400000_NS6detail17trampoline_kernelINS0_14default_configENS1_20scan_config_selectorIdEEZZNS1_9scan_implILNS1_25lookback_scan_determinismE0ELb0ELb0ES3_PKdPddZZZN2at6native31launch_logcumsumexp_cuda_kernelERKNSB_10TensorBaseESF_lENKUlvE_clEvENKUlvE_clEvEUlddE_dEEDaPvRmT3_T4_T5_mT6_P12ihipStream_tbENKUlT_T0_E_clISt17integral_constantIbLb0EESV_IbLb1EEEEDaSR_SS_EUlSR_E0_NS1_11comp_targetILNS1_3genE8ELNS1_11target_archE1030ELNS1_3gpuE2ELNS1_3repE0EEENS1_30default_config_static_selectorELNS0_4arch9wavefront6targetE1EEEvT1_
                                        ; -- End function
	.set _ZN7rocprim17ROCPRIM_400000_NS6detail17trampoline_kernelINS0_14default_configENS1_20scan_config_selectorIdEEZZNS1_9scan_implILNS1_25lookback_scan_determinismE0ELb0ELb0ES3_PKdPddZZZN2at6native31launch_logcumsumexp_cuda_kernelERKNSB_10TensorBaseESF_lENKUlvE_clEvENKUlvE_clEvEUlddE_dEEDaPvRmT3_T4_T5_mT6_P12ihipStream_tbENKUlT_T0_E_clISt17integral_constantIbLb0EESV_IbLb1EEEEDaSR_SS_EUlSR_E0_NS1_11comp_targetILNS1_3genE8ELNS1_11target_archE1030ELNS1_3gpuE2ELNS1_3repE0EEENS1_30default_config_static_selectorELNS0_4arch9wavefront6targetE1EEEvT1_.num_vgpr, 0
	.set _ZN7rocprim17ROCPRIM_400000_NS6detail17trampoline_kernelINS0_14default_configENS1_20scan_config_selectorIdEEZZNS1_9scan_implILNS1_25lookback_scan_determinismE0ELb0ELb0ES3_PKdPddZZZN2at6native31launch_logcumsumexp_cuda_kernelERKNSB_10TensorBaseESF_lENKUlvE_clEvENKUlvE_clEvEUlddE_dEEDaPvRmT3_T4_T5_mT6_P12ihipStream_tbENKUlT_T0_E_clISt17integral_constantIbLb0EESV_IbLb1EEEEDaSR_SS_EUlSR_E0_NS1_11comp_targetILNS1_3genE8ELNS1_11target_archE1030ELNS1_3gpuE2ELNS1_3repE0EEENS1_30default_config_static_selectorELNS0_4arch9wavefront6targetE1EEEvT1_.num_agpr, 0
	.set _ZN7rocprim17ROCPRIM_400000_NS6detail17trampoline_kernelINS0_14default_configENS1_20scan_config_selectorIdEEZZNS1_9scan_implILNS1_25lookback_scan_determinismE0ELb0ELb0ES3_PKdPddZZZN2at6native31launch_logcumsumexp_cuda_kernelERKNSB_10TensorBaseESF_lENKUlvE_clEvENKUlvE_clEvEUlddE_dEEDaPvRmT3_T4_T5_mT6_P12ihipStream_tbENKUlT_T0_E_clISt17integral_constantIbLb0EESV_IbLb1EEEEDaSR_SS_EUlSR_E0_NS1_11comp_targetILNS1_3genE8ELNS1_11target_archE1030ELNS1_3gpuE2ELNS1_3repE0EEENS1_30default_config_static_selectorELNS0_4arch9wavefront6targetE1EEEvT1_.numbered_sgpr, 0
	.set _ZN7rocprim17ROCPRIM_400000_NS6detail17trampoline_kernelINS0_14default_configENS1_20scan_config_selectorIdEEZZNS1_9scan_implILNS1_25lookback_scan_determinismE0ELb0ELb0ES3_PKdPddZZZN2at6native31launch_logcumsumexp_cuda_kernelERKNSB_10TensorBaseESF_lENKUlvE_clEvENKUlvE_clEvEUlddE_dEEDaPvRmT3_T4_T5_mT6_P12ihipStream_tbENKUlT_T0_E_clISt17integral_constantIbLb0EESV_IbLb1EEEEDaSR_SS_EUlSR_E0_NS1_11comp_targetILNS1_3genE8ELNS1_11target_archE1030ELNS1_3gpuE2ELNS1_3repE0EEENS1_30default_config_static_selectorELNS0_4arch9wavefront6targetE1EEEvT1_.num_named_barrier, 0
	.set _ZN7rocprim17ROCPRIM_400000_NS6detail17trampoline_kernelINS0_14default_configENS1_20scan_config_selectorIdEEZZNS1_9scan_implILNS1_25lookback_scan_determinismE0ELb0ELb0ES3_PKdPddZZZN2at6native31launch_logcumsumexp_cuda_kernelERKNSB_10TensorBaseESF_lENKUlvE_clEvENKUlvE_clEvEUlddE_dEEDaPvRmT3_T4_T5_mT6_P12ihipStream_tbENKUlT_T0_E_clISt17integral_constantIbLb0EESV_IbLb1EEEEDaSR_SS_EUlSR_E0_NS1_11comp_targetILNS1_3genE8ELNS1_11target_archE1030ELNS1_3gpuE2ELNS1_3repE0EEENS1_30default_config_static_selectorELNS0_4arch9wavefront6targetE1EEEvT1_.private_seg_size, 0
	.set _ZN7rocprim17ROCPRIM_400000_NS6detail17trampoline_kernelINS0_14default_configENS1_20scan_config_selectorIdEEZZNS1_9scan_implILNS1_25lookback_scan_determinismE0ELb0ELb0ES3_PKdPddZZZN2at6native31launch_logcumsumexp_cuda_kernelERKNSB_10TensorBaseESF_lENKUlvE_clEvENKUlvE_clEvEUlddE_dEEDaPvRmT3_T4_T5_mT6_P12ihipStream_tbENKUlT_T0_E_clISt17integral_constantIbLb0EESV_IbLb1EEEEDaSR_SS_EUlSR_E0_NS1_11comp_targetILNS1_3genE8ELNS1_11target_archE1030ELNS1_3gpuE2ELNS1_3repE0EEENS1_30default_config_static_selectorELNS0_4arch9wavefront6targetE1EEEvT1_.uses_vcc, 0
	.set _ZN7rocprim17ROCPRIM_400000_NS6detail17trampoline_kernelINS0_14default_configENS1_20scan_config_selectorIdEEZZNS1_9scan_implILNS1_25lookback_scan_determinismE0ELb0ELb0ES3_PKdPddZZZN2at6native31launch_logcumsumexp_cuda_kernelERKNSB_10TensorBaseESF_lENKUlvE_clEvENKUlvE_clEvEUlddE_dEEDaPvRmT3_T4_T5_mT6_P12ihipStream_tbENKUlT_T0_E_clISt17integral_constantIbLb0EESV_IbLb1EEEEDaSR_SS_EUlSR_E0_NS1_11comp_targetILNS1_3genE8ELNS1_11target_archE1030ELNS1_3gpuE2ELNS1_3repE0EEENS1_30default_config_static_selectorELNS0_4arch9wavefront6targetE1EEEvT1_.uses_flat_scratch, 0
	.set _ZN7rocprim17ROCPRIM_400000_NS6detail17trampoline_kernelINS0_14default_configENS1_20scan_config_selectorIdEEZZNS1_9scan_implILNS1_25lookback_scan_determinismE0ELb0ELb0ES3_PKdPddZZZN2at6native31launch_logcumsumexp_cuda_kernelERKNSB_10TensorBaseESF_lENKUlvE_clEvENKUlvE_clEvEUlddE_dEEDaPvRmT3_T4_T5_mT6_P12ihipStream_tbENKUlT_T0_E_clISt17integral_constantIbLb0EESV_IbLb1EEEEDaSR_SS_EUlSR_E0_NS1_11comp_targetILNS1_3genE8ELNS1_11target_archE1030ELNS1_3gpuE2ELNS1_3repE0EEENS1_30default_config_static_selectorELNS0_4arch9wavefront6targetE1EEEvT1_.has_dyn_sized_stack, 0
	.set _ZN7rocprim17ROCPRIM_400000_NS6detail17trampoline_kernelINS0_14default_configENS1_20scan_config_selectorIdEEZZNS1_9scan_implILNS1_25lookback_scan_determinismE0ELb0ELb0ES3_PKdPddZZZN2at6native31launch_logcumsumexp_cuda_kernelERKNSB_10TensorBaseESF_lENKUlvE_clEvENKUlvE_clEvEUlddE_dEEDaPvRmT3_T4_T5_mT6_P12ihipStream_tbENKUlT_T0_E_clISt17integral_constantIbLb0EESV_IbLb1EEEEDaSR_SS_EUlSR_E0_NS1_11comp_targetILNS1_3genE8ELNS1_11target_archE1030ELNS1_3gpuE2ELNS1_3repE0EEENS1_30default_config_static_selectorELNS0_4arch9wavefront6targetE1EEEvT1_.has_recursion, 0
	.set _ZN7rocprim17ROCPRIM_400000_NS6detail17trampoline_kernelINS0_14default_configENS1_20scan_config_selectorIdEEZZNS1_9scan_implILNS1_25lookback_scan_determinismE0ELb0ELb0ES3_PKdPddZZZN2at6native31launch_logcumsumexp_cuda_kernelERKNSB_10TensorBaseESF_lENKUlvE_clEvENKUlvE_clEvEUlddE_dEEDaPvRmT3_T4_T5_mT6_P12ihipStream_tbENKUlT_T0_E_clISt17integral_constantIbLb0EESV_IbLb1EEEEDaSR_SS_EUlSR_E0_NS1_11comp_targetILNS1_3genE8ELNS1_11target_archE1030ELNS1_3gpuE2ELNS1_3repE0EEENS1_30default_config_static_selectorELNS0_4arch9wavefront6targetE1EEEvT1_.has_indirect_call, 0
	.section	.AMDGPU.csdata,"",@progbits
; Kernel info:
; codeLenInByte = 0
; TotalNumSgprs: 4
; NumVgprs: 0
; ScratchSize: 0
; MemoryBound: 0
; FloatMode: 240
; IeeeMode: 1
; LDSByteSize: 0 bytes/workgroup (compile time only)
; SGPRBlocks: 0
; VGPRBlocks: 0
; NumSGPRsForWavesPerEU: 4
; NumVGPRsForWavesPerEU: 1
; Occupancy: 10
; WaveLimiterHint : 0
; COMPUTE_PGM_RSRC2:SCRATCH_EN: 0
; COMPUTE_PGM_RSRC2:USER_SGPR: 6
; COMPUTE_PGM_RSRC2:TRAP_HANDLER: 0
; COMPUTE_PGM_RSRC2:TGID_X_EN: 1
; COMPUTE_PGM_RSRC2:TGID_Y_EN: 0
; COMPUTE_PGM_RSRC2:TGID_Z_EN: 0
; COMPUTE_PGM_RSRC2:TIDIG_COMP_CNT: 0
	.section	.text._ZN2at6native32tensor_kernel_scan_innermost_dimIdZZZNS0_31launch_logcumsumexp_cuda_kernelERKNS_10TensorBaseES4_lENKUlvE_clEvENKUlvE_clEvEUlddE_EEvPT_PKS8_jjjS8_T0_,"axG",@progbits,_ZN2at6native32tensor_kernel_scan_innermost_dimIdZZZNS0_31launch_logcumsumexp_cuda_kernelERKNS_10TensorBaseES4_lENKUlvE_clEvENKUlvE_clEvEUlddE_EEvPT_PKS8_jjjS8_T0_,comdat
	.globl	_ZN2at6native32tensor_kernel_scan_innermost_dimIdZZZNS0_31launch_logcumsumexp_cuda_kernelERKNS_10TensorBaseES4_lENKUlvE_clEvENKUlvE_clEvEUlddE_EEvPT_PKS8_jjjS8_T0_ ; -- Begin function _ZN2at6native32tensor_kernel_scan_innermost_dimIdZZZNS0_31launch_logcumsumexp_cuda_kernelERKNS_10TensorBaseES4_lENKUlvE_clEvENKUlvE_clEvEUlddE_EEvPT_PKS8_jjjS8_T0_
	.p2align	8
	.type	_ZN2at6native32tensor_kernel_scan_innermost_dimIdZZZNS0_31launch_logcumsumexp_cuda_kernelERKNS_10TensorBaseES4_lENKUlvE_clEvENKUlvE_clEvEUlddE_EEvPT_PKS8_jjjS8_T0_,@function
_ZN2at6native32tensor_kernel_scan_innermost_dimIdZZZNS0_31launch_logcumsumexp_cuda_kernelERKNS_10TensorBaseES4_lENKUlvE_clEvENKUlvE_clEvEUlddE_EEvPT_PKS8_jjjS8_T0_: ; @_ZN2at6native32tensor_kernel_scan_innermost_dimIdZZZNS0_31launch_logcumsumexp_cuda_kernelERKNS_10TensorBaseES4_lENKUlvE_clEvENKUlvE_clEvEUlddE_EEvPT_PKS8_jjjS8_T0_
; %bb.0:
	s_load_dwordx8 s[20:27], s[4:5], 0x0
	v_mov_b32_e32 v2, v1
	s_load_dwordx2 s[18:19], s[4:5], 0x20
	s_waitcnt lgkmcnt(0)
	s_lshl_b32 s7, 2, s26
	v_mul_lo_u32 v1, s7, v2
	s_mul_hi_u32 s0, s24, s25
	s_cmp_lg_u32 s0, 0
	s_mov_b64 s[0:1], -1
	v_lshl_add_u32 v18, v1, 3, 0
	s_cbranch_scc1 .LBB84_30
; %bb.1:
	s_load_dword s2, s[4:5], 0x3c
	s_add_u32 s0, s4, 48
	s_addc_u32 s1, s5, 0
	s_waitcnt lgkmcnt(0)
	s_lshr_b32 s2, s2, 16
	s_mul_i32 s27, s6, s2
	s_cmp_ge_u32 s27, s24
	s_cbranch_scc1 .LBB84_29
; %bb.2:
	s_load_dword s84, s[0:1], 0x0
	s_lshl_b32 s33, 1, s26
	s_cmp_lg_u32 s25, 0
	s_cselect_b64 s[8:9], -1, 0
	v_lshl_add_u32 v1, v0, 3, v18
	s_lshl_b32 s3, s7, 3
	v_cndmask_b32_e64 v3, 0, 1, s[8:9]
	s_mov_b32 s28, 0x652b82fe
	s_mov_b32 s30, 0xfefa39ef
	;; [unrolled: 1-line block ×21, first 2 shown]
	v_lshl_add_u32 v19, s33, 3, v1
	v_cmp_eq_u32_e64 s[0:1], 0, v0
	v_add3_u32 v20, v18, s3, -8
	s_waitcnt lgkmcnt(0)
	s_mul_i32 s84, s84, s2
	s_add_i32 s85, s26, 1
	v_cmp_ne_u32_e64 s[2:3], 1, v3
	v_mov_b32_e32 v4, 0
	s_movk_i32 s86, 0x1f8
	s_mov_b32 s29, 0x3ff71547
	s_mov_b32 s31, 0xbfe62e42
	;; [unrolled: 1-line block ×21, first 2 shown]
	v_mov_b32_e32 v5, 0xfca7ab0c
	v_mov_b32_e32 v6, 0x3e928af3
	;; [unrolled: 1-line block ×7, first 2 shown]
	s_mov_b32 s73, 0x3fe62e42
	s_mov_b32 s75, 0x7ff00000
	;; [unrolled: 1-line block ×3, first 2 shown]
	s_branch .LBB84_4
.LBB84_3:                               ;   in Loop: Header=BB84_4 Depth=1
	s_add_i32 s27, s27, s84
	s_cmp_ge_u32 s27, s24
	s_cbranch_scc1 .LBB84_29
.LBB84_4:                               ; =>This Loop Header: Depth=1
                                        ;     Child Loop BB84_7 Depth 2
                                        ;       Child Loop BB84_19 Depth 3
	s_and_b64 vcc, exec, s[2:3]
	s_cbranch_vccnz .LBB84_3
; %bb.5:                                ;   in Loop: Header=BB84_4 Depth=1
	v_add_u32_e32 v11, s27, v2
	v_mul_lo_u32 v3, v11, s25
	v_mov_b32_e32 v12, s23
	v_cmp_le_u32_e64 s[8:9], s24, v11
	s_mov_b32 s87, 0
	v_lshlrev_b64 v[9:10], 3, v[3:4]
	v_mov_b32_e32 v3, s21
	v_add_co_u32_e32 v24, vcc, s22, v9
	v_addc_co_u32_e32 v25, vcc, v12, v10, vcc
	v_add_co_u32_e32 v26, vcc, s20, v9
	v_addc_co_u32_e32 v27, vcc, v3, v10, vcc
	v_mov_b32_e32 v12, s18
	v_cmp_gt_u32_e32 vcc, s24, v11
	v_mov_b32_e32 v13, s19
	s_branch .LBB84_7
.LBB84_6:                               ;   in Loop: Header=BB84_7 Depth=2
	s_or_b64 exec, exec, s[12:13]
	ds_read_b64 v[12:13], v20
	s_add_i32 s87, s87, s7
	s_cmp_ge_u32 s87, s25
	s_waitcnt vmcnt(0) lgkmcnt(0)
	s_barrier
	s_cbranch_scc1 .LBB84_3
.LBB84_7:                               ;   Parent Loop BB84_4 Depth=1
                                        ; =>  This Loop Header: Depth=2
                                        ;       Child Loop BB84_19 Depth 3
	v_add_u32_e32 v3, s87, v0
	v_add_u32_e32 v9, s33, v3
	s_and_saveexec_b64 s[14:15], vcc
	s_cbranch_execz .LBB84_16
; %bb.8:                                ;   in Loop: Header=BB84_7 Depth=2
	v_mov_b32_e32 v10, s18
	v_cmp_gt_u32_e64 s[10:11], s25, v3
	v_mov_b32_e32 v11, s19
	s_and_saveexec_b64 s[12:13], s[10:11]
	s_cbranch_execz .LBB84_10
; %bb.9:                                ;   in Loop: Header=BB84_7 Depth=2
	v_lshlrev_b64 v[10:11], 3, v[3:4]
	v_add_co_u32_e64 v10, s[10:11], v24, v10
	v_addc_co_u32_e64 v11, s[10:11], v25, v11, s[10:11]
	global_load_dwordx2 v[10:11], v[10:11], off
.LBB84_10:                              ;   in Loop: Header=BB84_7 Depth=2
	s_or_b64 exec, exec, s[12:13]
	s_waitcnt vmcnt(0)
	ds_write_b64 v1, v[10:11]
	v_mov_b32_e32 v10, s18
	v_cmp_gt_u32_e64 s[10:11], s25, v9
	v_mov_b32_e32 v11, s19
	s_and_saveexec_b64 s[12:13], s[10:11]
	s_cbranch_execz .LBB84_12
; %bb.11:                               ;   in Loop: Header=BB84_7 Depth=2
	v_mov_b32_e32 v10, v4
	v_lshlrev_b64 v[10:11], 3, v[9:10]
	v_add_co_u32_e64 v10, s[10:11], v24, v10
	v_addc_co_u32_e64 v11, s[10:11], v25, v11, s[10:11]
	global_load_dwordx2 v[10:11], v[10:11], off
.LBB84_12:                              ;   in Loop: Header=BB84_7 Depth=2
	s_or_b64 exec, exec, s[12:13]
	s_waitcnt vmcnt(0)
	ds_write_b64 v19, v[10:11]
	s_and_b64 exec, exec, s[0:1]
	s_cbranch_execz .LBB84_16
; %bb.13:                               ;   in Loop: Header=BB84_7 Depth=2
	ds_read_b64 v[14:15], v18
	v_max_f64 v[10:11], v[12:13], v[12:13]
	v_cmp_u_f64_e64 s[12:13], v[12:13], v[12:13]
	s_waitcnt lgkmcnt(0)
	v_max_f64 v[16:17], v[14:15], v[14:15]
	v_cmp_u_f64_e64 s[10:11], v[14:15], v[14:15]
	v_min_f64 v[28:29], v[16:17], v[10:11]
	v_max_f64 v[10:11], v[16:17], v[10:11]
	v_cndmask_b32_e64 v16, v28, v14, s[10:11]
	v_cndmask_b32_e64 v17, v29, v15, s[10:11]
	;; [unrolled: 1-line block ×8, first 2 shown]
	v_cmp_neq_f64_e64 s[10:11], v[16:17], v[10:11]
	v_cmp_class_f64_e64 s[12:13], v[16:17], s86
	s_or_b64 s[10:11], s[10:11], s[12:13]
	s_and_saveexec_b64 s[16:17], s[10:11]
	s_cbranch_execz .LBB84_15
; %bb.14:                               ;   in Loop: Header=BB84_7 Depth=2
	v_add_f64 v[12:13], v[16:17], -v[10:11]
	s_mov_b32 s71, s59
	s_mov_b32 s72, s30
	;; [unrolled: 1-line block ×3, first 2 shown]
	v_mul_f64 v[14:15], v[12:13], s[28:29]
	v_cmp_nlt_f64_e64 s[10:11], s[54:55], v[12:13]
	v_cmp_ngt_f64_e64 s[12:13], s[56:57], v[12:13]
	v_rndne_f64_e32 v[14:15], v[14:15]
	v_fma_f64 v[16:17], v[14:15], s[30:31], v[12:13]
	v_fma_f64 v[16:17], v[14:15], s[34:35], v[16:17]
	v_cvt_i32_f64_e32 v14, v[14:15]
	v_fma_f64 v[28:29], v[16:17], s[36:37], v[5:6]
	v_fma_f64 v[28:29], v[16:17], v[28:29], s[38:39]
	;; [unrolled: 1-line block ×9, first 2 shown]
	v_fma_f64 v[28:29], v[16:17], v[28:29], 1.0
	v_fma_f64 v[16:17], v[16:17], v[28:29], 1.0
	v_ldexp_f64 v[14:15], v[16:17], v14
	v_cndmask_b32_e64 v15, v21, v15, s[10:11]
	s_and_b64 s[10:11], s[12:13], s[10:11]
	v_cndmask_b32_e64 v13, 0, v15, s[12:13]
	v_cndmask_b32_e64 v12, 0, v14, s[10:11]
	v_add_f64 v[14:15], v[12:13], 1.0
	v_cmp_neq_f64_e64 s[12:13], s[74:75], v[12:13]
	v_frexp_mant_f64_e32 v[28:29], v[14:15]
	v_frexp_exp_i32_f64_e32 v32, v[14:15]
	v_add_f64 v[16:17], v[14:15], -1.0
	v_cmp_gt_f64_e64 s[10:11], s[58:59], v[28:29]
	v_add_f64 v[30:31], v[16:17], -v[14:15]
	v_add_f64 v[16:17], v[12:13], -v[16:17]
	v_subbrev_co_u32_e64 v46, s[10:11], 0, v32, s[10:11]
	v_sub_u32_e32 v32, 0, v46
	v_ldexp_f64 v[14:15], v[14:15], v32
	v_add_f64 v[28:29], v[30:31], 1.0
	v_cmp_nge_f64_e64 s[10:11], -1.0, v[12:13]
	v_add_f64 v[30:31], v[14:15], 1.0
	v_add_f64 v[16:17], v[16:17], v[28:29]
	v_add_f64 v[36:37], v[14:15], -1.0
	s_and_b64 s[10:11], s[10:11], s[12:13]
	v_add_f64 v[28:29], v[30:31], -1.0
	v_ldexp_f64 v[16:17], v[16:17], v32
	v_add_f64 v[38:39], v[36:37], 1.0
	v_add_f64 v[28:29], v[14:15], -v[28:29]
	v_add_f64 v[14:15], v[14:15], -v[38:39]
	v_add_f64 v[28:29], v[16:17], v[28:29]
	v_add_f64 v[14:15], v[16:17], v[14:15]
	;; [unrolled: 1-line block ×4, first 2 shown]
	v_rcp_f64_e32 v[34:35], v[32:33]
	v_add_f64 v[30:31], v[32:33], -v[30:31]
	v_add_f64 v[36:37], v[38:39], -v[36:37]
	;; [unrolled: 1-line block ×4, first 2 shown]
	v_fma_f64 v[40:41], -v[32:33], v[34:35], 1.0
	v_fma_f64 v[34:35], v[40:41], v[34:35], v[34:35]
	v_fma_f64 v[16:17], -v[32:33], v[34:35], 1.0
	v_fma_f64 v[16:17], v[16:17], v[34:35], v[34:35]
	v_mul_f64 v[34:35], v[38:39], v[16:17]
	v_mul_f64 v[40:41], v[32:33], v[34:35]
	v_fma_f64 v[30:31], v[34:35], v[32:33], -v[40:41]
	v_fma_f64 v[30:31], v[34:35], v[28:29], v[30:31]
	v_add_f64 v[42:43], v[40:41], v[30:31]
	v_add_f64 v[44:45], v[38:39], -v[42:43]
	v_add_f64 v[36:37], v[42:43], -v[40:41]
	;; [unrolled: 1-line block ×5, first 2 shown]
	v_add_f64 v[14:15], v[14:15], v[38:39]
	v_add_f64 v[14:15], v[30:31], v[14:15]
	;; [unrolled: 1-line block ×3, first 2 shown]
	v_mul_f64 v[36:37], v[16:17], v[30:31]
	v_add_f64 v[42:43], v[44:45], -v[30:31]
	v_mul_f64 v[38:39], v[32:33], v[36:37]
	v_add_f64 v[14:15], v[14:15], v[42:43]
	v_fma_f64 v[32:33], v[36:37], v[32:33], -v[38:39]
	v_fma_f64 v[28:29], v[36:37], v[28:29], v[32:33]
	v_add_f64 v[32:33], v[38:39], v[28:29]
	v_add_f64 v[40:41], v[30:31], -v[32:33]
	v_add_f64 v[38:39], v[32:33], -v[38:39]
	;; [unrolled: 1-line block ×5, first 2 shown]
	v_add_f64 v[14:15], v[14:15], v[30:31]
	v_add_f64 v[30:31], v[34:35], v[36:37]
	;; [unrolled: 1-line block ×3, first 2 shown]
	v_add_f64 v[28:29], v[30:31], -v[34:35]
	v_add_f64 v[14:15], v[40:41], v[14:15]
	v_add_f64 v[28:29], v[36:37], -v[28:29]
	v_mul_f64 v[14:15], v[16:17], v[14:15]
	v_add_f64 v[14:15], v[28:29], v[14:15]
	v_add_f64 v[16:17], v[30:31], v[14:15]
	v_mul_f64 v[28:29], v[16:17], v[16:17]
	v_fma_f64 v[32:33], v[28:29], s[60:61], v[7:8]
	v_mul_f64 v[34:35], v[16:17], v[28:29]
	v_fma_f64 v[32:33], v[28:29], v[32:33], s[62:63]
	v_fma_f64 v[32:33], v[28:29], v[32:33], s[64:65]
	;; [unrolled: 1-line block ×5, first 2 shown]
	v_ldexp_f64 v[32:33], v[16:17], 1
	v_add_f64 v[16:17], v[16:17], -v[30:31]
	v_mul_f64 v[28:29], v[34:35], v[28:29]
	v_cvt_f64_i32_e32 v[34:35], v46
	v_add_f64 v[14:15], v[14:15], -v[16:17]
	v_mul_f64 v[36:37], v[34:35], s[72:73]
	v_add_f64 v[30:31], v[32:33], v[28:29]
	v_ldexp_f64 v[14:15], v[14:15], 1
	v_add_f64 v[16:17], v[30:31], -v[32:33]
	v_fma_f64 v[32:33], v[34:35], s[72:73], -v[36:37]
	v_add_f64 v[16:17], v[28:29], -v[16:17]
	v_fma_f64 v[28:29], v[34:35], s[76:77], v[32:33]
	v_add_f64 v[14:15], v[14:15], v[16:17]
	v_add_f64 v[16:17], v[36:37], v[28:29]
	;; [unrolled: 1-line block ×3, first 2 shown]
	v_add_f64 v[36:37], v[16:17], -v[36:37]
	v_add_f64 v[34:35], v[16:17], v[32:33]
	v_add_f64 v[30:31], v[32:33], -v[30:31]
	v_add_f64 v[28:29], v[28:29], -v[36:37]
	;; [unrolled: 1-line block ×6, first 2 shown]
	v_add_f64 v[32:33], v[28:29], v[14:15]
	v_add_f64 v[16:17], v[16:17], -v[40:41]
	v_add_f64 v[16:17], v[30:31], v[16:17]
	v_add_f64 v[30:31], v[32:33], -v[28:29]
	;; [unrolled: 2-line block ×3, first 2 shown]
	v_add_f64 v[14:15], v[14:15], -v[30:31]
	v_add_f64 v[36:37], v[34:35], v[16:17]
	v_add_f64 v[28:29], v[28:29], -v[32:33]
	v_add_f64 v[30:31], v[36:37], -v[34:35]
	v_add_f64 v[14:15], v[14:15], v[28:29]
	v_add_f64 v[16:17], v[16:17], -v[30:31]
	v_add_f64 v[14:15], v[14:15], v[16:17]
	v_add_f64 v[14:15], v[36:37], v[14:15]
	v_cndmask_b32_e64 v14, 0, v14, s[10:11]
	v_cmp_ngt_f64_e64 s[10:11], -1.0, v[12:13]
	v_cndmask_b32_e64 v15, v21, v15, s[12:13]
	v_cndmask_b32_e64 v15, v22, v15, s[10:11]
	v_cmp_neq_f64_e64 s[10:11], -1.0, v[12:13]
	v_cndmask_b32_e64 v15, v23, v15, s[10:11]
	v_add_f64 v[14:15], v[10:11], v[14:15]
.LBB84_15:                              ;   in Loop: Header=BB84_7 Depth=2
	s_or_b64 exec, exec, s[16:17]
	ds_write_b64 v18, v[14:15]
.LBB84_16:                              ;   in Loop: Header=BB84_7 Depth=2
	s_or_b64 exec, exec, s[14:15]
	v_mov_b32_e32 v10, 0
	s_mov_b64 s[78:79], 0
	s_waitcnt lgkmcnt(0)
	s_barrier
	s_branch .LBB84_19
.LBB84_17:                              ;   in Loop: Header=BB84_19 Depth=3
	s_or_b64 exec, exec, s[82:83]
	ds_write_b64 v17, v[12:13]
.LBB84_18:                              ;   in Loop: Header=BB84_19 Depth=3
	s_or_b64 exec, exec, s[80:81]
	v_cmp_eq_u32_e64 s[10:11], s85, v16
	s_or_b64 s[78:79], s[10:11], s[78:79]
	v_mov_b32_e32 v10, v16
	s_waitcnt lgkmcnt(0)
	s_barrier
	s_andn2_b64 exec, exec, s[78:79]
	s_cbranch_execz .LBB84_24
.LBB84_19:                              ;   Parent Loop BB84_4 Depth=1
                                        ;     Parent Loop BB84_7 Depth=2
                                        ; =>    This Inner Loop Header: Depth=3
	v_add_u32_e32 v16, 1, v10
	s_and_saveexec_b64 s[10:11], s[8:9]
	s_xor_b64 s[10:11], exec, s[10:11]
; %bb.20:                               ;   in Loop: Header=BB84_19 Depth=3
	v_add_u32_e32 v16, 1, v10
                                        ; implicit-def: $vgpr10
; %bb.21:                               ;   in Loop: Header=BB84_19 Depth=3
	s_andn2_saveexec_b64 s[80:81], s[10:11]
	s_cbranch_execz .LBB84_18
; %bb.22:                               ;   in Loop: Header=BB84_19 Depth=3
	v_lshlrev_b32_e64 v11, v10, 1
	v_lshrrev_b32_e32 v12, v10, v0
	v_lshl_or_b32 v11, v12, v16, v11
	v_bfm_b32 v10, v10, 0
	v_and_b32_e32 v10, v10, v0
	v_lshl_add_u32 v11, v11, 3, v18
	v_lshl_add_u32 v17, v10, 3, v11
	v_add_u32_e32 v10, -8, v11
	ds_read_b64 v[10:11], v10
	ds_read_b64 v[12:13], v17
	s_waitcnt lgkmcnt(1)
	v_max_f64 v[14:15], v[10:11], v[10:11]
	s_waitcnt lgkmcnt(0)
	v_max_f64 v[28:29], v[12:13], v[12:13]
	v_cmp_u_f64_e64 s[10:11], v[12:13], v[12:13]
	v_cmp_u_f64_e64 s[12:13], v[10:11], v[10:11]
	v_min_f64 v[30:31], v[28:29], v[14:15]
	v_max_f64 v[14:15], v[28:29], v[14:15]
	v_cndmask_b32_e64 v28, v30, v12, s[10:11]
	v_cndmask_b32_e64 v29, v31, v13, s[10:11]
	;; [unrolled: 1-line block ×8, first 2 shown]
	v_cmp_neq_f64_e64 s[10:11], v[14:15], v[10:11]
	v_cmp_class_f64_e64 s[12:13], v[14:15], s86
	s_or_b64 s[10:11], s[10:11], s[12:13]
	s_and_saveexec_b64 s[82:83], s[10:11]
	s_cbranch_execz .LBB84_17
; %bb.23:                               ;   in Loop: Header=BB84_19 Depth=3
	v_add_f64 v[12:13], v[14:15], -v[10:11]
	s_mov_b32 s71, s59
	s_mov_b32 s72, s30
	;; [unrolled: 1-line block ×3, first 2 shown]
	v_mul_f64 v[14:15], v[12:13], s[28:29]
	v_cmp_nlt_f64_e64 s[10:11], s[54:55], v[12:13]
	v_cmp_ngt_f64_e64 s[12:13], s[56:57], v[12:13]
	v_rndne_f64_e32 v[14:15], v[14:15]
	s_and_b64 s[14:15], s[12:13], s[10:11]
	v_fma_f64 v[28:29], v[14:15], s[30:31], v[12:13]
	v_fma_f64 v[28:29], v[14:15], s[34:35], v[28:29]
	v_cvt_i32_f64_e32 v14, v[14:15]
	v_fma_f64 v[30:31], v[28:29], s[36:37], v[5:6]
	v_fma_f64 v[30:31], v[28:29], v[30:31], s[38:39]
	;; [unrolled: 1-line block ×9, first 2 shown]
	v_fma_f64 v[30:31], v[28:29], v[30:31], 1.0
	v_fma_f64 v[28:29], v[28:29], v[30:31], 1.0
	v_ldexp_f64 v[12:13], v[28:29], v14
	v_cndmask_b32_e64 v13, v21, v13, s[10:11]
	v_cndmask_b32_e64 v12, 0, v12, s[14:15]
	;; [unrolled: 1-line block ×3, first 2 shown]
	v_add_f64 v[14:15], v[12:13], 1.0
	v_cmp_neq_f64_e64 s[12:13], s[74:75], v[12:13]
	v_cmp_ngt_f64_e64 s[14:15], -1.0, v[12:13]
	v_cmp_neq_f64_e64 s[16:17], -1.0, v[12:13]
	v_frexp_mant_f64_e32 v[28:29], v[14:15]
	v_frexp_exp_i32_f64_e32 v32, v[14:15]
	v_add_f64 v[30:31], v[14:15], -1.0
	v_cmp_gt_f64_e64 s[10:11], s[58:59], v[28:29]
	v_add_f64 v[28:29], v[30:31], -v[14:15]
	v_add_f64 v[30:31], v[12:13], -v[30:31]
	v_subbrev_co_u32_e64 v48, s[10:11], 0, v32, s[10:11]
	v_sub_u32_e32 v34, 0, v48
	v_ldexp_f64 v[14:15], v[14:15], v34
	v_add_f64 v[28:29], v[28:29], 1.0
	v_cmp_nge_f64_e64 s[10:11], -1.0, v[12:13]
	v_add_f64 v[32:33], v[14:15], 1.0
	v_add_f64 v[28:29], v[30:31], v[28:29]
	v_add_f64 v[38:39], v[14:15], -1.0
	s_and_b64 s[10:11], s[10:11], s[12:13]
	v_add_f64 v[30:31], v[32:33], -1.0
	v_ldexp_f64 v[28:29], v[28:29], v34
	v_add_f64 v[40:41], v[38:39], 1.0
	v_add_f64 v[30:31], v[14:15], -v[30:31]
	v_add_f64 v[14:15], v[14:15], -v[40:41]
	v_add_f64 v[30:31], v[28:29], v[30:31]
	v_add_f64 v[14:15], v[28:29], v[14:15]
	;; [unrolled: 1-line block ×4, first 2 shown]
	v_rcp_f64_e32 v[36:37], v[34:35]
	v_add_f64 v[32:33], v[34:35], -v[32:33]
	v_add_f64 v[38:39], v[40:41], -v[38:39]
	;; [unrolled: 1-line block ×4, first 2 shown]
	v_fma_f64 v[42:43], -v[34:35], v[36:37], 1.0
	v_fma_f64 v[36:37], v[42:43], v[36:37], v[36:37]
	v_fma_f64 v[28:29], -v[34:35], v[36:37], 1.0
	v_fma_f64 v[28:29], v[28:29], v[36:37], v[36:37]
	v_mul_f64 v[36:37], v[40:41], v[28:29]
	v_mul_f64 v[42:43], v[34:35], v[36:37]
	v_fma_f64 v[32:33], v[36:37], v[34:35], -v[42:43]
	v_fma_f64 v[32:33], v[36:37], v[30:31], v[32:33]
	v_add_f64 v[44:45], v[42:43], v[32:33]
	v_add_f64 v[46:47], v[40:41], -v[44:45]
	v_add_f64 v[38:39], v[44:45], -v[42:43]
	;; [unrolled: 1-line block ×5, first 2 shown]
	v_add_f64 v[14:15], v[14:15], v[40:41]
	v_add_f64 v[14:15], v[32:33], v[14:15]
	;; [unrolled: 1-line block ×3, first 2 shown]
	v_mul_f64 v[38:39], v[28:29], v[32:33]
	v_add_f64 v[44:45], v[46:47], -v[32:33]
	v_mul_f64 v[40:41], v[34:35], v[38:39]
	v_add_f64 v[14:15], v[14:15], v[44:45]
	v_fma_f64 v[34:35], v[38:39], v[34:35], -v[40:41]
	v_fma_f64 v[30:31], v[38:39], v[30:31], v[34:35]
	v_add_f64 v[34:35], v[40:41], v[30:31]
	v_add_f64 v[42:43], v[32:33], -v[34:35]
	v_add_f64 v[40:41], v[34:35], -v[40:41]
	;; [unrolled: 1-line block ×5, first 2 shown]
	v_add_f64 v[14:15], v[14:15], v[32:33]
	v_add_f64 v[32:33], v[36:37], v[38:39]
	;; [unrolled: 1-line block ×3, first 2 shown]
	v_add_f64 v[30:31], v[32:33], -v[36:37]
	v_add_f64 v[14:15], v[42:43], v[14:15]
	v_add_f64 v[30:31], v[38:39], -v[30:31]
	v_mul_f64 v[14:15], v[28:29], v[14:15]
	v_add_f64 v[14:15], v[30:31], v[14:15]
	v_add_f64 v[28:29], v[32:33], v[14:15]
	v_mul_f64 v[30:31], v[28:29], v[28:29]
	v_fma_f64 v[34:35], v[30:31], s[60:61], v[7:8]
	v_mul_f64 v[36:37], v[28:29], v[30:31]
	v_fma_f64 v[34:35], v[30:31], v[34:35], s[62:63]
	v_fma_f64 v[34:35], v[30:31], v[34:35], s[64:65]
	;; [unrolled: 1-line block ×5, first 2 shown]
	v_ldexp_f64 v[34:35], v[28:29], 1
	v_add_f64 v[28:29], v[28:29], -v[32:33]
	v_mul_f64 v[30:31], v[36:37], v[30:31]
	v_cvt_f64_i32_e32 v[36:37], v48
	v_add_f64 v[14:15], v[14:15], -v[28:29]
	v_mul_f64 v[38:39], v[36:37], s[72:73]
	v_add_f64 v[32:33], v[34:35], v[30:31]
	v_ldexp_f64 v[14:15], v[14:15], 1
	v_add_f64 v[28:29], v[32:33], -v[34:35]
	v_fma_f64 v[34:35], v[36:37], s[72:73], -v[38:39]
	v_add_f64 v[28:29], v[30:31], -v[28:29]
	v_fma_f64 v[30:31], v[36:37], s[76:77], v[34:35]
	v_add_f64 v[14:15], v[14:15], v[28:29]
	v_add_f64 v[28:29], v[38:39], v[30:31]
	;; [unrolled: 1-line block ×3, first 2 shown]
	v_add_f64 v[38:39], v[28:29], -v[38:39]
	v_add_f64 v[36:37], v[28:29], v[34:35]
	v_add_f64 v[32:33], v[34:35], -v[32:33]
	v_add_f64 v[30:31], v[30:31], -v[38:39]
	;; [unrolled: 1-line block ×6, first 2 shown]
	v_add_f64 v[34:35], v[30:31], v[14:15]
	v_add_f64 v[28:29], v[28:29], -v[42:43]
	v_add_f64 v[28:29], v[32:33], v[28:29]
	v_add_f64 v[32:33], v[34:35], -v[30:31]
	;; [unrolled: 2-line block ×3, first 2 shown]
	v_add_f64 v[14:15], v[14:15], -v[32:33]
	v_add_f64 v[38:39], v[36:37], v[28:29]
	v_add_f64 v[30:31], v[30:31], -v[34:35]
	v_add_f64 v[32:33], v[38:39], -v[36:37]
	v_add_f64 v[14:15], v[14:15], v[30:31]
	v_add_f64 v[28:29], v[28:29], -v[32:33]
	v_add_f64 v[14:15], v[14:15], v[28:29]
	v_add_f64 v[14:15], v[38:39], v[14:15]
	v_cndmask_b32_e64 v13, v21, v15, s[12:13]
	v_cndmask_b32_e64 v13, v22, v13, s[14:15]
	;; [unrolled: 1-line block ×4, first 2 shown]
	v_add_f64 v[12:13], v[10:11], v[12:13]
	s_branch .LBB84_17
.LBB84_24:                              ;   in Loop: Header=BB84_7 Depth=2
	s_or_b64 exec, exec, s[78:79]
	s_and_saveexec_b64 s[12:13], vcc
	s_cbranch_execz .LBB84_6
; %bb.25:                               ;   in Loop: Header=BB84_7 Depth=2
	v_cmp_gt_u32_e64 s[10:11], s25, v3
	s_and_saveexec_b64 s[14:15], s[10:11]
	s_cbranch_execz .LBB84_27
; %bb.26:                               ;   in Loop: Header=BB84_7 Depth=2
	ds_read_b64 v[12:13], v1
	v_lshlrev_b64 v[10:11], 3, v[3:4]
	v_add_co_u32_e64 v10, s[10:11], v26, v10
	v_addc_co_u32_e64 v11, s[10:11], v27, v11, s[10:11]
	s_waitcnt lgkmcnt(0)
	global_store_dwordx2 v[10:11], v[12:13], off
.LBB84_27:                              ;   in Loop: Header=BB84_7 Depth=2
	s_or_b64 exec, exec, s[14:15]
	v_cmp_gt_u32_e64 s[10:11], s25, v9
	s_and_b64 exec, exec, s[10:11]
	s_cbranch_execz .LBB84_6
; %bb.28:                               ;   in Loop: Header=BB84_7 Depth=2
	v_mov_b32_e32 v10, v4
	ds_read_b64 v[11:12], v19
	v_lshlrev_b64 v[9:10], 3, v[9:10]
	v_add_co_u32_e64 v9, s[10:11], v26, v9
	v_addc_co_u32_e64 v10, s[10:11], v27, v10, s[10:11]
	s_waitcnt lgkmcnt(0)
	global_store_dwordx2 v[9:10], v[11:12], off
	s_branch .LBB84_6
.LBB84_29:
	s_mov_b64 s[0:1], 0
.LBB84_30:
	s_andn2_b64 vcc, exec, s[0:1]
	s_cbranch_vccnz .LBB84_61
; %bb.31:
	s_load_dword s2, s[4:5], 0x3c
	s_add_u32 s0, s4, 48
	s_mov_b32 s10, s24
	s_mov_b32 s11, 0
	s_addc_u32 s1, s5, 0
	s_waitcnt lgkmcnt(0)
	s_lshr_b32 s2, s2, 16
	v_mov_b32_e32 v3, s10
	s_mul_hi_u32 s13, s2, s6
	s_mul_i32 s12, s2, s6
	v_mov_b32_e32 v4, s11
	v_cmp_ge_u64_e32 vcc, s[12:13], v[3:4]
	s_cbranch_vccnz .LBB84_61
; %bb.32:
	s_lshl_b32 s14, 1, s26
	s_load_dword s5, s[0:1], 0x0
	s_and_b32 s4, 0xffff, s2
	s_ashr_i32 s15, s14, 31
	s_cmp_lg_u32 s25, 0
	s_mov_b32 s16, s25
	s_cselect_b64 s[2:3], -1, 0
	s_lshl_b64 s[24:25], s[14:15], 1
	v_lshl_add_u32 v17, v0, 3, v18
	s_lshl_b32 s6, s24, 3
	s_add_i32 s84, s26, 1
	v_cndmask_b32_e64 v3, 0, 1, s[2:3]
	s_mov_b32 s26, 0x652b82fe
	s_mov_b32 s28, 0xfefa39ef
	;; [unrolled: 1-line block ×21, first 2 shown]
	v_mov_b32_e32 v1, 0
	s_mov_b32 s17, s11
	v_lshl_add_u32 v19, s14, 3, v17
	v_cmp_eq_u32_e64 s[0:1], 0, v0
	v_add3_u32 v20, v18, s6, -8
	s_waitcnt lgkmcnt(0)
	s_mul_i32 s33, s5, s4
	v_cmp_ne_u32_e64 s[2:3], 1, v3
	s_movk_i32 s85, 0x1f8
	s_mov_b32 s27, 0x3ff71547
	s_mov_b32 s29, 0xbfe62e42
	s_mov_b32 s31, 0xbc7abc9e
	s_mov_b32 s35, 0x3e5ade15
	s_mov_b32 s37, 0x3ec71dee
	s_mov_b32 s39, 0x3efa0199
	s_mov_b32 s41, 0x3f2a01a0
	s_mov_b32 s43, 0x3f56c16c
	s_mov_b32 s45, 0x3f811111
	s_mov_b32 s47, 0x3fa55555
	s_mov_b32 s49, 0x3fc55555
	s_mov_b32 s51, 0x3fe00000
	s_mov_b32 s53, 0x40900000
	s_mov_b32 s55, 0xc090cc00
	s_mov_b32 s57, 0x3fe55555
	s_mov_b32 s59, 0x3fc3ab76
	s_mov_b32 s61, 0x3fc7474d
	s_mov_b32 s63, 0x3fcc71c0
	s_mov_b32 s65, 0x3fd24924
	s_mov_b32 s67, 0x3fd99999
	s_mov_b32 s68, 0x55555780
	s_mov_b32 s71, 0x3fe62e42
	s_mov_b32 s73, 0x3c7abc9e
	s_mov_b32 s75, 0x7ff00000
	v_mov_b32_e32 v3, 0xfca7ab0c
	v_mov_b32_e32 v4, 0x3e928af3
	;; [unrolled: 1-line block ×7, first 2 shown]
	s_branch .LBB84_34
.LBB84_33:                              ;   in Loop: Header=BB84_34 Depth=1
	s_add_u32 s12, s12, s33
	v_mov_b32_e32 v7, s10
	s_addc_u32 s13, s13, 0
	v_mov_b32_e32 v8, s11
	v_cmp_ge_u64_e32 vcc, s[12:13], v[7:8]
	s_cbranch_vccnz .LBB84_61
.LBB84_34:                              ; =>This Loop Header: Depth=1
                                        ;     Child Loop BB84_37 Depth 2
                                        ;       Child Loop BB84_49 Depth 3
	s_and_b64 vcc, exec, s[2:3]
	s_cbranch_vccnz .LBB84_33
; %bb.35:                               ;   in Loop: Header=BB84_34 Depth=1
	v_add_co_u32_e32 v7, vcc, s12, v2
	v_mad_u64_u32 v[9:10], s[4:5], v7, s16, 0
	v_mov_b32_e32 v8, s13
	v_addc_co_u32_e32 v8, vcc, 0, v8, vcc
	v_mad_u64_u32 v[10:11], s[4:5], v8, s16, v[10:11]
	v_mov_b32_e32 v11, s23
	v_cmp_gt_u64_e64 s[4:5], s[10:11], v[7:8]
	v_lshlrev_b64 v[9:10], 3, v[9:10]
	v_cmp_le_u64_e64 s[6:7], s[10:11], v[7:8]
	v_add_co_u32_e32 v24, vcc, s22, v9
	v_addc_co_u32_e32 v25, vcc, v11, v10, vcc
	v_mov_b32_e32 v11, s21
	v_add_co_u32_e32 v26, vcc, s20, v9
	v_addc_co_u32_e32 v27, vcc, v11, v10, vcc
	v_mov_b32_e32 v11, s18
	s_mov_b64 s[76:77], 0
	v_mov_b32_e32 v12, s19
	s_branch .LBB84_37
.LBB84_36:                              ;   in Loop: Header=BB84_37 Depth=2
	s_or_b64 exec, exec, s[8:9]
	ds_read_b64 v[11:12], v20
	s_add_u32 s76, s76, s24
	v_mov_b32_e32 v7, s16
	s_addc_u32 s77, s77, s25
	v_mov_b32_e32 v8, s17
	v_cmp_ge_u64_e32 vcc, s[76:77], v[7:8]
	s_waitcnt lgkmcnt(0)
	s_waitcnt vmcnt(0)
	s_barrier
	s_cbranch_vccnz .LBB84_33
.LBB84_37:                              ;   Parent Loop BB84_34 Depth=1
                                        ; =>  This Loop Header: Depth=2
                                        ;       Child Loop BB84_49 Depth 3
	v_mov_b32_e32 v7, s77
	v_add_co_u32_e32 v9, vcc, s76, v0
	v_addc_co_u32_e32 v10, vcc, 0, v7, vcc
	v_mov_b32_e32 v8, s15
	v_add_co_u32_e32 v7, vcc, s14, v9
	v_addc_co_u32_e32 v8, vcc, v10, v8, vcc
	s_and_saveexec_b64 s[78:79], s[4:5]
	s_cbranch_execz .LBB84_46
; %bb.38:                               ;   in Loop: Header=BB84_37 Depth=2
	v_cmp_gt_u64_e32 vcc, s[16:17], v[9:10]
	v_mov_b32_e32 v13, s18
	v_mov_b32_e32 v14, s19
	s_and_saveexec_b64 s[8:9], vcc
	s_cbranch_execz .LBB84_40
; %bb.39:                               ;   in Loop: Header=BB84_37 Depth=2
	v_lshlrev_b64 v[13:14], 3, v[9:10]
	v_add_co_u32_e32 v13, vcc, v24, v13
	v_addc_co_u32_e32 v14, vcc, v25, v14, vcc
	global_load_dwordx2 v[13:14], v[13:14], off
.LBB84_40:                              ;   in Loop: Header=BB84_37 Depth=2
	s_or_b64 exec, exec, s[8:9]
	s_waitcnt vmcnt(0)
	ds_write_b64 v17, v[13:14]
	v_cmp_gt_u64_e32 vcc, s[16:17], v[7:8]
	v_mov_b32_e32 v13, s18
	v_mov_b32_e32 v14, s19
	s_and_saveexec_b64 s[8:9], vcc
	s_cbranch_execz .LBB84_42
; %bb.41:                               ;   in Loop: Header=BB84_37 Depth=2
	v_lshlrev_b64 v[13:14], 3, v[7:8]
	v_add_co_u32_e32 v13, vcc, v24, v13
	v_addc_co_u32_e32 v14, vcc, v25, v14, vcc
	global_load_dwordx2 v[13:14], v[13:14], off
.LBB84_42:                              ;   in Loop: Header=BB84_37 Depth=2
	s_or_b64 exec, exec, s[8:9]
	s_waitcnt vmcnt(0)
	ds_write_b64 v19, v[13:14]
	s_and_b64 exec, exec, s[0:1]
	s_cbranch_execz .LBB84_46
; %bb.43:                               ;   in Loop: Header=BB84_37 Depth=2
	ds_read_b64 v[13:14], v18
	v_max_f64 v[15:16], v[11:12], v[11:12]
	v_cmp_u_f64_e64 s[8:9], v[11:12], v[11:12]
	s_waitcnt lgkmcnt(0)
	v_max_f64 v[28:29], v[13:14], v[13:14]
	v_cmp_u_f64_e32 vcc, v[13:14], v[13:14]
	v_min_f64 v[30:31], v[28:29], v[15:16]
	v_max_f64 v[15:16], v[28:29], v[15:16]
	v_cndmask_b32_e32 v28, v30, v13, vcc
	v_cndmask_b32_e32 v29, v31, v14, vcc
	;; [unrolled: 1-line block ×4, first 2 shown]
	v_cndmask_b32_e64 v16, v29, v12, s[8:9]
	v_cndmask_b32_e64 v15, v28, v11, s[8:9]
	;; [unrolled: 1-line block ×4, first 2 shown]
	v_cmp_neq_f64_e32 vcc, v[15:16], v[11:12]
	v_cmp_class_f64_e64 s[8:9], v[15:16], s85
	s_or_b64 s[8:9], vcc, s[8:9]
	s_and_saveexec_b64 s[80:81], s[8:9]
	s_cbranch_execz .LBB84_45
; %bb.44:                               ;   in Loop: Header=BB84_37 Depth=2
	v_add_f64 v[13:14], v[15:16], -v[11:12]
	s_mov_b32 s69, s57
	s_mov_b32 s70, s28
	s_mov_b32 s72, s30
	v_mul_f64 v[15:16], v[13:14], s[26:27]
	v_cmp_nlt_f64_e32 vcc, s[52:53], v[13:14]
	v_cmp_ngt_f64_e64 s[8:9], s[54:55], v[13:14]
	v_rndne_f64_e32 v[15:16], v[15:16]
	v_fma_f64 v[28:29], v[15:16], s[28:29], v[13:14]
	v_fma_f64 v[28:29], v[15:16], s[30:31], v[28:29]
	v_cvt_i32_f64_e32 v15, v[15:16]
	v_fma_f64 v[30:31], v[28:29], s[34:35], v[3:4]
	v_fma_f64 v[30:31], v[28:29], v[30:31], s[36:37]
	;; [unrolled: 1-line block ×9, first 2 shown]
	v_fma_f64 v[30:31], v[28:29], v[30:31], 1.0
	v_fma_f64 v[28:29], v[28:29], v[30:31], 1.0
	v_ldexp_f64 v[15:16], v[28:29], v15
	v_cndmask_b32_e32 v16, v21, v16, vcc
	s_and_b64 vcc, s[8:9], vcc
	v_cndmask_b32_e64 v14, 0, v16, s[8:9]
	v_cndmask_b32_e32 v13, 0, v15, vcc
	v_add_f64 v[15:16], v[13:14], 1.0
	v_cmp_neq_f64_e64 s[8:9], s[74:75], v[13:14]
	v_frexp_mant_f64_e32 v[30:31], v[15:16]
	v_frexp_exp_i32_f64_e32 v34, v[15:16]
	v_add_f64 v[28:29], v[15:16], -1.0
	v_cmp_gt_f64_e32 vcc, s[56:57], v[30:31]
	v_add_f64 v[32:33], v[28:29], -v[15:16]
	v_add_f64 v[28:29], v[13:14], -v[28:29]
	v_subbrev_co_u32_e32 v48, vcc, 0, v34, vcc
	v_sub_u32_e32 v34, 0, v48
	v_ldexp_f64 v[15:16], v[15:16], v34
	v_add_f64 v[30:31], v[32:33], 1.0
	v_cmp_nge_f64_e32 vcc, -1.0, v[13:14]
	v_add_f64 v[32:33], v[15:16], 1.0
	v_add_f64 v[28:29], v[28:29], v[30:31]
	v_add_f64 v[38:39], v[15:16], -1.0
	s_and_b64 vcc, vcc, s[8:9]
	v_add_f64 v[30:31], v[32:33], -1.0
	v_ldexp_f64 v[28:29], v[28:29], v34
	v_add_f64 v[40:41], v[38:39], 1.0
	v_add_f64 v[30:31], v[15:16], -v[30:31]
	v_add_f64 v[15:16], v[15:16], -v[40:41]
	v_add_f64 v[30:31], v[28:29], v[30:31]
	v_add_f64 v[15:16], v[28:29], v[15:16]
	;; [unrolled: 1-line block ×4, first 2 shown]
	v_rcp_f64_e32 v[36:37], v[34:35]
	v_add_f64 v[32:33], v[34:35], -v[32:33]
	v_add_f64 v[38:39], v[40:41], -v[38:39]
	;; [unrolled: 1-line block ×4, first 2 shown]
	v_fma_f64 v[42:43], -v[34:35], v[36:37], 1.0
	v_fma_f64 v[36:37], v[42:43], v[36:37], v[36:37]
	v_fma_f64 v[28:29], -v[34:35], v[36:37], 1.0
	v_fma_f64 v[28:29], v[28:29], v[36:37], v[36:37]
	v_mul_f64 v[36:37], v[40:41], v[28:29]
	v_mul_f64 v[42:43], v[34:35], v[36:37]
	v_fma_f64 v[32:33], v[36:37], v[34:35], -v[42:43]
	v_fma_f64 v[32:33], v[36:37], v[30:31], v[32:33]
	v_add_f64 v[44:45], v[42:43], v[32:33]
	v_add_f64 v[46:47], v[40:41], -v[44:45]
	v_add_f64 v[38:39], v[44:45], -v[42:43]
	;; [unrolled: 1-line block ×5, first 2 shown]
	v_add_f64 v[15:16], v[15:16], v[40:41]
	v_add_f64 v[15:16], v[32:33], v[15:16]
	;; [unrolled: 1-line block ×3, first 2 shown]
	v_mul_f64 v[38:39], v[28:29], v[32:33]
	v_add_f64 v[44:45], v[46:47], -v[32:33]
	v_mul_f64 v[40:41], v[34:35], v[38:39]
	v_add_f64 v[15:16], v[15:16], v[44:45]
	v_fma_f64 v[34:35], v[38:39], v[34:35], -v[40:41]
	v_fma_f64 v[30:31], v[38:39], v[30:31], v[34:35]
	v_add_f64 v[34:35], v[40:41], v[30:31]
	v_add_f64 v[42:43], v[32:33], -v[34:35]
	v_add_f64 v[40:41], v[34:35], -v[40:41]
	;; [unrolled: 1-line block ×5, first 2 shown]
	v_add_f64 v[15:16], v[15:16], v[32:33]
	v_add_f64 v[32:33], v[36:37], v[38:39]
	;; [unrolled: 1-line block ×3, first 2 shown]
	v_add_f64 v[30:31], v[32:33], -v[36:37]
	v_add_f64 v[15:16], v[42:43], v[15:16]
	v_add_f64 v[30:31], v[38:39], -v[30:31]
	v_mul_f64 v[15:16], v[28:29], v[15:16]
	v_add_f64 v[15:16], v[30:31], v[15:16]
	v_add_f64 v[28:29], v[32:33], v[15:16]
	v_mul_f64 v[30:31], v[28:29], v[28:29]
	v_fma_f64 v[34:35], v[30:31], s[58:59], v[5:6]
	v_mul_f64 v[36:37], v[28:29], v[30:31]
	v_fma_f64 v[34:35], v[30:31], v[34:35], s[60:61]
	v_fma_f64 v[34:35], v[30:31], v[34:35], s[62:63]
	;; [unrolled: 1-line block ×5, first 2 shown]
	v_ldexp_f64 v[34:35], v[28:29], 1
	v_add_f64 v[28:29], v[28:29], -v[32:33]
	v_mul_f64 v[30:31], v[36:37], v[30:31]
	v_cvt_f64_i32_e32 v[36:37], v48
	v_add_f64 v[15:16], v[15:16], -v[28:29]
	v_mul_f64 v[38:39], v[36:37], s[70:71]
	v_add_f64 v[32:33], v[34:35], v[30:31]
	v_ldexp_f64 v[15:16], v[15:16], 1
	v_add_f64 v[28:29], v[32:33], -v[34:35]
	v_fma_f64 v[34:35], v[36:37], s[70:71], -v[38:39]
	v_add_f64 v[28:29], v[30:31], -v[28:29]
	v_fma_f64 v[30:31], v[36:37], s[72:73], v[34:35]
	v_add_f64 v[15:16], v[15:16], v[28:29]
	v_add_f64 v[28:29], v[38:39], v[30:31]
	;; [unrolled: 1-line block ×3, first 2 shown]
	v_add_f64 v[38:39], v[28:29], -v[38:39]
	v_add_f64 v[36:37], v[28:29], v[34:35]
	v_add_f64 v[32:33], v[34:35], -v[32:33]
	v_add_f64 v[30:31], v[30:31], -v[38:39]
	;; [unrolled: 1-line block ×6, first 2 shown]
	v_add_f64 v[34:35], v[30:31], v[15:16]
	v_add_f64 v[28:29], v[28:29], -v[42:43]
	v_add_f64 v[28:29], v[32:33], v[28:29]
	v_add_f64 v[32:33], v[34:35], -v[30:31]
	;; [unrolled: 2-line block ×3, first 2 shown]
	v_add_f64 v[15:16], v[15:16], -v[32:33]
	v_add_f64 v[38:39], v[36:37], v[28:29]
	v_add_f64 v[30:31], v[30:31], -v[34:35]
	v_add_f64 v[32:33], v[38:39], -v[36:37]
	v_add_f64 v[15:16], v[15:16], v[30:31]
	v_add_f64 v[28:29], v[28:29], -v[32:33]
	v_add_f64 v[15:16], v[15:16], v[28:29]
	v_add_f64 v[15:16], v[38:39], v[15:16]
	v_cndmask_b32_e32 v15, 0, v15, vcc
	v_cmp_ngt_f64_e32 vcc, -1.0, v[13:14]
	v_cndmask_b32_e64 v16, v21, v16, s[8:9]
	v_cndmask_b32_e32 v16, v22, v16, vcc
	v_cmp_neq_f64_e32 vcc, -1.0, v[13:14]
	v_cndmask_b32_e32 v16, v23, v16, vcc
	v_add_f64 v[13:14], v[11:12], v[15:16]
.LBB84_45:                              ;   in Loop: Header=BB84_37 Depth=2
	s_or_b64 exec, exec, s[80:81]
	ds_write_b64 v18, v[13:14]
.LBB84_46:                              ;   in Loop: Header=BB84_37 Depth=2
	s_or_b64 exec, exec, s[78:79]
	v_mov_b32_e32 v14, 0
	s_mov_b64 s[78:79], 0
	s_waitcnt lgkmcnt(0)
	s_barrier
	s_branch .LBB84_49
.LBB84_47:                              ;   in Loop: Header=BB84_49 Depth=3
	s_or_b64 exec, exec, s[82:83]
	ds_write_b64 v29, v[13:14]
.LBB84_48:                              ;   in Loop: Header=BB84_49 Depth=3
	s_or_b64 exec, exec, s[80:81]
	v_cmp_eq_u32_e32 vcc, s84, v28
	s_or_b64 s[78:79], vcc, s[78:79]
	v_mov_b32_e32 v14, v28
	s_waitcnt lgkmcnt(0)
	s_barrier
	s_andn2_b64 exec, exec, s[78:79]
	s_cbranch_execz .LBB84_56
.LBB84_49:                              ;   Parent Loop BB84_34 Depth=1
                                        ;     Parent Loop BB84_37 Depth=2
                                        ; =>    This Inner Loop Header: Depth=3
	v_add_u32_e32 v28, 1, v14
	s_and_saveexec_b64 s[8:9], s[6:7]
	s_xor_b64 s[8:9], exec, s[8:9]
; %bb.50:                               ;   in Loop: Header=BB84_49 Depth=3
	v_add_u32_e32 v28, 1, v14
                                        ; implicit-def: $vgpr14
; %bb.51:                               ;   in Loop: Header=BB84_49 Depth=3
	s_andn2_saveexec_b64 s[80:81], s[8:9]
	s_cbranch_execz .LBB84_48
; %bb.52:                               ;   in Loop: Header=BB84_49 Depth=3
	v_lshlrev_b32_e64 v11, v14, 1
	v_ashrrev_i32_e32 v12, 31, v11
	v_cmp_ge_u64_e32 vcc, v[0:1], v[11:12]
	v_mov_b32_e32 v13, v1
	v_mov_b32_e32 v12, v0
	s_and_saveexec_b64 s[8:9], vcc
	s_cbranch_execz .LBB84_54
; %bb.53:                               ;   in Loop: Header=BB84_49 Depth=3
	v_cvt_f32_u32_e32 v12, v11
	v_sub_u32_e32 v13, 0, v11
	v_rcp_iflag_f32_e32 v12, v12
	v_mul_f32_e32 v12, 0x4f7ffffe, v12
	v_cvt_u32_f32_e32 v12, v12
	v_mul_lo_u32 v13, v13, v12
	v_mul_hi_u32 v13, v12, v13
	v_add_u32_e32 v12, v12, v13
	v_mul_hi_u32 v12, v0, v12
	v_mul_lo_u32 v12, v12, v11
	v_sub_u32_e32 v12, v0, v12
	v_sub_u32_e32 v13, v12, v11
	v_cmp_ge_u32_e32 vcc, v12, v11
	v_cndmask_b32_e32 v12, v12, v13, vcc
	v_sub_u32_e32 v13, v12, v11
	v_cmp_ge_u32_e32 vcc, v12, v11
	v_cndmask_b32_e32 v12, v12, v13, vcc
.LBB84_54:                              ;   in Loop: Header=BB84_49 Depth=3
	s_or_b64 exec, exec, s[8:9]
	v_lshrrev_b32_e32 v13, v14, v0
	v_lshl_or_b32 v11, v13, v28, v11
	v_lshl_add_u32 v11, v11, 3, v18
	v_lshl_add_u32 v29, v12, 3, v11
	v_add_u32_e32 v11, -8, v11
	ds_read_b64 v[11:12], v11
	ds_read_b64 v[13:14], v29
	s_waitcnt lgkmcnt(1)
	v_max_f64 v[15:16], v[11:12], v[11:12]
	s_waitcnt lgkmcnt(0)
	v_max_f64 v[30:31], v[13:14], v[13:14]
	v_cmp_u_f64_e32 vcc, v[13:14], v[13:14]
	v_cmp_u_f64_e64 s[8:9], v[11:12], v[11:12]
	v_min_f64 v[32:33], v[30:31], v[15:16]
	v_max_f64 v[15:16], v[30:31], v[15:16]
	v_cndmask_b32_e32 v30, v32, v13, vcc
	v_cndmask_b32_e32 v31, v33, v14, vcc
	;; [unrolled: 1-line block ×4, first 2 shown]
	v_cndmask_b32_e64 v16, v31, v12, s[8:9]
	v_cndmask_b32_e64 v15, v30, v11, s[8:9]
	;; [unrolled: 1-line block ×4, first 2 shown]
	v_cmp_neq_f64_e32 vcc, v[15:16], v[11:12]
	v_cmp_class_f64_e64 s[8:9], v[15:16], s85
	s_or_b64 s[8:9], vcc, s[8:9]
	s_and_saveexec_b64 s[82:83], s[8:9]
	s_cbranch_execz .LBB84_47
; %bb.55:                               ;   in Loop: Header=BB84_49 Depth=3
	v_add_f64 v[13:14], v[15:16], -v[11:12]
	s_mov_b32 s69, s57
	s_mov_b32 s70, s28
	;; [unrolled: 1-line block ×3, first 2 shown]
	v_mul_f64 v[15:16], v[13:14], s[26:27]
	v_cmp_nlt_f64_e32 vcc, s[52:53], v[13:14]
	v_cmp_ngt_f64_e64 s[8:9], s[54:55], v[13:14]
	v_rndne_f64_e32 v[15:16], v[15:16]
	v_fma_f64 v[30:31], v[15:16], s[28:29], v[13:14]
	v_fma_f64 v[30:31], v[15:16], s[30:31], v[30:31]
	v_cvt_i32_f64_e32 v15, v[15:16]
	v_fma_f64 v[32:33], v[30:31], s[34:35], v[3:4]
	v_fma_f64 v[32:33], v[30:31], v[32:33], s[36:37]
	;; [unrolled: 1-line block ×9, first 2 shown]
	v_fma_f64 v[32:33], v[30:31], v[32:33], 1.0
	v_fma_f64 v[30:31], v[30:31], v[32:33], 1.0
	v_ldexp_f64 v[15:16], v[30:31], v15
	v_cndmask_b32_e32 v16, v21, v16, vcc
	s_and_b64 vcc, s[8:9], vcc
	v_cndmask_b32_e64 v14, 0, v16, s[8:9]
	v_cndmask_b32_e32 v13, 0, v15, vcc
	v_add_f64 v[15:16], v[13:14], 1.0
	v_cmp_neq_f64_e64 s[8:9], s[74:75], v[13:14]
	v_frexp_mant_f64_e32 v[32:33], v[15:16]
	v_frexp_exp_i32_f64_e32 v36, v[15:16]
	v_add_f64 v[30:31], v[15:16], -1.0
	v_cmp_gt_f64_e32 vcc, s[56:57], v[32:33]
	v_add_f64 v[34:35], v[30:31], -v[15:16]
	v_add_f64 v[30:31], v[13:14], -v[30:31]
	v_subbrev_co_u32_e32 v50, vcc, 0, v36, vcc
	v_sub_u32_e32 v36, 0, v50
	v_ldexp_f64 v[15:16], v[15:16], v36
	v_add_f64 v[32:33], v[34:35], 1.0
	v_cmp_nge_f64_e32 vcc, -1.0, v[13:14]
	v_add_f64 v[34:35], v[15:16], 1.0
	v_add_f64 v[30:31], v[30:31], v[32:33]
	v_add_f64 v[40:41], v[15:16], -1.0
	s_and_b64 vcc, vcc, s[8:9]
	v_add_f64 v[32:33], v[34:35], -1.0
	v_ldexp_f64 v[30:31], v[30:31], v36
	v_add_f64 v[42:43], v[40:41], 1.0
	v_add_f64 v[32:33], v[15:16], -v[32:33]
	v_add_f64 v[15:16], v[15:16], -v[42:43]
	v_add_f64 v[32:33], v[30:31], v[32:33]
	v_add_f64 v[15:16], v[30:31], v[15:16]
	;; [unrolled: 1-line block ×4, first 2 shown]
	v_rcp_f64_e32 v[38:39], v[36:37]
	v_add_f64 v[34:35], v[36:37], -v[34:35]
	v_add_f64 v[40:41], v[42:43], -v[40:41]
	;; [unrolled: 1-line block ×4, first 2 shown]
	v_fma_f64 v[44:45], -v[36:37], v[38:39], 1.0
	v_fma_f64 v[38:39], v[44:45], v[38:39], v[38:39]
	v_fma_f64 v[30:31], -v[36:37], v[38:39], 1.0
	v_fma_f64 v[30:31], v[30:31], v[38:39], v[38:39]
	v_mul_f64 v[38:39], v[42:43], v[30:31]
	v_mul_f64 v[44:45], v[36:37], v[38:39]
	v_fma_f64 v[34:35], v[38:39], v[36:37], -v[44:45]
	v_fma_f64 v[34:35], v[38:39], v[32:33], v[34:35]
	v_add_f64 v[46:47], v[44:45], v[34:35]
	v_add_f64 v[48:49], v[42:43], -v[46:47]
	v_add_f64 v[40:41], v[46:47], -v[44:45]
	;; [unrolled: 1-line block ×5, first 2 shown]
	v_add_f64 v[15:16], v[15:16], v[42:43]
	v_add_f64 v[15:16], v[34:35], v[15:16]
	;; [unrolled: 1-line block ×3, first 2 shown]
	v_mul_f64 v[40:41], v[30:31], v[34:35]
	v_add_f64 v[46:47], v[48:49], -v[34:35]
	v_mul_f64 v[42:43], v[36:37], v[40:41]
	v_add_f64 v[15:16], v[15:16], v[46:47]
	v_fma_f64 v[36:37], v[40:41], v[36:37], -v[42:43]
	v_fma_f64 v[32:33], v[40:41], v[32:33], v[36:37]
	v_add_f64 v[36:37], v[42:43], v[32:33]
	v_add_f64 v[44:45], v[34:35], -v[36:37]
	v_add_f64 v[42:43], v[36:37], -v[42:43]
	;; [unrolled: 1-line block ×5, first 2 shown]
	v_add_f64 v[15:16], v[15:16], v[34:35]
	v_add_f64 v[34:35], v[38:39], v[40:41]
	;; [unrolled: 1-line block ×3, first 2 shown]
	v_add_f64 v[32:33], v[34:35], -v[38:39]
	v_add_f64 v[15:16], v[44:45], v[15:16]
	v_add_f64 v[32:33], v[40:41], -v[32:33]
	v_mul_f64 v[15:16], v[30:31], v[15:16]
	v_add_f64 v[15:16], v[32:33], v[15:16]
	v_add_f64 v[30:31], v[34:35], v[15:16]
	v_mul_f64 v[32:33], v[30:31], v[30:31]
	v_fma_f64 v[36:37], v[32:33], s[58:59], v[5:6]
	v_mul_f64 v[38:39], v[30:31], v[32:33]
	v_fma_f64 v[36:37], v[32:33], v[36:37], s[60:61]
	v_fma_f64 v[36:37], v[32:33], v[36:37], s[62:63]
	;; [unrolled: 1-line block ×5, first 2 shown]
	v_ldexp_f64 v[36:37], v[30:31], 1
	v_add_f64 v[30:31], v[30:31], -v[34:35]
	v_mul_f64 v[32:33], v[38:39], v[32:33]
	v_cvt_f64_i32_e32 v[38:39], v50
	v_add_f64 v[15:16], v[15:16], -v[30:31]
	v_mul_f64 v[40:41], v[38:39], s[70:71]
	v_add_f64 v[34:35], v[36:37], v[32:33]
	v_ldexp_f64 v[15:16], v[15:16], 1
	v_add_f64 v[30:31], v[34:35], -v[36:37]
	v_fma_f64 v[36:37], v[38:39], s[70:71], -v[40:41]
	v_add_f64 v[30:31], v[32:33], -v[30:31]
	v_fma_f64 v[32:33], v[38:39], s[72:73], v[36:37]
	v_add_f64 v[15:16], v[15:16], v[30:31]
	v_add_f64 v[30:31], v[40:41], v[32:33]
	;; [unrolled: 1-line block ×3, first 2 shown]
	v_add_f64 v[40:41], v[30:31], -v[40:41]
	v_add_f64 v[38:39], v[30:31], v[36:37]
	v_add_f64 v[34:35], v[36:37], -v[34:35]
	v_add_f64 v[32:33], v[32:33], -v[40:41]
	;; [unrolled: 1-line block ×6, first 2 shown]
	v_add_f64 v[36:37], v[32:33], v[15:16]
	v_add_f64 v[30:31], v[30:31], -v[44:45]
	v_add_f64 v[30:31], v[34:35], v[30:31]
	v_add_f64 v[34:35], v[36:37], -v[32:33]
	;; [unrolled: 2-line block ×3, first 2 shown]
	v_add_f64 v[15:16], v[15:16], -v[34:35]
	v_add_f64 v[40:41], v[38:39], v[30:31]
	v_add_f64 v[32:33], v[32:33], -v[36:37]
	v_add_f64 v[34:35], v[40:41], -v[38:39]
	v_add_f64 v[15:16], v[15:16], v[32:33]
	v_add_f64 v[30:31], v[30:31], -v[34:35]
	v_add_f64 v[15:16], v[15:16], v[30:31]
	v_add_f64 v[15:16], v[40:41], v[15:16]
	v_cndmask_b32_e32 v15, 0, v15, vcc
	v_cmp_ngt_f64_e32 vcc, -1.0, v[13:14]
	v_cndmask_b32_e64 v16, v21, v16, s[8:9]
	v_cndmask_b32_e32 v16, v22, v16, vcc
	v_cmp_neq_f64_e32 vcc, -1.0, v[13:14]
	v_cndmask_b32_e32 v16, v23, v16, vcc
	v_add_f64 v[13:14], v[11:12], v[15:16]
	s_branch .LBB84_47
.LBB84_56:                              ;   in Loop: Header=BB84_37 Depth=2
	s_or_b64 exec, exec, s[78:79]
	s_and_saveexec_b64 s[8:9], s[4:5]
	s_cbranch_execz .LBB84_36
; %bb.57:                               ;   in Loop: Header=BB84_37 Depth=2
	v_cmp_gt_u64_e32 vcc, s[16:17], v[9:10]
	s_and_saveexec_b64 s[78:79], vcc
	s_cbranch_execz .LBB84_59
; %bb.58:                               ;   in Loop: Header=BB84_37 Depth=2
	ds_read_b64 v[11:12], v17
	v_lshlrev_b64 v[9:10], 3, v[9:10]
	v_add_co_u32_e32 v9, vcc, v26, v9
	v_addc_co_u32_e32 v10, vcc, v27, v10, vcc
	s_waitcnt lgkmcnt(0)
	global_store_dwordx2 v[9:10], v[11:12], off
.LBB84_59:                              ;   in Loop: Header=BB84_37 Depth=2
	s_or_b64 exec, exec, s[78:79]
	v_cmp_gt_u64_e32 vcc, s[16:17], v[7:8]
	s_and_b64 exec, exec, vcc
	s_cbranch_execz .LBB84_36
; %bb.60:                               ;   in Loop: Header=BB84_37 Depth=2
	ds_read_b64 v[9:10], v19
	v_lshlrev_b64 v[7:8], 3, v[7:8]
	v_add_co_u32_e32 v7, vcc, v26, v7
	v_addc_co_u32_e32 v8, vcc, v27, v8, vcc
	s_waitcnt lgkmcnt(0)
	global_store_dwordx2 v[7:8], v[9:10], off
	s_branch .LBB84_36
.LBB84_61:
	s_endpgm
	.section	.rodata,"a",@progbits
	.p2align	6, 0x0
	.amdhsa_kernel _ZN2at6native32tensor_kernel_scan_innermost_dimIdZZZNS0_31launch_logcumsumexp_cuda_kernelERKNS_10TensorBaseES4_lENKUlvE_clEvENKUlvE_clEvEUlddE_EEvPT_PKS8_jjjS8_T0_
		.amdhsa_group_segment_fixed_size 0
		.amdhsa_private_segment_fixed_size 0
		.amdhsa_kernarg_size 304
		.amdhsa_user_sgpr_count 6
		.amdhsa_user_sgpr_private_segment_buffer 1
		.amdhsa_user_sgpr_dispatch_ptr 0
		.amdhsa_user_sgpr_queue_ptr 0
		.amdhsa_user_sgpr_kernarg_segment_ptr 1
		.amdhsa_user_sgpr_dispatch_id 0
		.amdhsa_user_sgpr_flat_scratch_init 0
		.amdhsa_user_sgpr_private_segment_size 0
		.amdhsa_uses_dynamic_stack 0
		.amdhsa_system_sgpr_private_segment_wavefront_offset 0
		.amdhsa_system_sgpr_workgroup_id_x 1
		.amdhsa_system_sgpr_workgroup_id_y 0
		.amdhsa_system_sgpr_workgroup_id_z 0
		.amdhsa_system_sgpr_workgroup_info 0
		.amdhsa_system_vgpr_workitem_id 1
		.amdhsa_next_free_vgpr 51
		.amdhsa_next_free_sgpr 88
		.amdhsa_reserve_vcc 1
		.amdhsa_reserve_flat_scratch 0
		.amdhsa_float_round_mode_32 0
		.amdhsa_float_round_mode_16_64 0
		.amdhsa_float_denorm_mode_32 3
		.amdhsa_float_denorm_mode_16_64 3
		.amdhsa_dx10_clamp 1
		.amdhsa_ieee_mode 1
		.amdhsa_fp16_overflow 0
		.amdhsa_exception_fp_ieee_invalid_op 0
		.amdhsa_exception_fp_denorm_src 0
		.amdhsa_exception_fp_ieee_div_zero 0
		.amdhsa_exception_fp_ieee_overflow 0
		.amdhsa_exception_fp_ieee_underflow 0
		.amdhsa_exception_fp_ieee_inexact 0
		.amdhsa_exception_int_div_zero 0
	.end_amdhsa_kernel
	.section	.text._ZN2at6native32tensor_kernel_scan_innermost_dimIdZZZNS0_31launch_logcumsumexp_cuda_kernelERKNS_10TensorBaseES4_lENKUlvE_clEvENKUlvE_clEvEUlddE_EEvPT_PKS8_jjjS8_T0_,"axG",@progbits,_ZN2at6native32tensor_kernel_scan_innermost_dimIdZZZNS0_31launch_logcumsumexp_cuda_kernelERKNS_10TensorBaseES4_lENKUlvE_clEvENKUlvE_clEvEUlddE_EEvPT_PKS8_jjjS8_T0_,comdat
.Lfunc_end84:
	.size	_ZN2at6native32tensor_kernel_scan_innermost_dimIdZZZNS0_31launch_logcumsumexp_cuda_kernelERKNS_10TensorBaseES4_lENKUlvE_clEvENKUlvE_clEvEUlddE_EEvPT_PKS8_jjjS8_T0_, .Lfunc_end84-_ZN2at6native32tensor_kernel_scan_innermost_dimIdZZZNS0_31launch_logcumsumexp_cuda_kernelERKNS_10TensorBaseES4_lENKUlvE_clEvENKUlvE_clEvEUlddE_EEvPT_PKS8_jjjS8_T0_
                                        ; -- End function
	.set _ZN2at6native32tensor_kernel_scan_innermost_dimIdZZZNS0_31launch_logcumsumexp_cuda_kernelERKNS_10TensorBaseES4_lENKUlvE_clEvENKUlvE_clEvEUlddE_EEvPT_PKS8_jjjS8_T0_.num_vgpr, 51
	.set _ZN2at6native32tensor_kernel_scan_innermost_dimIdZZZNS0_31launch_logcumsumexp_cuda_kernelERKNS_10TensorBaseES4_lENKUlvE_clEvENKUlvE_clEvEUlddE_EEvPT_PKS8_jjjS8_T0_.num_agpr, 0
	.set _ZN2at6native32tensor_kernel_scan_innermost_dimIdZZZNS0_31launch_logcumsumexp_cuda_kernelERKNS_10TensorBaseES4_lENKUlvE_clEvENKUlvE_clEvEUlddE_EEvPT_PKS8_jjjS8_T0_.numbered_sgpr, 88
	.set _ZN2at6native32tensor_kernel_scan_innermost_dimIdZZZNS0_31launch_logcumsumexp_cuda_kernelERKNS_10TensorBaseES4_lENKUlvE_clEvENKUlvE_clEvEUlddE_EEvPT_PKS8_jjjS8_T0_.num_named_barrier, 0
	.set _ZN2at6native32tensor_kernel_scan_innermost_dimIdZZZNS0_31launch_logcumsumexp_cuda_kernelERKNS_10TensorBaseES4_lENKUlvE_clEvENKUlvE_clEvEUlddE_EEvPT_PKS8_jjjS8_T0_.private_seg_size, 0
	.set _ZN2at6native32tensor_kernel_scan_innermost_dimIdZZZNS0_31launch_logcumsumexp_cuda_kernelERKNS_10TensorBaseES4_lENKUlvE_clEvENKUlvE_clEvEUlddE_EEvPT_PKS8_jjjS8_T0_.uses_vcc, 1
	.set _ZN2at6native32tensor_kernel_scan_innermost_dimIdZZZNS0_31launch_logcumsumexp_cuda_kernelERKNS_10TensorBaseES4_lENKUlvE_clEvENKUlvE_clEvEUlddE_EEvPT_PKS8_jjjS8_T0_.uses_flat_scratch, 0
	.set _ZN2at6native32tensor_kernel_scan_innermost_dimIdZZZNS0_31launch_logcumsumexp_cuda_kernelERKNS_10TensorBaseES4_lENKUlvE_clEvENKUlvE_clEvEUlddE_EEvPT_PKS8_jjjS8_T0_.has_dyn_sized_stack, 0
	.set _ZN2at6native32tensor_kernel_scan_innermost_dimIdZZZNS0_31launch_logcumsumexp_cuda_kernelERKNS_10TensorBaseES4_lENKUlvE_clEvENKUlvE_clEvEUlddE_EEvPT_PKS8_jjjS8_T0_.has_recursion, 0
	.set _ZN2at6native32tensor_kernel_scan_innermost_dimIdZZZNS0_31launch_logcumsumexp_cuda_kernelERKNS_10TensorBaseES4_lENKUlvE_clEvENKUlvE_clEvEUlddE_EEvPT_PKS8_jjjS8_T0_.has_indirect_call, 0
	.section	.AMDGPU.csdata,"",@progbits
; Kernel info:
; codeLenInByte = 7540
; TotalNumSgprs: 92
; NumVgprs: 51
; ScratchSize: 0
; MemoryBound: 0
; FloatMode: 240
; IeeeMode: 1
; LDSByteSize: 0 bytes/workgroup (compile time only)
; SGPRBlocks: 11
; VGPRBlocks: 12
; NumSGPRsForWavesPerEU: 92
; NumVGPRsForWavesPerEU: 51
; Occupancy: 4
; WaveLimiterHint : 0
; COMPUTE_PGM_RSRC2:SCRATCH_EN: 0
; COMPUTE_PGM_RSRC2:USER_SGPR: 6
; COMPUTE_PGM_RSRC2:TRAP_HANDLER: 0
; COMPUTE_PGM_RSRC2:TGID_X_EN: 1
; COMPUTE_PGM_RSRC2:TGID_Y_EN: 0
; COMPUTE_PGM_RSRC2:TGID_Z_EN: 0
; COMPUTE_PGM_RSRC2:TIDIG_COMP_CNT: 1
	.section	.text._ZN2at6native28tensor_kernel_scan_outer_dimIdjZZZNS0_31launch_logcumsumexp_cuda_kernelERKNS_10TensorBaseES4_lENKUlvE_clEvENKUlvE_clEvEUlddE_EEvPT_PKS8_jjjS8_T1_,"axG",@progbits,_ZN2at6native28tensor_kernel_scan_outer_dimIdjZZZNS0_31launch_logcumsumexp_cuda_kernelERKNS_10TensorBaseES4_lENKUlvE_clEvENKUlvE_clEvEUlddE_EEvPT_PKS8_jjjS8_T1_,comdat
	.globl	_ZN2at6native28tensor_kernel_scan_outer_dimIdjZZZNS0_31launch_logcumsumexp_cuda_kernelERKNS_10TensorBaseES4_lENKUlvE_clEvENKUlvE_clEvEUlddE_EEvPT_PKS8_jjjS8_T1_ ; -- Begin function _ZN2at6native28tensor_kernel_scan_outer_dimIdjZZZNS0_31launch_logcumsumexp_cuda_kernelERKNS_10TensorBaseES4_lENKUlvE_clEvENKUlvE_clEvEUlddE_EEvPT_PKS8_jjjS8_T1_
	.p2align	8
	.type	_ZN2at6native28tensor_kernel_scan_outer_dimIdjZZZNS0_31launch_logcumsumexp_cuda_kernelERKNS_10TensorBaseES4_lENKUlvE_clEvENKUlvE_clEvEUlddE_EEvPT_PKS8_jjjS8_T1_,@function
_ZN2at6native28tensor_kernel_scan_outer_dimIdjZZZNS0_31launch_logcumsumexp_cuda_kernelERKNS_10TensorBaseES4_lENKUlvE_clEvENKUlvE_clEvEUlddE_EEvPT_PKS8_jjjS8_T1_: ; @_ZN2at6native28tensor_kernel_scan_outer_dimIdjZZZNS0_31launch_logcumsumexp_cuda_kernelERKNS_10TensorBaseES4_lENKUlvE_clEvENKUlvE_clEvEUlddE_EEvPT_PKS8_jjjS8_T1_
; %bb.0:
	s_load_dwordx4 s[12:15], s[4:5], 0x10
	s_waitcnt lgkmcnt(0)
	s_cmp_ge_u32 s6, s12
	s_cbranch_scc1 .LBB85_11
; %bb.1:
	s_load_dword s15, s[4:5], 0x30
	s_load_dword s0, s[4:5], 0x3c
	s_load_dwordx4 s[16:19], s[4:5], 0x0
	s_load_dwordx2 s[20:21], s[4:5], 0x20
	s_add_u32 s22, s4, 48
	s_addc_u32 s23, s5, 0
	s_waitcnt lgkmcnt(0)
	s_and_b32 s33, s0, 0xffff
	s_cmp_lg_u32 s14, 0
	s_mul_i32 s7, s7, s33
	s_cselect_b64 s[2:3], -1, 0
	s_mul_i32 s4, s6, s14
	v_add_u32_e32 v12, s7, v0
	s_mov_b32 s25, 0
	s_mov_b32 s24, s13
	s_mul_i32 s4, s4, s13
	s_mul_i32 s7, s15, s14
	v_cndmask_b32_e64 v0, 0, 1, s[2:3]
	s_mov_b32 s28, 0x652b82fe
	s_mov_b32 s30, 0xfefa39ef
	s_mov_b32 s34, 0x3b39803f
	s_mov_b32 s36, 0x6a5dcb37
	s_mov_b32 s38, 0x623fde64
	s_mov_b32 s40, 0x7c89e6b0
	s_mov_b32 s42, 0x14761f6e
	s_mov_b32 s44, 0x1852b7b0
	s_mov_b32 s46, 0x11122322
	s_mov_b32 s48, 0x555502a1
	s_mov_b32 s50, 0x55555511
	s_mov_b32 s52, 11
	s_mov_b32 s54, 0x55555555
	s_mov_b32 s56, 0xbf559e2b
	s_mov_b32 s58, 0xd7f4df2e
	s_mov_b32 s60, 0x16291751
	s_mov_b32 s62, 0x9b27acf1
	s_mov_b32 s64, 0x998ef7b6
	s_mov_b32 s66, 0
	s_mov_b32 s68, 0
	s_mov_b32 s74, 0
	v_cmp_gt_u32_e64 s[0:1], s13, v12
	s_mul_i32 s7, s7, s13
	s_lshl_b64 s[26:27], s[24:25], 3
	v_cmp_ne_u32_e64 s[2:3], 1, v0
	v_mov_b32_e32 v1, 0
	s_mov_b32 s29, 0x3ff71547
	s_mov_b32 s31, 0xbfe62e42
	;; [unrolled: 1-line block ×19, first 2 shown]
	v_mov_b32_e32 v2, 0xfca7ab0c
	v_mov_b32_e32 v3, 0x3e928af3
	;; [unrolled: 1-line block ×7, first 2 shown]
	s_movk_i32 s86, 0x1f8
	s_mov_b32 s67, 0x40900000
	s_mov_b32 s69, 0xc090cc00
	;; [unrolled: 1-line block ×6, first 2 shown]
	s_branch .LBB85_3
.LBB85_2:                               ;   in Loop: Header=BB85_3 Depth=1
	s_or_b64 exec, exec, s[78:79]
	s_add_i32 s6, s15, s6
	s_add_i32 s24, s24, s7
	s_cmp_ge_u32 s6, s12
	s_cbranch_scc1 .LBB85_11
.LBB85_3:                               ; =>This Loop Header: Depth=1
                                        ;     Child Loop BB85_6 Depth 2
                                        ;       Child Loop BB85_9 Depth 3
	s_and_saveexec_b64 s[78:79], s[0:1]
	s_cbranch_execz .LBB85_2
; %bb.4:                                ;   in Loop: Header=BB85_3 Depth=1
	s_load_dword s87, s[22:23], 0x4
	s_lshl_b64 s[80:81], s[24:25], 3
	s_mov_b64 s[82:83], 0
	v_mov_b32_e32 v0, v12
	s_waitcnt lgkmcnt(0)
	s_mul_i32 s87, s87, s33
	s_branch .LBB85_6
.LBB85_5:                               ;   in Loop: Header=BB85_6 Depth=2
	v_add_u32_e32 v0, s87, v0
	v_cmp_le_u32_e32 vcc, s13, v0
	s_or_b64 s[82:83], vcc, s[82:83]
	s_andn2_b64 exec, exec, s[82:83]
	s_cbranch_execz .LBB85_2
.LBB85_6:                               ;   Parent Loop BB85_3 Depth=1
                                        ; =>  This Loop Header: Depth=2
                                        ;       Child Loop BB85_9 Depth 3
	s_and_b64 vcc, exec, s[2:3]
	s_cbranch_vccnz .LBB85_5
; %bb.7:                                ;   in Loop: Header=BB85_6 Depth=2
	v_lshlrev_b64 v[6:7], 3, v[0:1]
	v_mov_b32_e32 v8, s81
	v_add_co_u32_e32 v16, vcc, s80, v6
	v_addc_co_u32_e32 v17, vcc, v8, v7, vcc
	v_mov_b32_e32 v8, s20
	v_mov_b32_e32 v9, s21
	s_mov_b32 s88, s14
	s_branch .LBB85_9
.LBB85_8:                               ;   in Loop: Header=BB85_9 Depth=3
	s_or_b64 exec, exec, s[84:85]
	v_mov_b32_e32 v7, s17
	v_add_co_u32_e32 v6, vcc, s16, v16
	v_addc_co_u32_e32 v7, vcc, v7, v17, vcc
	global_store_dwordx2 v[6:7], v[8:9], off
	s_add_i32 s88, s88, -1
	v_mov_b32_e32 v6, s27
	v_add_co_u32_e32 v16, vcc, s26, v16
	s_cmp_eq_u32 s88, 0
	v_addc_co_u32_e32 v17, vcc, v17, v6, vcc
	s_cbranch_scc1 .LBB85_5
.LBB85_9:                               ;   Parent Loop BB85_3 Depth=1
                                        ;     Parent Loop BB85_6 Depth=2
                                        ; =>    This Inner Loop Header: Depth=3
	v_mov_b32_e32 v7, s19
	v_add_co_u32_e32 v6, vcc, s18, v16
	v_addc_co_u32_e32 v7, vcc, v7, v17, vcc
	global_load_dwordx2 v[6:7], v[6:7], off
	v_max_f64 v[10:11], v[8:9], v[8:9]
	v_cmp_u_f64_e32 vcc, v[8:9], v[8:9]
	s_waitcnt vmcnt(0)
	v_max_f64 v[18:19], v[6:7], v[6:7]
	v_cmp_u_f64_e64 s[4:5], v[6:7], v[6:7]
	v_min_f64 v[20:21], v[10:11], v[18:19]
	v_max_f64 v[10:11], v[10:11], v[18:19]
	v_cndmask_b32_e32 v18, v20, v8, vcc
	v_cndmask_b32_e32 v19, v21, v9, vcc
	v_cndmask_b32_e32 v20, v10, v8, vcc
	v_cndmask_b32_e32 v21, v11, v9, vcc
	v_cndmask_b32_e64 v11, v19, v7, s[4:5]
	v_cndmask_b32_e64 v10, v18, v6, s[4:5]
	;; [unrolled: 1-line block ×4, first 2 shown]
	v_cmp_neq_f64_e32 vcc, v[10:11], v[6:7]
	v_cmp_class_f64_e64 s[4:5], v[10:11], s86
	s_or_b64 s[4:5], vcc, s[4:5]
	s_and_saveexec_b64 s[84:85], s[4:5]
	s_cbranch_execz .LBB85_8
; %bb.10:                               ;   in Loop: Header=BB85_9 Depth=3
	v_add_f64 v[8:9], v[10:11], -v[6:7]
	s_mov_b32 s71, s55
	s_mov_b32 s72, s30
	;; [unrolled: 1-line block ×3, first 2 shown]
	v_mul_f64 v[10:11], v[8:9], s[28:29]
	v_cmp_nlt_f64_e32 vcc, s[66:67], v[8:9]
	v_cmp_ngt_f64_e64 s[4:5], s[68:69], v[8:9]
	v_rndne_f64_e32 v[10:11], v[10:11]
	s_and_b64 s[8:9], s[4:5], vcc
	v_fma_f64 v[18:19], v[10:11], s[30:31], v[8:9]
	v_fma_f64 v[18:19], v[10:11], s[34:35], v[18:19]
	v_cvt_i32_f64_e32 v10, v[10:11]
	v_fma_f64 v[20:21], v[18:19], s[36:37], v[2:3]
	v_fma_f64 v[20:21], v[18:19], v[20:21], s[38:39]
	;; [unrolled: 1-line block ×9, first 2 shown]
	v_fma_f64 v[20:21], v[18:19], v[20:21], 1.0
	v_fma_f64 v[18:19], v[18:19], v[20:21], 1.0
	v_ldexp_f64 v[8:9], v[18:19], v10
	v_cndmask_b32_e32 v9, v13, v9, vcc
	v_cndmask_b32_e64 v8, 0, v8, s[8:9]
	v_cndmask_b32_e64 v9, 0, v9, s[4:5]
	v_add_f64 v[18:19], v[8:9], 1.0
	v_cmp_neq_f64_e64 s[4:5], s[74:75], v[8:9]
	v_cmp_ngt_f64_e64 s[8:9], -1.0, v[8:9]
	v_cmp_neq_f64_e64 s[10:11], -1.0, v[8:9]
	v_frexp_mant_f64_e32 v[10:11], v[18:19]
	v_frexp_exp_i32_f64_e32 v24, v[18:19]
	v_add_f64 v[20:21], v[18:19], -1.0
	v_cmp_gt_f64_e32 vcc, s[54:55], v[10:11]
	v_add_f64 v[22:23], v[20:21], -v[18:19]
	v_add_f64 v[20:21], v[8:9], -v[20:21]
	v_subbrev_co_u32_e32 v10, vcc, 0, v24, vcc
	v_sub_u32_e32 v11, 0, v10
	v_ldexp_f64 v[18:19], v[18:19], v11
	v_add_f64 v[22:23], v[22:23], 1.0
	v_cmp_nge_f64_e32 vcc, -1.0, v[8:9]
	v_add_f64 v[24:25], v[18:19], 1.0
	v_add_f64 v[20:21], v[20:21], v[22:23]
	v_add_f64 v[26:27], v[18:19], -1.0
	s_and_b64 vcc, vcc, s[4:5]
	v_add_f64 v[22:23], v[24:25], -1.0
	v_ldexp_f64 v[20:21], v[20:21], v11
	v_add_f64 v[28:29], v[26:27], 1.0
	v_cvt_f64_i32_e32 v[10:11], v10
	v_add_f64 v[22:23], v[18:19], -v[22:23]
	v_add_f64 v[18:19], v[18:19], -v[28:29]
	v_add_f64 v[22:23], v[20:21], v[22:23]
	v_add_f64 v[18:19], v[20:21], v[18:19]
	;; [unrolled: 1-line block ×3, first 2 shown]
	v_rcp_f64_e32 v[20:21], v[28:29]
	v_add_f64 v[24:25], v[28:29], -v[24:25]
	v_add_f64 v[22:23], v[22:23], -v[24:25]
	v_fma_f64 v[30:31], -v[28:29], v[20:21], 1.0
	v_fma_f64 v[20:21], v[30:31], v[20:21], v[20:21]
	v_add_f64 v[30:31], v[26:27], v[18:19]
	v_add_f64 v[26:27], v[30:31], -v[26:27]
	v_add_f64 v[18:19], v[18:19], -v[26:27]
	v_fma_f64 v[26:27], -v[28:29], v[20:21], 1.0
	v_fma_f64 v[20:21], v[26:27], v[20:21], v[20:21]
	v_mul_f64 v[24:25], v[30:31], v[20:21]
	v_mul_f64 v[26:27], v[28:29], v[24:25]
	v_fma_f64 v[32:33], v[24:25], v[28:29], -v[26:27]
	v_fma_f64 v[32:33], v[24:25], v[22:23], v[32:33]
	v_add_f64 v[34:35], v[26:27], v[32:33]
	v_add_f64 v[36:37], v[30:31], -v[34:35]
	v_add_f64 v[26:27], v[34:35], -v[26:27]
	;; [unrolled: 1-line block ×5, first 2 shown]
	v_add_f64 v[18:19], v[18:19], v[30:31]
	v_add_f64 v[18:19], v[26:27], v[18:19]
	;; [unrolled: 1-line block ×3, first 2 shown]
	v_mul_f64 v[30:31], v[20:21], v[26:27]
	v_mul_f64 v[32:33], v[28:29], v[30:31]
	v_fma_f64 v[28:29], v[30:31], v[28:29], -v[32:33]
	v_fma_f64 v[22:23], v[30:31], v[22:23], v[28:29]
	v_add_f64 v[28:29], v[36:37], -v[26:27]
	v_add_f64 v[18:19], v[18:19], v[28:29]
	v_add_f64 v[28:29], v[32:33], v[22:23]
	v_add_f64 v[34:35], v[26:27], -v[28:29]
	v_add_f64 v[32:33], v[28:29], -v[32:33]
	;; [unrolled: 1-line block ×5, first 2 shown]
	v_add_f64 v[18:19], v[18:19], v[26:27]
	v_add_f64 v[18:19], v[22:23], v[18:19]
	;; [unrolled: 1-line block ×4, first 2 shown]
	v_add_f64 v[24:25], v[22:23], -v[24:25]
	v_mul_f64 v[18:19], v[20:21], v[18:19]
	v_add_f64 v[24:25], v[30:31], -v[24:25]
	v_add_f64 v[18:19], v[24:25], v[18:19]
	v_add_f64 v[20:21], v[22:23], v[18:19]
	v_mul_f64 v[24:25], v[20:21], v[20:21]
	v_fma_f64 v[26:27], v[24:25], s[56:57], v[4:5]
	v_mul_f64 v[28:29], v[20:21], v[24:25]
	v_fma_f64 v[26:27], v[24:25], v[26:27], s[58:59]
	v_fma_f64 v[26:27], v[24:25], v[26:27], s[60:61]
	v_fma_f64 v[26:27], v[24:25], v[26:27], s[62:63]
	v_fma_f64 v[26:27], v[24:25], v[26:27], s[64:65]
	v_fma_f64 v[24:25], v[24:25], v[26:27], s[70:71]
	v_ldexp_f64 v[26:27], v[20:21], 1
	v_add_f64 v[20:21], v[20:21], -v[22:23]
	v_mul_f64 v[24:25], v[28:29], v[24:25]
	v_mul_f64 v[28:29], v[10:11], s[72:73]
	v_add_f64 v[18:19], v[18:19], -v[20:21]
	v_add_f64 v[22:23], v[26:27], v[24:25]
	v_ldexp_f64 v[18:19], v[18:19], 1
	v_add_f64 v[20:21], v[22:23], -v[26:27]
	v_fma_f64 v[26:27], v[10:11], s[72:73], -v[28:29]
	v_add_f64 v[20:21], v[24:25], -v[20:21]
	v_fma_f64 v[10:11], v[10:11], s[76:77], v[26:27]
	v_add_f64 v[18:19], v[18:19], v[20:21]
	v_add_f64 v[20:21], v[28:29], v[10:11]
	;; [unrolled: 1-line block ×3, first 2 shown]
	v_add_f64 v[26:27], v[20:21], -v[28:29]
	v_add_f64 v[28:29], v[20:21], v[24:25]
	v_add_f64 v[10:11], v[10:11], -v[26:27]
	v_add_f64 v[22:23], v[24:25], -v[22:23]
	;; [unrolled: 1-line block ×7, first 2 shown]
	v_add_f64 v[22:23], v[10:11], v[18:19]
	v_add_f64 v[20:21], v[24:25], v[20:21]
	v_add_f64 v[24:25], v[22:23], -v[10:11]
	v_add_f64 v[20:21], v[22:23], v[20:21]
	v_add_f64 v[22:23], v[22:23], -v[24:25]
	v_add_f64 v[18:19], v[18:19], -v[24:25]
	v_add_f64 v[26:27], v[28:29], v[20:21]
	v_add_f64 v[10:11], v[10:11], -v[22:23]
	v_add_f64 v[22:23], v[26:27], -v[28:29]
	v_add_f64 v[10:11], v[18:19], v[10:11]
	v_add_f64 v[18:19], v[20:21], -v[22:23]
	v_add_f64 v[10:11], v[10:11], v[18:19]
	v_add_f64 v[10:11], v[26:27], v[10:11]
	v_cndmask_b32_e64 v9, v13, v11, s[4:5]
	v_cndmask_b32_e64 v9, v14, v9, s[8:9]
	v_cndmask_b32_e32 v8, 0, v10, vcc
	v_cndmask_b32_e64 v9, v15, v9, s[10:11]
	v_add_f64 v[8:9], v[6:7], v[8:9]
	s_branch .LBB85_8
.LBB85_11:
	s_endpgm
	.section	.rodata,"a",@progbits
	.p2align	6, 0x0
	.amdhsa_kernel _ZN2at6native28tensor_kernel_scan_outer_dimIdjZZZNS0_31launch_logcumsumexp_cuda_kernelERKNS_10TensorBaseES4_lENKUlvE_clEvENKUlvE_clEvEUlddE_EEvPT_PKS8_jjjS8_T1_
		.amdhsa_group_segment_fixed_size 0
		.amdhsa_private_segment_fixed_size 0
		.amdhsa_kernarg_size 304
		.amdhsa_user_sgpr_count 6
		.amdhsa_user_sgpr_private_segment_buffer 1
		.amdhsa_user_sgpr_dispatch_ptr 0
		.amdhsa_user_sgpr_queue_ptr 0
		.amdhsa_user_sgpr_kernarg_segment_ptr 1
		.amdhsa_user_sgpr_dispatch_id 0
		.amdhsa_user_sgpr_flat_scratch_init 0
		.amdhsa_user_sgpr_private_segment_size 0
		.amdhsa_uses_dynamic_stack 0
		.amdhsa_system_sgpr_private_segment_wavefront_offset 0
		.amdhsa_system_sgpr_workgroup_id_x 1
		.amdhsa_system_sgpr_workgroup_id_y 1
		.amdhsa_system_sgpr_workgroup_id_z 0
		.amdhsa_system_sgpr_workgroup_info 0
		.amdhsa_system_vgpr_workitem_id 0
		.amdhsa_next_free_vgpr 38
		.amdhsa_next_free_sgpr 89
		.amdhsa_reserve_vcc 1
		.amdhsa_reserve_flat_scratch 0
		.amdhsa_float_round_mode_32 0
		.amdhsa_float_round_mode_16_64 0
		.amdhsa_float_denorm_mode_32 3
		.amdhsa_float_denorm_mode_16_64 3
		.amdhsa_dx10_clamp 1
		.amdhsa_ieee_mode 1
		.amdhsa_fp16_overflow 0
		.amdhsa_exception_fp_ieee_invalid_op 0
		.amdhsa_exception_fp_denorm_src 0
		.amdhsa_exception_fp_ieee_div_zero 0
		.amdhsa_exception_fp_ieee_overflow 0
		.amdhsa_exception_fp_ieee_underflow 0
		.amdhsa_exception_fp_ieee_inexact 0
		.amdhsa_exception_int_div_zero 0
	.end_amdhsa_kernel
	.section	.text._ZN2at6native28tensor_kernel_scan_outer_dimIdjZZZNS0_31launch_logcumsumexp_cuda_kernelERKNS_10TensorBaseES4_lENKUlvE_clEvENKUlvE_clEvEUlddE_EEvPT_PKS8_jjjS8_T1_,"axG",@progbits,_ZN2at6native28tensor_kernel_scan_outer_dimIdjZZZNS0_31launch_logcumsumexp_cuda_kernelERKNS_10TensorBaseES4_lENKUlvE_clEvENKUlvE_clEvEUlddE_EEvPT_PKS8_jjjS8_T1_,comdat
.Lfunc_end85:
	.size	_ZN2at6native28tensor_kernel_scan_outer_dimIdjZZZNS0_31launch_logcumsumexp_cuda_kernelERKNS_10TensorBaseES4_lENKUlvE_clEvENKUlvE_clEvEUlddE_EEvPT_PKS8_jjjS8_T1_, .Lfunc_end85-_ZN2at6native28tensor_kernel_scan_outer_dimIdjZZZNS0_31launch_logcumsumexp_cuda_kernelERKNS_10TensorBaseES4_lENKUlvE_clEvENKUlvE_clEvEUlddE_EEvPT_PKS8_jjjS8_T1_
                                        ; -- End function
	.set _ZN2at6native28tensor_kernel_scan_outer_dimIdjZZZNS0_31launch_logcumsumexp_cuda_kernelERKNS_10TensorBaseES4_lENKUlvE_clEvENKUlvE_clEvEUlddE_EEvPT_PKS8_jjjS8_T1_.num_vgpr, 38
	.set _ZN2at6native28tensor_kernel_scan_outer_dimIdjZZZNS0_31launch_logcumsumexp_cuda_kernelERKNS_10TensorBaseES4_lENKUlvE_clEvENKUlvE_clEvEUlddE_EEvPT_PKS8_jjjS8_T1_.num_agpr, 0
	.set _ZN2at6native28tensor_kernel_scan_outer_dimIdjZZZNS0_31launch_logcumsumexp_cuda_kernelERKNS_10TensorBaseES4_lENKUlvE_clEvENKUlvE_clEvEUlddE_EEvPT_PKS8_jjjS8_T1_.numbered_sgpr, 89
	.set _ZN2at6native28tensor_kernel_scan_outer_dimIdjZZZNS0_31launch_logcumsumexp_cuda_kernelERKNS_10TensorBaseES4_lENKUlvE_clEvENKUlvE_clEvEUlddE_EEvPT_PKS8_jjjS8_T1_.num_named_barrier, 0
	.set _ZN2at6native28tensor_kernel_scan_outer_dimIdjZZZNS0_31launch_logcumsumexp_cuda_kernelERKNS_10TensorBaseES4_lENKUlvE_clEvENKUlvE_clEvEUlddE_EEvPT_PKS8_jjjS8_T1_.private_seg_size, 0
	.set _ZN2at6native28tensor_kernel_scan_outer_dimIdjZZZNS0_31launch_logcumsumexp_cuda_kernelERKNS_10TensorBaseES4_lENKUlvE_clEvENKUlvE_clEvEUlddE_EEvPT_PKS8_jjjS8_T1_.uses_vcc, 1
	.set _ZN2at6native28tensor_kernel_scan_outer_dimIdjZZZNS0_31launch_logcumsumexp_cuda_kernelERKNS_10TensorBaseES4_lENKUlvE_clEvENKUlvE_clEvEUlddE_EEvPT_PKS8_jjjS8_T1_.uses_flat_scratch, 0
	.set _ZN2at6native28tensor_kernel_scan_outer_dimIdjZZZNS0_31launch_logcumsumexp_cuda_kernelERKNS_10TensorBaseES4_lENKUlvE_clEvENKUlvE_clEvEUlddE_EEvPT_PKS8_jjjS8_T1_.has_dyn_sized_stack, 0
	.set _ZN2at6native28tensor_kernel_scan_outer_dimIdjZZZNS0_31launch_logcumsumexp_cuda_kernelERKNS_10TensorBaseES4_lENKUlvE_clEvENKUlvE_clEvEUlddE_EEvPT_PKS8_jjjS8_T1_.has_recursion, 0
	.set _ZN2at6native28tensor_kernel_scan_outer_dimIdjZZZNS0_31launch_logcumsumexp_cuda_kernelERKNS_10TensorBaseES4_lENKUlvE_clEvENKUlvE_clEvEUlddE_EEvPT_PKS8_jjjS8_T1_.has_indirect_call, 0
	.section	.AMDGPU.csdata,"",@progbits
; Kernel info:
; codeLenInByte = 1988
; TotalNumSgprs: 93
; NumVgprs: 38
; ScratchSize: 0
; MemoryBound: 0
; FloatMode: 240
; IeeeMode: 1
; LDSByteSize: 0 bytes/workgroup (compile time only)
; SGPRBlocks: 11
; VGPRBlocks: 9
; NumSGPRsForWavesPerEU: 93
; NumVGPRsForWavesPerEU: 38
; Occupancy: 6
; WaveLimiterHint : 0
; COMPUTE_PGM_RSRC2:SCRATCH_EN: 0
; COMPUTE_PGM_RSRC2:USER_SGPR: 6
; COMPUTE_PGM_RSRC2:TRAP_HANDLER: 0
; COMPUTE_PGM_RSRC2:TGID_X_EN: 1
; COMPUTE_PGM_RSRC2:TGID_Y_EN: 1
; COMPUTE_PGM_RSRC2:TGID_Z_EN: 0
; COMPUTE_PGM_RSRC2:TIDIG_COMP_CNT: 0
	.section	.text._ZN2at6native28tensor_kernel_scan_outer_dimIdmZZZNS0_31launch_logcumsumexp_cuda_kernelERKNS_10TensorBaseES4_lENKUlvE_clEvENKUlvE_clEvEUlddE_EEvPT_PKS8_jjjS8_T1_,"axG",@progbits,_ZN2at6native28tensor_kernel_scan_outer_dimIdmZZZNS0_31launch_logcumsumexp_cuda_kernelERKNS_10TensorBaseES4_lENKUlvE_clEvENKUlvE_clEvEUlddE_EEvPT_PKS8_jjjS8_T1_,comdat
	.globl	_ZN2at6native28tensor_kernel_scan_outer_dimIdmZZZNS0_31launch_logcumsumexp_cuda_kernelERKNS_10TensorBaseES4_lENKUlvE_clEvENKUlvE_clEvEUlddE_EEvPT_PKS8_jjjS8_T1_ ; -- Begin function _ZN2at6native28tensor_kernel_scan_outer_dimIdmZZZNS0_31launch_logcumsumexp_cuda_kernelERKNS_10TensorBaseES4_lENKUlvE_clEvENKUlvE_clEvEUlddE_EEvPT_PKS8_jjjS8_T1_
	.p2align	8
	.type	_ZN2at6native28tensor_kernel_scan_outer_dimIdmZZZNS0_31launch_logcumsumexp_cuda_kernelERKNS_10TensorBaseES4_lENKUlvE_clEvENKUlvE_clEvEUlddE_EEvPT_PKS8_jjjS8_T1_,@function
_ZN2at6native28tensor_kernel_scan_outer_dimIdmZZZNS0_31launch_logcumsumexp_cuda_kernelERKNS_10TensorBaseES4_lENKUlvE_clEvENKUlvE_clEvEUlddE_EEvPT_PKS8_jjjS8_T1_: ; @_ZN2at6native28tensor_kernel_scan_outer_dimIdmZZZNS0_31launch_logcumsumexp_cuda_kernelERKNS_10TensorBaseES4_lENKUlvE_clEvENKUlvE_clEvEUlddE_EEvPT_PKS8_jjjS8_T1_
; %bb.0:
	s_load_dwordx4 s[12:15], s[4:5], 0x10
	s_waitcnt lgkmcnt(0)
	s_cmp_ge_u32 s6, s12
	s_cbranch_scc1 .LBB86_11
; %bb.1:
	s_load_dword s15, s[4:5], 0x30
	s_load_dword s0, s[4:5], 0x3c
	s_load_dwordx4 s[16:19], s[4:5], 0x0
	s_load_dwordx2 s[20:21], s[4:5], 0x20
	s_add_u32 s22, s4, 48
	s_addc_u32 s23, s5, 0
	s_waitcnt lgkmcnt(0)
	s_and_b32 s33, s0, 0xffff
	s_cmp_lg_u32 s14, 0
	s_mul_i32 s7, s7, s33
	s_cselect_b64 s[4:5], -1, 0
	v_add_u32_e32 v12, s7, v0
	s_mov_b32 s3, 0
	s_mov_b32 s2, s13
	s_mul_hi_u32 s9, s14, s13
	s_mul_i32 s8, s14, s13
	v_cndmask_b32_e64 v0, 0, 1, s[4:5]
	s_mov_b32 s28, 0x652b82fe
	s_mov_b32 s30, 0xfefa39ef
	;; [unrolled: 1-line block ×21, first 2 shown]
	v_cmp_gt_u32_e64 s[0:1], s13, v12
	s_lshl_b64 s[24:25], s[8:9], 3
	s_lshl_b64 s[26:27], s[2:3], 3
	v_cmp_ne_u32_e64 s[2:3], 1, v0
	v_mov_b32_e32 v1, 0
	s_movk_i32 s7, 0x1f8
	s_mov_b32 s29, 0x3ff71547
	s_mov_b32 s31, 0xbfe62e42
	;; [unrolled: 1-line block ×18, first 2 shown]
	v_mov_b32_e32 v2, 0xfca7ab0c
	v_mov_b32_e32 v3, 0x3e928af3
	;; [unrolled: 1-line block ×7, first 2 shown]
	s_mov_b32 s67, 0x40900000
	s_mov_b32 s69, 0xc090cc00
	;; [unrolled: 1-line block ×6, first 2 shown]
	s_branch .LBB86_3
.LBB86_2:                               ;   in Loop: Header=BB86_3 Depth=1
	s_or_b64 exec, exec, s[78:79]
	s_add_i32 s6, s6, s15
	s_cmp_ge_u32 s6, s12
	s_cbranch_scc1 .LBB86_11
.LBB86_3:                               ; =>This Loop Header: Depth=1
                                        ;     Child Loop BB86_6 Depth 2
                                        ;       Child Loop BB86_9 Depth 3
	s_and_saveexec_b64 s[78:79], s[0:1]
	s_cbranch_execz .LBB86_2
; %bb.4:                                ;   in Loop: Header=BB86_3 Depth=1
	s_load_dword s86, s[22:23], 0x4
	s_mul_i32 s4, s25, s6
	s_mul_hi_u32 s5, s24, s6
	s_mul_i32 s84, s24, s6
	s_add_i32 s85, s5, s4
	s_waitcnt lgkmcnt(0)
	s_mul_i32 s86, s86, s33
	s_mov_b64 s[80:81], 0
	v_mov_b32_e32 v0, v12
	s_branch .LBB86_6
.LBB86_5:                               ;   in Loop: Header=BB86_6 Depth=2
	v_add_u32_e32 v0, s86, v0
	v_cmp_le_u32_e32 vcc, s13, v0
	s_or_b64 s[80:81], vcc, s[80:81]
	s_andn2_b64 exec, exec, s[80:81]
	s_cbranch_execz .LBB86_2
.LBB86_6:                               ;   Parent Loop BB86_3 Depth=1
                                        ; =>  This Loop Header: Depth=2
                                        ;       Child Loop BB86_9 Depth 3
	s_and_b64 vcc, exec, s[2:3]
	s_cbranch_vccnz .LBB86_5
; %bb.7:                                ;   in Loop: Header=BB86_6 Depth=2
	v_lshlrev_b64 v[6:7], 3, v[0:1]
	v_mov_b32_e32 v8, s85
	v_add_co_u32_e32 v16, vcc, s84, v6
	v_addc_co_u32_e32 v17, vcc, v8, v7, vcc
	v_mov_b32_e32 v8, s20
	v_mov_b32_e32 v9, s21
	s_mov_b32 s87, s14
	s_branch .LBB86_9
.LBB86_8:                               ;   in Loop: Header=BB86_9 Depth=3
	s_or_b64 exec, exec, s[82:83]
	v_mov_b32_e32 v7, s17
	v_add_co_u32_e32 v6, vcc, s16, v16
	v_addc_co_u32_e32 v7, vcc, v7, v17, vcc
	global_store_dwordx2 v[6:7], v[8:9], off
	s_add_i32 s87, s87, -1
	v_mov_b32_e32 v6, s27
	v_add_co_u32_e32 v16, vcc, s26, v16
	s_cmp_eq_u32 s87, 0
	v_addc_co_u32_e32 v17, vcc, v17, v6, vcc
	s_cbranch_scc1 .LBB86_5
.LBB86_9:                               ;   Parent Loop BB86_3 Depth=1
                                        ;     Parent Loop BB86_6 Depth=2
                                        ; =>    This Inner Loop Header: Depth=3
	v_mov_b32_e32 v7, s19
	v_add_co_u32_e32 v6, vcc, s18, v16
	v_addc_co_u32_e32 v7, vcc, v7, v17, vcc
	global_load_dwordx2 v[6:7], v[6:7], off
	v_max_f64 v[10:11], v[8:9], v[8:9]
	v_cmp_u_f64_e32 vcc, v[8:9], v[8:9]
	s_waitcnt vmcnt(0)
	v_max_f64 v[18:19], v[6:7], v[6:7]
	v_cmp_u_f64_e64 s[4:5], v[6:7], v[6:7]
	v_min_f64 v[20:21], v[10:11], v[18:19]
	v_max_f64 v[10:11], v[10:11], v[18:19]
	v_cndmask_b32_e32 v18, v20, v8, vcc
	v_cndmask_b32_e32 v19, v21, v9, vcc
	;; [unrolled: 1-line block ×4, first 2 shown]
	v_cndmask_b32_e64 v11, v19, v7, s[4:5]
	v_cndmask_b32_e64 v10, v18, v6, s[4:5]
	;; [unrolled: 1-line block ×4, first 2 shown]
	v_cmp_neq_f64_e32 vcc, v[10:11], v[6:7]
	v_cmp_class_f64_e64 s[4:5], v[10:11], s7
	s_or_b64 s[4:5], vcc, s[4:5]
	s_and_saveexec_b64 s[82:83], s[4:5]
	s_cbranch_execz .LBB86_8
; %bb.10:                               ;   in Loop: Header=BB86_9 Depth=3
	v_add_f64 v[8:9], v[10:11], -v[6:7]
	s_mov_b32 s71, s55
	s_mov_b32 s72, s30
	;; [unrolled: 1-line block ×3, first 2 shown]
	v_mul_f64 v[10:11], v[8:9], s[28:29]
	v_cmp_nlt_f64_e32 vcc, s[66:67], v[8:9]
	v_cmp_ngt_f64_e64 s[4:5], s[68:69], v[8:9]
	v_rndne_f64_e32 v[10:11], v[10:11]
	s_and_b64 s[8:9], s[4:5], vcc
	v_fma_f64 v[18:19], v[10:11], s[30:31], v[8:9]
	v_fma_f64 v[18:19], v[10:11], s[34:35], v[18:19]
	v_cvt_i32_f64_e32 v10, v[10:11]
	v_fma_f64 v[20:21], v[18:19], s[36:37], v[2:3]
	v_fma_f64 v[20:21], v[18:19], v[20:21], s[38:39]
	;; [unrolled: 1-line block ×9, first 2 shown]
	v_fma_f64 v[20:21], v[18:19], v[20:21], 1.0
	v_fma_f64 v[18:19], v[18:19], v[20:21], 1.0
	v_ldexp_f64 v[8:9], v[18:19], v10
	v_cndmask_b32_e32 v9, v13, v9, vcc
	v_cndmask_b32_e64 v8, 0, v8, s[8:9]
	v_cndmask_b32_e64 v9, 0, v9, s[4:5]
	v_add_f64 v[18:19], v[8:9], 1.0
	v_cmp_neq_f64_e64 s[4:5], s[74:75], v[8:9]
	v_cmp_ngt_f64_e64 s[8:9], -1.0, v[8:9]
	v_cmp_neq_f64_e64 s[10:11], -1.0, v[8:9]
	v_frexp_mant_f64_e32 v[10:11], v[18:19]
	v_frexp_exp_i32_f64_e32 v24, v[18:19]
	v_add_f64 v[20:21], v[18:19], -1.0
	v_cmp_gt_f64_e32 vcc, s[54:55], v[10:11]
	v_add_f64 v[22:23], v[20:21], -v[18:19]
	v_add_f64 v[20:21], v[8:9], -v[20:21]
	v_subbrev_co_u32_e32 v10, vcc, 0, v24, vcc
	v_sub_u32_e32 v11, 0, v10
	v_ldexp_f64 v[18:19], v[18:19], v11
	v_add_f64 v[22:23], v[22:23], 1.0
	v_cmp_nge_f64_e32 vcc, -1.0, v[8:9]
	v_add_f64 v[24:25], v[18:19], 1.0
	v_add_f64 v[20:21], v[20:21], v[22:23]
	v_add_f64 v[26:27], v[18:19], -1.0
	s_and_b64 vcc, vcc, s[4:5]
	v_add_f64 v[22:23], v[24:25], -1.0
	v_ldexp_f64 v[20:21], v[20:21], v11
	v_add_f64 v[28:29], v[26:27], 1.0
	v_cvt_f64_i32_e32 v[10:11], v10
	v_add_f64 v[22:23], v[18:19], -v[22:23]
	v_add_f64 v[18:19], v[18:19], -v[28:29]
	v_add_f64 v[22:23], v[20:21], v[22:23]
	v_add_f64 v[18:19], v[20:21], v[18:19]
	;; [unrolled: 1-line block ×3, first 2 shown]
	v_rcp_f64_e32 v[20:21], v[28:29]
	v_add_f64 v[24:25], v[28:29], -v[24:25]
	v_add_f64 v[22:23], v[22:23], -v[24:25]
	v_fma_f64 v[30:31], -v[28:29], v[20:21], 1.0
	v_fma_f64 v[20:21], v[30:31], v[20:21], v[20:21]
	v_add_f64 v[30:31], v[26:27], v[18:19]
	v_add_f64 v[26:27], v[30:31], -v[26:27]
	v_add_f64 v[18:19], v[18:19], -v[26:27]
	v_fma_f64 v[26:27], -v[28:29], v[20:21], 1.0
	v_fma_f64 v[20:21], v[26:27], v[20:21], v[20:21]
	v_mul_f64 v[24:25], v[30:31], v[20:21]
	v_mul_f64 v[26:27], v[28:29], v[24:25]
	v_fma_f64 v[32:33], v[24:25], v[28:29], -v[26:27]
	v_fma_f64 v[32:33], v[24:25], v[22:23], v[32:33]
	v_add_f64 v[34:35], v[26:27], v[32:33]
	v_add_f64 v[36:37], v[30:31], -v[34:35]
	v_add_f64 v[26:27], v[34:35], -v[26:27]
	;; [unrolled: 1-line block ×5, first 2 shown]
	v_add_f64 v[18:19], v[18:19], v[30:31]
	v_add_f64 v[18:19], v[26:27], v[18:19]
	;; [unrolled: 1-line block ×3, first 2 shown]
	v_mul_f64 v[30:31], v[20:21], v[26:27]
	v_mul_f64 v[32:33], v[28:29], v[30:31]
	v_fma_f64 v[28:29], v[30:31], v[28:29], -v[32:33]
	v_fma_f64 v[22:23], v[30:31], v[22:23], v[28:29]
	v_add_f64 v[28:29], v[36:37], -v[26:27]
	v_add_f64 v[18:19], v[18:19], v[28:29]
	v_add_f64 v[28:29], v[32:33], v[22:23]
	v_add_f64 v[34:35], v[26:27], -v[28:29]
	v_add_f64 v[32:33], v[28:29], -v[32:33]
	v_add_f64 v[26:27], v[26:27], -v[34:35]
	v_add_f64 v[22:23], v[32:33], -v[22:23]
	v_add_f64 v[26:27], v[26:27], -v[28:29]
	v_add_f64 v[18:19], v[18:19], v[26:27]
	v_add_f64 v[18:19], v[22:23], v[18:19]
	;; [unrolled: 1-line block ×4, first 2 shown]
	v_add_f64 v[24:25], v[22:23], -v[24:25]
	v_mul_f64 v[18:19], v[20:21], v[18:19]
	v_add_f64 v[24:25], v[30:31], -v[24:25]
	v_add_f64 v[18:19], v[24:25], v[18:19]
	v_add_f64 v[20:21], v[22:23], v[18:19]
	v_mul_f64 v[24:25], v[20:21], v[20:21]
	v_fma_f64 v[26:27], v[24:25], s[56:57], v[4:5]
	v_mul_f64 v[28:29], v[20:21], v[24:25]
	v_fma_f64 v[26:27], v[24:25], v[26:27], s[58:59]
	v_fma_f64 v[26:27], v[24:25], v[26:27], s[60:61]
	v_fma_f64 v[26:27], v[24:25], v[26:27], s[62:63]
	v_fma_f64 v[26:27], v[24:25], v[26:27], s[64:65]
	v_fma_f64 v[24:25], v[24:25], v[26:27], s[70:71]
	v_ldexp_f64 v[26:27], v[20:21], 1
	v_add_f64 v[20:21], v[20:21], -v[22:23]
	v_mul_f64 v[24:25], v[28:29], v[24:25]
	v_mul_f64 v[28:29], v[10:11], s[72:73]
	v_add_f64 v[18:19], v[18:19], -v[20:21]
	v_add_f64 v[22:23], v[26:27], v[24:25]
	v_ldexp_f64 v[18:19], v[18:19], 1
	v_add_f64 v[20:21], v[22:23], -v[26:27]
	v_fma_f64 v[26:27], v[10:11], s[72:73], -v[28:29]
	v_add_f64 v[20:21], v[24:25], -v[20:21]
	v_fma_f64 v[10:11], v[10:11], s[76:77], v[26:27]
	v_add_f64 v[18:19], v[18:19], v[20:21]
	v_add_f64 v[20:21], v[28:29], v[10:11]
	;; [unrolled: 1-line block ×3, first 2 shown]
	v_add_f64 v[26:27], v[20:21], -v[28:29]
	v_add_f64 v[28:29], v[20:21], v[24:25]
	v_add_f64 v[10:11], v[10:11], -v[26:27]
	v_add_f64 v[22:23], v[24:25], -v[22:23]
	v_add_f64 v[26:27], v[28:29], -v[20:21]
	v_add_f64 v[18:19], v[18:19], -v[22:23]
	v_add_f64 v[22:23], v[28:29], -v[26:27]
	v_add_f64 v[24:25], v[24:25], -v[26:27]
	v_add_f64 v[20:21], v[20:21], -v[22:23]
	v_add_f64 v[22:23], v[10:11], v[18:19]
	v_add_f64 v[20:21], v[24:25], v[20:21]
	v_add_f64 v[24:25], v[22:23], -v[10:11]
	v_add_f64 v[20:21], v[22:23], v[20:21]
	v_add_f64 v[22:23], v[22:23], -v[24:25]
	v_add_f64 v[18:19], v[18:19], -v[24:25]
	v_add_f64 v[26:27], v[28:29], v[20:21]
	v_add_f64 v[10:11], v[10:11], -v[22:23]
	;; [unrolled: 3-line block ×3, first 2 shown]
	v_add_f64 v[10:11], v[10:11], v[18:19]
	v_add_f64 v[10:11], v[26:27], v[10:11]
	v_cndmask_b32_e64 v9, v13, v11, s[4:5]
	v_cndmask_b32_e64 v9, v14, v9, s[8:9]
	v_cndmask_b32_e32 v8, 0, v10, vcc
	v_cndmask_b32_e64 v9, v15, v9, s[10:11]
	v_add_f64 v[8:9], v[6:7], v[8:9]
	s_branch .LBB86_8
.LBB86_11:
	s_endpgm
	.section	.rodata,"a",@progbits
	.p2align	6, 0x0
	.amdhsa_kernel _ZN2at6native28tensor_kernel_scan_outer_dimIdmZZZNS0_31launch_logcumsumexp_cuda_kernelERKNS_10TensorBaseES4_lENKUlvE_clEvENKUlvE_clEvEUlddE_EEvPT_PKS8_jjjS8_T1_
		.amdhsa_group_segment_fixed_size 0
		.amdhsa_private_segment_fixed_size 0
		.amdhsa_kernarg_size 304
		.amdhsa_user_sgpr_count 6
		.amdhsa_user_sgpr_private_segment_buffer 1
		.amdhsa_user_sgpr_dispatch_ptr 0
		.amdhsa_user_sgpr_queue_ptr 0
		.amdhsa_user_sgpr_kernarg_segment_ptr 1
		.amdhsa_user_sgpr_dispatch_id 0
		.amdhsa_user_sgpr_flat_scratch_init 0
		.amdhsa_user_sgpr_private_segment_size 0
		.amdhsa_uses_dynamic_stack 0
		.amdhsa_system_sgpr_private_segment_wavefront_offset 0
		.amdhsa_system_sgpr_workgroup_id_x 1
		.amdhsa_system_sgpr_workgroup_id_y 1
		.amdhsa_system_sgpr_workgroup_id_z 0
		.amdhsa_system_sgpr_workgroup_info 0
		.amdhsa_system_vgpr_workitem_id 0
		.amdhsa_next_free_vgpr 38
		.amdhsa_next_free_sgpr 88
		.amdhsa_reserve_vcc 1
		.amdhsa_reserve_flat_scratch 0
		.amdhsa_float_round_mode_32 0
		.amdhsa_float_round_mode_16_64 0
		.amdhsa_float_denorm_mode_32 3
		.amdhsa_float_denorm_mode_16_64 3
		.amdhsa_dx10_clamp 1
		.amdhsa_ieee_mode 1
		.amdhsa_fp16_overflow 0
		.amdhsa_exception_fp_ieee_invalid_op 0
		.amdhsa_exception_fp_denorm_src 0
		.amdhsa_exception_fp_ieee_div_zero 0
		.amdhsa_exception_fp_ieee_overflow 0
		.amdhsa_exception_fp_ieee_underflow 0
		.amdhsa_exception_fp_ieee_inexact 0
		.amdhsa_exception_int_div_zero 0
	.end_amdhsa_kernel
	.section	.text._ZN2at6native28tensor_kernel_scan_outer_dimIdmZZZNS0_31launch_logcumsumexp_cuda_kernelERKNS_10TensorBaseES4_lENKUlvE_clEvENKUlvE_clEvEUlddE_EEvPT_PKS8_jjjS8_T1_,"axG",@progbits,_ZN2at6native28tensor_kernel_scan_outer_dimIdmZZZNS0_31launch_logcumsumexp_cuda_kernelERKNS_10TensorBaseES4_lENKUlvE_clEvENKUlvE_clEvEUlddE_EEvPT_PKS8_jjjS8_T1_,comdat
.Lfunc_end86:
	.size	_ZN2at6native28tensor_kernel_scan_outer_dimIdmZZZNS0_31launch_logcumsumexp_cuda_kernelERKNS_10TensorBaseES4_lENKUlvE_clEvENKUlvE_clEvEUlddE_EEvPT_PKS8_jjjS8_T1_, .Lfunc_end86-_ZN2at6native28tensor_kernel_scan_outer_dimIdmZZZNS0_31launch_logcumsumexp_cuda_kernelERKNS_10TensorBaseES4_lENKUlvE_clEvENKUlvE_clEvEUlddE_EEvPT_PKS8_jjjS8_T1_
                                        ; -- End function
	.set _ZN2at6native28tensor_kernel_scan_outer_dimIdmZZZNS0_31launch_logcumsumexp_cuda_kernelERKNS_10TensorBaseES4_lENKUlvE_clEvENKUlvE_clEvEUlddE_EEvPT_PKS8_jjjS8_T1_.num_vgpr, 38
	.set _ZN2at6native28tensor_kernel_scan_outer_dimIdmZZZNS0_31launch_logcumsumexp_cuda_kernelERKNS_10TensorBaseES4_lENKUlvE_clEvENKUlvE_clEvEUlddE_EEvPT_PKS8_jjjS8_T1_.num_agpr, 0
	.set _ZN2at6native28tensor_kernel_scan_outer_dimIdmZZZNS0_31launch_logcumsumexp_cuda_kernelERKNS_10TensorBaseES4_lENKUlvE_clEvENKUlvE_clEvEUlddE_EEvPT_PKS8_jjjS8_T1_.numbered_sgpr, 88
	.set _ZN2at6native28tensor_kernel_scan_outer_dimIdmZZZNS0_31launch_logcumsumexp_cuda_kernelERKNS_10TensorBaseES4_lENKUlvE_clEvENKUlvE_clEvEUlddE_EEvPT_PKS8_jjjS8_T1_.num_named_barrier, 0
	.set _ZN2at6native28tensor_kernel_scan_outer_dimIdmZZZNS0_31launch_logcumsumexp_cuda_kernelERKNS_10TensorBaseES4_lENKUlvE_clEvENKUlvE_clEvEUlddE_EEvPT_PKS8_jjjS8_T1_.private_seg_size, 0
	.set _ZN2at6native28tensor_kernel_scan_outer_dimIdmZZZNS0_31launch_logcumsumexp_cuda_kernelERKNS_10TensorBaseES4_lENKUlvE_clEvENKUlvE_clEvEUlddE_EEvPT_PKS8_jjjS8_T1_.uses_vcc, 1
	.set _ZN2at6native28tensor_kernel_scan_outer_dimIdmZZZNS0_31launch_logcumsumexp_cuda_kernelERKNS_10TensorBaseES4_lENKUlvE_clEvENKUlvE_clEvEUlddE_EEvPT_PKS8_jjjS8_T1_.uses_flat_scratch, 0
	.set _ZN2at6native28tensor_kernel_scan_outer_dimIdmZZZNS0_31launch_logcumsumexp_cuda_kernelERKNS_10TensorBaseES4_lENKUlvE_clEvENKUlvE_clEvEUlddE_EEvPT_PKS8_jjjS8_T1_.has_dyn_sized_stack, 0
	.set _ZN2at6native28tensor_kernel_scan_outer_dimIdmZZZNS0_31launch_logcumsumexp_cuda_kernelERKNS_10TensorBaseES4_lENKUlvE_clEvENKUlvE_clEvEUlddE_EEvPT_PKS8_jjjS8_T1_.has_recursion, 0
	.set _ZN2at6native28tensor_kernel_scan_outer_dimIdmZZZNS0_31launch_logcumsumexp_cuda_kernelERKNS_10TensorBaseES4_lENKUlvE_clEvENKUlvE_clEvEUlddE_EEvPT_PKS8_jjjS8_T1_.has_indirect_call, 0
	.section	.AMDGPU.csdata,"",@progbits
; Kernel info:
; codeLenInByte = 1988
; TotalNumSgprs: 92
; NumVgprs: 38
; ScratchSize: 0
; MemoryBound: 0
; FloatMode: 240
; IeeeMode: 1
; LDSByteSize: 0 bytes/workgroup (compile time only)
; SGPRBlocks: 11
; VGPRBlocks: 9
; NumSGPRsForWavesPerEU: 92
; NumVGPRsForWavesPerEU: 38
; Occupancy: 6
; WaveLimiterHint : 0
; COMPUTE_PGM_RSRC2:SCRATCH_EN: 0
; COMPUTE_PGM_RSRC2:USER_SGPR: 6
; COMPUTE_PGM_RSRC2:TRAP_HANDLER: 0
; COMPUTE_PGM_RSRC2:TGID_X_EN: 1
; COMPUTE_PGM_RSRC2:TGID_Y_EN: 1
; COMPUTE_PGM_RSRC2:TGID_Z_EN: 0
; COMPUTE_PGM_RSRC2:TIDIG_COMP_CNT: 0
	.section	.text._ZN7rocprim17ROCPRIM_400000_NS6detail31init_lookback_scan_state_kernelINS1_19lookback_scan_stateIfLb0ELb1EEENS1_16block_id_wrapperIjLb0EEEEEvT_jT0_jPNS7_10value_typeE,"axG",@progbits,_ZN7rocprim17ROCPRIM_400000_NS6detail31init_lookback_scan_state_kernelINS1_19lookback_scan_stateIfLb0ELb1EEENS1_16block_id_wrapperIjLb0EEEEEvT_jT0_jPNS7_10value_typeE,comdat
	.protected	_ZN7rocprim17ROCPRIM_400000_NS6detail31init_lookback_scan_state_kernelINS1_19lookback_scan_stateIfLb0ELb1EEENS1_16block_id_wrapperIjLb0EEEEEvT_jT0_jPNS7_10value_typeE ; -- Begin function _ZN7rocprim17ROCPRIM_400000_NS6detail31init_lookback_scan_state_kernelINS1_19lookback_scan_stateIfLb0ELb1EEENS1_16block_id_wrapperIjLb0EEEEEvT_jT0_jPNS7_10value_typeE
	.globl	_ZN7rocprim17ROCPRIM_400000_NS6detail31init_lookback_scan_state_kernelINS1_19lookback_scan_stateIfLb0ELb1EEENS1_16block_id_wrapperIjLb0EEEEEvT_jT0_jPNS7_10value_typeE
	.p2align	8
	.type	_ZN7rocprim17ROCPRIM_400000_NS6detail31init_lookback_scan_state_kernelINS1_19lookback_scan_stateIfLb0ELb1EEENS1_16block_id_wrapperIjLb0EEEEEvT_jT0_jPNS7_10value_typeE,@function
_ZN7rocprim17ROCPRIM_400000_NS6detail31init_lookback_scan_state_kernelINS1_19lookback_scan_stateIfLb0ELb1EEENS1_16block_id_wrapperIjLb0EEEEEvT_jT0_jPNS7_10value_typeE: ; @_ZN7rocprim17ROCPRIM_400000_NS6detail31init_lookback_scan_state_kernelINS1_19lookback_scan_stateIfLb0ELb1EEENS1_16block_id_wrapperIjLb0EEEEEvT_jT0_jPNS7_10value_typeE
; %bb.0:
	s_load_dword s7, s[4:5], 0x2c
	s_load_dwordx2 s[2:3], s[4:5], 0x18
	s_load_dwordx2 s[0:1], s[4:5], 0x0
	s_load_dword s8, s[4:5], 0x8
	s_waitcnt lgkmcnt(0)
	s_and_b32 s7, s7, 0xffff
	s_mul_i32 s6, s6, s7
	s_cmp_eq_u64 s[2:3], 0
	v_add_u32_e32 v0, s6, v0
	s_cbranch_scc1 .LBB87_6
; %bb.1:
	s_load_dword s6, s[4:5], 0x10
	s_mov_b32 s7, 0
	s_waitcnt lgkmcnt(0)
	s_cmp_lt_u32 s6, s8
	s_cselect_b32 s4, s6, 0
	v_cmp_eq_u32_e32 vcc, s4, v0
	s_and_saveexec_b64 s[4:5], vcc
	s_cbranch_execz .LBB87_5
; %bb.2:
	s_add_i32 s6, s6, 64
	s_lshl_b64 s[6:7], s[6:7], 3
	s_add_u32 s6, s0, s6
	s_addc_u32 s7, s1, s7
	v_mov_b32_e32 v3, 0
	global_load_dwordx2 v[1:2], v3, s[6:7] glc
	s_waitcnt vmcnt(0)
	v_and_b32_e32 v4, 0xff, v2
	v_cmp_ne_u64_e32 vcc, 0, v[3:4]
	s_cbranch_vccnz .LBB87_4
.LBB87_3:                               ; =>This Inner Loop Header: Depth=1
	global_load_dwordx2 v[1:2], v3, s[6:7] glc
	s_waitcnt vmcnt(0)
	v_and_b32_e32 v4, 0xff, v2
	v_cmp_eq_u64_e32 vcc, 0, v[3:4]
	s_cbranch_vccnz .LBB87_3
.LBB87_4:
	v_mov_b32_e32 v2, 0
	global_store_dword v2, v1, s[2:3]
.LBB87_5:
	s_or_b64 exec, exec, s[4:5]
.LBB87_6:
	v_cmp_gt_u32_e32 vcc, s8, v0
	s_and_saveexec_b64 s[2:3], vcc
	s_cbranch_execnz .LBB87_9
; %bb.7:
	s_or_b64 exec, exec, s[2:3]
	v_cmp_gt_u32_e32 vcc, 64, v0
	s_and_saveexec_b64 s[2:3], vcc
	s_cbranch_execnz .LBB87_10
.LBB87_8:
	s_endpgm
.LBB87_9:
	v_add_u32_e32 v1, 64, v0
	v_mov_b32_e32 v2, 0
	v_lshlrev_b64 v[3:4], 3, v[1:2]
	v_mov_b32_e32 v1, s1
	v_add_co_u32_e32 v3, vcc, s0, v3
	v_addc_co_u32_e32 v4, vcc, v1, v4, vcc
	v_mov_b32_e32 v1, v2
	global_store_dwordx2 v[3:4], v[1:2], off
	s_or_b64 exec, exec, s[2:3]
	v_cmp_gt_u32_e32 vcc, 64, v0
	s_and_saveexec_b64 s[2:3], vcc
	s_cbranch_execz .LBB87_8
.LBB87_10:
	v_mov_b32_e32 v1, 0
	v_lshlrev_b64 v[2:3], 3, v[0:1]
	v_mov_b32_e32 v0, s1
	v_add_co_u32_e32 v2, vcc, s0, v2
	v_addc_co_u32_e32 v3, vcc, v0, v3, vcc
	v_mov_b32_e32 v5, 0xff
	v_mov_b32_e32 v4, v1
	global_store_dwordx2 v[2:3], v[4:5], off
	s_endpgm
	.section	.rodata,"a",@progbits
	.p2align	6, 0x0
	.amdhsa_kernel _ZN7rocprim17ROCPRIM_400000_NS6detail31init_lookback_scan_state_kernelINS1_19lookback_scan_stateIfLb0ELb1EEENS1_16block_id_wrapperIjLb0EEEEEvT_jT0_jPNS7_10value_typeE
		.amdhsa_group_segment_fixed_size 0
		.amdhsa_private_segment_fixed_size 0
		.amdhsa_kernarg_size 288
		.amdhsa_user_sgpr_count 6
		.amdhsa_user_sgpr_private_segment_buffer 1
		.amdhsa_user_sgpr_dispatch_ptr 0
		.amdhsa_user_sgpr_queue_ptr 0
		.amdhsa_user_sgpr_kernarg_segment_ptr 1
		.amdhsa_user_sgpr_dispatch_id 0
		.amdhsa_user_sgpr_flat_scratch_init 0
		.amdhsa_user_sgpr_private_segment_size 0
		.amdhsa_uses_dynamic_stack 0
		.amdhsa_system_sgpr_private_segment_wavefront_offset 0
		.amdhsa_system_sgpr_workgroup_id_x 1
		.amdhsa_system_sgpr_workgroup_id_y 0
		.amdhsa_system_sgpr_workgroup_id_z 0
		.amdhsa_system_sgpr_workgroup_info 0
		.amdhsa_system_vgpr_workitem_id 0
		.amdhsa_next_free_vgpr 6
		.amdhsa_next_free_sgpr 9
		.amdhsa_reserve_vcc 1
		.amdhsa_reserve_flat_scratch 0
		.amdhsa_float_round_mode_32 0
		.amdhsa_float_round_mode_16_64 0
		.amdhsa_float_denorm_mode_32 3
		.amdhsa_float_denorm_mode_16_64 3
		.amdhsa_dx10_clamp 1
		.amdhsa_ieee_mode 1
		.amdhsa_fp16_overflow 0
		.amdhsa_exception_fp_ieee_invalid_op 0
		.amdhsa_exception_fp_denorm_src 0
		.amdhsa_exception_fp_ieee_div_zero 0
		.amdhsa_exception_fp_ieee_overflow 0
		.amdhsa_exception_fp_ieee_underflow 0
		.amdhsa_exception_fp_ieee_inexact 0
		.amdhsa_exception_int_div_zero 0
	.end_amdhsa_kernel
	.section	.text._ZN7rocprim17ROCPRIM_400000_NS6detail31init_lookback_scan_state_kernelINS1_19lookback_scan_stateIfLb0ELb1EEENS1_16block_id_wrapperIjLb0EEEEEvT_jT0_jPNS7_10value_typeE,"axG",@progbits,_ZN7rocprim17ROCPRIM_400000_NS6detail31init_lookback_scan_state_kernelINS1_19lookback_scan_stateIfLb0ELb1EEENS1_16block_id_wrapperIjLb0EEEEEvT_jT0_jPNS7_10value_typeE,comdat
.Lfunc_end87:
	.size	_ZN7rocprim17ROCPRIM_400000_NS6detail31init_lookback_scan_state_kernelINS1_19lookback_scan_stateIfLb0ELb1EEENS1_16block_id_wrapperIjLb0EEEEEvT_jT0_jPNS7_10value_typeE, .Lfunc_end87-_ZN7rocprim17ROCPRIM_400000_NS6detail31init_lookback_scan_state_kernelINS1_19lookback_scan_stateIfLb0ELb1EEENS1_16block_id_wrapperIjLb0EEEEEvT_jT0_jPNS7_10value_typeE
                                        ; -- End function
	.set _ZN7rocprim17ROCPRIM_400000_NS6detail31init_lookback_scan_state_kernelINS1_19lookback_scan_stateIfLb0ELb1EEENS1_16block_id_wrapperIjLb0EEEEEvT_jT0_jPNS7_10value_typeE.num_vgpr, 6
	.set _ZN7rocprim17ROCPRIM_400000_NS6detail31init_lookback_scan_state_kernelINS1_19lookback_scan_stateIfLb0ELb1EEENS1_16block_id_wrapperIjLb0EEEEEvT_jT0_jPNS7_10value_typeE.num_agpr, 0
	.set _ZN7rocprim17ROCPRIM_400000_NS6detail31init_lookback_scan_state_kernelINS1_19lookback_scan_stateIfLb0ELb1EEENS1_16block_id_wrapperIjLb0EEEEEvT_jT0_jPNS7_10value_typeE.numbered_sgpr, 9
	.set _ZN7rocprim17ROCPRIM_400000_NS6detail31init_lookback_scan_state_kernelINS1_19lookback_scan_stateIfLb0ELb1EEENS1_16block_id_wrapperIjLb0EEEEEvT_jT0_jPNS7_10value_typeE.num_named_barrier, 0
	.set _ZN7rocprim17ROCPRIM_400000_NS6detail31init_lookback_scan_state_kernelINS1_19lookback_scan_stateIfLb0ELb1EEENS1_16block_id_wrapperIjLb0EEEEEvT_jT0_jPNS7_10value_typeE.private_seg_size, 0
	.set _ZN7rocprim17ROCPRIM_400000_NS6detail31init_lookback_scan_state_kernelINS1_19lookback_scan_stateIfLb0ELb1EEENS1_16block_id_wrapperIjLb0EEEEEvT_jT0_jPNS7_10value_typeE.uses_vcc, 1
	.set _ZN7rocprim17ROCPRIM_400000_NS6detail31init_lookback_scan_state_kernelINS1_19lookback_scan_stateIfLb0ELb1EEENS1_16block_id_wrapperIjLb0EEEEEvT_jT0_jPNS7_10value_typeE.uses_flat_scratch, 0
	.set _ZN7rocprim17ROCPRIM_400000_NS6detail31init_lookback_scan_state_kernelINS1_19lookback_scan_stateIfLb0ELb1EEENS1_16block_id_wrapperIjLb0EEEEEvT_jT0_jPNS7_10value_typeE.has_dyn_sized_stack, 0
	.set _ZN7rocprim17ROCPRIM_400000_NS6detail31init_lookback_scan_state_kernelINS1_19lookback_scan_stateIfLb0ELb1EEENS1_16block_id_wrapperIjLb0EEEEEvT_jT0_jPNS7_10value_typeE.has_recursion, 0
	.set _ZN7rocprim17ROCPRIM_400000_NS6detail31init_lookback_scan_state_kernelINS1_19lookback_scan_stateIfLb0ELb1EEENS1_16block_id_wrapperIjLb0EEEEEvT_jT0_jPNS7_10value_typeE.has_indirect_call, 0
	.section	.AMDGPU.csdata,"",@progbits
; Kernel info:
; codeLenInByte = 324
; TotalNumSgprs: 13
; NumVgprs: 6
; ScratchSize: 0
; MemoryBound: 0
; FloatMode: 240
; IeeeMode: 1
; LDSByteSize: 0 bytes/workgroup (compile time only)
; SGPRBlocks: 1
; VGPRBlocks: 1
; NumSGPRsForWavesPerEU: 13
; NumVGPRsForWavesPerEU: 6
; Occupancy: 10
; WaveLimiterHint : 0
; COMPUTE_PGM_RSRC2:SCRATCH_EN: 0
; COMPUTE_PGM_RSRC2:USER_SGPR: 6
; COMPUTE_PGM_RSRC2:TRAP_HANDLER: 0
; COMPUTE_PGM_RSRC2:TGID_X_EN: 1
; COMPUTE_PGM_RSRC2:TGID_Y_EN: 0
; COMPUTE_PGM_RSRC2:TGID_Z_EN: 0
; COMPUTE_PGM_RSRC2:TIDIG_COMP_CNT: 0
	.section	.text._ZN7rocprim17ROCPRIM_400000_NS6detail17trampoline_kernelINS0_14default_configENS1_20scan_config_selectorIfEEZZNS1_9scan_implILNS1_25lookback_scan_determinismE0ELb0ELb0ES3_PKfPffZZZN2at6native31launch_logcumsumexp_cuda_kernelERKNSB_10TensorBaseESF_lENKUlvE_clEvENKUlvE0_clEvEUlffE_fEEDaPvRmT3_T4_T5_mT6_P12ihipStream_tbENKUlT_T0_E_clISt17integral_constantIbLb0EESW_EEDaSR_SS_EUlSR_E_NS1_11comp_targetILNS1_3genE0ELNS1_11target_archE4294967295ELNS1_3gpuE0ELNS1_3repE0EEENS1_30default_config_static_selectorELNS0_4arch9wavefront6targetE1EEEvT1_,"axG",@progbits,_ZN7rocprim17ROCPRIM_400000_NS6detail17trampoline_kernelINS0_14default_configENS1_20scan_config_selectorIfEEZZNS1_9scan_implILNS1_25lookback_scan_determinismE0ELb0ELb0ES3_PKfPffZZZN2at6native31launch_logcumsumexp_cuda_kernelERKNSB_10TensorBaseESF_lENKUlvE_clEvENKUlvE0_clEvEUlffE_fEEDaPvRmT3_T4_T5_mT6_P12ihipStream_tbENKUlT_T0_E_clISt17integral_constantIbLb0EESW_EEDaSR_SS_EUlSR_E_NS1_11comp_targetILNS1_3genE0ELNS1_11target_archE4294967295ELNS1_3gpuE0ELNS1_3repE0EEENS1_30default_config_static_selectorELNS0_4arch9wavefront6targetE1EEEvT1_,comdat
	.globl	_ZN7rocprim17ROCPRIM_400000_NS6detail17trampoline_kernelINS0_14default_configENS1_20scan_config_selectorIfEEZZNS1_9scan_implILNS1_25lookback_scan_determinismE0ELb0ELb0ES3_PKfPffZZZN2at6native31launch_logcumsumexp_cuda_kernelERKNSB_10TensorBaseESF_lENKUlvE_clEvENKUlvE0_clEvEUlffE_fEEDaPvRmT3_T4_T5_mT6_P12ihipStream_tbENKUlT_T0_E_clISt17integral_constantIbLb0EESW_EEDaSR_SS_EUlSR_E_NS1_11comp_targetILNS1_3genE0ELNS1_11target_archE4294967295ELNS1_3gpuE0ELNS1_3repE0EEENS1_30default_config_static_selectorELNS0_4arch9wavefront6targetE1EEEvT1_ ; -- Begin function _ZN7rocprim17ROCPRIM_400000_NS6detail17trampoline_kernelINS0_14default_configENS1_20scan_config_selectorIfEEZZNS1_9scan_implILNS1_25lookback_scan_determinismE0ELb0ELb0ES3_PKfPffZZZN2at6native31launch_logcumsumexp_cuda_kernelERKNSB_10TensorBaseESF_lENKUlvE_clEvENKUlvE0_clEvEUlffE_fEEDaPvRmT3_T4_T5_mT6_P12ihipStream_tbENKUlT_T0_E_clISt17integral_constantIbLb0EESW_EEDaSR_SS_EUlSR_E_NS1_11comp_targetILNS1_3genE0ELNS1_11target_archE4294967295ELNS1_3gpuE0ELNS1_3repE0EEENS1_30default_config_static_selectorELNS0_4arch9wavefront6targetE1EEEvT1_
	.p2align	8
	.type	_ZN7rocprim17ROCPRIM_400000_NS6detail17trampoline_kernelINS0_14default_configENS1_20scan_config_selectorIfEEZZNS1_9scan_implILNS1_25lookback_scan_determinismE0ELb0ELb0ES3_PKfPffZZZN2at6native31launch_logcumsumexp_cuda_kernelERKNSB_10TensorBaseESF_lENKUlvE_clEvENKUlvE0_clEvEUlffE_fEEDaPvRmT3_T4_T5_mT6_P12ihipStream_tbENKUlT_T0_E_clISt17integral_constantIbLb0EESW_EEDaSR_SS_EUlSR_E_NS1_11comp_targetILNS1_3genE0ELNS1_11target_archE4294967295ELNS1_3gpuE0ELNS1_3repE0EEENS1_30default_config_static_selectorELNS0_4arch9wavefront6targetE1EEEvT1_,@function
_ZN7rocprim17ROCPRIM_400000_NS6detail17trampoline_kernelINS0_14default_configENS1_20scan_config_selectorIfEEZZNS1_9scan_implILNS1_25lookback_scan_determinismE0ELb0ELb0ES3_PKfPffZZZN2at6native31launch_logcumsumexp_cuda_kernelERKNSB_10TensorBaseESF_lENKUlvE_clEvENKUlvE0_clEvEUlffE_fEEDaPvRmT3_T4_T5_mT6_P12ihipStream_tbENKUlT_T0_E_clISt17integral_constantIbLb0EESW_EEDaSR_SS_EUlSR_E_NS1_11comp_targetILNS1_3genE0ELNS1_11target_archE4294967295ELNS1_3gpuE0ELNS1_3repE0EEENS1_30default_config_static_selectorELNS0_4arch9wavefront6targetE1EEEvT1_: ; @_ZN7rocprim17ROCPRIM_400000_NS6detail17trampoline_kernelINS0_14default_configENS1_20scan_config_selectorIfEEZZNS1_9scan_implILNS1_25lookback_scan_determinismE0ELb0ELb0ES3_PKfPffZZZN2at6native31launch_logcumsumexp_cuda_kernelERKNSB_10TensorBaseESF_lENKUlvE_clEvENKUlvE0_clEvEUlffE_fEEDaPvRmT3_T4_T5_mT6_P12ihipStream_tbENKUlT_T0_E_clISt17integral_constantIbLb0EESW_EEDaSR_SS_EUlSR_E_NS1_11comp_targetILNS1_3genE0ELNS1_11target_archE4294967295ELNS1_3gpuE0ELNS1_3repE0EEENS1_30default_config_static_selectorELNS0_4arch9wavefront6targetE1EEEvT1_
; %bb.0:
	.section	.rodata,"a",@progbits
	.p2align	6, 0x0
	.amdhsa_kernel _ZN7rocprim17ROCPRIM_400000_NS6detail17trampoline_kernelINS0_14default_configENS1_20scan_config_selectorIfEEZZNS1_9scan_implILNS1_25lookback_scan_determinismE0ELb0ELb0ES3_PKfPffZZZN2at6native31launch_logcumsumexp_cuda_kernelERKNSB_10TensorBaseESF_lENKUlvE_clEvENKUlvE0_clEvEUlffE_fEEDaPvRmT3_T4_T5_mT6_P12ihipStream_tbENKUlT_T0_E_clISt17integral_constantIbLb0EESW_EEDaSR_SS_EUlSR_E_NS1_11comp_targetILNS1_3genE0ELNS1_11target_archE4294967295ELNS1_3gpuE0ELNS1_3repE0EEENS1_30default_config_static_selectorELNS0_4arch9wavefront6targetE1EEEvT1_
		.amdhsa_group_segment_fixed_size 0
		.amdhsa_private_segment_fixed_size 0
		.amdhsa_kernarg_size 96
		.amdhsa_user_sgpr_count 6
		.amdhsa_user_sgpr_private_segment_buffer 1
		.amdhsa_user_sgpr_dispatch_ptr 0
		.amdhsa_user_sgpr_queue_ptr 0
		.amdhsa_user_sgpr_kernarg_segment_ptr 1
		.amdhsa_user_sgpr_dispatch_id 0
		.amdhsa_user_sgpr_flat_scratch_init 0
		.amdhsa_user_sgpr_private_segment_size 0
		.amdhsa_uses_dynamic_stack 0
		.amdhsa_system_sgpr_private_segment_wavefront_offset 0
		.amdhsa_system_sgpr_workgroup_id_x 1
		.amdhsa_system_sgpr_workgroup_id_y 0
		.amdhsa_system_sgpr_workgroup_id_z 0
		.amdhsa_system_sgpr_workgroup_info 0
		.amdhsa_system_vgpr_workitem_id 0
		.amdhsa_next_free_vgpr 1
		.amdhsa_next_free_sgpr 0
		.amdhsa_reserve_vcc 0
		.amdhsa_reserve_flat_scratch 0
		.amdhsa_float_round_mode_32 0
		.amdhsa_float_round_mode_16_64 0
		.amdhsa_float_denorm_mode_32 3
		.amdhsa_float_denorm_mode_16_64 3
		.amdhsa_dx10_clamp 1
		.amdhsa_ieee_mode 1
		.amdhsa_fp16_overflow 0
		.amdhsa_exception_fp_ieee_invalid_op 0
		.amdhsa_exception_fp_denorm_src 0
		.amdhsa_exception_fp_ieee_div_zero 0
		.amdhsa_exception_fp_ieee_overflow 0
		.amdhsa_exception_fp_ieee_underflow 0
		.amdhsa_exception_fp_ieee_inexact 0
		.amdhsa_exception_int_div_zero 0
	.end_amdhsa_kernel
	.section	.text._ZN7rocprim17ROCPRIM_400000_NS6detail17trampoline_kernelINS0_14default_configENS1_20scan_config_selectorIfEEZZNS1_9scan_implILNS1_25lookback_scan_determinismE0ELb0ELb0ES3_PKfPffZZZN2at6native31launch_logcumsumexp_cuda_kernelERKNSB_10TensorBaseESF_lENKUlvE_clEvENKUlvE0_clEvEUlffE_fEEDaPvRmT3_T4_T5_mT6_P12ihipStream_tbENKUlT_T0_E_clISt17integral_constantIbLb0EESW_EEDaSR_SS_EUlSR_E_NS1_11comp_targetILNS1_3genE0ELNS1_11target_archE4294967295ELNS1_3gpuE0ELNS1_3repE0EEENS1_30default_config_static_selectorELNS0_4arch9wavefront6targetE1EEEvT1_,"axG",@progbits,_ZN7rocprim17ROCPRIM_400000_NS6detail17trampoline_kernelINS0_14default_configENS1_20scan_config_selectorIfEEZZNS1_9scan_implILNS1_25lookback_scan_determinismE0ELb0ELb0ES3_PKfPffZZZN2at6native31launch_logcumsumexp_cuda_kernelERKNSB_10TensorBaseESF_lENKUlvE_clEvENKUlvE0_clEvEUlffE_fEEDaPvRmT3_T4_T5_mT6_P12ihipStream_tbENKUlT_T0_E_clISt17integral_constantIbLb0EESW_EEDaSR_SS_EUlSR_E_NS1_11comp_targetILNS1_3genE0ELNS1_11target_archE4294967295ELNS1_3gpuE0ELNS1_3repE0EEENS1_30default_config_static_selectorELNS0_4arch9wavefront6targetE1EEEvT1_,comdat
.Lfunc_end88:
	.size	_ZN7rocprim17ROCPRIM_400000_NS6detail17trampoline_kernelINS0_14default_configENS1_20scan_config_selectorIfEEZZNS1_9scan_implILNS1_25lookback_scan_determinismE0ELb0ELb0ES3_PKfPffZZZN2at6native31launch_logcumsumexp_cuda_kernelERKNSB_10TensorBaseESF_lENKUlvE_clEvENKUlvE0_clEvEUlffE_fEEDaPvRmT3_T4_T5_mT6_P12ihipStream_tbENKUlT_T0_E_clISt17integral_constantIbLb0EESW_EEDaSR_SS_EUlSR_E_NS1_11comp_targetILNS1_3genE0ELNS1_11target_archE4294967295ELNS1_3gpuE0ELNS1_3repE0EEENS1_30default_config_static_selectorELNS0_4arch9wavefront6targetE1EEEvT1_, .Lfunc_end88-_ZN7rocprim17ROCPRIM_400000_NS6detail17trampoline_kernelINS0_14default_configENS1_20scan_config_selectorIfEEZZNS1_9scan_implILNS1_25lookback_scan_determinismE0ELb0ELb0ES3_PKfPffZZZN2at6native31launch_logcumsumexp_cuda_kernelERKNSB_10TensorBaseESF_lENKUlvE_clEvENKUlvE0_clEvEUlffE_fEEDaPvRmT3_T4_T5_mT6_P12ihipStream_tbENKUlT_T0_E_clISt17integral_constantIbLb0EESW_EEDaSR_SS_EUlSR_E_NS1_11comp_targetILNS1_3genE0ELNS1_11target_archE4294967295ELNS1_3gpuE0ELNS1_3repE0EEENS1_30default_config_static_selectorELNS0_4arch9wavefront6targetE1EEEvT1_
                                        ; -- End function
	.set _ZN7rocprim17ROCPRIM_400000_NS6detail17trampoline_kernelINS0_14default_configENS1_20scan_config_selectorIfEEZZNS1_9scan_implILNS1_25lookback_scan_determinismE0ELb0ELb0ES3_PKfPffZZZN2at6native31launch_logcumsumexp_cuda_kernelERKNSB_10TensorBaseESF_lENKUlvE_clEvENKUlvE0_clEvEUlffE_fEEDaPvRmT3_T4_T5_mT6_P12ihipStream_tbENKUlT_T0_E_clISt17integral_constantIbLb0EESW_EEDaSR_SS_EUlSR_E_NS1_11comp_targetILNS1_3genE0ELNS1_11target_archE4294967295ELNS1_3gpuE0ELNS1_3repE0EEENS1_30default_config_static_selectorELNS0_4arch9wavefront6targetE1EEEvT1_.num_vgpr, 0
	.set _ZN7rocprim17ROCPRIM_400000_NS6detail17trampoline_kernelINS0_14default_configENS1_20scan_config_selectorIfEEZZNS1_9scan_implILNS1_25lookback_scan_determinismE0ELb0ELb0ES3_PKfPffZZZN2at6native31launch_logcumsumexp_cuda_kernelERKNSB_10TensorBaseESF_lENKUlvE_clEvENKUlvE0_clEvEUlffE_fEEDaPvRmT3_T4_T5_mT6_P12ihipStream_tbENKUlT_T0_E_clISt17integral_constantIbLb0EESW_EEDaSR_SS_EUlSR_E_NS1_11comp_targetILNS1_3genE0ELNS1_11target_archE4294967295ELNS1_3gpuE0ELNS1_3repE0EEENS1_30default_config_static_selectorELNS0_4arch9wavefront6targetE1EEEvT1_.num_agpr, 0
	.set _ZN7rocprim17ROCPRIM_400000_NS6detail17trampoline_kernelINS0_14default_configENS1_20scan_config_selectorIfEEZZNS1_9scan_implILNS1_25lookback_scan_determinismE0ELb0ELb0ES3_PKfPffZZZN2at6native31launch_logcumsumexp_cuda_kernelERKNSB_10TensorBaseESF_lENKUlvE_clEvENKUlvE0_clEvEUlffE_fEEDaPvRmT3_T4_T5_mT6_P12ihipStream_tbENKUlT_T0_E_clISt17integral_constantIbLb0EESW_EEDaSR_SS_EUlSR_E_NS1_11comp_targetILNS1_3genE0ELNS1_11target_archE4294967295ELNS1_3gpuE0ELNS1_3repE0EEENS1_30default_config_static_selectorELNS0_4arch9wavefront6targetE1EEEvT1_.numbered_sgpr, 0
	.set _ZN7rocprim17ROCPRIM_400000_NS6detail17trampoline_kernelINS0_14default_configENS1_20scan_config_selectorIfEEZZNS1_9scan_implILNS1_25lookback_scan_determinismE0ELb0ELb0ES3_PKfPffZZZN2at6native31launch_logcumsumexp_cuda_kernelERKNSB_10TensorBaseESF_lENKUlvE_clEvENKUlvE0_clEvEUlffE_fEEDaPvRmT3_T4_T5_mT6_P12ihipStream_tbENKUlT_T0_E_clISt17integral_constantIbLb0EESW_EEDaSR_SS_EUlSR_E_NS1_11comp_targetILNS1_3genE0ELNS1_11target_archE4294967295ELNS1_3gpuE0ELNS1_3repE0EEENS1_30default_config_static_selectorELNS0_4arch9wavefront6targetE1EEEvT1_.num_named_barrier, 0
	.set _ZN7rocprim17ROCPRIM_400000_NS6detail17trampoline_kernelINS0_14default_configENS1_20scan_config_selectorIfEEZZNS1_9scan_implILNS1_25lookback_scan_determinismE0ELb0ELb0ES3_PKfPffZZZN2at6native31launch_logcumsumexp_cuda_kernelERKNSB_10TensorBaseESF_lENKUlvE_clEvENKUlvE0_clEvEUlffE_fEEDaPvRmT3_T4_T5_mT6_P12ihipStream_tbENKUlT_T0_E_clISt17integral_constantIbLb0EESW_EEDaSR_SS_EUlSR_E_NS1_11comp_targetILNS1_3genE0ELNS1_11target_archE4294967295ELNS1_3gpuE0ELNS1_3repE0EEENS1_30default_config_static_selectorELNS0_4arch9wavefront6targetE1EEEvT1_.private_seg_size, 0
	.set _ZN7rocprim17ROCPRIM_400000_NS6detail17trampoline_kernelINS0_14default_configENS1_20scan_config_selectorIfEEZZNS1_9scan_implILNS1_25lookback_scan_determinismE0ELb0ELb0ES3_PKfPffZZZN2at6native31launch_logcumsumexp_cuda_kernelERKNSB_10TensorBaseESF_lENKUlvE_clEvENKUlvE0_clEvEUlffE_fEEDaPvRmT3_T4_T5_mT6_P12ihipStream_tbENKUlT_T0_E_clISt17integral_constantIbLb0EESW_EEDaSR_SS_EUlSR_E_NS1_11comp_targetILNS1_3genE0ELNS1_11target_archE4294967295ELNS1_3gpuE0ELNS1_3repE0EEENS1_30default_config_static_selectorELNS0_4arch9wavefront6targetE1EEEvT1_.uses_vcc, 0
	.set _ZN7rocprim17ROCPRIM_400000_NS6detail17trampoline_kernelINS0_14default_configENS1_20scan_config_selectorIfEEZZNS1_9scan_implILNS1_25lookback_scan_determinismE0ELb0ELb0ES3_PKfPffZZZN2at6native31launch_logcumsumexp_cuda_kernelERKNSB_10TensorBaseESF_lENKUlvE_clEvENKUlvE0_clEvEUlffE_fEEDaPvRmT3_T4_T5_mT6_P12ihipStream_tbENKUlT_T0_E_clISt17integral_constantIbLb0EESW_EEDaSR_SS_EUlSR_E_NS1_11comp_targetILNS1_3genE0ELNS1_11target_archE4294967295ELNS1_3gpuE0ELNS1_3repE0EEENS1_30default_config_static_selectorELNS0_4arch9wavefront6targetE1EEEvT1_.uses_flat_scratch, 0
	.set _ZN7rocprim17ROCPRIM_400000_NS6detail17trampoline_kernelINS0_14default_configENS1_20scan_config_selectorIfEEZZNS1_9scan_implILNS1_25lookback_scan_determinismE0ELb0ELb0ES3_PKfPffZZZN2at6native31launch_logcumsumexp_cuda_kernelERKNSB_10TensorBaseESF_lENKUlvE_clEvENKUlvE0_clEvEUlffE_fEEDaPvRmT3_T4_T5_mT6_P12ihipStream_tbENKUlT_T0_E_clISt17integral_constantIbLb0EESW_EEDaSR_SS_EUlSR_E_NS1_11comp_targetILNS1_3genE0ELNS1_11target_archE4294967295ELNS1_3gpuE0ELNS1_3repE0EEENS1_30default_config_static_selectorELNS0_4arch9wavefront6targetE1EEEvT1_.has_dyn_sized_stack, 0
	.set _ZN7rocprim17ROCPRIM_400000_NS6detail17trampoline_kernelINS0_14default_configENS1_20scan_config_selectorIfEEZZNS1_9scan_implILNS1_25lookback_scan_determinismE0ELb0ELb0ES3_PKfPffZZZN2at6native31launch_logcumsumexp_cuda_kernelERKNSB_10TensorBaseESF_lENKUlvE_clEvENKUlvE0_clEvEUlffE_fEEDaPvRmT3_T4_T5_mT6_P12ihipStream_tbENKUlT_T0_E_clISt17integral_constantIbLb0EESW_EEDaSR_SS_EUlSR_E_NS1_11comp_targetILNS1_3genE0ELNS1_11target_archE4294967295ELNS1_3gpuE0ELNS1_3repE0EEENS1_30default_config_static_selectorELNS0_4arch9wavefront6targetE1EEEvT1_.has_recursion, 0
	.set _ZN7rocprim17ROCPRIM_400000_NS6detail17trampoline_kernelINS0_14default_configENS1_20scan_config_selectorIfEEZZNS1_9scan_implILNS1_25lookback_scan_determinismE0ELb0ELb0ES3_PKfPffZZZN2at6native31launch_logcumsumexp_cuda_kernelERKNSB_10TensorBaseESF_lENKUlvE_clEvENKUlvE0_clEvEUlffE_fEEDaPvRmT3_T4_T5_mT6_P12ihipStream_tbENKUlT_T0_E_clISt17integral_constantIbLb0EESW_EEDaSR_SS_EUlSR_E_NS1_11comp_targetILNS1_3genE0ELNS1_11target_archE4294967295ELNS1_3gpuE0ELNS1_3repE0EEENS1_30default_config_static_selectorELNS0_4arch9wavefront6targetE1EEEvT1_.has_indirect_call, 0
	.section	.AMDGPU.csdata,"",@progbits
; Kernel info:
; codeLenInByte = 0
; TotalNumSgprs: 4
; NumVgprs: 0
; ScratchSize: 0
; MemoryBound: 0
; FloatMode: 240
; IeeeMode: 1
; LDSByteSize: 0 bytes/workgroup (compile time only)
; SGPRBlocks: 0
; VGPRBlocks: 0
; NumSGPRsForWavesPerEU: 4
; NumVGPRsForWavesPerEU: 1
; Occupancy: 10
; WaveLimiterHint : 0
; COMPUTE_PGM_RSRC2:SCRATCH_EN: 0
; COMPUTE_PGM_RSRC2:USER_SGPR: 6
; COMPUTE_PGM_RSRC2:TRAP_HANDLER: 0
; COMPUTE_PGM_RSRC2:TGID_X_EN: 1
; COMPUTE_PGM_RSRC2:TGID_Y_EN: 0
; COMPUTE_PGM_RSRC2:TGID_Z_EN: 0
; COMPUTE_PGM_RSRC2:TIDIG_COMP_CNT: 0
	.section	.text._ZN7rocprim17ROCPRIM_400000_NS6detail17trampoline_kernelINS0_14default_configENS1_20scan_config_selectorIfEEZZNS1_9scan_implILNS1_25lookback_scan_determinismE0ELb0ELb0ES3_PKfPffZZZN2at6native31launch_logcumsumexp_cuda_kernelERKNSB_10TensorBaseESF_lENKUlvE_clEvENKUlvE0_clEvEUlffE_fEEDaPvRmT3_T4_T5_mT6_P12ihipStream_tbENKUlT_T0_E_clISt17integral_constantIbLb0EESW_EEDaSR_SS_EUlSR_E_NS1_11comp_targetILNS1_3genE5ELNS1_11target_archE942ELNS1_3gpuE9ELNS1_3repE0EEENS1_30default_config_static_selectorELNS0_4arch9wavefront6targetE1EEEvT1_,"axG",@progbits,_ZN7rocprim17ROCPRIM_400000_NS6detail17trampoline_kernelINS0_14default_configENS1_20scan_config_selectorIfEEZZNS1_9scan_implILNS1_25lookback_scan_determinismE0ELb0ELb0ES3_PKfPffZZZN2at6native31launch_logcumsumexp_cuda_kernelERKNSB_10TensorBaseESF_lENKUlvE_clEvENKUlvE0_clEvEUlffE_fEEDaPvRmT3_T4_T5_mT6_P12ihipStream_tbENKUlT_T0_E_clISt17integral_constantIbLb0EESW_EEDaSR_SS_EUlSR_E_NS1_11comp_targetILNS1_3genE5ELNS1_11target_archE942ELNS1_3gpuE9ELNS1_3repE0EEENS1_30default_config_static_selectorELNS0_4arch9wavefront6targetE1EEEvT1_,comdat
	.globl	_ZN7rocprim17ROCPRIM_400000_NS6detail17trampoline_kernelINS0_14default_configENS1_20scan_config_selectorIfEEZZNS1_9scan_implILNS1_25lookback_scan_determinismE0ELb0ELb0ES3_PKfPffZZZN2at6native31launch_logcumsumexp_cuda_kernelERKNSB_10TensorBaseESF_lENKUlvE_clEvENKUlvE0_clEvEUlffE_fEEDaPvRmT3_T4_T5_mT6_P12ihipStream_tbENKUlT_T0_E_clISt17integral_constantIbLb0EESW_EEDaSR_SS_EUlSR_E_NS1_11comp_targetILNS1_3genE5ELNS1_11target_archE942ELNS1_3gpuE9ELNS1_3repE0EEENS1_30default_config_static_selectorELNS0_4arch9wavefront6targetE1EEEvT1_ ; -- Begin function _ZN7rocprim17ROCPRIM_400000_NS6detail17trampoline_kernelINS0_14default_configENS1_20scan_config_selectorIfEEZZNS1_9scan_implILNS1_25lookback_scan_determinismE0ELb0ELb0ES3_PKfPffZZZN2at6native31launch_logcumsumexp_cuda_kernelERKNSB_10TensorBaseESF_lENKUlvE_clEvENKUlvE0_clEvEUlffE_fEEDaPvRmT3_T4_T5_mT6_P12ihipStream_tbENKUlT_T0_E_clISt17integral_constantIbLb0EESW_EEDaSR_SS_EUlSR_E_NS1_11comp_targetILNS1_3genE5ELNS1_11target_archE942ELNS1_3gpuE9ELNS1_3repE0EEENS1_30default_config_static_selectorELNS0_4arch9wavefront6targetE1EEEvT1_
	.p2align	8
	.type	_ZN7rocprim17ROCPRIM_400000_NS6detail17trampoline_kernelINS0_14default_configENS1_20scan_config_selectorIfEEZZNS1_9scan_implILNS1_25lookback_scan_determinismE0ELb0ELb0ES3_PKfPffZZZN2at6native31launch_logcumsumexp_cuda_kernelERKNSB_10TensorBaseESF_lENKUlvE_clEvENKUlvE0_clEvEUlffE_fEEDaPvRmT3_T4_T5_mT6_P12ihipStream_tbENKUlT_T0_E_clISt17integral_constantIbLb0EESW_EEDaSR_SS_EUlSR_E_NS1_11comp_targetILNS1_3genE5ELNS1_11target_archE942ELNS1_3gpuE9ELNS1_3repE0EEENS1_30default_config_static_selectorELNS0_4arch9wavefront6targetE1EEEvT1_,@function
_ZN7rocprim17ROCPRIM_400000_NS6detail17trampoline_kernelINS0_14default_configENS1_20scan_config_selectorIfEEZZNS1_9scan_implILNS1_25lookback_scan_determinismE0ELb0ELb0ES3_PKfPffZZZN2at6native31launch_logcumsumexp_cuda_kernelERKNSB_10TensorBaseESF_lENKUlvE_clEvENKUlvE0_clEvEUlffE_fEEDaPvRmT3_T4_T5_mT6_P12ihipStream_tbENKUlT_T0_E_clISt17integral_constantIbLb0EESW_EEDaSR_SS_EUlSR_E_NS1_11comp_targetILNS1_3genE5ELNS1_11target_archE942ELNS1_3gpuE9ELNS1_3repE0EEENS1_30default_config_static_selectorELNS0_4arch9wavefront6targetE1EEEvT1_: ; @_ZN7rocprim17ROCPRIM_400000_NS6detail17trampoline_kernelINS0_14default_configENS1_20scan_config_selectorIfEEZZNS1_9scan_implILNS1_25lookback_scan_determinismE0ELb0ELb0ES3_PKfPffZZZN2at6native31launch_logcumsumexp_cuda_kernelERKNSB_10TensorBaseESF_lENKUlvE_clEvENKUlvE0_clEvEUlffE_fEEDaPvRmT3_T4_T5_mT6_P12ihipStream_tbENKUlT_T0_E_clISt17integral_constantIbLb0EESW_EEDaSR_SS_EUlSR_E_NS1_11comp_targetILNS1_3genE5ELNS1_11target_archE942ELNS1_3gpuE9ELNS1_3repE0EEENS1_30default_config_static_selectorELNS0_4arch9wavefront6targetE1EEEvT1_
; %bb.0:
	.section	.rodata,"a",@progbits
	.p2align	6, 0x0
	.amdhsa_kernel _ZN7rocprim17ROCPRIM_400000_NS6detail17trampoline_kernelINS0_14default_configENS1_20scan_config_selectorIfEEZZNS1_9scan_implILNS1_25lookback_scan_determinismE0ELb0ELb0ES3_PKfPffZZZN2at6native31launch_logcumsumexp_cuda_kernelERKNSB_10TensorBaseESF_lENKUlvE_clEvENKUlvE0_clEvEUlffE_fEEDaPvRmT3_T4_T5_mT6_P12ihipStream_tbENKUlT_T0_E_clISt17integral_constantIbLb0EESW_EEDaSR_SS_EUlSR_E_NS1_11comp_targetILNS1_3genE5ELNS1_11target_archE942ELNS1_3gpuE9ELNS1_3repE0EEENS1_30default_config_static_selectorELNS0_4arch9wavefront6targetE1EEEvT1_
		.amdhsa_group_segment_fixed_size 0
		.amdhsa_private_segment_fixed_size 0
		.amdhsa_kernarg_size 96
		.amdhsa_user_sgpr_count 6
		.amdhsa_user_sgpr_private_segment_buffer 1
		.amdhsa_user_sgpr_dispatch_ptr 0
		.amdhsa_user_sgpr_queue_ptr 0
		.amdhsa_user_sgpr_kernarg_segment_ptr 1
		.amdhsa_user_sgpr_dispatch_id 0
		.amdhsa_user_sgpr_flat_scratch_init 0
		.amdhsa_user_sgpr_private_segment_size 0
		.amdhsa_uses_dynamic_stack 0
		.amdhsa_system_sgpr_private_segment_wavefront_offset 0
		.amdhsa_system_sgpr_workgroup_id_x 1
		.amdhsa_system_sgpr_workgroup_id_y 0
		.amdhsa_system_sgpr_workgroup_id_z 0
		.amdhsa_system_sgpr_workgroup_info 0
		.amdhsa_system_vgpr_workitem_id 0
		.amdhsa_next_free_vgpr 1
		.amdhsa_next_free_sgpr 0
		.amdhsa_reserve_vcc 0
		.amdhsa_reserve_flat_scratch 0
		.amdhsa_float_round_mode_32 0
		.amdhsa_float_round_mode_16_64 0
		.amdhsa_float_denorm_mode_32 3
		.amdhsa_float_denorm_mode_16_64 3
		.amdhsa_dx10_clamp 1
		.amdhsa_ieee_mode 1
		.amdhsa_fp16_overflow 0
		.amdhsa_exception_fp_ieee_invalid_op 0
		.amdhsa_exception_fp_denorm_src 0
		.amdhsa_exception_fp_ieee_div_zero 0
		.amdhsa_exception_fp_ieee_overflow 0
		.amdhsa_exception_fp_ieee_underflow 0
		.amdhsa_exception_fp_ieee_inexact 0
		.amdhsa_exception_int_div_zero 0
	.end_amdhsa_kernel
	.section	.text._ZN7rocprim17ROCPRIM_400000_NS6detail17trampoline_kernelINS0_14default_configENS1_20scan_config_selectorIfEEZZNS1_9scan_implILNS1_25lookback_scan_determinismE0ELb0ELb0ES3_PKfPffZZZN2at6native31launch_logcumsumexp_cuda_kernelERKNSB_10TensorBaseESF_lENKUlvE_clEvENKUlvE0_clEvEUlffE_fEEDaPvRmT3_T4_T5_mT6_P12ihipStream_tbENKUlT_T0_E_clISt17integral_constantIbLb0EESW_EEDaSR_SS_EUlSR_E_NS1_11comp_targetILNS1_3genE5ELNS1_11target_archE942ELNS1_3gpuE9ELNS1_3repE0EEENS1_30default_config_static_selectorELNS0_4arch9wavefront6targetE1EEEvT1_,"axG",@progbits,_ZN7rocprim17ROCPRIM_400000_NS6detail17trampoline_kernelINS0_14default_configENS1_20scan_config_selectorIfEEZZNS1_9scan_implILNS1_25lookback_scan_determinismE0ELb0ELb0ES3_PKfPffZZZN2at6native31launch_logcumsumexp_cuda_kernelERKNSB_10TensorBaseESF_lENKUlvE_clEvENKUlvE0_clEvEUlffE_fEEDaPvRmT3_T4_T5_mT6_P12ihipStream_tbENKUlT_T0_E_clISt17integral_constantIbLb0EESW_EEDaSR_SS_EUlSR_E_NS1_11comp_targetILNS1_3genE5ELNS1_11target_archE942ELNS1_3gpuE9ELNS1_3repE0EEENS1_30default_config_static_selectorELNS0_4arch9wavefront6targetE1EEEvT1_,comdat
.Lfunc_end89:
	.size	_ZN7rocprim17ROCPRIM_400000_NS6detail17trampoline_kernelINS0_14default_configENS1_20scan_config_selectorIfEEZZNS1_9scan_implILNS1_25lookback_scan_determinismE0ELb0ELb0ES3_PKfPffZZZN2at6native31launch_logcumsumexp_cuda_kernelERKNSB_10TensorBaseESF_lENKUlvE_clEvENKUlvE0_clEvEUlffE_fEEDaPvRmT3_T4_T5_mT6_P12ihipStream_tbENKUlT_T0_E_clISt17integral_constantIbLb0EESW_EEDaSR_SS_EUlSR_E_NS1_11comp_targetILNS1_3genE5ELNS1_11target_archE942ELNS1_3gpuE9ELNS1_3repE0EEENS1_30default_config_static_selectorELNS0_4arch9wavefront6targetE1EEEvT1_, .Lfunc_end89-_ZN7rocprim17ROCPRIM_400000_NS6detail17trampoline_kernelINS0_14default_configENS1_20scan_config_selectorIfEEZZNS1_9scan_implILNS1_25lookback_scan_determinismE0ELb0ELb0ES3_PKfPffZZZN2at6native31launch_logcumsumexp_cuda_kernelERKNSB_10TensorBaseESF_lENKUlvE_clEvENKUlvE0_clEvEUlffE_fEEDaPvRmT3_T4_T5_mT6_P12ihipStream_tbENKUlT_T0_E_clISt17integral_constantIbLb0EESW_EEDaSR_SS_EUlSR_E_NS1_11comp_targetILNS1_3genE5ELNS1_11target_archE942ELNS1_3gpuE9ELNS1_3repE0EEENS1_30default_config_static_selectorELNS0_4arch9wavefront6targetE1EEEvT1_
                                        ; -- End function
	.set _ZN7rocprim17ROCPRIM_400000_NS6detail17trampoline_kernelINS0_14default_configENS1_20scan_config_selectorIfEEZZNS1_9scan_implILNS1_25lookback_scan_determinismE0ELb0ELb0ES3_PKfPffZZZN2at6native31launch_logcumsumexp_cuda_kernelERKNSB_10TensorBaseESF_lENKUlvE_clEvENKUlvE0_clEvEUlffE_fEEDaPvRmT3_T4_T5_mT6_P12ihipStream_tbENKUlT_T0_E_clISt17integral_constantIbLb0EESW_EEDaSR_SS_EUlSR_E_NS1_11comp_targetILNS1_3genE5ELNS1_11target_archE942ELNS1_3gpuE9ELNS1_3repE0EEENS1_30default_config_static_selectorELNS0_4arch9wavefront6targetE1EEEvT1_.num_vgpr, 0
	.set _ZN7rocprim17ROCPRIM_400000_NS6detail17trampoline_kernelINS0_14default_configENS1_20scan_config_selectorIfEEZZNS1_9scan_implILNS1_25lookback_scan_determinismE0ELb0ELb0ES3_PKfPffZZZN2at6native31launch_logcumsumexp_cuda_kernelERKNSB_10TensorBaseESF_lENKUlvE_clEvENKUlvE0_clEvEUlffE_fEEDaPvRmT3_T4_T5_mT6_P12ihipStream_tbENKUlT_T0_E_clISt17integral_constantIbLb0EESW_EEDaSR_SS_EUlSR_E_NS1_11comp_targetILNS1_3genE5ELNS1_11target_archE942ELNS1_3gpuE9ELNS1_3repE0EEENS1_30default_config_static_selectorELNS0_4arch9wavefront6targetE1EEEvT1_.num_agpr, 0
	.set _ZN7rocprim17ROCPRIM_400000_NS6detail17trampoline_kernelINS0_14default_configENS1_20scan_config_selectorIfEEZZNS1_9scan_implILNS1_25lookback_scan_determinismE0ELb0ELb0ES3_PKfPffZZZN2at6native31launch_logcumsumexp_cuda_kernelERKNSB_10TensorBaseESF_lENKUlvE_clEvENKUlvE0_clEvEUlffE_fEEDaPvRmT3_T4_T5_mT6_P12ihipStream_tbENKUlT_T0_E_clISt17integral_constantIbLb0EESW_EEDaSR_SS_EUlSR_E_NS1_11comp_targetILNS1_3genE5ELNS1_11target_archE942ELNS1_3gpuE9ELNS1_3repE0EEENS1_30default_config_static_selectorELNS0_4arch9wavefront6targetE1EEEvT1_.numbered_sgpr, 0
	.set _ZN7rocprim17ROCPRIM_400000_NS6detail17trampoline_kernelINS0_14default_configENS1_20scan_config_selectorIfEEZZNS1_9scan_implILNS1_25lookback_scan_determinismE0ELb0ELb0ES3_PKfPffZZZN2at6native31launch_logcumsumexp_cuda_kernelERKNSB_10TensorBaseESF_lENKUlvE_clEvENKUlvE0_clEvEUlffE_fEEDaPvRmT3_T4_T5_mT6_P12ihipStream_tbENKUlT_T0_E_clISt17integral_constantIbLb0EESW_EEDaSR_SS_EUlSR_E_NS1_11comp_targetILNS1_3genE5ELNS1_11target_archE942ELNS1_3gpuE9ELNS1_3repE0EEENS1_30default_config_static_selectorELNS0_4arch9wavefront6targetE1EEEvT1_.num_named_barrier, 0
	.set _ZN7rocprim17ROCPRIM_400000_NS6detail17trampoline_kernelINS0_14default_configENS1_20scan_config_selectorIfEEZZNS1_9scan_implILNS1_25lookback_scan_determinismE0ELb0ELb0ES3_PKfPffZZZN2at6native31launch_logcumsumexp_cuda_kernelERKNSB_10TensorBaseESF_lENKUlvE_clEvENKUlvE0_clEvEUlffE_fEEDaPvRmT3_T4_T5_mT6_P12ihipStream_tbENKUlT_T0_E_clISt17integral_constantIbLb0EESW_EEDaSR_SS_EUlSR_E_NS1_11comp_targetILNS1_3genE5ELNS1_11target_archE942ELNS1_3gpuE9ELNS1_3repE0EEENS1_30default_config_static_selectorELNS0_4arch9wavefront6targetE1EEEvT1_.private_seg_size, 0
	.set _ZN7rocprim17ROCPRIM_400000_NS6detail17trampoline_kernelINS0_14default_configENS1_20scan_config_selectorIfEEZZNS1_9scan_implILNS1_25lookback_scan_determinismE0ELb0ELb0ES3_PKfPffZZZN2at6native31launch_logcumsumexp_cuda_kernelERKNSB_10TensorBaseESF_lENKUlvE_clEvENKUlvE0_clEvEUlffE_fEEDaPvRmT3_T4_T5_mT6_P12ihipStream_tbENKUlT_T0_E_clISt17integral_constantIbLb0EESW_EEDaSR_SS_EUlSR_E_NS1_11comp_targetILNS1_3genE5ELNS1_11target_archE942ELNS1_3gpuE9ELNS1_3repE0EEENS1_30default_config_static_selectorELNS0_4arch9wavefront6targetE1EEEvT1_.uses_vcc, 0
	.set _ZN7rocprim17ROCPRIM_400000_NS6detail17trampoline_kernelINS0_14default_configENS1_20scan_config_selectorIfEEZZNS1_9scan_implILNS1_25lookback_scan_determinismE0ELb0ELb0ES3_PKfPffZZZN2at6native31launch_logcumsumexp_cuda_kernelERKNSB_10TensorBaseESF_lENKUlvE_clEvENKUlvE0_clEvEUlffE_fEEDaPvRmT3_T4_T5_mT6_P12ihipStream_tbENKUlT_T0_E_clISt17integral_constantIbLb0EESW_EEDaSR_SS_EUlSR_E_NS1_11comp_targetILNS1_3genE5ELNS1_11target_archE942ELNS1_3gpuE9ELNS1_3repE0EEENS1_30default_config_static_selectorELNS0_4arch9wavefront6targetE1EEEvT1_.uses_flat_scratch, 0
	.set _ZN7rocprim17ROCPRIM_400000_NS6detail17trampoline_kernelINS0_14default_configENS1_20scan_config_selectorIfEEZZNS1_9scan_implILNS1_25lookback_scan_determinismE0ELb0ELb0ES3_PKfPffZZZN2at6native31launch_logcumsumexp_cuda_kernelERKNSB_10TensorBaseESF_lENKUlvE_clEvENKUlvE0_clEvEUlffE_fEEDaPvRmT3_T4_T5_mT6_P12ihipStream_tbENKUlT_T0_E_clISt17integral_constantIbLb0EESW_EEDaSR_SS_EUlSR_E_NS1_11comp_targetILNS1_3genE5ELNS1_11target_archE942ELNS1_3gpuE9ELNS1_3repE0EEENS1_30default_config_static_selectorELNS0_4arch9wavefront6targetE1EEEvT1_.has_dyn_sized_stack, 0
	.set _ZN7rocprim17ROCPRIM_400000_NS6detail17trampoline_kernelINS0_14default_configENS1_20scan_config_selectorIfEEZZNS1_9scan_implILNS1_25lookback_scan_determinismE0ELb0ELb0ES3_PKfPffZZZN2at6native31launch_logcumsumexp_cuda_kernelERKNSB_10TensorBaseESF_lENKUlvE_clEvENKUlvE0_clEvEUlffE_fEEDaPvRmT3_T4_T5_mT6_P12ihipStream_tbENKUlT_T0_E_clISt17integral_constantIbLb0EESW_EEDaSR_SS_EUlSR_E_NS1_11comp_targetILNS1_3genE5ELNS1_11target_archE942ELNS1_3gpuE9ELNS1_3repE0EEENS1_30default_config_static_selectorELNS0_4arch9wavefront6targetE1EEEvT1_.has_recursion, 0
	.set _ZN7rocprim17ROCPRIM_400000_NS6detail17trampoline_kernelINS0_14default_configENS1_20scan_config_selectorIfEEZZNS1_9scan_implILNS1_25lookback_scan_determinismE0ELb0ELb0ES3_PKfPffZZZN2at6native31launch_logcumsumexp_cuda_kernelERKNSB_10TensorBaseESF_lENKUlvE_clEvENKUlvE0_clEvEUlffE_fEEDaPvRmT3_T4_T5_mT6_P12ihipStream_tbENKUlT_T0_E_clISt17integral_constantIbLb0EESW_EEDaSR_SS_EUlSR_E_NS1_11comp_targetILNS1_3genE5ELNS1_11target_archE942ELNS1_3gpuE9ELNS1_3repE0EEENS1_30default_config_static_selectorELNS0_4arch9wavefront6targetE1EEEvT1_.has_indirect_call, 0
	.section	.AMDGPU.csdata,"",@progbits
; Kernel info:
; codeLenInByte = 0
; TotalNumSgprs: 4
; NumVgprs: 0
; ScratchSize: 0
; MemoryBound: 0
; FloatMode: 240
; IeeeMode: 1
; LDSByteSize: 0 bytes/workgroup (compile time only)
; SGPRBlocks: 0
; VGPRBlocks: 0
; NumSGPRsForWavesPerEU: 4
; NumVGPRsForWavesPerEU: 1
; Occupancy: 10
; WaveLimiterHint : 0
; COMPUTE_PGM_RSRC2:SCRATCH_EN: 0
; COMPUTE_PGM_RSRC2:USER_SGPR: 6
; COMPUTE_PGM_RSRC2:TRAP_HANDLER: 0
; COMPUTE_PGM_RSRC2:TGID_X_EN: 1
; COMPUTE_PGM_RSRC2:TGID_Y_EN: 0
; COMPUTE_PGM_RSRC2:TGID_Z_EN: 0
; COMPUTE_PGM_RSRC2:TIDIG_COMP_CNT: 0
	.section	.text._ZN7rocprim17ROCPRIM_400000_NS6detail17trampoline_kernelINS0_14default_configENS1_20scan_config_selectorIfEEZZNS1_9scan_implILNS1_25lookback_scan_determinismE0ELb0ELb0ES3_PKfPffZZZN2at6native31launch_logcumsumexp_cuda_kernelERKNSB_10TensorBaseESF_lENKUlvE_clEvENKUlvE0_clEvEUlffE_fEEDaPvRmT3_T4_T5_mT6_P12ihipStream_tbENKUlT_T0_E_clISt17integral_constantIbLb0EESW_EEDaSR_SS_EUlSR_E_NS1_11comp_targetILNS1_3genE4ELNS1_11target_archE910ELNS1_3gpuE8ELNS1_3repE0EEENS1_30default_config_static_selectorELNS0_4arch9wavefront6targetE1EEEvT1_,"axG",@progbits,_ZN7rocprim17ROCPRIM_400000_NS6detail17trampoline_kernelINS0_14default_configENS1_20scan_config_selectorIfEEZZNS1_9scan_implILNS1_25lookback_scan_determinismE0ELb0ELb0ES3_PKfPffZZZN2at6native31launch_logcumsumexp_cuda_kernelERKNSB_10TensorBaseESF_lENKUlvE_clEvENKUlvE0_clEvEUlffE_fEEDaPvRmT3_T4_T5_mT6_P12ihipStream_tbENKUlT_T0_E_clISt17integral_constantIbLb0EESW_EEDaSR_SS_EUlSR_E_NS1_11comp_targetILNS1_3genE4ELNS1_11target_archE910ELNS1_3gpuE8ELNS1_3repE0EEENS1_30default_config_static_selectorELNS0_4arch9wavefront6targetE1EEEvT1_,comdat
	.globl	_ZN7rocprim17ROCPRIM_400000_NS6detail17trampoline_kernelINS0_14default_configENS1_20scan_config_selectorIfEEZZNS1_9scan_implILNS1_25lookback_scan_determinismE0ELb0ELb0ES3_PKfPffZZZN2at6native31launch_logcumsumexp_cuda_kernelERKNSB_10TensorBaseESF_lENKUlvE_clEvENKUlvE0_clEvEUlffE_fEEDaPvRmT3_T4_T5_mT6_P12ihipStream_tbENKUlT_T0_E_clISt17integral_constantIbLb0EESW_EEDaSR_SS_EUlSR_E_NS1_11comp_targetILNS1_3genE4ELNS1_11target_archE910ELNS1_3gpuE8ELNS1_3repE0EEENS1_30default_config_static_selectorELNS0_4arch9wavefront6targetE1EEEvT1_ ; -- Begin function _ZN7rocprim17ROCPRIM_400000_NS6detail17trampoline_kernelINS0_14default_configENS1_20scan_config_selectorIfEEZZNS1_9scan_implILNS1_25lookback_scan_determinismE0ELb0ELb0ES3_PKfPffZZZN2at6native31launch_logcumsumexp_cuda_kernelERKNSB_10TensorBaseESF_lENKUlvE_clEvENKUlvE0_clEvEUlffE_fEEDaPvRmT3_T4_T5_mT6_P12ihipStream_tbENKUlT_T0_E_clISt17integral_constantIbLb0EESW_EEDaSR_SS_EUlSR_E_NS1_11comp_targetILNS1_3genE4ELNS1_11target_archE910ELNS1_3gpuE8ELNS1_3repE0EEENS1_30default_config_static_selectorELNS0_4arch9wavefront6targetE1EEEvT1_
	.p2align	8
	.type	_ZN7rocprim17ROCPRIM_400000_NS6detail17trampoline_kernelINS0_14default_configENS1_20scan_config_selectorIfEEZZNS1_9scan_implILNS1_25lookback_scan_determinismE0ELb0ELb0ES3_PKfPffZZZN2at6native31launch_logcumsumexp_cuda_kernelERKNSB_10TensorBaseESF_lENKUlvE_clEvENKUlvE0_clEvEUlffE_fEEDaPvRmT3_T4_T5_mT6_P12ihipStream_tbENKUlT_T0_E_clISt17integral_constantIbLb0EESW_EEDaSR_SS_EUlSR_E_NS1_11comp_targetILNS1_3genE4ELNS1_11target_archE910ELNS1_3gpuE8ELNS1_3repE0EEENS1_30default_config_static_selectorELNS0_4arch9wavefront6targetE1EEEvT1_,@function
_ZN7rocprim17ROCPRIM_400000_NS6detail17trampoline_kernelINS0_14default_configENS1_20scan_config_selectorIfEEZZNS1_9scan_implILNS1_25lookback_scan_determinismE0ELb0ELb0ES3_PKfPffZZZN2at6native31launch_logcumsumexp_cuda_kernelERKNSB_10TensorBaseESF_lENKUlvE_clEvENKUlvE0_clEvEUlffE_fEEDaPvRmT3_T4_T5_mT6_P12ihipStream_tbENKUlT_T0_E_clISt17integral_constantIbLb0EESW_EEDaSR_SS_EUlSR_E_NS1_11comp_targetILNS1_3genE4ELNS1_11target_archE910ELNS1_3gpuE8ELNS1_3repE0EEENS1_30default_config_static_selectorELNS0_4arch9wavefront6targetE1EEEvT1_: ; @_ZN7rocprim17ROCPRIM_400000_NS6detail17trampoline_kernelINS0_14default_configENS1_20scan_config_selectorIfEEZZNS1_9scan_implILNS1_25lookback_scan_determinismE0ELb0ELb0ES3_PKfPffZZZN2at6native31launch_logcumsumexp_cuda_kernelERKNSB_10TensorBaseESF_lENKUlvE_clEvENKUlvE0_clEvEUlffE_fEEDaPvRmT3_T4_T5_mT6_P12ihipStream_tbENKUlT_T0_E_clISt17integral_constantIbLb0EESW_EEDaSR_SS_EUlSR_E_NS1_11comp_targetILNS1_3genE4ELNS1_11target_archE910ELNS1_3gpuE8ELNS1_3repE0EEENS1_30default_config_static_selectorELNS0_4arch9wavefront6targetE1EEEvT1_
; %bb.0:
	.section	.rodata,"a",@progbits
	.p2align	6, 0x0
	.amdhsa_kernel _ZN7rocprim17ROCPRIM_400000_NS6detail17trampoline_kernelINS0_14default_configENS1_20scan_config_selectorIfEEZZNS1_9scan_implILNS1_25lookback_scan_determinismE0ELb0ELb0ES3_PKfPffZZZN2at6native31launch_logcumsumexp_cuda_kernelERKNSB_10TensorBaseESF_lENKUlvE_clEvENKUlvE0_clEvEUlffE_fEEDaPvRmT3_T4_T5_mT6_P12ihipStream_tbENKUlT_T0_E_clISt17integral_constantIbLb0EESW_EEDaSR_SS_EUlSR_E_NS1_11comp_targetILNS1_3genE4ELNS1_11target_archE910ELNS1_3gpuE8ELNS1_3repE0EEENS1_30default_config_static_selectorELNS0_4arch9wavefront6targetE1EEEvT1_
		.amdhsa_group_segment_fixed_size 0
		.amdhsa_private_segment_fixed_size 0
		.amdhsa_kernarg_size 96
		.amdhsa_user_sgpr_count 6
		.amdhsa_user_sgpr_private_segment_buffer 1
		.amdhsa_user_sgpr_dispatch_ptr 0
		.amdhsa_user_sgpr_queue_ptr 0
		.amdhsa_user_sgpr_kernarg_segment_ptr 1
		.amdhsa_user_sgpr_dispatch_id 0
		.amdhsa_user_sgpr_flat_scratch_init 0
		.amdhsa_user_sgpr_private_segment_size 0
		.amdhsa_uses_dynamic_stack 0
		.amdhsa_system_sgpr_private_segment_wavefront_offset 0
		.amdhsa_system_sgpr_workgroup_id_x 1
		.amdhsa_system_sgpr_workgroup_id_y 0
		.amdhsa_system_sgpr_workgroup_id_z 0
		.amdhsa_system_sgpr_workgroup_info 0
		.amdhsa_system_vgpr_workitem_id 0
		.amdhsa_next_free_vgpr 1
		.amdhsa_next_free_sgpr 0
		.amdhsa_reserve_vcc 0
		.amdhsa_reserve_flat_scratch 0
		.amdhsa_float_round_mode_32 0
		.amdhsa_float_round_mode_16_64 0
		.amdhsa_float_denorm_mode_32 3
		.amdhsa_float_denorm_mode_16_64 3
		.amdhsa_dx10_clamp 1
		.amdhsa_ieee_mode 1
		.amdhsa_fp16_overflow 0
		.amdhsa_exception_fp_ieee_invalid_op 0
		.amdhsa_exception_fp_denorm_src 0
		.amdhsa_exception_fp_ieee_div_zero 0
		.amdhsa_exception_fp_ieee_overflow 0
		.amdhsa_exception_fp_ieee_underflow 0
		.amdhsa_exception_fp_ieee_inexact 0
		.amdhsa_exception_int_div_zero 0
	.end_amdhsa_kernel
	.section	.text._ZN7rocprim17ROCPRIM_400000_NS6detail17trampoline_kernelINS0_14default_configENS1_20scan_config_selectorIfEEZZNS1_9scan_implILNS1_25lookback_scan_determinismE0ELb0ELb0ES3_PKfPffZZZN2at6native31launch_logcumsumexp_cuda_kernelERKNSB_10TensorBaseESF_lENKUlvE_clEvENKUlvE0_clEvEUlffE_fEEDaPvRmT3_T4_T5_mT6_P12ihipStream_tbENKUlT_T0_E_clISt17integral_constantIbLb0EESW_EEDaSR_SS_EUlSR_E_NS1_11comp_targetILNS1_3genE4ELNS1_11target_archE910ELNS1_3gpuE8ELNS1_3repE0EEENS1_30default_config_static_selectorELNS0_4arch9wavefront6targetE1EEEvT1_,"axG",@progbits,_ZN7rocprim17ROCPRIM_400000_NS6detail17trampoline_kernelINS0_14default_configENS1_20scan_config_selectorIfEEZZNS1_9scan_implILNS1_25lookback_scan_determinismE0ELb0ELb0ES3_PKfPffZZZN2at6native31launch_logcumsumexp_cuda_kernelERKNSB_10TensorBaseESF_lENKUlvE_clEvENKUlvE0_clEvEUlffE_fEEDaPvRmT3_T4_T5_mT6_P12ihipStream_tbENKUlT_T0_E_clISt17integral_constantIbLb0EESW_EEDaSR_SS_EUlSR_E_NS1_11comp_targetILNS1_3genE4ELNS1_11target_archE910ELNS1_3gpuE8ELNS1_3repE0EEENS1_30default_config_static_selectorELNS0_4arch9wavefront6targetE1EEEvT1_,comdat
.Lfunc_end90:
	.size	_ZN7rocprim17ROCPRIM_400000_NS6detail17trampoline_kernelINS0_14default_configENS1_20scan_config_selectorIfEEZZNS1_9scan_implILNS1_25lookback_scan_determinismE0ELb0ELb0ES3_PKfPffZZZN2at6native31launch_logcumsumexp_cuda_kernelERKNSB_10TensorBaseESF_lENKUlvE_clEvENKUlvE0_clEvEUlffE_fEEDaPvRmT3_T4_T5_mT6_P12ihipStream_tbENKUlT_T0_E_clISt17integral_constantIbLb0EESW_EEDaSR_SS_EUlSR_E_NS1_11comp_targetILNS1_3genE4ELNS1_11target_archE910ELNS1_3gpuE8ELNS1_3repE0EEENS1_30default_config_static_selectorELNS0_4arch9wavefront6targetE1EEEvT1_, .Lfunc_end90-_ZN7rocprim17ROCPRIM_400000_NS6detail17trampoline_kernelINS0_14default_configENS1_20scan_config_selectorIfEEZZNS1_9scan_implILNS1_25lookback_scan_determinismE0ELb0ELb0ES3_PKfPffZZZN2at6native31launch_logcumsumexp_cuda_kernelERKNSB_10TensorBaseESF_lENKUlvE_clEvENKUlvE0_clEvEUlffE_fEEDaPvRmT3_T4_T5_mT6_P12ihipStream_tbENKUlT_T0_E_clISt17integral_constantIbLb0EESW_EEDaSR_SS_EUlSR_E_NS1_11comp_targetILNS1_3genE4ELNS1_11target_archE910ELNS1_3gpuE8ELNS1_3repE0EEENS1_30default_config_static_selectorELNS0_4arch9wavefront6targetE1EEEvT1_
                                        ; -- End function
	.set _ZN7rocprim17ROCPRIM_400000_NS6detail17trampoline_kernelINS0_14default_configENS1_20scan_config_selectorIfEEZZNS1_9scan_implILNS1_25lookback_scan_determinismE0ELb0ELb0ES3_PKfPffZZZN2at6native31launch_logcumsumexp_cuda_kernelERKNSB_10TensorBaseESF_lENKUlvE_clEvENKUlvE0_clEvEUlffE_fEEDaPvRmT3_T4_T5_mT6_P12ihipStream_tbENKUlT_T0_E_clISt17integral_constantIbLb0EESW_EEDaSR_SS_EUlSR_E_NS1_11comp_targetILNS1_3genE4ELNS1_11target_archE910ELNS1_3gpuE8ELNS1_3repE0EEENS1_30default_config_static_selectorELNS0_4arch9wavefront6targetE1EEEvT1_.num_vgpr, 0
	.set _ZN7rocprim17ROCPRIM_400000_NS6detail17trampoline_kernelINS0_14default_configENS1_20scan_config_selectorIfEEZZNS1_9scan_implILNS1_25lookback_scan_determinismE0ELb0ELb0ES3_PKfPffZZZN2at6native31launch_logcumsumexp_cuda_kernelERKNSB_10TensorBaseESF_lENKUlvE_clEvENKUlvE0_clEvEUlffE_fEEDaPvRmT3_T4_T5_mT6_P12ihipStream_tbENKUlT_T0_E_clISt17integral_constantIbLb0EESW_EEDaSR_SS_EUlSR_E_NS1_11comp_targetILNS1_3genE4ELNS1_11target_archE910ELNS1_3gpuE8ELNS1_3repE0EEENS1_30default_config_static_selectorELNS0_4arch9wavefront6targetE1EEEvT1_.num_agpr, 0
	.set _ZN7rocprim17ROCPRIM_400000_NS6detail17trampoline_kernelINS0_14default_configENS1_20scan_config_selectorIfEEZZNS1_9scan_implILNS1_25lookback_scan_determinismE0ELb0ELb0ES3_PKfPffZZZN2at6native31launch_logcumsumexp_cuda_kernelERKNSB_10TensorBaseESF_lENKUlvE_clEvENKUlvE0_clEvEUlffE_fEEDaPvRmT3_T4_T5_mT6_P12ihipStream_tbENKUlT_T0_E_clISt17integral_constantIbLb0EESW_EEDaSR_SS_EUlSR_E_NS1_11comp_targetILNS1_3genE4ELNS1_11target_archE910ELNS1_3gpuE8ELNS1_3repE0EEENS1_30default_config_static_selectorELNS0_4arch9wavefront6targetE1EEEvT1_.numbered_sgpr, 0
	.set _ZN7rocprim17ROCPRIM_400000_NS6detail17trampoline_kernelINS0_14default_configENS1_20scan_config_selectorIfEEZZNS1_9scan_implILNS1_25lookback_scan_determinismE0ELb0ELb0ES3_PKfPffZZZN2at6native31launch_logcumsumexp_cuda_kernelERKNSB_10TensorBaseESF_lENKUlvE_clEvENKUlvE0_clEvEUlffE_fEEDaPvRmT3_T4_T5_mT6_P12ihipStream_tbENKUlT_T0_E_clISt17integral_constantIbLb0EESW_EEDaSR_SS_EUlSR_E_NS1_11comp_targetILNS1_3genE4ELNS1_11target_archE910ELNS1_3gpuE8ELNS1_3repE0EEENS1_30default_config_static_selectorELNS0_4arch9wavefront6targetE1EEEvT1_.num_named_barrier, 0
	.set _ZN7rocprim17ROCPRIM_400000_NS6detail17trampoline_kernelINS0_14default_configENS1_20scan_config_selectorIfEEZZNS1_9scan_implILNS1_25lookback_scan_determinismE0ELb0ELb0ES3_PKfPffZZZN2at6native31launch_logcumsumexp_cuda_kernelERKNSB_10TensorBaseESF_lENKUlvE_clEvENKUlvE0_clEvEUlffE_fEEDaPvRmT3_T4_T5_mT6_P12ihipStream_tbENKUlT_T0_E_clISt17integral_constantIbLb0EESW_EEDaSR_SS_EUlSR_E_NS1_11comp_targetILNS1_3genE4ELNS1_11target_archE910ELNS1_3gpuE8ELNS1_3repE0EEENS1_30default_config_static_selectorELNS0_4arch9wavefront6targetE1EEEvT1_.private_seg_size, 0
	.set _ZN7rocprim17ROCPRIM_400000_NS6detail17trampoline_kernelINS0_14default_configENS1_20scan_config_selectorIfEEZZNS1_9scan_implILNS1_25lookback_scan_determinismE0ELb0ELb0ES3_PKfPffZZZN2at6native31launch_logcumsumexp_cuda_kernelERKNSB_10TensorBaseESF_lENKUlvE_clEvENKUlvE0_clEvEUlffE_fEEDaPvRmT3_T4_T5_mT6_P12ihipStream_tbENKUlT_T0_E_clISt17integral_constantIbLb0EESW_EEDaSR_SS_EUlSR_E_NS1_11comp_targetILNS1_3genE4ELNS1_11target_archE910ELNS1_3gpuE8ELNS1_3repE0EEENS1_30default_config_static_selectorELNS0_4arch9wavefront6targetE1EEEvT1_.uses_vcc, 0
	.set _ZN7rocprim17ROCPRIM_400000_NS6detail17trampoline_kernelINS0_14default_configENS1_20scan_config_selectorIfEEZZNS1_9scan_implILNS1_25lookback_scan_determinismE0ELb0ELb0ES3_PKfPffZZZN2at6native31launch_logcumsumexp_cuda_kernelERKNSB_10TensorBaseESF_lENKUlvE_clEvENKUlvE0_clEvEUlffE_fEEDaPvRmT3_T4_T5_mT6_P12ihipStream_tbENKUlT_T0_E_clISt17integral_constantIbLb0EESW_EEDaSR_SS_EUlSR_E_NS1_11comp_targetILNS1_3genE4ELNS1_11target_archE910ELNS1_3gpuE8ELNS1_3repE0EEENS1_30default_config_static_selectorELNS0_4arch9wavefront6targetE1EEEvT1_.uses_flat_scratch, 0
	.set _ZN7rocprim17ROCPRIM_400000_NS6detail17trampoline_kernelINS0_14default_configENS1_20scan_config_selectorIfEEZZNS1_9scan_implILNS1_25lookback_scan_determinismE0ELb0ELb0ES3_PKfPffZZZN2at6native31launch_logcumsumexp_cuda_kernelERKNSB_10TensorBaseESF_lENKUlvE_clEvENKUlvE0_clEvEUlffE_fEEDaPvRmT3_T4_T5_mT6_P12ihipStream_tbENKUlT_T0_E_clISt17integral_constantIbLb0EESW_EEDaSR_SS_EUlSR_E_NS1_11comp_targetILNS1_3genE4ELNS1_11target_archE910ELNS1_3gpuE8ELNS1_3repE0EEENS1_30default_config_static_selectorELNS0_4arch9wavefront6targetE1EEEvT1_.has_dyn_sized_stack, 0
	.set _ZN7rocprim17ROCPRIM_400000_NS6detail17trampoline_kernelINS0_14default_configENS1_20scan_config_selectorIfEEZZNS1_9scan_implILNS1_25lookback_scan_determinismE0ELb0ELb0ES3_PKfPffZZZN2at6native31launch_logcumsumexp_cuda_kernelERKNSB_10TensorBaseESF_lENKUlvE_clEvENKUlvE0_clEvEUlffE_fEEDaPvRmT3_T4_T5_mT6_P12ihipStream_tbENKUlT_T0_E_clISt17integral_constantIbLb0EESW_EEDaSR_SS_EUlSR_E_NS1_11comp_targetILNS1_3genE4ELNS1_11target_archE910ELNS1_3gpuE8ELNS1_3repE0EEENS1_30default_config_static_selectorELNS0_4arch9wavefront6targetE1EEEvT1_.has_recursion, 0
	.set _ZN7rocprim17ROCPRIM_400000_NS6detail17trampoline_kernelINS0_14default_configENS1_20scan_config_selectorIfEEZZNS1_9scan_implILNS1_25lookback_scan_determinismE0ELb0ELb0ES3_PKfPffZZZN2at6native31launch_logcumsumexp_cuda_kernelERKNSB_10TensorBaseESF_lENKUlvE_clEvENKUlvE0_clEvEUlffE_fEEDaPvRmT3_T4_T5_mT6_P12ihipStream_tbENKUlT_T0_E_clISt17integral_constantIbLb0EESW_EEDaSR_SS_EUlSR_E_NS1_11comp_targetILNS1_3genE4ELNS1_11target_archE910ELNS1_3gpuE8ELNS1_3repE0EEENS1_30default_config_static_selectorELNS0_4arch9wavefront6targetE1EEEvT1_.has_indirect_call, 0
	.section	.AMDGPU.csdata,"",@progbits
; Kernel info:
; codeLenInByte = 0
; TotalNumSgprs: 4
; NumVgprs: 0
; ScratchSize: 0
; MemoryBound: 0
; FloatMode: 240
; IeeeMode: 1
; LDSByteSize: 0 bytes/workgroup (compile time only)
; SGPRBlocks: 0
; VGPRBlocks: 0
; NumSGPRsForWavesPerEU: 4
; NumVGPRsForWavesPerEU: 1
; Occupancy: 10
; WaveLimiterHint : 0
; COMPUTE_PGM_RSRC2:SCRATCH_EN: 0
; COMPUTE_PGM_RSRC2:USER_SGPR: 6
; COMPUTE_PGM_RSRC2:TRAP_HANDLER: 0
; COMPUTE_PGM_RSRC2:TGID_X_EN: 1
; COMPUTE_PGM_RSRC2:TGID_Y_EN: 0
; COMPUTE_PGM_RSRC2:TGID_Z_EN: 0
; COMPUTE_PGM_RSRC2:TIDIG_COMP_CNT: 0
	.section	.text._ZN7rocprim17ROCPRIM_400000_NS6detail17trampoline_kernelINS0_14default_configENS1_20scan_config_selectorIfEEZZNS1_9scan_implILNS1_25lookback_scan_determinismE0ELb0ELb0ES3_PKfPffZZZN2at6native31launch_logcumsumexp_cuda_kernelERKNSB_10TensorBaseESF_lENKUlvE_clEvENKUlvE0_clEvEUlffE_fEEDaPvRmT3_T4_T5_mT6_P12ihipStream_tbENKUlT_T0_E_clISt17integral_constantIbLb0EESW_EEDaSR_SS_EUlSR_E_NS1_11comp_targetILNS1_3genE3ELNS1_11target_archE908ELNS1_3gpuE7ELNS1_3repE0EEENS1_30default_config_static_selectorELNS0_4arch9wavefront6targetE1EEEvT1_,"axG",@progbits,_ZN7rocprim17ROCPRIM_400000_NS6detail17trampoline_kernelINS0_14default_configENS1_20scan_config_selectorIfEEZZNS1_9scan_implILNS1_25lookback_scan_determinismE0ELb0ELb0ES3_PKfPffZZZN2at6native31launch_logcumsumexp_cuda_kernelERKNSB_10TensorBaseESF_lENKUlvE_clEvENKUlvE0_clEvEUlffE_fEEDaPvRmT3_T4_T5_mT6_P12ihipStream_tbENKUlT_T0_E_clISt17integral_constantIbLb0EESW_EEDaSR_SS_EUlSR_E_NS1_11comp_targetILNS1_3genE3ELNS1_11target_archE908ELNS1_3gpuE7ELNS1_3repE0EEENS1_30default_config_static_selectorELNS0_4arch9wavefront6targetE1EEEvT1_,comdat
	.globl	_ZN7rocprim17ROCPRIM_400000_NS6detail17trampoline_kernelINS0_14default_configENS1_20scan_config_selectorIfEEZZNS1_9scan_implILNS1_25lookback_scan_determinismE0ELb0ELb0ES3_PKfPffZZZN2at6native31launch_logcumsumexp_cuda_kernelERKNSB_10TensorBaseESF_lENKUlvE_clEvENKUlvE0_clEvEUlffE_fEEDaPvRmT3_T4_T5_mT6_P12ihipStream_tbENKUlT_T0_E_clISt17integral_constantIbLb0EESW_EEDaSR_SS_EUlSR_E_NS1_11comp_targetILNS1_3genE3ELNS1_11target_archE908ELNS1_3gpuE7ELNS1_3repE0EEENS1_30default_config_static_selectorELNS0_4arch9wavefront6targetE1EEEvT1_ ; -- Begin function _ZN7rocprim17ROCPRIM_400000_NS6detail17trampoline_kernelINS0_14default_configENS1_20scan_config_selectorIfEEZZNS1_9scan_implILNS1_25lookback_scan_determinismE0ELb0ELb0ES3_PKfPffZZZN2at6native31launch_logcumsumexp_cuda_kernelERKNSB_10TensorBaseESF_lENKUlvE_clEvENKUlvE0_clEvEUlffE_fEEDaPvRmT3_T4_T5_mT6_P12ihipStream_tbENKUlT_T0_E_clISt17integral_constantIbLb0EESW_EEDaSR_SS_EUlSR_E_NS1_11comp_targetILNS1_3genE3ELNS1_11target_archE908ELNS1_3gpuE7ELNS1_3repE0EEENS1_30default_config_static_selectorELNS0_4arch9wavefront6targetE1EEEvT1_
	.p2align	8
	.type	_ZN7rocprim17ROCPRIM_400000_NS6detail17trampoline_kernelINS0_14default_configENS1_20scan_config_selectorIfEEZZNS1_9scan_implILNS1_25lookback_scan_determinismE0ELb0ELb0ES3_PKfPffZZZN2at6native31launch_logcumsumexp_cuda_kernelERKNSB_10TensorBaseESF_lENKUlvE_clEvENKUlvE0_clEvEUlffE_fEEDaPvRmT3_T4_T5_mT6_P12ihipStream_tbENKUlT_T0_E_clISt17integral_constantIbLb0EESW_EEDaSR_SS_EUlSR_E_NS1_11comp_targetILNS1_3genE3ELNS1_11target_archE908ELNS1_3gpuE7ELNS1_3repE0EEENS1_30default_config_static_selectorELNS0_4arch9wavefront6targetE1EEEvT1_,@function
_ZN7rocprim17ROCPRIM_400000_NS6detail17trampoline_kernelINS0_14default_configENS1_20scan_config_selectorIfEEZZNS1_9scan_implILNS1_25lookback_scan_determinismE0ELb0ELb0ES3_PKfPffZZZN2at6native31launch_logcumsumexp_cuda_kernelERKNSB_10TensorBaseESF_lENKUlvE_clEvENKUlvE0_clEvEUlffE_fEEDaPvRmT3_T4_T5_mT6_P12ihipStream_tbENKUlT_T0_E_clISt17integral_constantIbLb0EESW_EEDaSR_SS_EUlSR_E_NS1_11comp_targetILNS1_3genE3ELNS1_11target_archE908ELNS1_3gpuE7ELNS1_3repE0EEENS1_30default_config_static_selectorELNS0_4arch9wavefront6targetE1EEEvT1_: ; @_ZN7rocprim17ROCPRIM_400000_NS6detail17trampoline_kernelINS0_14default_configENS1_20scan_config_selectorIfEEZZNS1_9scan_implILNS1_25lookback_scan_determinismE0ELb0ELb0ES3_PKfPffZZZN2at6native31launch_logcumsumexp_cuda_kernelERKNSB_10TensorBaseESF_lENKUlvE_clEvENKUlvE0_clEvEUlffE_fEEDaPvRmT3_T4_T5_mT6_P12ihipStream_tbENKUlT_T0_E_clISt17integral_constantIbLb0EESW_EEDaSR_SS_EUlSR_E_NS1_11comp_targetILNS1_3genE3ELNS1_11target_archE908ELNS1_3gpuE7ELNS1_3repE0EEENS1_30default_config_static_selectorELNS0_4arch9wavefront6targetE1EEEvT1_
; %bb.0:
	.section	.rodata,"a",@progbits
	.p2align	6, 0x0
	.amdhsa_kernel _ZN7rocprim17ROCPRIM_400000_NS6detail17trampoline_kernelINS0_14default_configENS1_20scan_config_selectorIfEEZZNS1_9scan_implILNS1_25lookback_scan_determinismE0ELb0ELb0ES3_PKfPffZZZN2at6native31launch_logcumsumexp_cuda_kernelERKNSB_10TensorBaseESF_lENKUlvE_clEvENKUlvE0_clEvEUlffE_fEEDaPvRmT3_T4_T5_mT6_P12ihipStream_tbENKUlT_T0_E_clISt17integral_constantIbLb0EESW_EEDaSR_SS_EUlSR_E_NS1_11comp_targetILNS1_3genE3ELNS1_11target_archE908ELNS1_3gpuE7ELNS1_3repE0EEENS1_30default_config_static_selectorELNS0_4arch9wavefront6targetE1EEEvT1_
		.amdhsa_group_segment_fixed_size 0
		.amdhsa_private_segment_fixed_size 0
		.amdhsa_kernarg_size 96
		.amdhsa_user_sgpr_count 6
		.amdhsa_user_sgpr_private_segment_buffer 1
		.amdhsa_user_sgpr_dispatch_ptr 0
		.amdhsa_user_sgpr_queue_ptr 0
		.amdhsa_user_sgpr_kernarg_segment_ptr 1
		.amdhsa_user_sgpr_dispatch_id 0
		.amdhsa_user_sgpr_flat_scratch_init 0
		.amdhsa_user_sgpr_private_segment_size 0
		.amdhsa_uses_dynamic_stack 0
		.amdhsa_system_sgpr_private_segment_wavefront_offset 0
		.amdhsa_system_sgpr_workgroup_id_x 1
		.amdhsa_system_sgpr_workgroup_id_y 0
		.amdhsa_system_sgpr_workgroup_id_z 0
		.amdhsa_system_sgpr_workgroup_info 0
		.amdhsa_system_vgpr_workitem_id 0
		.amdhsa_next_free_vgpr 1
		.amdhsa_next_free_sgpr 0
		.amdhsa_reserve_vcc 0
		.amdhsa_reserve_flat_scratch 0
		.amdhsa_float_round_mode_32 0
		.amdhsa_float_round_mode_16_64 0
		.amdhsa_float_denorm_mode_32 3
		.amdhsa_float_denorm_mode_16_64 3
		.amdhsa_dx10_clamp 1
		.amdhsa_ieee_mode 1
		.amdhsa_fp16_overflow 0
		.amdhsa_exception_fp_ieee_invalid_op 0
		.amdhsa_exception_fp_denorm_src 0
		.amdhsa_exception_fp_ieee_div_zero 0
		.amdhsa_exception_fp_ieee_overflow 0
		.amdhsa_exception_fp_ieee_underflow 0
		.amdhsa_exception_fp_ieee_inexact 0
		.amdhsa_exception_int_div_zero 0
	.end_amdhsa_kernel
	.section	.text._ZN7rocprim17ROCPRIM_400000_NS6detail17trampoline_kernelINS0_14default_configENS1_20scan_config_selectorIfEEZZNS1_9scan_implILNS1_25lookback_scan_determinismE0ELb0ELb0ES3_PKfPffZZZN2at6native31launch_logcumsumexp_cuda_kernelERKNSB_10TensorBaseESF_lENKUlvE_clEvENKUlvE0_clEvEUlffE_fEEDaPvRmT3_T4_T5_mT6_P12ihipStream_tbENKUlT_T0_E_clISt17integral_constantIbLb0EESW_EEDaSR_SS_EUlSR_E_NS1_11comp_targetILNS1_3genE3ELNS1_11target_archE908ELNS1_3gpuE7ELNS1_3repE0EEENS1_30default_config_static_selectorELNS0_4arch9wavefront6targetE1EEEvT1_,"axG",@progbits,_ZN7rocprim17ROCPRIM_400000_NS6detail17trampoline_kernelINS0_14default_configENS1_20scan_config_selectorIfEEZZNS1_9scan_implILNS1_25lookback_scan_determinismE0ELb0ELb0ES3_PKfPffZZZN2at6native31launch_logcumsumexp_cuda_kernelERKNSB_10TensorBaseESF_lENKUlvE_clEvENKUlvE0_clEvEUlffE_fEEDaPvRmT3_T4_T5_mT6_P12ihipStream_tbENKUlT_T0_E_clISt17integral_constantIbLb0EESW_EEDaSR_SS_EUlSR_E_NS1_11comp_targetILNS1_3genE3ELNS1_11target_archE908ELNS1_3gpuE7ELNS1_3repE0EEENS1_30default_config_static_selectorELNS0_4arch9wavefront6targetE1EEEvT1_,comdat
.Lfunc_end91:
	.size	_ZN7rocprim17ROCPRIM_400000_NS6detail17trampoline_kernelINS0_14default_configENS1_20scan_config_selectorIfEEZZNS1_9scan_implILNS1_25lookback_scan_determinismE0ELb0ELb0ES3_PKfPffZZZN2at6native31launch_logcumsumexp_cuda_kernelERKNSB_10TensorBaseESF_lENKUlvE_clEvENKUlvE0_clEvEUlffE_fEEDaPvRmT3_T4_T5_mT6_P12ihipStream_tbENKUlT_T0_E_clISt17integral_constantIbLb0EESW_EEDaSR_SS_EUlSR_E_NS1_11comp_targetILNS1_3genE3ELNS1_11target_archE908ELNS1_3gpuE7ELNS1_3repE0EEENS1_30default_config_static_selectorELNS0_4arch9wavefront6targetE1EEEvT1_, .Lfunc_end91-_ZN7rocprim17ROCPRIM_400000_NS6detail17trampoline_kernelINS0_14default_configENS1_20scan_config_selectorIfEEZZNS1_9scan_implILNS1_25lookback_scan_determinismE0ELb0ELb0ES3_PKfPffZZZN2at6native31launch_logcumsumexp_cuda_kernelERKNSB_10TensorBaseESF_lENKUlvE_clEvENKUlvE0_clEvEUlffE_fEEDaPvRmT3_T4_T5_mT6_P12ihipStream_tbENKUlT_T0_E_clISt17integral_constantIbLb0EESW_EEDaSR_SS_EUlSR_E_NS1_11comp_targetILNS1_3genE3ELNS1_11target_archE908ELNS1_3gpuE7ELNS1_3repE0EEENS1_30default_config_static_selectorELNS0_4arch9wavefront6targetE1EEEvT1_
                                        ; -- End function
	.set _ZN7rocprim17ROCPRIM_400000_NS6detail17trampoline_kernelINS0_14default_configENS1_20scan_config_selectorIfEEZZNS1_9scan_implILNS1_25lookback_scan_determinismE0ELb0ELb0ES3_PKfPffZZZN2at6native31launch_logcumsumexp_cuda_kernelERKNSB_10TensorBaseESF_lENKUlvE_clEvENKUlvE0_clEvEUlffE_fEEDaPvRmT3_T4_T5_mT6_P12ihipStream_tbENKUlT_T0_E_clISt17integral_constantIbLb0EESW_EEDaSR_SS_EUlSR_E_NS1_11comp_targetILNS1_3genE3ELNS1_11target_archE908ELNS1_3gpuE7ELNS1_3repE0EEENS1_30default_config_static_selectorELNS0_4arch9wavefront6targetE1EEEvT1_.num_vgpr, 0
	.set _ZN7rocprim17ROCPRIM_400000_NS6detail17trampoline_kernelINS0_14default_configENS1_20scan_config_selectorIfEEZZNS1_9scan_implILNS1_25lookback_scan_determinismE0ELb0ELb0ES3_PKfPffZZZN2at6native31launch_logcumsumexp_cuda_kernelERKNSB_10TensorBaseESF_lENKUlvE_clEvENKUlvE0_clEvEUlffE_fEEDaPvRmT3_T4_T5_mT6_P12ihipStream_tbENKUlT_T0_E_clISt17integral_constantIbLb0EESW_EEDaSR_SS_EUlSR_E_NS1_11comp_targetILNS1_3genE3ELNS1_11target_archE908ELNS1_3gpuE7ELNS1_3repE0EEENS1_30default_config_static_selectorELNS0_4arch9wavefront6targetE1EEEvT1_.num_agpr, 0
	.set _ZN7rocprim17ROCPRIM_400000_NS6detail17trampoline_kernelINS0_14default_configENS1_20scan_config_selectorIfEEZZNS1_9scan_implILNS1_25lookback_scan_determinismE0ELb0ELb0ES3_PKfPffZZZN2at6native31launch_logcumsumexp_cuda_kernelERKNSB_10TensorBaseESF_lENKUlvE_clEvENKUlvE0_clEvEUlffE_fEEDaPvRmT3_T4_T5_mT6_P12ihipStream_tbENKUlT_T0_E_clISt17integral_constantIbLb0EESW_EEDaSR_SS_EUlSR_E_NS1_11comp_targetILNS1_3genE3ELNS1_11target_archE908ELNS1_3gpuE7ELNS1_3repE0EEENS1_30default_config_static_selectorELNS0_4arch9wavefront6targetE1EEEvT1_.numbered_sgpr, 0
	.set _ZN7rocprim17ROCPRIM_400000_NS6detail17trampoline_kernelINS0_14default_configENS1_20scan_config_selectorIfEEZZNS1_9scan_implILNS1_25lookback_scan_determinismE0ELb0ELb0ES3_PKfPffZZZN2at6native31launch_logcumsumexp_cuda_kernelERKNSB_10TensorBaseESF_lENKUlvE_clEvENKUlvE0_clEvEUlffE_fEEDaPvRmT3_T4_T5_mT6_P12ihipStream_tbENKUlT_T0_E_clISt17integral_constantIbLb0EESW_EEDaSR_SS_EUlSR_E_NS1_11comp_targetILNS1_3genE3ELNS1_11target_archE908ELNS1_3gpuE7ELNS1_3repE0EEENS1_30default_config_static_selectorELNS0_4arch9wavefront6targetE1EEEvT1_.num_named_barrier, 0
	.set _ZN7rocprim17ROCPRIM_400000_NS6detail17trampoline_kernelINS0_14default_configENS1_20scan_config_selectorIfEEZZNS1_9scan_implILNS1_25lookback_scan_determinismE0ELb0ELb0ES3_PKfPffZZZN2at6native31launch_logcumsumexp_cuda_kernelERKNSB_10TensorBaseESF_lENKUlvE_clEvENKUlvE0_clEvEUlffE_fEEDaPvRmT3_T4_T5_mT6_P12ihipStream_tbENKUlT_T0_E_clISt17integral_constantIbLb0EESW_EEDaSR_SS_EUlSR_E_NS1_11comp_targetILNS1_3genE3ELNS1_11target_archE908ELNS1_3gpuE7ELNS1_3repE0EEENS1_30default_config_static_selectorELNS0_4arch9wavefront6targetE1EEEvT1_.private_seg_size, 0
	.set _ZN7rocprim17ROCPRIM_400000_NS6detail17trampoline_kernelINS0_14default_configENS1_20scan_config_selectorIfEEZZNS1_9scan_implILNS1_25lookback_scan_determinismE0ELb0ELb0ES3_PKfPffZZZN2at6native31launch_logcumsumexp_cuda_kernelERKNSB_10TensorBaseESF_lENKUlvE_clEvENKUlvE0_clEvEUlffE_fEEDaPvRmT3_T4_T5_mT6_P12ihipStream_tbENKUlT_T0_E_clISt17integral_constantIbLb0EESW_EEDaSR_SS_EUlSR_E_NS1_11comp_targetILNS1_3genE3ELNS1_11target_archE908ELNS1_3gpuE7ELNS1_3repE0EEENS1_30default_config_static_selectorELNS0_4arch9wavefront6targetE1EEEvT1_.uses_vcc, 0
	.set _ZN7rocprim17ROCPRIM_400000_NS6detail17trampoline_kernelINS0_14default_configENS1_20scan_config_selectorIfEEZZNS1_9scan_implILNS1_25lookback_scan_determinismE0ELb0ELb0ES3_PKfPffZZZN2at6native31launch_logcumsumexp_cuda_kernelERKNSB_10TensorBaseESF_lENKUlvE_clEvENKUlvE0_clEvEUlffE_fEEDaPvRmT3_T4_T5_mT6_P12ihipStream_tbENKUlT_T0_E_clISt17integral_constantIbLb0EESW_EEDaSR_SS_EUlSR_E_NS1_11comp_targetILNS1_3genE3ELNS1_11target_archE908ELNS1_3gpuE7ELNS1_3repE0EEENS1_30default_config_static_selectorELNS0_4arch9wavefront6targetE1EEEvT1_.uses_flat_scratch, 0
	.set _ZN7rocprim17ROCPRIM_400000_NS6detail17trampoline_kernelINS0_14default_configENS1_20scan_config_selectorIfEEZZNS1_9scan_implILNS1_25lookback_scan_determinismE0ELb0ELb0ES3_PKfPffZZZN2at6native31launch_logcumsumexp_cuda_kernelERKNSB_10TensorBaseESF_lENKUlvE_clEvENKUlvE0_clEvEUlffE_fEEDaPvRmT3_T4_T5_mT6_P12ihipStream_tbENKUlT_T0_E_clISt17integral_constantIbLb0EESW_EEDaSR_SS_EUlSR_E_NS1_11comp_targetILNS1_3genE3ELNS1_11target_archE908ELNS1_3gpuE7ELNS1_3repE0EEENS1_30default_config_static_selectorELNS0_4arch9wavefront6targetE1EEEvT1_.has_dyn_sized_stack, 0
	.set _ZN7rocprim17ROCPRIM_400000_NS6detail17trampoline_kernelINS0_14default_configENS1_20scan_config_selectorIfEEZZNS1_9scan_implILNS1_25lookback_scan_determinismE0ELb0ELb0ES3_PKfPffZZZN2at6native31launch_logcumsumexp_cuda_kernelERKNSB_10TensorBaseESF_lENKUlvE_clEvENKUlvE0_clEvEUlffE_fEEDaPvRmT3_T4_T5_mT6_P12ihipStream_tbENKUlT_T0_E_clISt17integral_constantIbLb0EESW_EEDaSR_SS_EUlSR_E_NS1_11comp_targetILNS1_3genE3ELNS1_11target_archE908ELNS1_3gpuE7ELNS1_3repE0EEENS1_30default_config_static_selectorELNS0_4arch9wavefront6targetE1EEEvT1_.has_recursion, 0
	.set _ZN7rocprim17ROCPRIM_400000_NS6detail17trampoline_kernelINS0_14default_configENS1_20scan_config_selectorIfEEZZNS1_9scan_implILNS1_25lookback_scan_determinismE0ELb0ELb0ES3_PKfPffZZZN2at6native31launch_logcumsumexp_cuda_kernelERKNSB_10TensorBaseESF_lENKUlvE_clEvENKUlvE0_clEvEUlffE_fEEDaPvRmT3_T4_T5_mT6_P12ihipStream_tbENKUlT_T0_E_clISt17integral_constantIbLb0EESW_EEDaSR_SS_EUlSR_E_NS1_11comp_targetILNS1_3genE3ELNS1_11target_archE908ELNS1_3gpuE7ELNS1_3repE0EEENS1_30default_config_static_selectorELNS0_4arch9wavefront6targetE1EEEvT1_.has_indirect_call, 0
	.section	.AMDGPU.csdata,"",@progbits
; Kernel info:
; codeLenInByte = 0
; TotalNumSgprs: 4
; NumVgprs: 0
; ScratchSize: 0
; MemoryBound: 0
; FloatMode: 240
; IeeeMode: 1
; LDSByteSize: 0 bytes/workgroup (compile time only)
; SGPRBlocks: 0
; VGPRBlocks: 0
; NumSGPRsForWavesPerEU: 4
; NumVGPRsForWavesPerEU: 1
; Occupancy: 10
; WaveLimiterHint : 0
; COMPUTE_PGM_RSRC2:SCRATCH_EN: 0
; COMPUTE_PGM_RSRC2:USER_SGPR: 6
; COMPUTE_PGM_RSRC2:TRAP_HANDLER: 0
; COMPUTE_PGM_RSRC2:TGID_X_EN: 1
; COMPUTE_PGM_RSRC2:TGID_Y_EN: 0
; COMPUTE_PGM_RSRC2:TGID_Z_EN: 0
; COMPUTE_PGM_RSRC2:TIDIG_COMP_CNT: 0
	.section	.text._ZN7rocprim17ROCPRIM_400000_NS6detail17trampoline_kernelINS0_14default_configENS1_20scan_config_selectorIfEEZZNS1_9scan_implILNS1_25lookback_scan_determinismE0ELb0ELb0ES3_PKfPffZZZN2at6native31launch_logcumsumexp_cuda_kernelERKNSB_10TensorBaseESF_lENKUlvE_clEvENKUlvE0_clEvEUlffE_fEEDaPvRmT3_T4_T5_mT6_P12ihipStream_tbENKUlT_T0_E_clISt17integral_constantIbLb0EESW_EEDaSR_SS_EUlSR_E_NS1_11comp_targetILNS1_3genE2ELNS1_11target_archE906ELNS1_3gpuE6ELNS1_3repE0EEENS1_30default_config_static_selectorELNS0_4arch9wavefront6targetE1EEEvT1_,"axG",@progbits,_ZN7rocprim17ROCPRIM_400000_NS6detail17trampoline_kernelINS0_14default_configENS1_20scan_config_selectorIfEEZZNS1_9scan_implILNS1_25lookback_scan_determinismE0ELb0ELb0ES3_PKfPffZZZN2at6native31launch_logcumsumexp_cuda_kernelERKNSB_10TensorBaseESF_lENKUlvE_clEvENKUlvE0_clEvEUlffE_fEEDaPvRmT3_T4_T5_mT6_P12ihipStream_tbENKUlT_T0_E_clISt17integral_constantIbLb0EESW_EEDaSR_SS_EUlSR_E_NS1_11comp_targetILNS1_3genE2ELNS1_11target_archE906ELNS1_3gpuE6ELNS1_3repE0EEENS1_30default_config_static_selectorELNS0_4arch9wavefront6targetE1EEEvT1_,comdat
	.globl	_ZN7rocprim17ROCPRIM_400000_NS6detail17trampoline_kernelINS0_14default_configENS1_20scan_config_selectorIfEEZZNS1_9scan_implILNS1_25lookback_scan_determinismE0ELb0ELb0ES3_PKfPffZZZN2at6native31launch_logcumsumexp_cuda_kernelERKNSB_10TensorBaseESF_lENKUlvE_clEvENKUlvE0_clEvEUlffE_fEEDaPvRmT3_T4_T5_mT6_P12ihipStream_tbENKUlT_T0_E_clISt17integral_constantIbLb0EESW_EEDaSR_SS_EUlSR_E_NS1_11comp_targetILNS1_3genE2ELNS1_11target_archE906ELNS1_3gpuE6ELNS1_3repE0EEENS1_30default_config_static_selectorELNS0_4arch9wavefront6targetE1EEEvT1_ ; -- Begin function _ZN7rocprim17ROCPRIM_400000_NS6detail17trampoline_kernelINS0_14default_configENS1_20scan_config_selectorIfEEZZNS1_9scan_implILNS1_25lookback_scan_determinismE0ELb0ELb0ES3_PKfPffZZZN2at6native31launch_logcumsumexp_cuda_kernelERKNSB_10TensorBaseESF_lENKUlvE_clEvENKUlvE0_clEvEUlffE_fEEDaPvRmT3_T4_T5_mT6_P12ihipStream_tbENKUlT_T0_E_clISt17integral_constantIbLb0EESW_EEDaSR_SS_EUlSR_E_NS1_11comp_targetILNS1_3genE2ELNS1_11target_archE906ELNS1_3gpuE6ELNS1_3repE0EEENS1_30default_config_static_selectorELNS0_4arch9wavefront6targetE1EEEvT1_
	.p2align	8
	.type	_ZN7rocprim17ROCPRIM_400000_NS6detail17trampoline_kernelINS0_14default_configENS1_20scan_config_selectorIfEEZZNS1_9scan_implILNS1_25lookback_scan_determinismE0ELb0ELb0ES3_PKfPffZZZN2at6native31launch_logcumsumexp_cuda_kernelERKNSB_10TensorBaseESF_lENKUlvE_clEvENKUlvE0_clEvEUlffE_fEEDaPvRmT3_T4_T5_mT6_P12ihipStream_tbENKUlT_T0_E_clISt17integral_constantIbLb0EESW_EEDaSR_SS_EUlSR_E_NS1_11comp_targetILNS1_3genE2ELNS1_11target_archE906ELNS1_3gpuE6ELNS1_3repE0EEENS1_30default_config_static_selectorELNS0_4arch9wavefront6targetE1EEEvT1_,@function
_ZN7rocprim17ROCPRIM_400000_NS6detail17trampoline_kernelINS0_14default_configENS1_20scan_config_selectorIfEEZZNS1_9scan_implILNS1_25lookback_scan_determinismE0ELb0ELb0ES3_PKfPffZZZN2at6native31launch_logcumsumexp_cuda_kernelERKNSB_10TensorBaseESF_lENKUlvE_clEvENKUlvE0_clEvEUlffE_fEEDaPvRmT3_T4_T5_mT6_P12ihipStream_tbENKUlT_T0_E_clISt17integral_constantIbLb0EESW_EEDaSR_SS_EUlSR_E_NS1_11comp_targetILNS1_3genE2ELNS1_11target_archE906ELNS1_3gpuE6ELNS1_3repE0EEENS1_30default_config_static_selectorELNS0_4arch9wavefront6targetE1EEEvT1_: ; @_ZN7rocprim17ROCPRIM_400000_NS6detail17trampoline_kernelINS0_14default_configENS1_20scan_config_selectorIfEEZZNS1_9scan_implILNS1_25lookback_scan_determinismE0ELb0ELb0ES3_PKfPffZZZN2at6native31launch_logcumsumexp_cuda_kernelERKNSB_10TensorBaseESF_lENKUlvE_clEvENKUlvE0_clEvEUlffE_fEEDaPvRmT3_T4_T5_mT6_P12ihipStream_tbENKUlT_T0_E_clISt17integral_constantIbLb0EESW_EEDaSR_SS_EUlSR_E_NS1_11comp_targetILNS1_3genE2ELNS1_11target_archE906ELNS1_3gpuE6ELNS1_3repE0EEENS1_30default_config_static_selectorELNS0_4arch9wavefront6targetE1EEEvT1_
; %bb.0:
	s_load_dwordx8 s[44:51], s[4:5], 0x0
	s_load_dword s1, s[4:5], 0x30
	s_mul_i32 s0, s6, 0xf00
	v_lshlrev_b32_e32 v31, 2, v0
	s_waitcnt lgkmcnt(0)
	s_lshl_b64 s[38:39], s[46:47], 2
	s_add_u32 s2, s44, s38
	s_addc_u32 s3, s45, s39
	s_add_i32 s7, s1, -1
	s_mul_i32 s8, s7, 0xf00
	s_sub_u32 s33, s50, s8
	s_subb_u32 s60, s51, 0
	s_mov_b32 s1, 0
	s_cmp_lg_u32 s6, s7
	s_cselect_b64 s[50:51], -1, 0
	s_lshl_b64 s[52:53], s[0:1], 2
	s_add_u32 s2, s2, s52
	s_addc_u32 s3, s3, s53
	s_mov_b64 s[0:1], -1
	s_and_b64 vcc, exec, s[50:51]
	s_cbranch_vccz .LBB92_2
; %bb.1:
	v_mov_b32_e32 v1, s3
	v_add_co_u32_e32 v5, vcc, s2, v31
	v_addc_co_u32_e32 v6, vcc, 0, v1, vcc
	v_add_co_u32_e32 v1, vcc, 0x1000, v5
	v_addc_co_u32_e32 v2, vcc, 0, v6, vcc
	;; [unrolled: 2-line block ×3, first 2 shown]
	global_load_dword v7, v31, s[2:3]
	global_load_dword v8, v31, s[2:3] offset:1024
	global_load_dword v9, v31, s[2:3] offset:2048
	;; [unrolled: 1-line block ×3, first 2 shown]
	global_load_dword v11, v[1:2], off
	global_load_dword v12, v[1:2], off offset:1024
	global_load_dword v13, v[1:2], off offset:2048
	;; [unrolled: 1-line block ×3, first 2 shown]
	global_load_dword v15, v[3:4], off
	global_load_dword v16, v[3:4], off offset:1024
	global_load_dword v17, v[3:4], off offset:2048
	;; [unrolled: 1-line block ×3, first 2 shown]
	v_add_co_u32_e32 v1, vcc, 0x3000, v5
	v_addc_co_u32_e32 v2, vcc, 0, v6, vcc
	global_load_dword v3, v[1:2], off
	global_load_dword v4, v[1:2], off offset:1024
	global_load_dword v5, v[1:2], off offset:2048
	s_mov_b64 s[0:1], 0
	s_waitcnt vmcnt(13)
	ds_write2st64_b32 v31, v7, v8 offset1:4
	s_waitcnt vmcnt(11)
	ds_write2st64_b32 v31, v9, v10 offset0:8 offset1:12
	s_waitcnt vmcnt(9)
	ds_write2st64_b32 v31, v11, v12 offset0:16 offset1:20
	;; [unrolled: 2-line block ×6, first 2 shown]
	s_waitcnt vmcnt(0)
	ds_write_b32 v31, v5 offset:14336
	s_waitcnt lgkmcnt(0)
	s_barrier
.LBB92_2:
	s_load_dwordx2 s[54:55], s[4:5], 0x28
	s_andn2_b64 vcc, exec, s[0:1]
	v_cmp_gt_u32_e64 s[0:1], s33, v0
	s_cbranch_vccnz .LBB92_34
; %bb.3:
	s_load_dword s8, s[2:3], 0x0
	s_waitcnt lgkmcnt(0)
	s_mov_b32 s9, s8
	s_mov_b32 s10, s8
	;; [unrolled: 1-line block ×14, first 2 shown]
	v_mov_b32_e32 v1, s8
	v_mov_b32_e32 v2, s9
	;; [unrolled: 1-line block ×16, first 2 shown]
	s_and_saveexec_b64 s[10:11], s[0:1]
	s_cbranch_execz .LBB92_5
; %bb.4:
	global_load_dword v1, v31, s[2:3]
	v_mov_b32_e32 v2, s8
	v_mov_b32_e32 v3, s8
	;; [unrolled: 1-line block ×14, first 2 shown]
.LBB92_5:
	s_or_b64 exec, exec, s[10:11]
	v_or_b32_e32 v16, 0x100, v0
	v_cmp_gt_u32_e32 vcc, s33, v16
	s_and_saveexec_b64 s[0:1], vcc
	s_cbranch_execz .LBB92_7
; %bb.6:
	global_load_dword v2, v31, s[2:3] offset:1024
.LBB92_7:
	s_or_b64 exec, exec, s[0:1]
	v_or_b32_e32 v16, 0x200, v0
	v_cmp_gt_u32_e32 vcc, s33, v16
	s_and_saveexec_b64 s[0:1], vcc
	s_cbranch_execz .LBB92_9
; %bb.8:
	global_load_dword v3, v31, s[2:3] offset:2048
.LBB92_9:
	;; [unrolled: 8-line block ×3, first 2 shown]
	s_or_b64 exec, exec, s[0:1]
	v_or_b32_e32 v16, 0x400, v0
	v_cmp_gt_u32_e32 vcc, s33, v16
	s_and_saveexec_b64 s[0:1], vcc
	s_cbranch_execz .LBB92_13
; %bb.12:
	v_lshlrev_b32_e32 v5, 2, v16
	global_load_dword v5, v5, s[2:3]
.LBB92_13:
	s_or_b64 exec, exec, s[0:1]
	v_or_b32_e32 v16, 0x500, v0
	v_cmp_gt_u32_e32 vcc, s33, v16
	s_and_saveexec_b64 s[0:1], vcc
	s_cbranch_execz .LBB92_15
; %bb.14:
	v_lshlrev_b32_e32 v6, 2, v16
	global_load_dword v6, v6, s[2:3]
.LBB92_15:
	;; [unrolled: 9-line block ×11, first 2 shown]
	s_or_b64 exec, exec, s[0:1]
	s_waitcnt vmcnt(0)
	ds_write2st64_b32 v31, v1, v2 offset1:4
	ds_write2st64_b32 v31, v3, v4 offset0:8 offset1:12
	ds_write2st64_b32 v31, v5, v6 offset0:16 offset1:20
	;; [unrolled: 1-line block ×6, first 2 shown]
	ds_write_b32 v31, v15 offset:14336
	s_waitcnt lgkmcnt(0)
	s_barrier
.LBB92_34:
	s_load_dwordx8 s[40:47], s[4:5], 0x38
	v_mul_u32_u24_e32 v32, 60, v0
	s_waitcnt lgkmcnt(0)
	ds_read2_b32 v[1:2], v32 offset1:1
	ds_read2_b32 v[29:30], v32 offset0:2 offset1:3
	ds_read2_b32 v[27:28], v32 offset0:4 offset1:5
	;; [unrolled: 1-line block ×6, first 2 shown]
	ds_read_b32 v33, v32 offset:56
	s_cmp_lg_u32 s6, 0
	s_waitcnt lgkmcnt(7)
	v_cmp_u_f32_e64 s[0:1], v2, v2
	v_max_f32_e32 v34, v2, v2
	s_waitcnt lgkmcnt(0)
	s_barrier
	s_cbranch_scc0 .LBB92_168
; %bb.35:
	v_max_f32_e32 v41, v1, v1
	v_min_f32_e32 v3, v41, v34
	v_cmp_u_f32_e64 s[28:29], v1, v1
	v_cndmask_b32_e64 v3, v3, v1, s[28:29]
	v_cndmask_b32_e64 v5, v3, v2, s[0:1]
	v_max_f32_e32 v3, v41, v34
	v_cndmask_b32_e64 v3, v3, v1, s[28:29]
	v_cndmask_b32_e64 v4, v3, v2, s[0:1]
	s_movk_i32 s4, 0x1f8
	v_cmp_neq_f32_e32 vcc, v5, v4
	v_cmp_class_f32_e64 s[2:3], v5, s4
	s_or_b64 s[8:9], vcc, s[2:3]
	v_mov_b32_e32 v3, v1
	s_and_saveexec_b64 s[2:3], s[8:9]
	s_cbranch_execz .LBB92_37
; %bb.36:
	v_sub_f32_e32 v3, v5, v4
	s_mov_b32 s5, 0x3fb8aa3b
	v_mul_f32_e32 v5, 0x3fb8aa3b, v3
	v_fma_f32 v6, v3, s5, -v5
	v_rndne_f32_e32 v7, v5
	v_fmac_f32_e32 v6, 0x32a5705f, v3
	v_sub_f32_e32 v5, v5, v7
	v_add_f32_e32 v5, v5, v6
	v_exp_f32_e32 v5, v5
	v_cvt_i32_f32_e32 v6, v7
	s_mov_b32 s5, 0xc2ce8ed0
	v_cmp_ngt_f32_e32 vcc, s5, v3
	s_mov_b32 s5, 0x42b17218
	v_ldexp_f32 v5, v5, v6
	v_cndmask_b32_e32 v5, 0, v5, vcc
	v_mov_b32_e32 v7, 0x7f800000
	v_cmp_nlt_f32_e32 vcc, s5, v3
	v_cndmask_b32_e32 v3, v7, v5, vcc
	v_add_f32_e32 v8, 1.0, v3
	v_cvt_f64_f32_e32 v[5:6], v8
	v_add_f32_e32 v9, -1.0, v8
	v_sub_f32_e32 v10, v9, v8
	v_sub_f32_e32 v9, v3, v9
	v_frexp_exp_i32_f64_e32 v5, v[5:6]
	v_add_f32_e32 v6, 1.0, v10
	v_add_f32_e32 v6, v9, v6
	v_frexp_mant_f32_e32 v9, v8
	s_mov_b32 s7, 0x3f2aaaab
	v_cmp_gt_f32_e32 vcc, s7, v9
	s_mov_b32 s7, 0x3f317218
	s_mov_b32 s5, 0x7f800000
	v_subbrev_co_u32_e32 v5, vcc, 0, v5, vcc
	v_sub_u32_e32 v9, 0, v5
	v_ldexp_f32 v8, v8, v9
	v_ldexp_f32 v6, v6, v9
	v_add_f32_e32 v9, -1.0, v8
	v_add_f32_e32 v12, 1.0, v8
	v_add_f32_e32 v10, 1.0, v9
	v_add_f32_e32 v13, -1.0, v12
	v_sub_f32_e32 v10, v8, v10
	v_sub_f32_e32 v8, v8, v13
	v_add_f32_e32 v10, v6, v10
	v_add_f32_e32 v6, v6, v8
	;; [unrolled: 1-line block ×3, first 2 shown]
	v_rcp_f32_e32 v13, v8
	v_add_f32_e32 v11, v9, v10
	v_sub_f32_e32 v9, v9, v11
	v_add_f32_e32 v9, v10, v9
	v_sub_f32_e32 v10, v12, v8
	v_add_f32_e32 v6, v6, v10
	v_mul_f32_e32 v10, v11, v13
	v_mul_f32_e32 v12, v8, v10
	v_fma_f32 v14, v10, v8, -v12
	v_fmac_f32_e32 v14, v10, v6
	v_add_f32_e32 v15, v12, v14
	v_sub_f32_e32 v16, v11, v15
	v_sub_f32_e32 v11, v11, v16
	;; [unrolled: 1-line block ×4, first 2 shown]
	v_add_f32_e32 v9, v9, v11
	v_sub_f32_e32 v11, v12, v14
	v_add_f32_e32 v9, v11, v9
	v_add_f32_e32 v11, v16, v9
	v_mul_f32_e32 v12, v13, v11
	v_mul_f32_e32 v14, v8, v12
	v_fma_f32 v8, v12, v8, -v14
	v_fmac_f32_e32 v8, v12, v6
	v_sub_f32_e32 v6, v16, v11
	v_add_f32_e32 v6, v9, v6
	v_add_f32_e32 v9, v14, v8
	v_sub_f32_e32 v15, v11, v9
	v_sub_f32_e32 v11, v11, v15
	;; [unrolled: 1-line block ×4, first 2 shown]
	v_add_f32_e32 v6, v6, v9
	v_sub_f32_e32 v8, v14, v8
	v_add_f32_e32 v6, v8, v6
	v_add_f32_e32 v8, v10, v12
	;; [unrolled: 1-line block ×3, first 2 shown]
	v_sub_f32_e32 v9, v8, v10
	v_mul_f32_e32 v6, v13, v6
	v_sub_f32_e32 v9, v12, v9
	v_add_f32_e32 v6, v9, v6
	v_cvt_f32_i32_e32 v5, v5
	v_add_f32_e32 v9, v8, v6
	v_mul_f32_e32 v10, v9, v9
	v_mov_b32_e32 v11, 0x3ecc95a3
	v_fmac_f32_e32 v11, 0x3e9b6dac, v10
	v_mov_b32_e32 v12, 0x3f2aaada
	v_fmac_f32_e32 v12, v10, v11
	v_mul_f32_e32 v11, 0x3f317218, v5
	v_fma_f32 v13, v5, s7, -v11
	v_fmac_f32_e32 v13, 0xb102e308, v5
	v_sub_f32_e32 v5, v9, v8
	v_sub_f32_e32 v5, v6, v5
	v_add_f32_e32 v6, v11, v13
	v_sub_f32_e32 v8, v6, v11
	v_ldexp_f32 v11, v9, 1
	v_mul_f32_e32 v9, v9, v10
	v_mul_f32_e32 v9, v9, v12
	v_add_f32_e32 v10, v11, v9
	v_sub_f32_e32 v11, v10, v11
	v_ldexp_f32 v5, v5, 1
	v_sub_f32_e32 v9, v9, v11
	v_add_f32_e32 v5, v5, v9
	v_add_f32_e32 v9, v10, v5
	v_sub_f32_e32 v10, v9, v10
	v_sub_f32_e32 v5, v5, v10
	v_add_f32_e32 v10, v6, v9
	v_sub_f32_e32 v11, v10, v6
	v_sub_f32_e32 v12, v10, v11
	v_sub_f32_e32 v8, v13, v8
	v_sub_f32_e32 v6, v6, v12
	v_sub_f32_e32 v9, v9, v11
	v_add_f32_e32 v6, v9, v6
	v_add_f32_e32 v9, v8, v5
	v_sub_f32_e32 v11, v9, v8
	v_sub_f32_e32 v12, v9, v11
	;; [unrolled: 1-line block ×4, first 2 shown]
	v_add_f32_e32 v6, v9, v6
	v_add_f32_e32 v5, v5, v8
	;; [unrolled: 1-line block ×3, first 2 shown]
	v_sub_f32_e32 v9, v8, v10
	v_sub_f32_e32 v6, v6, v9
	v_add_f32_e32 v5, v5, v6
	v_add_f32_e32 v5, v8, v5
	v_cmp_neq_f32_e32 vcc, s5, v3
	s_mov_b32 s5, 0x33800000
	v_cndmask_b32_e32 v5, v7, v5, vcc
	v_cmp_lt_f32_e64 vcc, |v3|, s5
	v_cndmask_b32_e32 v3, v5, v3, vcc
	v_add_f32_e32 v3, v4, v3
.LBB92_37:
	s_or_b64 exec, exec, s[2:3]
	v_max_f32_e32 v12, v29, v29
	v_max_f32_e32 v4, v3, v3
	v_min_f32_e32 v5, v4, v12
	v_cmp_u_f32_e32 vcc, v3, v3
	v_max_f32_e32 v4, v4, v12
	v_cndmask_b32_e32 v5, v5, v3, vcc
	v_cmp_u_f32_e64 s[2:3], v29, v29
	v_cndmask_b32_e32 v4, v4, v3, vcc
	v_cndmask_b32_e64 v5, v5, v29, s[2:3]
	v_cndmask_b32_e64 v4, v4, v29, s[2:3]
	v_cmp_neq_f32_e32 vcc, v5, v4
	v_cmp_class_f32_e64 s[4:5], v5, s4
	s_or_b64 s[8:9], vcc, s[4:5]
	s_and_saveexec_b64 s[4:5], s[8:9]
	s_cbranch_execz .LBB92_39
; %bb.38:
	v_sub_f32_e32 v3, v5, v4
	s_mov_b32 s7, 0x3fb8aa3b
	v_mul_f32_e32 v5, 0x3fb8aa3b, v3
	v_fma_f32 v6, v3, s7, -v5
	v_rndne_f32_e32 v7, v5
	v_fmac_f32_e32 v6, 0x32a5705f, v3
	v_sub_f32_e32 v5, v5, v7
	v_add_f32_e32 v5, v5, v6
	v_exp_f32_e32 v5, v5
	v_cvt_i32_f32_e32 v6, v7
	s_mov_b32 s7, 0xc2ce8ed0
	v_cmp_ngt_f32_e32 vcc, s7, v3
	s_mov_b32 s7, 0x42b17218
	v_ldexp_f32 v5, v5, v6
	v_cndmask_b32_e32 v5, 0, v5, vcc
	v_mov_b32_e32 v7, 0x7f800000
	v_cmp_nlt_f32_e32 vcc, s7, v3
	v_cndmask_b32_e32 v3, v7, v5, vcc
	v_add_f32_e32 v8, 1.0, v3
	v_cvt_f64_f32_e32 v[5:6], v8
	v_add_f32_e32 v9, -1.0, v8
	v_sub_f32_e32 v10, v9, v8
	v_sub_f32_e32 v9, v3, v9
	v_frexp_exp_i32_f64_e32 v5, v[5:6]
	v_add_f32_e32 v6, 1.0, v10
	v_add_f32_e32 v6, v9, v6
	v_frexp_mant_f32_e32 v9, v8
	s_mov_b32 s8, 0x3f2aaaab
	v_cmp_gt_f32_e32 vcc, s8, v9
	s_mov_b32 s8, 0x3f317218
	s_mov_b32 s7, 0x7f800000
	v_subbrev_co_u32_e32 v5, vcc, 0, v5, vcc
	v_sub_u32_e32 v9, 0, v5
	v_ldexp_f32 v8, v8, v9
	v_ldexp_f32 v6, v6, v9
	v_add_f32_e32 v9, -1.0, v8
	v_add_f32_e32 v13, 1.0, v8
	v_add_f32_e32 v10, 1.0, v9
	v_add_f32_e32 v14, -1.0, v13
	v_sub_f32_e32 v10, v8, v10
	v_sub_f32_e32 v8, v8, v14
	v_add_f32_e32 v10, v6, v10
	v_add_f32_e32 v6, v6, v8
	;; [unrolled: 1-line block ×3, first 2 shown]
	v_rcp_f32_e32 v14, v8
	v_add_f32_e32 v11, v9, v10
	v_sub_f32_e32 v9, v9, v11
	v_add_f32_e32 v9, v10, v9
	v_sub_f32_e32 v10, v13, v8
	v_add_f32_e32 v6, v6, v10
	v_mul_f32_e32 v10, v11, v14
	v_mul_f32_e32 v13, v8, v10
	v_fma_f32 v15, v10, v8, -v13
	v_fmac_f32_e32 v15, v10, v6
	v_add_f32_e32 v16, v13, v15
	v_sub_f32_e32 v17, v11, v16
	v_sub_f32_e32 v11, v11, v17
	;; [unrolled: 1-line block ×4, first 2 shown]
	v_add_f32_e32 v9, v9, v11
	v_sub_f32_e32 v11, v13, v15
	v_add_f32_e32 v9, v11, v9
	v_add_f32_e32 v11, v17, v9
	v_mul_f32_e32 v13, v14, v11
	v_mul_f32_e32 v15, v8, v13
	v_fma_f32 v8, v13, v8, -v15
	v_fmac_f32_e32 v8, v13, v6
	v_sub_f32_e32 v6, v17, v11
	v_add_f32_e32 v6, v9, v6
	v_add_f32_e32 v9, v15, v8
	v_sub_f32_e32 v16, v11, v9
	v_sub_f32_e32 v11, v11, v16
	;; [unrolled: 1-line block ×4, first 2 shown]
	v_add_f32_e32 v6, v6, v9
	v_sub_f32_e32 v8, v15, v8
	v_add_f32_e32 v6, v8, v6
	v_add_f32_e32 v8, v10, v13
	;; [unrolled: 1-line block ×3, first 2 shown]
	v_sub_f32_e32 v9, v8, v10
	v_mul_f32_e32 v6, v14, v6
	v_sub_f32_e32 v9, v13, v9
	v_add_f32_e32 v6, v9, v6
	v_cvt_f32_i32_e32 v5, v5
	v_add_f32_e32 v9, v8, v6
	v_mul_f32_e32 v10, v9, v9
	v_mov_b32_e32 v11, 0x3ecc95a3
	v_fmac_f32_e32 v11, 0x3e9b6dac, v10
	v_mov_b32_e32 v13, 0x3f2aaada
	v_fmac_f32_e32 v13, v10, v11
	v_mul_f32_e32 v11, 0x3f317218, v5
	v_fma_f32 v14, v5, s8, -v11
	v_fmac_f32_e32 v14, 0xb102e308, v5
	v_sub_f32_e32 v5, v9, v8
	v_sub_f32_e32 v5, v6, v5
	v_add_f32_e32 v6, v11, v14
	v_sub_f32_e32 v8, v6, v11
	v_ldexp_f32 v11, v9, 1
	v_mul_f32_e32 v9, v9, v10
	v_mul_f32_e32 v9, v9, v13
	v_add_f32_e32 v10, v11, v9
	v_sub_f32_e32 v11, v10, v11
	v_ldexp_f32 v5, v5, 1
	v_sub_f32_e32 v9, v9, v11
	v_add_f32_e32 v5, v5, v9
	v_add_f32_e32 v9, v10, v5
	v_sub_f32_e32 v10, v9, v10
	v_sub_f32_e32 v5, v5, v10
	v_add_f32_e32 v10, v6, v9
	v_sub_f32_e32 v11, v10, v6
	v_sub_f32_e32 v13, v10, v11
	;; [unrolled: 1-line block ×5, first 2 shown]
	v_add_f32_e32 v6, v9, v6
	v_add_f32_e32 v9, v8, v5
	v_sub_f32_e32 v11, v9, v8
	v_sub_f32_e32 v13, v9, v11
	;; [unrolled: 1-line block ×4, first 2 shown]
	v_add_f32_e32 v6, v9, v6
	v_add_f32_e32 v5, v5, v8
	;; [unrolled: 1-line block ×3, first 2 shown]
	v_sub_f32_e32 v9, v8, v10
	v_sub_f32_e32 v6, v6, v9
	v_add_f32_e32 v5, v5, v6
	v_add_f32_e32 v5, v8, v5
	v_cmp_neq_f32_e32 vcc, s7, v3
	s_mov_b32 s7, 0x33800000
	v_cndmask_b32_e32 v5, v7, v5, vcc
	v_cmp_lt_f32_e64 vcc, |v3|, s7
	v_cndmask_b32_e32 v3, v5, v3, vcc
	v_add_f32_e32 v3, v4, v3
.LBB92_39:
	s_or_b64 exec, exec, s[4:5]
	v_max_f32_e32 v13, v30, v30
	v_max_f32_e32 v4, v3, v3
	v_min_f32_e32 v5, v4, v13
	v_cmp_u_f32_e32 vcc, v3, v3
	v_max_f32_e32 v4, v4, v13
	v_cndmask_b32_e32 v5, v5, v3, vcc
	v_cmp_u_f32_e64 s[4:5], v30, v30
	v_cndmask_b32_e32 v4, v4, v3, vcc
	v_cndmask_b32_e64 v5, v5, v30, s[4:5]
	v_cndmask_b32_e64 v4, v4, v30, s[4:5]
	s_movk_i32 s7, 0x1f8
	v_cmp_neq_f32_e32 vcc, v5, v4
	v_cmp_class_f32_e64 s[8:9], v5, s7
	s_or_b64 s[10:11], vcc, s[8:9]
	s_and_saveexec_b64 s[8:9], s[10:11]
	s_cbranch_execz .LBB92_41
; %bb.40:
	v_sub_f32_e32 v3, v5, v4
	s_mov_b32 s10, 0x3fb8aa3b
	v_mul_f32_e32 v5, 0x3fb8aa3b, v3
	v_fma_f32 v6, v3, s10, -v5
	v_rndne_f32_e32 v7, v5
	v_fmac_f32_e32 v6, 0x32a5705f, v3
	v_sub_f32_e32 v5, v5, v7
	v_add_f32_e32 v5, v5, v6
	v_exp_f32_e32 v5, v5
	v_cvt_i32_f32_e32 v6, v7
	s_mov_b32 s10, 0xc2ce8ed0
	v_cmp_ngt_f32_e32 vcc, s10, v3
	s_mov_b32 s10, 0x42b17218
	v_ldexp_f32 v5, v5, v6
	v_cndmask_b32_e32 v5, 0, v5, vcc
	v_mov_b32_e32 v7, 0x7f800000
	v_cmp_nlt_f32_e32 vcc, s10, v3
	v_cndmask_b32_e32 v3, v7, v5, vcc
	v_add_f32_e32 v8, 1.0, v3
	v_cvt_f64_f32_e32 v[5:6], v8
	v_add_f32_e32 v9, -1.0, v8
	v_sub_f32_e32 v10, v9, v8
	v_sub_f32_e32 v9, v3, v9
	v_frexp_exp_i32_f64_e32 v5, v[5:6]
	v_add_f32_e32 v6, 1.0, v10
	v_add_f32_e32 v6, v9, v6
	v_frexp_mant_f32_e32 v9, v8
	s_mov_b32 s11, 0x3f2aaaab
	v_cmp_gt_f32_e32 vcc, s11, v9
	s_mov_b32 s11, 0x3f317218
	s_mov_b32 s10, 0x7f800000
	v_subbrev_co_u32_e32 v5, vcc, 0, v5, vcc
	v_sub_u32_e32 v9, 0, v5
	v_ldexp_f32 v8, v8, v9
	v_ldexp_f32 v6, v6, v9
	v_add_f32_e32 v9, -1.0, v8
	v_add_f32_e32 v14, 1.0, v8
	v_add_f32_e32 v10, 1.0, v9
	v_add_f32_e32 v15, -1.0, v14
	v_sub_f32_e32 v10, v8, v10
	v_sub_f32_e32 v8, v8, v15
	v_add_f32_e32 v10, v6, v10
	v_add_f32_e32 v6, v6, v8
	;; [unrolled: 1-line block ×3, first 2 shown]
	v_rcp_f32_e32 v15, v8
	v_add_f32_e32 v11, v9, v10
	v_sub_f32_e32 v9, v9, v11
	v_add_f32_e32 v9, v10, v9
	v_sub_f32_e32 v10, v14, v8
	v_add_f32_e32 v6, v6, v10
	v_mul_f32_e32 v10, v11, v15
	v_mul_f32_e32 v14, v8, v10
	v_fma_f32 v16, v10, v8, -v14
	v_fmac_f32_e32 v16, v10, v6
	v_add_f32_e32 v17, v14, v16
	v_sub_f32_e32 v18, v11, v17
	v_sub_f32_e32 v11, v11, v18
	;; [unrolled: 1-line block ×4, first 2 shown]
	v_add_f32_e32 v9, v9, v11
	v_sub_f32_e32 v11, v14, v16
	v_add_f32_e32 v9, v11, v9
	v_add_f32_e32 v11, v18, v9
	v_mul_f32_e32 v14, v15, v11
	v_mul_f32_e32 v16, v8, v14
	v_fma_f32 v8, v14, v8, -v16
	v_fmac_f32_e32 v8, v14, v6
	v_sub_f32_e32 v6, v18, v11
	v_add_f32_e32 v6, v9, v6
	v_add_f32_e32 v9, v16, v8
	v_sub_f32_e32 v17, v11, v9
	v_sub_f32_e32 v11, v11, v17
	;; [unrolled: 1-line block ×4, first 2 shown]
	v_add_f32_e32 v6, v6, v9
	v_sub_f32_e32 v8, v16, v8
	v_add_f32_e32 v6, v8, v6
	v_add_f32_e32 v8, v10, v14
	;; [unrolled: 1-line block ×3, first 2 shown]
	v_sub_f32_e32 v9, v8, v10
	v_mul_f32_e32 v6, v15, v6
	v_sub_f32_e32 v9, v14, v9
	v_add_f32_e32 v6, v9, v6
	v_cvt_f32_i32_e32 v5, v5
	v_add_f32_e32 v9, v8, v6
	v_mul_f32_e32 v10, v9, v9
	v_mov_b32_e32 v11, 0x3ecc95a3
	v_fmac_f32_e32 v11, 0x3e9b6dac, v10
	v_mov_b32_e32 v14, 0x3f2aaada
	v_fmac_f32_e32 v14, v10, v11
	v_mul_f32_e32 v11, 0x3f317218, v5
	v_fma_f32 v15, v5, s11, -v11
	v_fmac_f32_e32 v15, 0xb102e308, v5
	v_sub_f32_e32 v5, v9, v8
	v_sub_f32_e32 v5, v6, v5
	v_add_f32_e32 v6, v11, v15
	v_sub_f32_e32 v8, v6, v11
	v_ldexp_f32 v11, v9, 1
	v_mul_f32_e32 v9, v9, v10
	v_mul_f32_e32 v9, v9, v14
	v_add_f32_e32 v10, v11, v9
	v_sub_f32_e32 v11, v10, v11
	v_ldexp_f32 v5, v5, 1
	v_sub_f32_e32 v9, v9, v11
	v_add_f32_e32 v5, v5, v9
	v_add_f32_e32 v9, v10, v5
	v_sub_f32_e32 v10, v9, v10
	v_sub_f32_e32 v5, v5, v10
	v_add_f32_e32 v10, v6, v9
	v_sub_f32_e32 v11, v10, v6
	v_sub_f32_e32 v14, v10, v11
	;; [unrolled: 1-line block ×5, first 2 shown]
	v_add_f32_e32 v6, v9, v6
	v_add_f32_e32 v9, v8, v5
	v_sub_f32_e32 v11, v9, v8
	v_sub_f32_e32 v14, v9, v11
	;; [unrolled: 1-line block ×4, first 2 shown]
	v_add_f32_e32 v6, v9, v6
	v_add_f32_e32 v5, v5, v8
	;; [unrolled: 1-line block ×3, first 2 shown]
	v_sub_f32_e32 v9, v8, v10
	v_sub_f32_e32 v6, v6, v9
	v_add_f32_e32 v5, v5, v6
	v_add_f32_e32 v5, v8, v5
	v_cmp_neq_f32_e32 vcc, s10, v3
	s_mov_b32 s10, 0x33800000
	v_cndmask_b32_e32 v5, v7, v5, vcc
	v_cmp_lt_f32_e64 vcc, |v3|, s10
	v_cndmask_b32_e32 v3, v5, v3, vcc
	v_add_f32_e32 v3, v4, v3
.LBB92_41:
	s_or_b64 exec, exec, s[8:9]
	v_max_f32_e32 v14, v27, v27
	v_max_f32_e32 v4, v3, v3
	v_min_f32_e32 v5, v4, v14
	v_cmp_u_f32_e32 vcc, v3, v3
	v_max_f32_e32 v4, v4, v14
	v_cndmask_b32_e32 v5, v5, v3, vcc
	v_cmp_u_f32_e64 s[34:35], v27, v27
	v_cndmask_b32_e32 v4, v4, v3, vcc
	v_cndmask_b32_e64 v5, v5, v27, s[34:35]
	v_cndmask_b32_e64 v4, v4, v27, s[34:35]
	v_cmp_neq_f32_e32 vcc, v5, v4
	v_cmp_class_f32_e64 s[8:9], v5, s7
	s_or_b64 s[10:11], vcc, s[8:9]
	s_and_saveexec_b64 s[8:9], s[10:11]
	s_cbranch_execz .LBB92_43
; %bb.42:
	v_sub_f32_e32 v3, v5, v4
	s_mov_b32 s7, 0x3fb8aa3b
	v_mul_f32_e32 v5, 0x3fb8aa3b, v3
	v_fma_f32 v6, v3, s7, -v5
	v_rndne_f32_e32 v7, v5
	v_fmac_f32_e32 v6, 0x32a5705f, v3
	v_sub_f32_e32 v5, v5, v7
	v_add_f32_e32 v5, v5, v6
	v_exp_f32_e32 v5, v5
	v_cvt_i32_f32_e32 v6, v7
	s_mov_b32 s7, 0xc2ce8ed0
	v_cmp_ngt_f32_e32 vcc, s7, v3
	s_mov_b32 s7, 0x42b17218
	v_ldexp_f32 v5, v5, v6
	v_cndmask_b32_e32 v5, 0, v5, vcc
	v_mov_b32_e32 v7, 0x7f800000
	v_cmp_nlt_f32_e32 vcc, s7, v3
	v_cndmask_b32_e32 v3, v7, v5, vcc
	v_add_f32_e32 v8, 1.0, v3
	v_cvt_f64_f32_e32 v[5:6], v8
	v_add_f32_e32 v9, -1.0, v8
	v_sub_f32_e32 v10, v9, v8
	v_sub_f32_e32 v9, v3, v9
	v_frexp_exp_i32_f64_e32 v5, v[5:6]
	v_add_f32_e32 v6, 1.0, v10
	v_add_f32_e32 v6, v9, v6
	v_frexp_mant_f32_e32 v9, v8
	s_mov_b32 s10, 0x3f2aaaab
	v_cmp_gt_f32_e32 vcc, s10, v9
	s_mov_b32 s10, 0x3f317218
	s_mov_b32 s7, 0x7f800000
	v_subbrev_co_u32_e32 v5, vcc, 0, v5, vcc
	v_sub_u32_e32 v9, 0, v5
	v_ldexp_f32 v8, v8, v9
	v_ldexp_f32 v6, v6, v9
	v_add_f32_e32 v9, -1.0, v8
	v_add_f32_e32 v15, 1.0, v8
	v_add_f32_e32 v10, 1.0, v9
	v_add_f32_e32 v16, -1.0, v15
	v_sub_f32_e32 v10, v8, v10
	v_sub_f32_e32 v8, v8, v16
	v_add_f32_e32 v10, v6, v10
	v_add_f32_e32 v6, v6, v8
	;; [unrolled: 1-line block ×3, first 2 shown]
	v_rcp_f32_e32 v16, v8
	v_add_f32_e32 v11, v9, v10
	v_sub_f32_e32 v9, v9, v11
	v_add_f32_e32 v9, v10, v9
	v_sub_f32_e32 v10, v15, v8
	v_add_f32_e32 v6, v6, v10
	v_mul_f32_e32 v10, v11, v16
	v_mul_f32_e32 v15, v8, v10
	v_fma_f32 v17, v10, v8, -v15
	v_fmac_f32_e32 v17, v10, v6
	v_add_f32_e32 v18, v15, v17
	v_sub_f32_e32 v35, v11, v18
	v_sub_f32_e32 v11, v11, v35
	v_sub_f32_e32 v15, v18, v15
	v_sub_f32_e32 v11, v11, v18
	v_add_f32_e32 v9, v9, v11
	v_sub_f32_e32 v11, v15, v17
	v_add_f32_e32 v9, v11, v9
	v_add_f32_e32 v11, v35, v9
	v_mul_f32_e32 v15, v16, v11
	v_mul_f32_e32 v17, v8, v15
	v_fma_f32 v8, v15, v8, -v17
	v_fmac_f32_e32 v8, v15, v6
	v_sub_f32_e32 v6, v35, v11
	v_add_f32_e32 v6, v9, v6
	v_add_f32_e32 v9, v17, v8
	v_sub_f32_e32 v18, v11, v9
	v_sub_f32_e32 v11, v11, v18
	;; [unrolled: 1-line block ×4, first 2 shown]
	v_add_f32_e32 v6, v6, v9
	v_sub_f32_e32 v8, v17, v8
	v_add_f32_e32 v6, v8, v6
	v_add_f32_e32 v8, v10, v15
	v_add_f32_e32 v6, v18, v6
	v_sub_f32_e32 v9, v8, v10
	v_mul_f32_e32 v6, v16, v6
	v_sub_f32_e32 v9, v15, v9
	v_add_f32_e32 v6, v9, v6
	v_cvt_f32_i32_e32 v5, v5
	v_add_f32_e32 v9, v8, v6
	v_mul_f32_e32 v10, v9, v9
	v_mov_b32_e32 v11, 0x3ecc95a3
	v_fmac_f32_e32 v11, 0x3e9b6dac, v10
	v_mov_b32_e32 v15, 0x3f2aaada
	v_fmac_f32_e32 v15, v10, v11
	v_mul_f32_e32 v11, 0x3f317218, v5
	v_fma_f32 v16, v5, s10, -v11
	v_fmac_f32_e32 v16, 0xb102e308, v5
	v_sub_f32_e32 v5, v9, v8
	v_sub_f32_e32 v5, v6, v5
	v_add_f32_e32 v6, v11, v16
	v_sub_f32_e32 v8, v6, v11
	v_ldexp_f32 v11, v9, 1
	v_mul_f32_e32 v9, v9, v10
	v_mul_f32_e32 v9, v9, v15
	v_add_f32_e32 v10, v11, v9
	v_sub_f32_e32 v11, v10, v11
	v_ldexp_f32 v5, v5, 1
	v_sub_f32_e32 v9, v9, v11
	v_add_f32_e32 v5, v5, v9
	v_add_f32_e32 v9, v10, v5
	v_sub_f32_e32 v10, v9, v10
	v_sub_f32_e32 v5, v5, v10
	v_add_f32_e32 v10, v6, v9
	v_sub_f32_e32 v11, v10, v6
	v_sub_f32_e32 v15, v10, v11
	;; [unrolled: 1-line block ×5, first 2 shown]
	v_add_f32_e32 v6, v9, v6
	v_add_f32_e32 v9, v8, v5
	v_sub_f32_e32 v11, v9, v8
	v_sub_f32_e32 v15, v9, v11
	;; [unrolled: 1-line block ×4, first 2 shown]
	v_add_f32_e32 v6, v9, v6
	v_add_f32_e32 v5, v5, v8
	v_add_f32_e32 v8, v10, v6
	v_sub_f32_e32 v9, v8, v10
	v_sub_f32_e32 v6, v6, v9
	v_add_f32_e32 v5, v5, v6
	v_add_f32_e32 v5, v8, v5
	v_cmp_neq_f32_e32 vcc, s7, v3
	s_mov_b32 s7, 0x33800000
	v_cndmask_b32_e32 v5, v7, v5, vcc
	v_cmp_lt_f32_e64 vcc, |v3|, s7
	v_cndmask_b32_e32 v3, v5, v3, vcc
	v_add_f32_e32 v3, v4, v3
.LBB92_43:
	s_or_b64 exec, exec, s[8:9]
	v_max_f32_e32 v15, v28, v28
	v_max_f32_e32 v4, v3, v3
	v_min_f32_e32 v5, v4, v15
	v_cmp_u_f32_e32 vcc, v3, v3
	v_max_f32_e32 v4, v4, v15
	v_cndmask_b32_e32 v5, v5, v3, vcc
	v_cmp_u_f32_e64 s[8:9], v28, v28
	v_cndmask_b32_e32 v4, v4, v3, vcc
	v_cndmask_b32_e64 v5, v5, v28, s[8:9]
	v_cndmask_b32_e64 v4, v4, v28, s[8:9]
	s_movk_i32 s7, 0x1f8
	v_cmp_neq_f32_e32 vcc, v5, v4
	v_cmp_class_f32_e64 s[10:11], v5, s7
	s_or_b64 s[12:13], vcc, s[10:11]
	s_and_saveexec_b64 s[10:11], s[12:13]
	s_cbranch_execz .LBB92_45
; %bb.44:
	v_sub_f32_e32 v3, v5, v4
	s_mov_b32 s12, 0x3fb8aa3b
	v_mul_f32_e32 v5, 0x3fb8aa3b, v3
	v_fma_f32 v6, v3, s12, -v5
	v_rndne_f32_e32 v7, v5
	v_fmac_f32_e32 v6, 0x32a5705f, v3
	v_sub_f32_e32 v5, v5, v7
	v_add_f32_e32 v5, v5, v6
	v_exp_f32_e32 v5, v5
	v_cvt_i32_f32_e32 v6, v7
	s_mov_b32 s12, 0xc2ce8ed0
	v_cmp_ngt_f32_e32 vcc, s12, v3
	s_mov_b32 s12, 0x42b17218
	v_ldexp_f32 v5, v5, v6
	v_cndmask_b32_e32 v5, 0, v5, vcc
	v_mov_b32_e32 v7, 0x7f800000
	v_cmp_nlt_f32_e32 vcc, s12, v3
	v_cndmask_b32_e32 v3, v7, v5, vcc
	v_add_f32_e32 v8, 1.0, v3
	v_cvt_f64_f32_e32 v[5:6], v8
	v_add_f32_e32 v9, -1.0, v8
	v_sub_f32_e32 v10, v9, v8
	v_sub_f32_e32 v9, v3, v9
	v_frexp_exp_i32_f64_e32 v5, v[5:6]
	v_add_f32_e32 v6, 1.0, v10
	v_add_f32_e32 v6, v9, v6
	v_frexp_mant_f32_e32 v9, v8
	s_mov_b32 s13, 0x3f2aaaab
	v_cmp_gt_f32_e32 vcc, s13, v9
	s_mov_b32 s13, 0x3f317218
	s_mov_b32 s12, 0x7f800000
	v_subbrev_co_u32_e32 v5, vcc, 0, v5, vcc
	v_sub_u32_e32 v9, 0, v5
	v_ldexp_f32 v8, v8, v9
	v_ldexp_f32 v6, v6, v9
	v_add_f32_e32 v9, -1.0, v8
	v_add_f32_e32 v16, 1.0, v8
	v_add_f32_e32 v10, 1.0, v9
	v_add_f32_e32 v17, -1.0, v16
	v_sub_f32_e32 v10, v8, v10
	v_sub_f32_e32 v8, v8, v17
	v_add_f32_e32 v10, v6, v10
	v_add_f32_e32 v6, v6, v8
	;; [unrolled: 1-line block ×3, first 2 shown]
	v_rcp_f32_e32 v17, v8
	v_add_f32_e32 v11, v9, v10
	v_sub_f32_e32 v9, v9, v11
	v_add_f32_e32 v9, v10, v9
	v_sub_f32_e32 v10, v16, v8
	v_add_f32_e32 v6, v6, v10
	v_mul_f32_e32 v10, v11, v17
	v_mul_f32_e32 v16, v8, v10
	v_fma_f32 v18, v10, v8, -v16
	v_fmac_f32_e32 v18, v10, v6
	v_add_f32_e32 v35, v16, v18
	v_sub_f32_e32 v36, v11, v35
	v_sub_f32_e32 v11, v11, v36
	;; [unrolled: 1-line block ×4, first 2 shown]
	v_add_f32_e32 v9, v9, v11
	v_sub_f32_e32 v11, v16, v18
	v_add_f32_e32 v9, v11, v9
	v_add_f32_e32 v11, v36, v9
	v_mul_f32_e32 v16, v17, v11
	v_mul_f32_e32 v18, v8, v16
	v_fma_f32 v8, v16, v8, -v18
	v_fmac_f32_e32 v8, v16, v6
	v_sub_f32_e32 v6, v36, v11
	v_add_f32_e32 v6, v9, v6
	v_add_f32_e32 v9, v18, v8
	v_sub_f32_e32 v35, v11, v9
	v_sub_f32_e32 v11, v11, v35
	;; [unrolled: 1-line block ×4, first 2 shown]
	v_add_f32_e32 v6, v6, v9
	v_sub_f32_e32 v8, v18, v8
	v_add_f32_e32 v6, v8, v6
	v_add_f32_e32 v8, v10, v16
	v_add_f32_e32 v6, v35, v6
	v_sub_f32_e32 v9, v8, v10
	v_mul_f32_e32 v6, v17, v6
	v_sub_f32_e32 v9, v16, v9
	v_add_f32_e32 v6, v9, v6
	v_cvt_f32_i32_e32 v5, v5
	v_add_f32_e32 v9, v8, v6
	v_mul_f32_e32 v10, v9, v9
	v_mov_b32_e32 v11, 0x3ecc95a3
	v_fmac_f32_e32 v11, 0x3e9b6dac, v10
	v_mov_b32_e32 v16, 0x3f2aaada
	v_fmac_f32_e32 v16, v10, v11
	v_mul_f32_e32 v11, 0x3f317218, v5
	v_fma_f32 v17, v5, s13, -v11
	v_fmac_f32_e32 v17, 0xb102e308, v5
	v_sub_f32_e32 v5, v9, v8
	v_sub_f32_e32 v5, v6, v5
	v_add_f32_e32 v6, v11, v17
	v_sub_f32_e32 v8, v6, v11
	v_ldexp_f32 v11, v9, 1
	v_mul_f32_e32 v9, v9, v10
	v_mul_f32_e32 v9, v9, v16
	v_add_f32_e32 v10, v11, v9
	v_sub_f32_e32 v11, v10, v11
	v_ldexp_f32 v5, v5, 1
	v_sub_f32_e32 v9, v9, v11
	v_add_f32_e32 v5, v5, v9
	v_add_f32_e32 v9, v10, v5
	v_sub_f32_e32 v10, v9, v10
	v_sub_f32_e32 v5, v5, v10
	v_add_f32_e32 v10, v6, v9
	v_sub_f32_e32 v11, v10, v6
	v_sub_f32_e32 v16, v10, v11
	;; [unrolled: 1-line block ×5, first 2 shown]
	v_add_f32_e32 v6, v9, v6
	v_add_f32_e32 v9, v8, v5
	v_sub_f32_e32 v11, v9, v8
	v_sub_f32_e32 v16, v9, v11
	v_sub_f32_e32 v8, v8, v16
	v_sub_f32_e32 v5, v5, v11
	v_add_f32_e32 v6, v9, v6
	v_add_f32_e32 v5, v5, v8
	;; [unrolled: 1-line block ×3, first 2 shown]
	v_sub_f32_e32 v9, v8, v10
	v_sub_f32_e32 v6, v6, v9
	v_add_f32_e32 v5, v5, v6
	v_add_f32_e32 v5, v8, v5
	v_cmp_neq_f32_e32 vcc, s12, v3
	s_mov_b32 s12, 0x33800000
	v_cndmask_b32_e32 v5, v7, v5, vcc
	v_cmp_lt_f32_e64 vcc, |v3|, s12
	v_cndmask_b32_e32 v3, v5, v3, vcc
	v_add_f32_e32 v3, v4, v3
.LBB92_45:
	s_or_b64 exec, exec, s[10:11]
	v_max_f32_e32 v16, v25, v25
	v_max_f32_e32 v4, v3, v3
	v_min_f32_e32 v5, v4, v16
	v_cmp_u_f32_e32 vcc, v3, v3
	v_max_f32_e32 v4, v4, v16
	v_cndmask_b32_e32 v5, v5, v3, vcc
	v_cmp_u_f32_e64 s[10:11], v25, v25
	v_cndmask_b32_e32 v4, v4, v3, vcc
	v_cndmask_b32_e64 v5, v5, v25, s[10:11]
	v_cndmask_b32_e64 v4, v4, v25, s[10:11]
	v_cmp_neq_f32_e32 vcc, v5, v4
	v_cmp_class_f32_e64 s[12:13], v5, s7
	s_or_b64 s[14:15], vcc, s[12:13]
	s_and_saveexec_b64 s[12:13], s[14:15]
	s_cbranch_execz .LBB92_47
; %bb.46:
	v_sub_f32_e32 v3, v5, v4
	s_mov_b32 s7, 0x3fb8aa3b
	v_mul_f32_e32 v5, 0x3fb8aa3b, v3
	v_fma_f32 v6, v3, s7, -v5
	v_rndne_f32_e32 v7, v5
	v_fmac_f32_e32 v6, 0x32a5705f, v3
	v_sub_f32_e32 v5, v5, v7
	v_add_f32_e32 v5, v5, v6
	v_exp_f32_e32 v5, v5
	v_cvt_i32_f32_e32 v6, v7
	s_mov_b32 s7, 0xc2ce8ed0
	v_cmp_ngt_f32_e32 vcc, s7, v3
	s_mov_b32 s7, 0x42b17218
	v_ldexp_f32 v5, v5, v6
	v_cndmask_b32_e32 v5, 0, v5, vcc
	v_mov_b32_e32 v7, 0x7f800000
	v_cmp_nlt_f32_e32 vcc, s7, v3
	v_cndmask_b32_e32 v3, v7, v5, vcc
	v_add_f32_e32 v8, 1.0, v3
	v_cvt_f64_f32_e32 v[5:6], v8
	v_add_f32_e32 v9, -1.0, v8
	v_sub_f32_e32 v10, v9, v8
	v_sub_f32_e32 v9, v3, v9
	v_frexp_exp_i32_f64_e32 v5, v[5:6]
	v_add_f32_e32 v6, 1.0, v10
	v_add_f32_e32 v6, v9, v6
	v_frexp_mant_f32_e32 v9, v8
	s_mov_b32 s14, 0x3f2aaaab
	v_cmp_gt_f32_e32 vcc, s14, v9
	s_mov_b32 s14, 0x3f317218
	s_mov_b32 s7, 0x7f800000
	v_subbrev_co_u32_e32 v5, vcc, 0, v5, vcc
	v_sub_u32_e32 v9, 0, v5
	v_ldexp_f32 v8, v8, v9
	v_ldexp_f32 v6, v6, v9
	v_add_f32_e32 v9, -1.0, v8
	v_add_f32_e32 v17, 1.0, v8
	v_add_f32_e32 v10, 1.0, v9
	v_add_f32_e32 v18, -1.0, v17
	v_sub_f32_e32 v10, v8, v10
	v_sub_f32_e32 v8, v8, v18
	v_add_f32_e32 v10, v6, v10
	v_add_f32_e32 v6, v6, v8
	v_add_f32_e32 v8, v17, v6
	v_rcp_f32_e32 v18, v8
	v_add_f32_e32 v11, v9, v10
	v_sub_f32_e32 v9, v9, v11
	v_add_f32_e32 v9, v10, v9
	v_sub_f32_e32 v10, v17, v8
	v_add_f32_e32 v6, v6, v10
	v_mul_f32_e32 v10, v11, v18
	v_mul_f32_e32 v17, v8, v10
	v_fma_f32 v35, v10, v8, -v17
	v_fmac_f32_e32 v35, v10, v6
	v_add_f32_e32 v36, v17, v35
	v_sub_f32_e32 v37, v11, v36
	v_sub_f32_e32 v11, v11, v37
	;; [unrolled: 1-line block ×4, first 2 shown]
	v_add_f32_e32 v9, v9, v11
	v_sub_f32_e32 v11, v17, v35
	v_add_f32_e32 v9, v11, v9
	v_add_f32_e32 v11, v37, v9
	v_mul_f32_e32 v17, v18, v11
	v_mul_f32_e32 v35, v8, v17
	v_fma_f32 v8, v17, v8, -v35
	v_fmac_f32_e32 v8, v17, v6
	v_sub_f32_e32 v6, v37, v11
	v_add_f32_e32 v6, v9, v6
	v_add_f32_e32 v9, v35, v8
	v_sub_f32_e32 v36, v11, v9
	v_sub_f32_e32 v11, v11, v36
	;; [unrolled: 1-line block ×4, first 2 shown]
	v_add_f32_e32 v6, v6, v9
	v_sub_f32_e32 v8, v35, v8
	v_add_f32_e32 v6, v8, v6
	v_add_f32_e32 v8, v10, v17
	;; [unrolled: 1-line block ×3, first 2 shown]
	v_sub_f32_e32 v9, v8, v10
	v_mul_f32_e32 v6, v18, v6
	v_sub_f32_e32 v9, v17, v9
	v_add_f32_e32 v6, v9, v6
	v_cvt_f32_i32_e32 v5, v5
	v_add_f32_e32 v9, v8, v6
	v_mul_f32_e32 v10, v9, v9
	v_mov_b32_e32 v11, 0x3ecc95a3
	v_fmac_f32_e32 v11, 0x3e9b6dac, v10
	v_mov_b32_e32 v17, 0x3f2aaada
	v_fmac_f32_e32 v17, v10, v11
	v_mul_f32_e32 v11, 0x3f317218, v5
	v_fma_f32 v18, v5, s14, -v11
	v_fmac_f32_e32 v18, 0xb102e308, v5
	v_sub_f32_e32 v5, v9, v8
	v_sub_f32_e32 v5, v6, v5
	v_add_f32_e32 v6, v11, v18
	v_sub_f32_e32 v8, v6, v11
	v_ldexp_f32 v11, v9, 1
	v_mul_f32_e32 v9, v9, v10
	v_mul_f32_e32 v9, v9, v17
	v_add_f32_e32 v10, v11, v9
	v_sub_f32_e32 v11, v10, v11
	v_ldexp_f32 v5, v5, 1
	v_sub_f32_e32 v9, v9, v11
	v_add_f32_e32 v5, v5, v9
	v_add_f32_e32 v9, v10, v5
	v_sub_f32_e32 v10, v9, v10
	v_sub_f32_e32 v5, v5, v10
	v_add_f32_e32 v10, v6, v9
	v_sub_f32_e32 v11, v10, v6
	v_sub_f32_e32 v17, v10, v11
	;; [unrolled: 1-line block ×5, first 2 shown]
	v_add_f32_e32 v6, v9, v6
	v_add_f32_e32 v9, v8, v5
	v_sub_f32_e32 v11, v9, v8
	v_sub_f32_e32 v17, v9, v11
	;; [unrolled: 1-line block ×4, first 2 shown]
	v_add_f32_e32 v6, v9, v6
	v_add_f32_e32 v5, v5, v8
	v_add_f32_e32 v8, v10, v6
	v_sub_f32_e32 v9, v8, v10
	v_sub_f32_e32 v6, v6, v9
	v_add_f32_e32 v5, v5, v6
	v_add_f32_e32 v5, v8, v5
	v_cmp_neq_f32_e32 vcc, s7, v3
	s_mov_b32 s7, 0x33800000
	v_cndmask_b32_e32 v5, v7, v5, vcc
	v_cmp_lt_f32_e64 vcc, |v3|, s7
	v_cndmask_b32_e32 v3, v5, v3, vcc
	v_add_f32_e32 v3, v4, v3
.LBB92_47:
	s_or_b64 exec, exec, s[12:13]
	v_max_f32_e32 v17, v26, v26
	v_max_f32_e32 v4, v3, v3
	v_min_f32_e32 v5, v4, v17
	v_cmp_u_f32_e32 vcc, v3, v3
	v_max_f32_e32 v4, v4, v17
	v_cndmask_b32_e32 v5, v5, v3, vcc
	v_cmp_u_f32_e64 s[12:13], v26, v26
	v_cndmask_b32_e32 v4, v4, v3, vcc
	v_cndmask_b32_e64 v5, v5, v26, s[12:13]
	v_cndmask_b32_e64 v4, v4, v26, s[12:13]
	s_movk_i32 s7, 0x1f8
	v_cmp_neq_f32_e32 vcc, v5, v4
	v_cmp_class_f32_e64 s[14:15], v5, s7
	s_or_b64 s[16:17], vcc, s[14:15]
	s_and_saveexec_b64 s[14:15], s[16:17]
	s_cbranch_execz .LBB92_49
; %bb.48:
	v_sub_f32_e32 v3, v5, v4
	s_mov_b32 s16, 0x3fb8aa3b
	v_mul_f32_e32 v5, 0x3fb8aa3b, v3
	v_fma_f32 v6, v3, s16, -v5
	v_rndne_f32_e32 v7, v5
	v_fmac_f32_e32 v6, 0x32a5705f, v3
	v_sub_f32_e32 v5, v5, v7
	v_add_f32_e32 v5, v5, v6
	v_exp_f32_e32 v5, v5
	v_cvt_i32_f32_e32 v6, v7
	s_mov_b32 s16, 0xc2ce8ed0
	v_cmp_ngt_f32_e32 vcc, s16, v3
	s_mov_b32 s16, 0x42b17218
	v_ldexp_f32 v5, v5, v6
	v_cndmask_b32_e32 v5, 0, v5, vcc
	v_mov_b32_e32 v7, 0x7f800000
	v_cmp_nlt_f32_e32 vcc, s16, v3
	v_cndmask_b32_e32 v3, v7, v5, vcc
	v_add_f32_e32 v8, 1.0, v3
	v_cvt_f64_f32_e32 v[5:6], v8
	v_add_f32_e32 v9, -1.0, v8
	v_sub_f32_e32 v10, v9, v8
	v_sub_f32_e32 v9, v3, v9
	v_frexp_exp_i32_f64_e32 v5, v[5:6]
	v_add_f32_e32 v6, 1.0, v10
	v_add_f32_e32 v6, v9, v6
	v_frexp_mant_f32_e32 v9, v8
	s_mov_b32 s17, 0x3f2aaaab
	v_cmp_gt_f32_e32 vcc, s17, v9
	s_mov_b32 s17, 0x3f317218
	s_mov_b32 s16, 0x7f800000
	v_subbrev_co_u32_e32 v5, vcc, 0, v5, vcc
	v_sub_u32_e32 v9, 0, v5
	v_ldexp_f32 v8, v8, v9
	v_ldexp_f32 v6, v6, v9
	v_add_f32_e32 v9, -1.0, v8
	v_add_f32_e32 v18, 1.0, v8
	v_add_f32_e32 v10, 1.0, v9
	v_add_f32_e32 v35, -1.0, v18
	v_sub_f32_e32 v10, v8, v10
	v_sub_f32_e32 v8, v8, v35
	v_add_f32_e32 v10, v6, v10
	v_add_f32_e32 v6, v6, v8
	;; [unrolled: 1-line block ×3, first 2 shown]
	v_rcp_f32_e32 v35, v8
	v_add_f32_e32 v11, v9, v10
	v_sub_f32_e32 v9, v9, v11
	v_add_f32_e32 v9, v10, v9
	v_sub_f32_e32 v10, v18, v8
	v_add_f32_e32 v6, v6, v10
	v_mul_f32_e32 v10, v11, v35
	v_mul_f32_e32 v18, v8, v10
	v_fma_f32 v36, v10, v8, -v18
	v_fmac_f32_e32 v36, v10, v6
	v_add_f32_e32 v37, v18, v36
	v_sub_f32_e32 v38, v11, v37
	v_sub_f32_e32 v11, v11, v38
	;; [unrolled: 1-line block ×4, first 2 shown]
	v_add_f32_e32 v9, v9, v11
	v_sub_f32_e32 v11, v18, v36
	v_add_f32_e32 v9, v11, v9
	v_add_f32_e32 v11, v38, v9
	v_mul_f32_e32 v18, v35, v11
	v_mul_f32_e32 v36, v8, v18
	v_fma_f32 v8, v18, v8, -v36
	v_fmac_f32_e32 v8, v18, v6
	v_sub_f32_e32 v6, v38, v11
	v_add_f32_e32 v6, v9, v6
	v_add_f32_e32 v9, v36, v8
	v_sub_f32_e32 v37, v11, v9
	v_sub_f32_e32 v11, v11, v37
	v_sub_f32_e32 v36, v9, v36
	v_sub_f32_e32 v9, v11, v9
	v_add_f32_e32 v6, v6, v9
	v_sub_f32_e32 v8, v36, v8
	v_add_f32_e32 v6, v8, v6
	v_add_f32_e32 v8, v10, v18
	;; [unrolled: 1-line block ×3, first 2 shown]
	v_sub_f32_e32 v9, v8, v10
	v_mul_f32_e32 v6, v35, v6
	v_sub_f32_e32 v9, v18, v9
	v_add_f32_e32 v6, v9, v6
	v_cvt_f32_i32_e32 v5, v5
	v_add_f32_e32 v9, v8, v6
	v_mul_f32_e32 v10, v9, v9
	v_mov_b32_e32 v11, 0x3ecc95a3
	v_fmac_f32_e32 v11, 0x3e9b6dac, v10
	v_mov_b32_e32 v18, 0x3f2aaada
	v_fmac_f32_e32 v18, v10, v11
	v_mul_f32_e32 v11, 0x3f317218, v5
	v_fma_f32 v35, v5, s17, -v11
	v_fmac_f32_e32 v35, 0xb102e308, v5
	v_sub_f32_e32 v5, v9, v8
	v_sub_f32_e32 v5, v6, v5
	v_add_f32_e32 v6, v11, v35
	v_sub_f32_e32 v8, v6, v11
	v_ldexp_f32 v11, v9, 1
	v_mul_f32_e32 v9, v9, v10
	v_mul_f32_e32 v9, v9, v18
	v_add_f32_e32 v10, v11, v9
	v_sub_f32_e32 v11, v10, v11
	v_ldexp_f32 v5, v5, 1
	v_sub_f32_e32 v9, v9, v11
	v_add_f32_e32 v5, v5, v9
	v_add_f32_e32 v9, v10, v5
	v_sub_f32_e32 v10, v9, v10
	v_sub_f32_e32 v5, v5, v10
	v_add_f32_e32 v10, v6, v9
	v_sub_f32_e32 v11, v10, v6
	v_sub_f32_e32 v18, v10, v11
	;; [unrolled: 1-line block ×5, first 2 shown]
	v_add_f32_e32 v6, v9, v6
	v_add_f32_e32 v9, v8, v5
	v_sub_f32_e32 v11, v9, v8
	v_sub_f32_e32 v18, v9, v11
	;; [unrolled: 1-line block ×4, first 2 shown]
	v_add_f32_e32 v6, v9, v6
	v_add_f32_e32 v5, v5, v8
	v_add_f32_e32 v8, v10, v6
	v_sub_f32_e32 v9, v8, v10
	v_sub_f32_e32 v6, v6, v9
	v_add_f32_e32 v5, v5, v6
	v_add_f32_e32 v5, v8, v5
	v_cmp_neq_f32_e32 vcc, s16, v3
	s_mov_b32 s16, 0x33800000
	v_cndmask_b32_e32 v5, v7, v5, vcc
	v_cmp_lt_f32_e64 vcc, |v3|, s16
	v_cndmask_b32_e32 v3, v5, v3, vcc
	v_add_f32_e32 v3, v4, v3
.LBB92_49:
	s_or_b64 exec, exec, s[14:15]
	v_max_f32_e32 v18, v23, v23
	v_max_f32_e32 v4, v3, v3
	v_min_f32_e32 v5, v4, v18
	v_cmp_u_f32_e32 vcc, v3, v3
	v_max_f32_e32 v4, v4, v18
	v_cndmask_b32_e32 v5, v5, v3, vcc
	v_cmp_u_f32_e64 s[14:15], v23, v23
	v_cndmask_b32_e32 v4, v4, v3, vcc
	v_cndmask_b32_e64 v5, v5, v23, s[14:15]
	v_cndmask_b32_e64 v4, v4, v23, s[14:15]
	v_cmp_neq_f32_e32 vcc, v5, v4
	v_cmp_class_f32_e64 s[16:17], v5, s7
	s_or_b64 s[18:19], vcc, s[16:17]
	s_and_saveexec_b64 s[16:17], s[18:19]
	s_cbranch_execz .LBB92_51
; %bb.50:
	v_sub_f32_e32 v3, v5, v4
	s_mov_b32 s7, 0x3fb8aa3b
	v_mul_f32_e32 v5, 0x3fb8aa3b, v3
	v_fma_f32 v6, v3, s7, -v5
	v_rndne_f32_e32 v7, v5
	v_fmac_f32_e32 v6, 0x32a5705f, v3
	v_sub_f32_e32 v5, v5, v7
	v_add_f32_e32 v5, v5, v6
	v_exp_f32_e32 v5, v5
	v_cvt_i32_f32_e32 v6, v7
	s_mov_b32 s7, 0xc2ce8ed0
	v_cmp_ngt_f32_e32 vcc, s7, v3
	s_mov_b32 s7, 0x42b17218
	v_ldexp_f32 v5, v5, v6
	v_cndmask_b32_e32 v5, 0, v5, vcc
	v_mov_b32_e32 v7, 0x7f800000
	v_cmp_nlt_f32_e32 vcc, s7, v3
	v_cndmask_b32_e32 v3, v7, v5, vcc
	v_add_f32_e32 v8, 1.0, v3
	v_cvt_f64_f32_e32 v[5:6], v8
	v_add_f32_e32 v9, -1.0, v8
	v_sub_f32_e32 v10, v9, v8
	v_sub_f32_e32 v9, v3, v9
	v_frexp_exp_i32_f64_e32 v5, v[5:6]
	v_add_f32_e32 v6, 1.0, v10
	v_add_f32_e32 v6, v9, v6
	v_frexp_mant_f32_e32 v9, v8
	s_mov_b32 s18, 0x3f2aaaab
	v_cmp_gt_f32_e32 vcc, s18, v9
	s_mov_b32 s18, 0x3f317218
	s_mov_b32 s7, 0x7f800000
	v_subbrev_co_u32_e32 v5, vcc, 0, v5, vcc
	v_sub_u32_e32 v9, 0, v5
	v_ldexp_f32 v8, v8, v9
	v_ldexp_f32 v6, v6, v9
	v_add_f32_e32 v9, -1.0, v8
	v_add_f32_e32 v35, 1.0, v8
	v_add_f32_e32 v10, 1.0, v9
	v_add_f32_e32 v36, -1.0, v35
	v_sub_f32_e32 v10, v8, v10
	v_sub_f32_e32 v8, v8, v36
	v_add_f32_e32 v10, v6, v10
	v_add_f32_e32 v6, v6, v8
	;; [unrolled: 1-line block ×3, first 2 shown]
	v_rcp_f32_e32 v36, v8
	v_add_f32_e32 v11, v9, v10
	v_sub_f32_e32 v9, v9, v11
	v_add_f32_e32 v9, v10, v9
	v_sub_f32_e32 v10, v35, v8
	v_add_f32_e32 v6, v6, v10
	v_mul_f32_e32 v10, v11, v36
	v_mul_f32_e32 v35, v8, v10
	v_fma_f32 v37, v10, v8, -v35
	v_fmac_f32_e32 v37, v10, v6
	v_add_f32_e32 v38, v35, v37
	v_sub_f32_e32 v39, v11, v38
	v_sub_f32_e32 v11, v11, v39
	;; [unrolled: 1-line block ×4, first 2 shown]
	v_add_f32_e32 v9, v9, v11
	v_sub_f32_e32 v11, v35, v37
	v_add_f32_e32 v9, v11, v9
	v_add_f32_e32 v11, v39, v9
	v_mul_f32_e32 v35, v36, v11
	v_mul_f32_e32 v37, v8, v35
	v_fma_f32 v8, v35, v8, -v37
	v_fmac_f32_e32 v8, v35, v6
	v_sub_f32_e32 v6, v39, v11
	v_add_f32_e32 v6, v9, v6
	v_add_f32_e32 v9, v37, v8
	v_sub_f32_e32 v38, v11, v9
	v_sub_f32_e32 v11, v11, v38
	;; [unrolled: 1-line block ×4, first 2 shown]
	v_add_f32_e32 v6, v6, v9
	v_sub_f32_e32 v8, v37, v8
	v_add_f32_e32 v6, v8, v6
	v_add_f32_e32 v8, v10, v35
	;; [unrolled: 1-line block ×3, first 2 shown]
	v_sub_f32_e32 v9, v8, v10
	v_mul_f32_e32 v6, v36, v6
	v_sub_f32_e32 v9, v35, v9
	v_add_f32_e32 v6, v9, v6
	v_cvt_f32_i32_e32 v5, v5
	v_add_f32_e32 v9, v8, v6
	v_mul_f32_e32 v10, v9, v9
	v_mov_b32_e32 v11, 0x3ecc95a3
	v_fmac_f32_e32 v11, 0x3e9b6dac, v10
	v_mov_b32_e32 v35, 0x3f2aaada
	v_fmac_f32_e32 v35, v10, v11
	v_mul_f32_e32 v11, 0x3f317218, v5
	v_fma_f32 v36, v5, s18, -v11
	v_fmac_f32_e32 v36, 0xb102e308, v5
	v_sub_f32_e32 v5, v9, v8
	v_sub_f32_e32 v5, v6, v5
	v_add_f32_e32 v6, v11, v36
	v_sub_f32_e32 v8, v6, v11
	v_ldexp_f32 v11, v9, 1
	v_mul_f32_e32 v9, v9, v10
	v_mul_f32_e32 v9, v9, v35
	v_add_f32_e32 v10, v11, v9
	v_sub_f32_e32 v11, v10, v11
	v_ldexp_f32 v5, v5, 1
	v_sub_f32_e32 v9, v9, v11
	v_add_f32_e32 v5, v5, v9
	v_add_f32_e32 v9, v10, v5
	v_sub_f32_e32 v10, v9, v10
	v_sub_f32_e32 v5, v5, v10
	v_add_f32_e32 v10, v6, v9
	v_sub_f32_e32 v11, v10, v6
	v_sub_f32_e32 v35, v10, v11
	;; [unrolled: 1-line block ×5, first 2 shown]
	v_add_f32_e32 v6, v9, v6
	v_add_f32_e32 v9, v8, v5
	v_sub_f32_e32 v11, v9, v8
	v_sub_f32_e32 v35, v9, v11
	;; [unrolled: 1-line block ×4, first 2 shown]
	v_add_f32_e32 v6, v9, v6
	v_add_f32_e32 v5, v5, v8
	;; [unrolled: 1-line block ×3, first 2 shown]
	v_sub_f32_e32 v9, v8, v10
	v_sub_f32_e32 v6, v6, v9
	v_add_f32_e32 v5, v5, v6
	v_add_f32_e32 v5, v8, v5
	v_cmp_neq_f32_e32 vcc, s7, v3
	s_mov_b32 s7, 0x33800000
	v_cndmask_b32_e32 v5, v7, v5, vcc
	v_cmp_lt_f32_e64 vcc, |v3|, s7
	v_cndmask_b32_e32 v3, v5, v3, vcc
	v_add_f32_e32 v3, v4, v3
.LBB92_51:
	s_or_b64 exec, exec, s[16:17]
	v_max_f32_e32 v35, v24, v24
	v_max_f32_e32 v4, v3, v3
	v_min_f32_e32 v5, v4, v35
	v_cmp_u_f32_e32 vcc, v3, v3
	v_max_f32_e32 v4, v4, v35
	v_cndmask_b32_e32 v5, v5, v3, vcc
	v_cmp_u_f32_e64 s[16:17], v24, v24
	v_cndmask_b32_e32 v4, v4, v3, vcc
	v_cndmask_b32_e64 v5, v5, v24, s[16:17]
	v_cndmask_b32_e64 v4, v4, v24, s[16:17]
	s_movk_i32 s7, 0x1f8
	v_cmp_neq_f32_e32 vcc, v5, v4
	v_cmp_class_f32_e64 s[18:19], v5, s7
	s_or_b64 s[20:21], vcc, s[18:19]
	s_and_saveexec_b64 s[18:19], s[20:21]
	s_cbranch_execz .LBB92_53
; %bb.52:
	v_sub_f32_e32 v3, v5, v4
	s_mov_b32 s20, 0x3fb8aa3b
	v_mul_f32_e32 v5, 0x3fb8aa3b, v3
	v_fma_f32 v6, v3, s20, -v5
	v_rndne_f32_e32 v7, v5
	v_fmac_f32_e32 v6, 0x32a5705f, v3
	v_sub_f32_e32 v5, v5, v7
	v_add_f32_e32 v5, v5, v6
	v_exp_f32_e32 v5, v5
	v_cvt_i32_f32_e32 v6, v7
	s_mov_b32 s20, 0xc2ce8ed0
	v_cmp_ngt_f32_e32 vcc, s20, v3
	s_mov_b32 s20, 0x42b17218
	v_ldexp_f32 v5, v5, v6
	v_cndmask_b32_e32 v5, 0, v5, vcc
	v_mov_b32_e32 v7, 0x7f800000
	v_cmp_nlt_f32_e32 vcc, s20, v3
	v_cndmask_b32_e32 v3, v7, v5, vcc
	v_add_f32_e32 v8, 1.0, v3
	v_cvt_f64_f32_e32 v[5:6], v8
	v_add_f32_e32 v9, -1.0, v8
	v_sub_f32_e32 v10, v9, v8
	v_sub_f32_e32 v9, v3, v9
	v_frexp_exp_i32_f64_e32 v5, v[5:6]
	v_add_f32_e32 v6, 1.0, v10
	v_add_f32_e32 v6, v9, v6
	v_frexp_mant_f32_e32 v9, v8
	s_mov_b32 s21, 0x3f2aaaab
	v_cmp_gt_f32_e32 vcc, s21, v9
	s_mov_b32 s21, 0x3f317218
	s_mov_b32 s20, 0x7f800000
	v_subbrev_co_u32_e32 v5, vcc, 0, v5, vcc
	v_sub_u32_e32 v9, 0, v5
	v_ldexp_f32 v8, v8, v9
	v_ldexp_f32 v6, v6, v9
	v_add_f32_e32 v9, -1.0, v8
	v_add_f32_e32 v36, 1.0, v8
	v_add_f32_e32 v10, 1.0, v9
	v_add_f32_e32 v37, -1.0, v36
	v_sub_f32_e32 v10, v8, v10
	v_sub_f32_e32 v8, v8, v37
	v_add_f32_e32 v10, v6, v10
	v_add_f32_e32 v6, v6, v8
	;; [unrolled: 1-line block ×3, first 2 shown]
	v_rcp_f32_e32 v37, v8
	v_add_f32_e32 v11, v9, v10
	v_sub_f32_e32 v9, v9, v11
	v_add_f32_e32 v9, v10, v9
	v_sub_f32_e32 v10, v36, v8
	v_add_f32_e32 v6, v6, v10
	v_mul_f32_e32 v10, v11, v37
	v_mul_f32_e32 v36, v8, v10
	v_fma_f32 v38, v10, v8, -v36
	v_fmac_f32_e32 v38, v10, v6
	v_add_f32_e32 v39, v36, v38
	v_sub_f32_e32 v40, v11, v39
	v_sub_f32_e32 v11, v11, v40
	;; [unrolled: 1-line block ×4, first 2 shown]
	v_add_f32_e32 v9, v9, v11
	v_sub_f32_e32 v11, v36, v38
	v_add_f32_e32 v9, v11, v9
	v_add_f32_e32 v11, v40, v9
	v_mul_f32_e32 v36, v37, v11
	v_mul_f32_e32 v38, v8, v36
	v_fma_f32 v8, v36, v8, -v38
	v_fmac_f32_e32 v8, v36, v6
	v_sub_f32_e32 v6, v40, v11
	v_add_f32_e32 v6, v9, v6
	v_add_f32_e32 v9, v38, v8
	v_sub_f32_e32 v39, v11, v9
	v_sub_f32_e32 v11, v11, v39
	;; [unrolled: 1-line block ×4, first 2 shown]
	v_add_f32_e32 v6, v6, v9
	v_sub_f32_e32 v8, v38, v8
	v_add_f32_e32 v6, v8, v6
	v_add_f32_e32 v8, v10, v36
	v_add_f32_e32 v6, v39, v6
	v_sub_f32_e32 v9, v8, v10
	v_mul_f32_e32 v6, v37, v6
	v_sub_f32_e32 v9, v36, v9
	v_add_f32_e32 v6, v9, v6
	v_cvt_f32_i32_e32 v5, v5
	v_add_f32_e32 v9, v8, v6
	v_mul_f32_e32 v10, v9, v9
	v_mov_b32_e32 v11, 0x3ecc95a3
	v_fmac_f32_e32 v11, 0x3e9b6dac, v10
	v_mov_b32_e32 v36, 0x3f2aaada
	v_fmac_f32_e32 v36, v10, v11
	v_mul_f32_e32 v11, 0x3f317218, v5
	v_fma_f32 v37, v5, s21, -v11
	v_fmac_f32_e32 v37, 0xb102e308, v5
	v_sub_f32_e32 v5, v9, v8
	v_sub_f32_e32 v5, v6, v5
	v_add_f32_e32 v6, v11, v37
	v_sub_f32_e32 v8, v6, v11
	v_ldexp_f32 v11, v9, 1
	v_mul_f32_e32 v9, v9, v10
	v_mul_f32_e32 v9, v9, v36
	v_add_f32_e32 v10, v11, v9
	v_sub_f32_e32 v11, v10, v11
	v_ldexp_f32 v5, v5, 1
	v_sub_f32_e32 v9, v9, v11
	v_add_f32_e32 v5, v5, v9
	v_add_f32_e32 v9, v10, v5
	v_sub_f32_e32 v10, v9, v10
	v_sub_f32_e32 v5, v5, v10
	v_add_f32_e32 v10, v6, v9
	v_sub_f32_e32 v11, v10, v6
	v_sub_f32_e32 v36, v10, v11
	;; [unrolled: 1-line block ×5, first 2 shown]
	v_add_f32_e32 v6, v9, v6
	v_add_f32_e32 v9, v8, v5
	v_sub_f32_e32 v11, v9, v8
	v_sub_f32_e32 v36, v9, v11
	;; [unrolled: 1-line block ×4, first 2 shown]
	v_add_f32_e32 v6, v9, v6
	v_add_f32_e32 v5, v5, v8
	;; [unrolled: 1-line block ×3, first 2 shown]
	v_sub_f32_e32 v9, v8, v10
	v_sub_f32_e32 v6, v6, v9
	v_add_f32_e32 v5, v5, v6
	v_add_f32_e32 v5, v8, v5
	v_cmp_neq_f32_e32 vcc, s20, v3
	s_mov_b32 s20, 0x33800000
	v_cndmask_b32_e32 v5, v7, v5, vcc
	v_cmp_lt_f32_e64 vcc, |v3|, s20
	v_cndmask_b32_e32 v3, v5, v3, vcc
	v_add_f32_e32 v3, v4, v3
.LBB92_53:
	s_or_b64 exec, exec, s[18:19]
	v_max_f32_e32 v36, v21, v21
	v_max_f32_e32 v4, v3, v3
	v_min_f32_e32 v5, v4, v36
	v_cmp_u_f32_e32 vcc, v3, v3
	v_max_f32_e32 v4, v4, v36
	v_cndmask_b32_e32 v5, v5, v3, vcc
	v_cmp_u_f32_e64 s[18:19], v21, v21
	v_cndmask_b32_e32 v4, v4, v3, vcc
	v_cndmask_b32_e64 v5, v5, v21, s[18:19]
	v_cndmask_b32_e64 v4, v4, v21, s[18:19]
	v_cmp_neq_f32_e32 vcc, v5, v4
	v_cmp_class_f32_e64 s[20:21], v5, s7
	s_or_b64 s[22:23], vcc, s[20:21]
	s_and_saveexec_b64 s[20:21], s[22:23]
	s_cbranch_execz .LBB92_55
; %bb.54:
	v_sub_f32_e32 v3, v5, v4
	s_mov_b32 s7, 0x3fb8aa3b
	v_mul_f32_e32 v5, 0x3fb8aa3b, v3
	v_fma_f32 v6, v3, s7, -v5
	v_rndne_f32_e32 v7, v5
	v_fmac_f32_e32 v6, 0x32a5705f, v3
	v_sub_f32_e32 v5, v5, v7
	v_add_f32_e32 v5, v5, v6
	v_exp_f32_e32 v5, v5
	v_cvt_i32_f32_e32 v6, v7
	s_mov_b32 s7, 0xc2ce8ed0
	v_cmp_ngt_f32_e32 vcc, s7, v3
	s_mov_b32 s7, 0x42b17218
	v_ldexp_f32 v5, v5, v6
	v_cndmask_b32_e32 v5, 0, v5, vcc
	v_mov_b32_e32 v7, 0x7f800000
	v_cmp_nlt_f32_e32 vcc, s7, v3
	v_cndmask_b32_e32 v3, v7, v5, vcc
	v_add_f32_e32 v8, 1.0, v3
	v_cvt_f64_f32_e32 v[5:6], v8
	v_add_f32_e32 v9, -1.0, v8
	v_sub_f32_e32 v10, v9, v8
	v_sub_f32_e32 v9, v3, v9
	v_frexp_exp_i32_f64_e32 v5, v[5:6]
	v_add_f32_e32 v6, 1.0, v10
	v_add_f32_e32 v6, v9, v6
	v_frexp_mant_f32_e32 v9, v8
	s_mov_b32 s22, 0x3f2aaaab
	v_cmp_gt_f32_e32 vcc, s22, v9
	s_mov_b32 s22, 0x3f317218
	s_mov_b32 s7, 0x7f800000
	v_subbrev_co_u32_e32 v5, vcc, 0, v5, vcc
	v_sub_u32_e32 v9, 0, v5
	v_ldexp_f32 v8, v8, v9
	v_ldexp_f32 v6, v6, v9
	v_add_f32_e32 v9, -1.0, v8
	v_add_f32_e32 v37, 1.0, v8
	v_add_f32_e32 v10, 1.0, v9
	v_add_f32_e32 v38, -1.0, v37
	v_sub_f32_e32 v10, v8, v10
	v_sub_f32_e32 v8, v8, v38
	v_add_f32_e32 v10, v6, v10
	v_add_f32_e32 v6, v6, v8
	;; [unrolled: 1-line block ×3, first 2 shown]
	v_rcp_f32_e32 v38, v8
	v_add_f32_e32 v11, v9, v10
	v_sub_f32_e32 v9, v9, v11
	v_add_f32_e32 v9, v10, v9
	v_sub_f32_e32 v10, v37, v8
	v_add_f32_e32 v6, v6, v10
	v_mul_f32_e32 v10, v11, v38
	v_mul_f32_e32 v37, v8, v10
	v_fma_f32 v39, v10, v8, -v37
	v_fmac_f32_e32 v39, v10, v6
	v_add_f32_e32 v40, v37, v39
	v_sub_f32_e32 v42, v11, v40
	v_sub_f32_e32 v11, v11, v42
	;; [unrolled: 1-line block ×4, first 2 shown]
	v_add_f32_e32 v9, v9, v11
	v_sub_f32_e32 v11, v37, v39
	v_add_f32_e32 v9, v11, v9
	v_add_f32_e32 v11, v42, v9
	v_mul_f32_e32 v37, v38, v11
	v_mul_f32_e32 v39, v8, v37
	v_fma_f32 v8, v37, v8, -v39
	v_fmac_f32_e32 v8, v37, v6
	v_sub_f32_e32 v6, v42, v11
	v_add_f32_e32 v6, v9, v6
	v_add_f32_e32 v9, v39, v8
	v_sub_f32_e32 v40, v11, v9
	v_sub_f32_e32 v11, v11, v40
	;; [unrolled: 1-line block ×4, first 2 shown]
	v_add_f32_e32 v6, v6, v9
	v_sub_f32_e32 v8, v39, v8
	v_add_f32_e32 v6, v8, v6
	v_add_f32_e32 v8, v10, v37
	v_add_f32_e32 v6, v40, v6
	v_sub_f32_e32 v9, v8, v10
	v_mul_f32_e32 v6, v38, v6
	v_sub_f32_e32 v9, v37, v9
	v_add_f32_e32 v6, v9, v6
	v_cvt_f32_i32_e32 v5, v5
	v_add_f32_e32 v9, v8, v6
	v_mul_f32_e32 v10, v9, v9
	v_mov_b32_e32 v11, 0x3ecc95a3
	v_fmac_f32_e32 v11, 0x3e9b6dac, v10
	v_mov_b32_e32 v37, 0x3f2aaada
	v_fmac_f32_e32 v37, v10, v11
	v_mul_f32_e32 v11, 0x3f317218, v5
	v_fma_f32 v38, v5, s22, -v11
	v_fmac_f32_e32 v38, 0xb102e308, v5
	v_sub_f32_e32 v5, v9, v8
	v_sub_f32_e32 v5, v6, v5
	v_add_f32_e32 v6, v11, v38
	v_sub_f32_e32 v8, v6, v11
	v_ldexp_f32 v11, v9, 1
	v_mul_f32_e32 v9, v9, v10
	v_mul_f32_e32 v9, v9, v37
	v_add_f32_e32 v10, v11, v9
	v_sub_f32_e32 v11, v10, v11
	v_ldexp_f32 v5, v5, 1
	v_sub_f32_e32 v9, v9, v11
	v_add_f32_e32 v5, v5, v9
	v_add_f32_e32 v9, v10, v5
	v_sub_f32_e32 v10, v9, v10
	v_sub_f32_e32 v5, v5, v10
	v_add_f32_e32 v10, v6, v9
	v_sub_f32_e32 v11, v10, v6
	v_sub_f32_e32 v37, v10, v11
	;; [unrolled: 1-line block ×5, first 2 shown]
	v_add_f32_e32 v6, v9, v6
	v_add_f32_e32 v9, v8, v5
	v_sub_f32_e32 v11, v9, v8
	v_sub_f32_e32 v37, v9, v11
	;; [unrolled: 1-line block ×4, first 2 shown]
	v_add_f32_e32 v6, v9, v6
	v_add_f32_e32 v5, v5, v8
	;; [unrolled: 1-line block ×3, first 2 shown]
	v_sub_f32_e32 v9, v8, v10
	v_sub_f32_e32 v6, v6, v9
	v_add_f32_e32 v5, v5, v6
	v_add_f32_e32 v5, v8, v5
	v_cmp_neq_f32_e32 vcc, s7, v3
	s_mov_b32 s7, 0x33800000
	v_cndmask_b32_e32 v5, v7, v5, vcc
	v_cmp_lt_f32_e64 vcc, |v3|, s7
	v_cndmask_b32_e32 v3, v5, v3, vcc
	v_add_f32_e32 v3, v4, v3
.LBB92_55:
	s_or_b64 exec, exec, s[20:21]
	v_max_f32_e32 v37, v22, v22
	v_max_f32_e32 v4, v3, v3
	v_min_f32_e32 v5, v4, v37
	v_cmp_u_f32_e32 vcc, v3, v3
	v_max_f32_e32 v4, v4, v37
	v_cndmask_b32_e32 v5, v5, v3, vcc
	v_cmp_u_f32_e64 s[20:21], v22, v22
	v_cndmask_b32_e32 v4, v4, v3, vcc
	v_cndmask_b32_e64 v5, v5, v22, s[20:21]
	v_cndmask_b32_e64 v4, v4, v22, s[20:21]
	s_movk_i32 s7, 0x1f8
	v_cmp_neq_f32_e32 vcc, v5, v4
	v_cmp_class_f32_e64 s[22:23], v5, s7
	s_or_b64 s[24:25], vcc, s[22:23]
	s_and_saveexec_b64 s[22:23], s[24:25]
	s_cbranch_execz .LBB92_57
; %bb.56:
	v_sub_f32_e32 v3, v5, v4
	s_mov_b32 s24, 0x3fb8aa3b
	v_mul_f32_e32 v5, 0x3fb8aa3b, v3
	v_fma_f32 v6, v3, s24, -v5
	v_rndne_f32_e32 v7, v5
	v_fmac_f32_e32 v6, 0x32a5705f, v3
	v_sub_f32_e32 v5, v5, v7
	v_add_f32_e32 v5, v5, v6
	v_exp_f32_e32 v5, v5
	v_cvt_i32_f32_e32 v6, v7
	s_mov_b32 s24, 0xc2ce8ed0
	v_cmp_ngt_f32_e32 vcc, s24, v3
	s_mov_b32 s24, 0x42b17218
	v_ldexp_f32 v5, v5, v6
	v_cndmask_b32_e32 v5, 0, v5, vcc
	v_mov_b32_e32 v7, 0x7f800000
	v_cmp_nlt_f32_e32 vcc, s24, v3
	v_cndmask_b32_e32 v3, v7, v5, vcc
	v_add_f32_e32 v8, 1.0, v3
	v_cvt_f64_f32_e32 v[5:6], v8
	v_add_f32_e32 v9, -1.0, v8
	v_sub_f32_e32 v10, v9, v8
	v_sub_f32_e32 v9, v3, v9
	v_frexp_exp_i32_f64_e32 v5, v[5:6]
	v_add_f32_e32 v6, 1.0, v10
	v_add_f32_e32 v6, v9, v6
	v_frexp_mant_f32_e32 v9, v8
	s_mov_b32 s25, 0x3f2aaaab
	v_cmp_gt_f32_e32 vcc, s25, v9
	s_mov_b32 s25, 0x3f317218
	s_mov_b32 s24, 0x7f800000
	v_subbrev_co_u32_e32 v5, vcc, 0, v5, vcc
	v_sub_u32_e32 v9, 0, v5
	v_ldexp_f32 v8, v8, v9
	v_ldexp_f32 v6, v6, v9
	v_add_f32_e32 v9, -1.0, v8
	v_add_f32_e32 v38, 1.0, v8
	v_add_f32_e32 v10, 1.0, v9
	v_add_f32_e32 v39, -1.0, v38
	v_sub_f32_e32 v10, v8, v10
	v_sub_f32_e32 v8, v8, v39
	v_add_f32_e32 v10, v6, v10
	v_add_f32_e32 v6, v6, v8
	;; [unrolled: 1-line block ×3, first 2 shown]
	v_rcp_f32_e32 v39, v8
	v_add_f32_e32 v11, v9, v10
	v_sub_f32_e32 v9, v9, v11
	v_add_f32_e32 v9, v10, v9
	v_sub_f32_e32 v10, v38, v8
	v_add_f32_e32 v6, v6, v10
	v_mul_f32_e32 v10, v11, v39
	v_mul_f32_e32 v38, v8, v10
	v_fma_f32 v40, v10, v8, -v38
	v_fmac_f32_e32 v40, v10, v6
	v_add_f32_e32 v42, v38, v40
	v_sub_f32_e32 v43, v11, v42
	v_sub_f32_e32 v11, v11, v43
	;; [unrolled: 1-line block ×4, first 2 shown]
	v_add_f32_e32 v9, v9, v11
	v_sub_f32_e32 v11, v38, v40
	v_add_f32_e32 v9, v11, v9
	v_add_f32_e32 v11, v43, v9
	v_mul_f32_e32 v38, v39, v11
	v_mul_f32_e32 v40, v8, v38
	v_fma_f32 v8, v38, v8, -v40
	v_fmac_f32_e32 v8, v38, v6
	v_sub_f32_e32 v6, v43, v11
	v_add_f32_e32 v6, v9, v6
	v_add_f32_e32 v9, v40, v8
	v_sub_f32_e32 v42, v11, v9
	v_sub_f32_e32 v11, v11, v42
	v_sub_f32_e32 v40, v9, v40
	v_sub_f32_e32 v9, v11, v9
	v_add_f32_e32 v6, v6, v9
	v_sub_f32_e32 v8, v40, v8
	v_add_f32_e32 v6, v8, v6
	v_add_f32_e32 v8, v10, v38
	;; [unrolled: 1-line block ×3, first 2 shown]
	v_sub_f32_e32 v9, v8, v10
	v_mul_f32_e32 v6, v39, v6
	v_sub_f32_e32 v9, v38, v9
	v_add_f32_e32 v6, v9, v6
	v_cvt_f32_i32_e32 v5, v5
	v_add_f32_e32 v9, v8, v6
	v_mul_f32_e32 v10, v9, v9
	v_mov_b32_e32 v11, 0x3ecc95a3
	v_fmac_f32_e32 v11, 0x3e9b6dac, v10
	v_mov_b32_e32 v38, 0x3f2aaada
	v_fmac_f32_e32 v38, v10, v11
	v_mul_f32_e32 v11, 0x3f317218, v5
	v_fma_f32 v39, v5, s25, -v11
	v_fmac_f32_e32 v39, 0xb102e308, v5
	v_sub_f32_e32 v5, v9, v8
	v_sub_f32_e32 v5, v6, v5
	v_add_f32_e32 v6, v11, v39
	v_sub_f32_e32 v8, v6, v11
	v_ldexp_f32 v11, v9, 1
	v_mul_f32_e32 v9, v9, v10
	v_mul_f32_e32 v9, v9, v38
	v_add_f32_e32 v10, v11, v9
	v_sub_f32_e32 v11, v10, v11
	v_ldexp_f32 v5, v5, 1
	v_sub_f32_e32 v9, v9, v11
	v_add_f32_e32 v5, v5, v9
	v_add_f32_e32 v9, v10, v5
	v_sub_f32_e32 v10, v9, v10
	v_sub_f32_e32 v5, v5, v10
	v_add_f32_e32 v10, v6, v9
	v_sub_f32_e32 v11, v10, v6
	v_sub_f32_e32 v38, v10, v11
	;; [unrolled: 1-line block ×5, first 2 shown]
	v_add_f32_e32 v6, v9, v6
	v_add_f32_e32 v9, v8, v5
	v_sub_f32_e32 v11, v9, v8
	v_sub_f32_e32 v38, v9, v11
	;; [unrolled: 1-line block ×4, first 2 shown]
	v_add_f32_e32 v6, v9, v6
	v_add_f32_e32 v5, v5, v8
	;; [unrolled: 1-line block ×3, first 2 shown]
	v_sub_f32_e32 v9, v8, v10
	v_sub_f32_e32 v6, v6, v9
	v_add_f32_e32 v5, v5, v6
	v_add_f32_e32 v5, v8, v5
	v_cmp_neq_f32_e32 vcc, s24, v3
	s_mov_b32 s24, 0x33800000
	v_cndmask_b32_e32 v5, v7, v5, vcc
	v_cmp_lt_f32_e64 vcc, |v3|, s24
	v_cndmask_b32_e32 v3, v5, v3, vcc
	v_add_f32_e32 v3, v4, v3
.LBB92_57:
	s_or_b64 exec, exec, s[22:23]
	v_max_f32_e32 v38, v19, v19
	v_max_f32_e32 v4, v3, v3
	v_min_f32_e32 v5, v4, v38
	v_cmp_u_f32_e32 vcc, v3, v3
	v_max_f32_e32 v4, v4, v38
	v_cndmask_b32_e32 v5, v5, v3, vcc
	v_cmp_u_f32_e64 s[22:23], v19, v19
	v_cndmask_b32_e32 v4, v4, v3, vcc
	v_cndmask_b32_e64 v5, v5, v19, s[22:23]
	v_cndmask_b32_e64 v4, v4, v19, s[22:23]
	v_cmp_neq_f32_e32 vcc, v5, v4
	v_cmp_class_f32_e64 s[24:25], v5, s7
	s_or_b64 s[26:27], vcc, s[24:25]
	s_and_saveexec_b64 s[24:25], s[26:27]
	s_cbranch_execz .LBB92_59
; %bb.58:
	v_sub_f32_e32 v3, v5, v4
	s_mov_b32 s7, 0x3fb8aa3b
	v_mul_f32_e32 v5, 0x3fb8aa3b, v3
	v_fma_f32 v6, v3, s7, -v5
	v_rndne_f32_e32 v7, v5
	v_fmac_f32_e32 v6, 0x32a5705f, v3
	v_sub_f32_e32 v5, v5, v7
	v_add_f32_e32 v5, v5, v6
	v_exp_f32_e32 v5, v5
	v_cvt_i32_f32_e32 v6, v7
	s_mov_b32 s7, 0xc2ce8ed0
	v_cmp_ngt_f32_e32 vcc, s7, v3
	s_mov_b32 s7, 0x42b17218
	v_ldexp_f32 v5, v5, v6
	v_cndmask_b32_e32 v5, 0, v5, vcc
	v_mov_b32_e32 v7, 0x7f800000
	v_cmp_nlt_f32_e32 vcc, s7, v3
	v_cndmask_b32_e32 v3, v7, v5, vcc
	v_add_f32_e32 v8, 1.0, v3
	v_cvt_f64_f32_e32 v[5:6], v8
	v_add_f32_e32 v9, -1.0, v8
	v_sub_f32_e32 v10, v9, v8
	v_sub_f32_e32 v9, v3, v9
	v_frexp_exp_i32_f64_e32 v5, v[5:6]
	v_add_f32_e32 v6, 1.0, v10
	v_add_f32_e32 v6, v9, v6
	v_frexp_mant_f32_e32 v9, v8
	s_mov_b32 s26, 0x3f2aaaab
	v_cmp_gt_f32_e32 vcc, s26, v9
	s_mov_b32 s26, 0x3f317218
	s_mov_b32 s7, 0x7f800000
	v_subbrev_co_u32_e32 v5, vcc, 0, v5, vcc
	v_sub_u32_e32 v9, 0, v5
	v_ldexp_f32 v8, v8, v9
	v_ldexp_f32 v6, v6, v9
	v_add_f32_e32 v9, -1.0, v8
	v_add_f32_e32 v39, 1.0, v8
	v_add_f32_e32 v10, 1.0, v9
	v_add_f32_e32 v40, -1.0, v39
	v_sub_f32_e32 v10, v8, v10
	v_sub_f32_e32 v8, v8, v40
	v_add_f32_e32 v10, v6, v10
	v_add_f32_e32 v6, v6, v8
	;; [unrolled: 1-line block ×3, first 2 shown]
	v_rcp_f32_e32 v40, v8
	v_add_f32_e32 v11, v9, v10
	v_sub_f32_e32 v9, v9, v11
	v_add_f32_e32 v9, v10, v9
	v_sub_f32_e32 v10, v39, v8
	v_add_f32_e32 v6, v6, v10
	v_mul_f32_e32 v10, v11, v40
	v_mul_f32_e32 v39, v8, v10
	v_fma_f32 v42, v10, v8, -v39
	v_fmac_f32_e32 v42, v10, v6
	v_add_f32_e32 v43, v39, v42
	v_sub_f32_e32 v44, v11, v43
	v_sub_f32_e32 v11, v11, v44
	v_sub_f32_e32 v39, v43, v39
	v_sub_f32_e32 v11, v11, v43
	v_add_f32_e32 v9, v9, v11
	v_sub_f32_e32 v11, v39, v42
	v_add_f32_e32 v9, v11, v9
	v_add_f32_e32 v11, v44, v9
	v_mul_f32_e32 v39, v40, v11
	v_mul_f32_e32 v42, v8, v39
	v_fma_f32 v8, v39, v8, -v42
	v_fmac_f32_e32 v8, v39, v6
	v_sub_f32_e32 v6, v44, v11
	v_add_f32_e32 v6, v9, v6
	v_add_f32_e32 v9, v42, v8
	v_sub_f32_e32 v43, v11, v9
	v_sub_f32_e32 v11, v11, v43
	v_sub_f32_e32 v42, v9, v42
	v_sub_f32_e32 v9, v11, v9
	v_add_f32_e32 v6, v6, v9
	v_sub_f32_e32 v8, v42, v8
	v_add_f32_e32 v6, v8, v6
	v_add_f32_e32 v8, v10, v39
	v_add_f32_e32 v6, v43, v6
	v_sub_f32_e32 v9, v8, v10
	v_mul_f32_e32 v6, v40, v6
	v_sub_f32_e32 v9, v39, v9
	v_add_f32_e32 v6, v9, v6
	v_cvt_f32_i32_e32 v5, v5
	v_add_f32_e32 v9, v8, v6
	v_mul_f32_e32 v10, v9, v9
	v_mov_b32_e32 v11, 0x3ecc95a3
	v_fmac_f32_e32 v11, 0x3e9b6dac, v10
	v_mov_b32_e32 v39, 0x3f2aaada
	v_fmac_f32_e32 v39, v10, v11
	v_mul_f32_e32 v11, 0x3f317218, v5
	v_fma_f32 v40, v5, s26, -v11
	v_fmac_f32_e32 v40, 0xb102e308, v5
	v_sub_f32_e32 v5, v9, v8
	v_sub_f32_e32 v5, v6, v5
	v_add_f32_e32 v6, v11, v40
	v_sub_f32_e32 v8, v6, v11
	v_ldexp_f32 v11, v9, 1
	v_mul_f32_e32 v9, v9, v10
	v_mul_f32_e32 v9, v9, v39
	v_add_f32_e32 v10, v11, v9
	v_sub_f32_e32 v11, v10, v11
	v_ldexp_f32 v5, v5, 1
	v_sub_f32_e32 v9, v9, v11
	v_add_f32_e32 v5, v5, v9
	v_add_f32_e32 v9, v10, v5
	v_sub_f32_e32 v10, v9, v10
	v_sub_f32_e32 v5, v5, v10
	v_add_f32_e32 v10, v6, v9
	v_sub_f32_e32 v11, v10, v6
	v_sub_f32_e32 v39, v10, v11
	;; [unrolled: 1-line block ×5, first 2 shown]
	v_add_f32_e32 v6, v9, v6
	v_add_f32_e32 v9, v8, v5
	v_sub_f32_e32 v11, v9, v8
	v_sub_f32_e32 v39, v9, v11
	v_sub_f32_e32 v8, v8, v39
	v_sub_f32_e32 v5, v5, v11
	v_add_f32_e32 v6, v9, v6
	v_add_f32_e32 v5, v5, v8
	;; [unrolled: 1-line block ×3, first 2 shown]
	v_sub_f32_e32 v9, v8, v10
	v_sub_f32_e32 v6, v6, v9
	v_add_f32_e32 v5, v5, v6
	v_add_f32_e32 v5, v8, v5
	v_cmp_neq_f32_e32 vcc, s7, v3
	s_mov_b32 s7, 0x33800000
	v_cndmask_b32_e32 v5, v7, v5, vcc
	v_cmp_lt_f32_e64 vcc, |v3|, s7
	v_cndmask_b32_e32 v3, v5, v3, vcc
	v_add_f32_e32 v3, v4, v3
.LBB92_59:
	s_or_b64 exec, exec, s[24:25]
	v_max_f32_e32 v39, v20, v20
	v_max_f32_e32 v4, v3, v3
	v_min_f32_e32 v5, v4, v39
	v_cmp_u_f32_e32 vcc, v3, v3
	v_max_f32_e32 v4, v4, v39
	v_cndmask_b32_e32 v5, v5, v3, vcc
	v_cmp_u_f32_e64 s[24:25], v20, v20
	v_cndmask_b32_e32 v4, v4, v3, vcc
	v_cndmask_b32_e64 v5, v5, v20, s[24:25]
	v_cndmask_b32_e64 v4, v4, v20, s[24:25]
	s_movk_i32 s7, 0x1f8
	v_cmp_neq_f32_e32 vcc, v5, v4
	v_cmp_class_f32_e64 s[26:27], v5, s7
	s_or_b64 s[30:31], vcc, s[26:27]
	s_and_saveexec_b64 s[26:27], s[30:31]
	s_cbranch_execz .LBB92_61
; %bb.60:
	v_sub_f32_e32 v3, v5, v4
	s_mov_b32 s30, 0x3fb8aa3b
	v_mul_f32_e32 v5, 0x3fb8aa3b, v3
	v_fma_f32 v6, v3, s30, -v5
	v_rndne_f32_e32 v7, v5
	v_fmac_f32_e32 v6, 0x32a5705f, v3
	v_sub_f32_e32 v5, v5, v7
	v_add_f32_e32 v5, v5, v6
	v_exp_f32_e32 v5, v5
	v_cvt_i32_f32_e32 v6, v7
	s_mov_b32 s30, 0xc2ce8ed0
	v_cmp_ngt_f32_e32 vcc, s30, v3
	s_mov_b32 s30, 0x42b17218
	v_ldexp_f32 v5, v5, v6
	v_cndmask_b32_e32 v5, 0, v5, vcc
	v_mov_b32_e32 v7, 0x7f800000
	v_cmp_nlt_f32_e32 vcc, s30, v3
	v_cndmask_b32_e32 v3, v7, v5, vcc
	v_add_f32_e32 v8, 1.0, v3
	v_cvt_f64_f32_e32 v[5:6], v8
	v_add_f32_e32 v9, -1.0, v8
	v_sub_f32_e32 v10, v9, v8
	v_sub_f32_e32 v9, v3, v9
	v_frexp_exp_i32_f64_e32 v5, v[5:6]
	v_add_f32_e32 v6, 1.0, v10
	v_add_f32_e32 v6, v9, v6
	v_frexp_mant_f32_e32 v9, v8
	s_mov_b32 s31, 0x3f2aaaab
	v_cmp_gt_f32_e32 vcc, s31, v9
	s_mov_b32 s31, 0x3f317218
	s_mov_b32 s30, 0x7f800000
	v_subbrev_co_u32_e32 v5, vcc, 0, v5, vcc
	v_sub_u32_e32 v9, 0, v5
	v_ldexp_f32 v8, v8, v9
	v_ldexp_f32 v6, v6, v9
	v_add_f32_e32 v9, -1.0, v8
	v_add_f32_e32 v40, 1.0, v8
	v_add_f32_e32 v10, 1.0, v9
	v_add_f32_e32 v42, -1.0, v40
	v_sub_f32_e32 v10, v8, v10
	v_sub_f32_e32 v8, v8, v42
	v_add_f32_e32 v10, v6, v10
	v_add_f32_e32 v6, v6, v8
	;; [unrolled: 1-line block ×3, first 2 shown]
	v_rcp_f32_e32 v42, v8
	v_add_f32_e32 v11, v9, v10
	v_sub_f32_e32 v9, v9, v11
	v_add_f32_e32 v9, v10, v9
	v_sub_f32_e32 v10, v40, v8
	v_add_f32_e32 v6, v6, v10
	v_mul_f32_e32 v10, v11, v42
	v_mul_f32_e32 v40, v8, v10
	v_fma_f32 v43, v10, v8, -v40
	v_fmac_f32_e32 v43, v10, v6
	v_add_f32_e32 v44, v40, v43
	v_sub_f32_e32 v45, v11, v44
	v_sub_f32_e32 v11, v11, v45
	;; [unrolled: 1-line block ×4, first 2 shown]
	v_add_f32_e32 v9, v9, v11
	v_sub_f32_e32 v11, v40, v43
	v_add_f32_e32 v9, v11, v9
	v_add_f32_e32 v11, v45, v9
	v_mul_f32_e32 v40, v42, v11
	v_mul_f32_e32 v43, v8, v40
	v_fma_f32 v8, v40, v8, -v43
	v_fmac_f32_e32 v8, v40, v6
	v_sub_f32_e32 v6, v45, v11
	v_add_f32_e32 v6, v9, v6
	v_add_f32_e32 v9, v43, v8
	v_sub_f32_e32 v44, v11, v9
	v_sub_f32_e32 v11, v11, v44
	;; [unrolled: 1-line block ×4, first 2 shown]
	v_add_f32_e32 v6, v6, v9
	v_sub_f32_e32 v8, v43, v8
	v_add_f32_e32 v6, v8, v6
	v_add_f32_e32 v8, v10, v40
	;; [unrolled: 1-line block ×3, first 2 shown]
	v_sub_f32_e32 v9, v8, v10
	v_mul_f32_e32 v6, v42, v6
	v_sub_f32_e32 v9, v40, v9
	v_add_f32_e32 v6, v9, v6
	v_cvt_f32_i32_e32 v5, v5
	v_add_f32_e32 v9, v8, v6
	v_mul_f32_e32 v10, v9, v9
	v_mov_b32_e32 v11, 0x3ecc95a3
	v_fmac_f32_e32 v11, 0x3e9b6dac, v10
	v_mov_b32_e32 v40, 0x3f2aaada
	v_fmac_f32_e32 v40, v10, v11
	v_mul_f32_e32 v11, 0x3f317218, v5
	v_fma_f32 v42, v5, s31, -v11
	v_fmac_f32_e32 v42, 0xb102e308, v5
	v_sub_f32_e32 v5, v9, v8
	v_sub_f32_e32 v5, v6, v5
	v_add_f32_e32 v6, v11, v42
	v_sub_f32_e32 v8, v6, v11
	v_ldexp_f32 v11, v9, 1
	v_mul_f32_e32 v9, v9, v10
	v_mul_f32_e32 v9, v9, v40
	v_add_f32_e32 v10, v11, v9
	v_sub_f32_e32 v11, v10, v11
	v_ldexp_f32 v5, v5, 1
	v_sub_f32_e32 v9, v9, v11
	v_add_f32_e32 v5, v5, v9
	v_add_f32_e32 v9, v10, v5
	v_sub_f32_e32 v10, v9, v10
	v_sub_f32_e32 v5, v5, v10
	v_add_f32_e32 v10, v6, v9
	v_sub_f32_e32 v11, v10, v6
	v_sub_f32_e32 v40, v10, v11
	;; [unrolled: 1-line block ×5, first 2 shown]
	v_add_f32_e32 v6, v9, v6
	v_add_f32_e32 v9, v8, v5
	v_sub_f32_e32 v11, v9, v8
	v_sub_f32_e32 v40, v9, v11
	;; [unrolled: 1-line block ×4, first 2 shown]
	v_add_f32_e32 v6, v9, v6
	v_add_f32_e32 v5, v5, v8
	;; [unrolled: 1-line block ×3, first 2 shown]
	v_sub_f32_e32 v9, v8, v10
	v_sub_f32_e32 v6, v6, v9
	v_add_f32_e32 v5, v5, v6
	v_add_f32_e32 v5, v8, v5
	v_cmp_neq_f32_e32 vcc, s30, v3
	s_mov_b32 s30, 0x33800000
	v_cndmask_b32_e32 v5, v7, v5, vcc
	v_cmp_lt_f32_e64 vcc, |v3|, s30
	v_cndmask_b32_e32 v3, v5, v3, vcc
	v_add_f32_e32 v3, v4, v3
.LBB92_61:
	s_or_b64 exec, exec, s[26:27]
	v_max_f32_e32 v40, v33, v33
	v_max_f32_e32 v4, v3, v3
	v_min_f32_e32 v5, v4, v40
	v_cmp_u_f32_e32 vcc, v3, v3
	v_max_f32_e32 v4, v4, v40
	v_cndmask_b32_e32 v5, v5, v3, vcc
	v_cmp_u_f32_e64 s[26:27], v33, v33
	v_cndmask_b32_e32 v4, v4, v3, vcc
	v_cndmask_b32_e64 v5, v5, v33, s[26:27]
	v_cndmask_b32_e64 v4, v4, v33, s[26:27]
	v_cmp_neq_f32_e32 vcc, v5, v4
	v_cmp_class_f32_e64 s[30:31], v5, s7
	s_or_b64 s[36:37], vcc, s[30:31]
	s_and_saveexec_b64 s[30:31], s[36:37]
	s_cbranch_execz .LBB92_63
; %bb.62:
	v_sub_f32_e32 v3, v5, v4
	s_mov_b32 s7, 0x3fb8aa3b
	v_mul_f32_e32 v5, 0x3fb8aa3b, v3
	v_fma_f32 v6, v3, s7, -v5
	v_rndne_f32_e32 v7, v5
	v_fmac_f32_e32 v6, 0x32a5705f, v3
	v_sub_f32_e32 v5, v5, v7
	v_add_f32_e32 v5, v5, v6
	v_exp_f32_e32 v5, v5
	v_cvt_i32_f32_e32 v6, v7
	s_mov_b32 s7, 0xc2ce8ed0
	v_cmp_ngt_f32_e32 vcc, s7, v3
	s_mov_b32 s7, 0x42b17218
	v_ldexp_f32 v5, v5, v6
	v_cndmask_b32_e32 v5, 0, v5, vcc
	v_mov_b32_e32 v7, 0x7f800000
	v_cmp_nlt_f32_e32 vcc, s7, v3
	v_cndmask_b32_e32 v3, v7, v5, vcc
	v_add_f32_e32 v8, 1.0, v3
	v_cvt_f64_f32_e32 v[5:6], v8
	v_add_f32_e32 v9, -1.0, v8
	v_sub_f32_e32 v10, v9, v8
	v_sub_f32_e32 v9, v3, v9
	v_frexp_exp_i32_f64_e32 v5, v[5:6]
	v_add_f32_e32 v6, 1.0, v10
	v_add_f32_e32 v6, v9, v6
	v_frexp_mant_f32_e32 v9, v8
	s_mov_b32 s36, 0x3f2aaaab
	v_cmp_gt_f32_e32 vcc, s36, v9
	s_mov_b32 s36, 0x3f317218
	s_mov_b32 s7, 0x7f800000
	v_subbrev_co_u32_e32 v5, vcc, 0, v5, vcc
	v_sub_u32_e32 v9, 0, v5
	v_ldexp_f32 v8, v8, v9
	v_ldexp_f32 v6, v6, v9
	v_add_f32_e32 v9, -1.0, v8
	v_add_f32_e32 v42, 1.0, v8
	v_add_f32_e32 v10, 1.0, v9
	v_add_f32_e32 v43, -1.0, v42
	v_sub_f32_e32 v10, v8, v10
	v_sub_f32_e32 v8, v8, v43
	v_add_f32_e32 v10, v6, v10
	v_add_f32_e32 v6, v6, v8
	;; [unrolled: 1-line block ×3, first 2 shown]
	v_rcp_f32_e32 v43, v8
	v_add_f32_e32 v11, v9, v10
	v_sub_f32_e32 v9, v9, v11
	v_add_f32_e32 v9, v10, v9
	v_sub_f32_e32 v10, v42, v8
	v_add_f32_e32 v6, v6, v10
	v_mul_f32_e32 v10, v11, v43
	v_mul_f32_e32 v42, v8, v10
	v_fma_f32 v44, v10, v8, -v42
	v_fmac_f32_e32 v44, v10, v6
	v_add_f32_e32 v45, v42, v44
	v_sub_f32_e32 v46, v11, v45
	v_sub_f32_e32 v11, v11, v46
	;; [unrolled: 1-line block ×4, first 2 shown]
	v_add_f32_e32 v9, v9, v11
	v_sub_f32_e32 v11, v42, v44
	v_add_f32_e32 v9, v11, v9
	v_add_f32_e32 v11, v46, v9
	v_mul_f32_e32 v42, v43, v11
	v_mul_f32_e32 v44, v8, v42
	v_fma_f32 v8, v42, v8, -v44
	v_fmac_f32_e32 v8, v42, v6
	v_sub_f32_e32 v6, v46, v11
	v_add_f32_e32 v6, v9, v6
	v_add_f32_e32 v9, v44, v8
	v_sub_f32_e32 v45, v11, v9
	v_sub_f32_e32 v11, v11, v45
	;; [unrolled: 1-line block ×4, first 2 shown]
	v_add_f32_e32 v6, v6, v9
	v_sub_f32_e32 v8, v44, v8
	v_add_f32_e32 v6, v8, v6
	v_add_f32_e32 v8, v10, v42
	;; [unrolled: 1-line block ×3, first 2 shown]
	v_sub_f32_e32 v9, v8, v10
	v_mul_f32_e32 v6, v43, v6
	v_sub_f32_e32 v9, v42, v9
	v_add_f32_e32 v6, v9, v6
	v_cvt_f32_i32_e32 v5, v5
	v_add_f32_e32 v9, v8, v6
	v_mul_f32_e32 v10, v9, v9
	v_mov_b32_e32 v11, 0x3ecc95a3
	v_fmac_f32_e32 v11, 0x3e9b6dac, v10
	v_mov_b32_e32 v42, 0x3f2aaada
	v_fmac_f32_e32 v42, v10, v11
	v_mul_f32_e32 v11, 0x3f317218, v5
	v_fma_f32 v43, v5, s36, -v11
	v_fmac_f32_e32 v43, 0xb102e308, v5
	v_sub_f32_e32 v5, v9, v8
	v_sub_f32_e32 v5, v6, v5
	v_add_f32_e32 v6, v11, v43
	v_sub_f32_e32 v8, v6, v11
	v_ldexp_f32 v11, v9, 1
	v_mul_f32_e32 v9, v9, v10
	v_mul_f32_e32 v9, v9, v42
	v_add_f32_e32 v10, v11, v9
	v_sub_f32_e32 v11, v10, v11
	v_ldexp_f32 v5, v5, 1
	v_sub_f32_e32 v9, v9, v11
	v_add_f32_e32 v5, v5, v9
	v_add_f32_e32 v9, v10, v5
	v_sub_f32_e32 v10, v9, v10
	v_sub_f32_e32 v5, v5, v10
	v_add_f32_e32 v10, v6, v9
	v_sub_f32_e32 v11, v10, v6
	v_sub_f32_e32 v42, v10, v11
	;; [unrolled: 1-line block ×5, first 2 shown]
	v_add_f32_e32 v6, v9, v6
	v_add_f32_e32 v9, v8, v5
	v_sub_f32_e32 v11, v9, v8
	v_sub_f32_e32 v42, v9, v11
	;; [unrolled: 1-line block ×4, first 2 shown]
	v_add_f32_e32 v6, v9, v6
	v_add_f32_e32 v5, v5, v8
	;; [unrolled: 1-line block ×3, first 2 shown]
	v_sub_f32_e32 v9, v8, v10
	v_sub_f32_e32 v6, v6, v9
	v_add_f32_e32 v5, v5, v6
	v_add_f32_e32 v5, v8, v5
	v_cmp_neq_f32_e32 vcc, s7, v3
	s_mov_b32 s7, 0x33800000
	v_cndmask_b32_e32 v5, v7, v5, vcc
	v_cmp_lt_f32_e64 vcc, |v3|, s7
	v_cndmask_b32_e32 v3, v5, v3, vcc
	v_add_f32_e32 v3, v4, v3
.LBB92_63:
	s_or_b64 exec, exec, s[30:31]
	v_mbcnt_lo_u32_b32 v4, -1, 0
	v_mbcnt_hi_u32_b32 v5, -1, v4
	v_and_b32_e32 v4, 15, v5
	v_mov_b32_dpp v6, v3 row_shr:1 row_mask:0xf bank_mask:0xf
	v_cmp_ne_u32_e32 vcc, 0, v4
	s_and_saveexec_b64 s[36:37], vcc
	s_cbranch_execz .LBB92_67
; %bb.64:
	v_max_f32_e32 v8, v3, v3
	v_max_f32_e32 v9, v6, v6
	v_min_f32_e32 v7, v9, v8
	v_cmp_u_f32_e32 vcc, v6, v6
	v_max_f32_e32 v8, v9, v8
	v_cndmask_b32_e32 v7, v7, v6, vcc
	v_cmp_u_f32_e64 s[30:31], v3, v3
	v_cndmask_b32_e32 v8, v8, v6, vcc
	v_cndmask_b32_e64 v7, v7, v3, s[30:31]
	v_cndmask_b32_e64 v3, v8, v3, s[30:31]
	s_movk_i32 s7, 0x1f8
	v_cmp_neq_f32_e32 vcc, v7, v3
	v_cmp_class_f32_e64 s[30:31], v7, s7
	s_or_b64 s[56:57], vcc, s[30:31]
	s_and_saveexec_b64 s[30:31], s[56:57]
	s_cbranch_execz .LBB92_66
; %bb.65:
	v_sub_f32_e32 v6, v7, v3
	s_mov_b32 s7, 0x3fb8aa3b
	v_mul_f32_e32 v7, 0x3fb8aa3b, v6
	v_fma_f32 v8, v6, s7, -v7
	v_rndne_f32_e32 v9, v7
	v_fmac_f32_e32 v8, 0x32a5705f, v6
	v_sub_f32_e32 v7, v7, v9
	v_add_f32_e32 v7, v7, v8
	v_exp_f32_e32 v7, v7
	v_cvt_i32_f32_e32 v8, v9
	s_mov_b32 s7, 0xc2ce8ed0
	v_cmp_ngt_f32_e32 vcc, s7, v6
	s_mov_b32 s7, 0x42b17218
	v_ldexp_f32 v7, v7, v8
	v_cndmask_b32_e32 v7, 0, v7, vcc
	v_mov_b32_e32 v8, 0x7f800000
	v_cmp_nlt_f32_e32 vcc, s7, v6
	v_cndmask_b32_e32 v9, v8, v7, vcc
	v_add_f32_e32 v10, 1.0, v9
	v_cvt_f64_f32_e32 v[6:7], v10
	v_add_f32_e32 v11, -1.0, v10
	v_sub_f32_e32 v42, v11, v10
	v_sub_f32_e32 v11, v9, v11
	v_frexp_exp_i32_f64_e32 v6, v[6:7]
	v_add_f32_e32 v7, 1.0, v42
	v_add_f32_e32 v7, v11, v7
	v_frexp_mant_f32_e32 v11, v10
	s_mov_b32 s56, 0x3f2aaaab
	v_cmp_gt_f32_e32 vcc, s56, v11
	s_mov_b32 s56, 0x3f317218
	s_mov_b32 s7, 0x7f800000
	v_subbrev_co_u32_e32 v6, vcc, 0, v6, vcc
	v_sub_u32_e32 v11, 0, v6
	v_ldexp_f32 v10, v10, v11
	v_ldexp_f32 v7, v7, v11
	v_add_f32_e32 v11, -1.0, v10
	v_add_f32_e32 v44, 1.0, v10
	v_add_f32_e32 v42, 1.0, v11
	v_add_f32_e32 v45, -1.0, v44
	v_sub_f32_e32 v42, v10, v42
	v_sub_f32_e32 v10, v10, v45
	v_add_f32_e32 v42, v7, v42
	v_add_f32_e32 v7, v7, v10
	;; [unrolled: 1-line block ×3, first 2 shown]
	v_rcp_f32_e32 v45, v10
	v_add_f32_e32 v43, v11, v42
	v_sub_f32_e32 v11, v11, v43
	v_add_f32_e32 v11, v42, v11
	v_sub_f32_e32 v42, v44, v10
	v_add_f32_e32 v7, v7, v42
	v_mul_f32_e32 v42, v43, v45
	v_mul_f32_e32 v44, v10, v42
	v_fma_f32 v46, v42, v10, -v44
	v_fmac_f32_e32 v46, v42, v7
	v_add_f32_e32 v47, v44, v46
	v_sub_f32_e32 v48, v43, v47
	v_sub_f32_e32 v43, v43, v48
	;; [unrolled: 1-line block ×4, first 2 shown]
	v_add_f32_e32 v11, v11, v43
	v_sub_f32_e32 v43, v44, v46
	v_add_f32_e32 v11, v43, v11
	v_add_f32_e32 v43, v48, v11
	v_mul_f32_e32 v44, v45, v43
	v_mul_f32_e32 v46, v10, v44
	v_fma_f32 v10, v44, v10, -v46
	v_fmac_f32_e32 v10, v44, v7
	v_sub_f32_e32 v7, v48, v43
	v_add_f32_e32 v7, v11, v7
	v_add_f32_e32 v11, v46, v10
	v_sub_f32_e32 v47, v43, v11
	v_sub_f32_e32 v43, v43, v47
	;; [unrolled: 1-line block ×4, first 2 shown]
	v_add_f32_e32 v7, v7, v11
	v_sub_f32_e32 v10, v46, v10
	v_add_f32_e32 v7, v10, v7
	v_add_f32_e32 v10, v42, v44
	;; [unrolled: 1-line block ×3, first 2 shown]
	v_sub_f32_e32 v11, v10, v42
	v_mul_f32_e32 v7, v45, v7
	v_sub_f32_e32 v11, v44, v11
	v_add_f32_e32 v7, v11, v7
	v_cvt_f32_i32_e32 v6, v6
	v_add_f32_e32 v11, v10, v7
	v_mul_f32_e32 v42, v11, v11
	v_mov_b32_e32 v43, 0x3ecc95a3
	v_fmac_f32_e32 v43, 0x3e9b6dac, v42
	v_mov_b32_e32 v44, 0x3f2aaada
	v_fmac_f32_e32 v44, v42, v43
	v_mul_f32_e32 v43, 0x3f317218, v6
	v_fma_f32 v45, v6, s56, -v43
	v_fmac_f32_e32 v45, 0xb102e308, v6
	v_sub_f32_e32 v6, v11, v10
	v_sub_f32_e32 v6, v7, v6
	v_add_f32_e32 v7, v43, v45
	v_sub_f32_e32 v10, v7, v43
	v_ldexp_f32 v43, v11, 1
	v_mul_f32_e32 v11, v11, v42
	v_mul_f32_e32 v11, v11, v44
	v_add_f32_e32 v42, v43, v11
	v_sub_f32_e32 v43, v42, v43
	v_ldexp_f32 v6, v6, 1
	v_sub_f32_e32 v11, v11, v43
	v_add_f32_e32 v6, v6, v11
	v_add_f32_e32 v11, v42, v6
	v_sub_f32_e32 v42, v11, v42
	v_sub_f32_e32 v6, v6, v42
	v_add_f32_e32 v42, v7, v11
	v_sub_f32_e32 v43, v42, v7
	v_sub_f32_e32 v44, v42, v43
	v_sub_f32_e32 v10, v45, v10
	v_sub_f32_e32 v7, v7, v44
	v_sub_f32_e32 v11, v11, v43
	v_add_f32_e32 v7, v11, v7
	v_add_f32_e32 v11, v10, v6
	v_sub_f32_e32 v43, v11, v10
	v_sub_f32_e32 v44, v11, v43
	;; [unrolled: 1-line block ×4, first 2 shown]
	v_add_f32_e32 v7, v11, v7
	v_add_f32_e32 v6, v6, v10
	;; [unrolled: 1-line block ×3, first 2 shown]
	v_sub_f32_e32 v11, v10, v42
	v_sub_f32_e32 v7, v7, v11
	v_add_f32_e32 v6, v6, v7
	v_add_f32_e32 v6, v10, v6
	v_cmp_neq_f32_e32 vcc, s7, v9
	s_mov_b32 s7, 0x33800000
	v_cndmask_b32_e32 v6, v8, v6, vcc
	v_cmp_lt_f32_e64 vcc, |v9|, s7
	v_cndmask_b32_e32 v6, v6, v9, vcc
	v_add_f32_e32 v6, v3, v6
.LBB92_66:
	s_or_b64 exec, exec, s[30:31]
	v_mov_b32_e32 v3, v6
.LBB92_67:
	s_or_b64 exec, exec, s[36:37]
	s_nop 0
	v_mov_b32_dpp v6, v3 row_shr:2 row_mask:0xf bank_mask:0xf
	v_cmp_lt_u32_e32 vcc, 1, v4
	s_and_saveexec_b64 s[36:37], vcc
	s_cbranch_execz .LBB92_71
; %bb.68:
	v_max_f32_e32 v8, v3, v3
	v_max_f32_e32 v9, v6, v6
	v_min_f32_e32 v7, v9, v8
	v_cmp_u_f32_e32 vcc, v6, v6
	v_max_f32_e32 v8, v9, v8
	v_cndmask_b32_e32 v7, v7, v6, vcc
	v_cmp_u_f32_e64 s[30:31], v3, v3
	v_cndmask_b32_e32 v8, v8, v6, vcc
	v_cndmask_b32_e64 v7, v7, v3, s[30:31]
	v_cndmask_b32_e64 v3, v8, v3, s[30:31]
	s_movk_i32 s7, 0x1f8
	v_cmp_neq_f32_e32 vcc, v7, v3
	v_cmp_class_f32_e64 s[30:31], v7, s7
	s_or_b64 s[56:57], vcc, s[30:31]
	s_and_saveexec_b64 s[30:31], s[56:57]
	s_cbranch_execz .LBB92_70
; %bb.69:
	v_sub_f32_e32 v6, v7, v3
	s_mov_b32 s7, 0x3fb8aa3b
	v_mul_f32_e32 v7, 0x3fb8aa3b, v6
	v_fma_f32 v8, v6, s7, -v7
	v_rndne_f32_e32 v9, v7
	v_fmac_f32_e32 v8, 0x32a5705f, v6
	v_sub_f32_e32 v7, v7, v9
	v_add_f32_e32 v7, v7, v8
	v_exp_f32_e32 v7, v7
	v_cvt_i32_f32_e32 v8, v9
	s_mov_b32 s7, 0xc2ce8ed0
	v_cmp_ngt_f32_e32 vcc, s7, v6
	s_mov_b32 s7, 0x42b17218
	v_ldexp_f32 v7, v7, v8
	v_cndmask_b32_e32 v7, 0, v7, vcc
	v_mov_b32_e32 v8, 0x7f800000
	v_cmp_nlt_f32_e32 vcc, s7, v6
	v_cndmask_b32_e32 v9, v8, v7, vcc
	v_add_f32_e32 v10, 1.0, v9
	v_cvt_f64_f32_e32 v[6:7], v10
	v_add_f32_e32 v11, -1.0, v10
	v_sub_f32_e32 v42, v11, v10
	v_sub_f32_e32 v11, v9, v11
	v_frexp_exp_i32_f64_e32 v6, v[6:7]
	v_add_f32_e32 v7, 1.0, v42
	v_add_f32_e32 v7, v11, v7
	v_frexp_mant_f32_e32 v11, v10
	s_mov_b32 s56, 0x3f2aaaab
	v_cmp_gt_f32_e32 vcc, s56, v11
	s_mov_b32 s56, 0x3f317218
	s_mov_b32 s7, 0x7f800000
	v_subbrev_co_u32_e32 v6, vcc, 0, v6, vcc
	v_sub_u32_e32 v11, 0, v6
	v_ldexp_f32 v10, v10, v11
	v_ldexp_f32 v7, v7, v11
	v_add_f32_e32 v11, -1.0, v10
	v_add_f32_e32 v44, 1.0, v10
	v_add_f32_e32 v42, 1.0, v11
	v_add_f32_e32 v45, -1.0, v44
	v_sub_f32_e32 v42, v10, v42
	v_sub_f32_e32 v10, v10, v45
	v_add_f32_e32 v42, v7, v42
	v_add_f32_e32 v7, v7, v10
	;; [unrolled: 1-line block ×3, first 2 shown]
	v_rcp_f32_e32 v45, v10
	v_add_f32_e32 v43, v11, v42
	v_sub_f32_e32 v11, v11, v43
	v_add_f32_e32 v11, v42, v11
	v_sub_f32_e32 v42, v44, v10
	v_add_f32_e32 v7, v7, v42
	v_mul_f32_e32 v42, v43, v45
	v_mul_f32_e32 v44, v10, v42
	v_fma_f32 v46, v42, v10, -v44
	v_fmac_f32_e32 v46, v42, v7
	v_add_f32_e32 v47, v44, v46
	v_sub_f32_e32 v48, v43, v47
	v_sub_f32_e32 v43, v43, v48
	;; [unrolled: 1-line block ×4, first 2 shown]
	v_add_f32_e32 v11, v11, v43
	v_sub_f32_e32 v43, v44, v46
	v_add_f32_e32 v11, v43, v11
	v_add_f32_e32 v43, v48, v11
	v_mul_f32_e32 v44, v45, v43
	v_mul_f32_e32 v46, v10, v44
	v_fma_f32 v10, v44, v10, -v46
	v_fmac_f32_e32 v10, v44, v7
	v_sub_f32_e32 v7, v48, v43
	v_add_f32_e32 v7, v11, v7
	v_add_f32_e32 v11, v46, v10
	v_sub_f32_e32 v47, v43, v11
	v_sub_f32_e32 v43, v43, v47
	;; [unrolled: 1-line block ×4, first 2 shown]
	v_add_f32_e32 v7, v7, v11
	v_sub_f32_e32 v10, v46, v10
	v_add_f32_e32 v7, v10, v7
	v_add_f32_e32 v10, v42, v44
	;; [unrolled: 1-line block ×3, first 2 shown]
	v_sub_f32_e32 v11, v10, v42
	v_mul_f32_e32 v7, v45, v7
	v_sub_f32_e32 v11, v44, v11
	v_add_f32_e32 v7, v11, v7
	v_cvt_f32_i32_e32 v6, v6
	v_add_f32_e32 v11, v10, v7
	v_mul_f32_e32 v42, v11, v11
	v_mov_b32_e32 v43, 0x3ecc95a3
	v_fmac_f32_e32 v43, 0x3e9b6dac, v42
	v_mov_b32_e32 v44, 0x3f2aaada
	v_fmac_f32_e32 v44, v42, v43
	v_mul_f32_e32 v43, 0x3f317218, v6
	v_fma_f32 v45, v6, s56, -v43
	v_fmac_f32_e32 v45, 0xb102e308, v6
	v_sub_f32_e32 v6, v11, v10
	v_sub_f32_e32 v6, v7, v6
	v_add_f32_e32 v7, v43, v45
	v_sub_f32_e32 v10, v7, v43
	v_ldexp_f32 v43, v11, 1
	v_mul_f32_e32 v11, v11, v42
	v_mul_f32_e32 v11, v11, v44
	v_add_f32_e32 v42, v43, v11
	v_sub_f32_e32 v43, v42, v43
	v_ldexp_f32 v6, v6, 1
	v_sub_f32_e32 v11, v11, v43
	v_add_f32_e32 v6, v6, v11
	v_add_f32_e32 v11, v42, v6
	v_sub_f32_e32 v42, v11, v42
	v_sub_f32_e32 v6, v6, v42
	v_add_f32_e32 v42, v7, v11
	v_sub_f32_e32 v43, v42, v7
	v_sub_f32_e32 v44, v42, v43
	;; [unrolled: 1-line block ×5, first 2 shown]
	v_add_f32_e32 v7, v11, v7
	v_add_f32_e32 v11, v10, v6
	v_sub_f32_e32 v43, v11, v10
	v_sub_f32_e32 v44, v11, v43
	;; [unrolled: 1-line block ×4, first 2 shown]
	v_add_f32_e32 v7, v11, v7
	v_add_f32_e32 v6, v6, v10
	;; [unrolled: 1-line block ×3, first 2 shown]
	v_sub_f32_e32 v11, v10, v42
	v_sub_f32_e32 v7, v7, v11
	v_add_f32_e32 v6, v6, v7
	v_add_f32_e32 v6, v10, v6
	v_cmp_neq_f32_e32 vcc, s7, v9
	s_mov_b32 s7, 0x33800000
	v_cndmask_b32_e32 v6, v8, v6, vcc
	v_cmp_lt_f32_e64 vcc, |v9|, s7
	v_cndmask_b32_e32 v6, v6, v9, vcc
	v_add_f32_e32 v6, v3, v6
.LBB92_70:
	s_or_b64 exec, exec, s[30:31]
	v_mov_b32_e32 v3, v6
.LBB92_71:
	s_or_b64 exec, exec, s[36:37]
	s_nop 0
	v_mov_b32_dpp v6, v3 row_shr:4 row_mask:0xf bank_mask:0xf
	v_cmp_lt_u32_e32 vcc, 3, v4
	s_and_saveexec_b64 s[36:37], vcc
	s_cbranch_execz .LBB92_75
; %bb.72:
	v_max_f32_e32 v8, v3, v3
	v_max_f32_e32 v9, v6, v6
	v_min_f32_e32 v7, v9, v8
	v_cmp_u_f32_e32 vcc, v6, v6
	v_max_f32_e32 v8, v9, v8
	v_cndmask_b32_e32 v7, v7, v6, vcc
	v_cmp_u_f32_e64 s[30:31], v3, v3
	v_cndmask_b32_e32 v8, v8, v6, vcc
	v_cndmask_b32_e64 v7, v7, v3, s[30:31]
	v_cndmask_b32_e64 v3, v8, v3, s[30:31]
	s_movk_i32 s7, 0x1f8
	v_cmp_neq_f32_e32 vcc, v7, v3
	v_cmp_class_f32_e64 s[30:31], v7, s7
	s_or_b64 s[56:57], vcc, s[30:31]
	s_and_saveexec_b64 s[30:31], s[56:57]
	s_cbranch_execz .LBB92_74
; %bb.73:
	v_sub_f32_e32 v6, v7, v3
	s_mov_b32 s7, 0x3fb8aa3b
	v_mul_f32_e32 v7, 0x3fb8aa3b, v6
	v_fma_f32 v8, v6, s7, -v7
	v_rndne_f32_e32 v9, v7
	v_fmac_f32_e32 v8, 0x32a5705f, v6
	v_sub_f32_e32 v7, v7, v9
	v_add_f32_e32 v7, v7, v8
	v_exp_f32_e32 v7, v7
	v_cvt_i32_f32_e32 v8, v9
	s_mov_b32 s7, 0xc2ce8ed0
	v_cmp_ngt_f32_e32 vcc, s7, v6
	s_mov_b32 s7, 0x42b17218
	v_ldexp_f32 v7, v7, v8
	v_cndmask_b32_e32 v7, 0, v7, vcc
	v_mov_b32_e32 v8, 0x7f800000
	v_cmp_nlt_f32_e32 vcc, s7, v6
	v_cndmask_b32_e32 v9, v8, v7, vcc
	v_add_f32_e32 v10, 1.0, v9
	v_cvt_f64_f32_e32 v[6:7], v10
	v_add_f32_e32 v11, -1.0, v10
	v_sub_f32_e32 v42, v11, v10
	v_sub_f32_e32 v11, v9, v11
	v_frexp_exp_i32_f64_e32 v6, v[6:7]
	v_add_f32_e32 v7, 1.0, v42
	v_add_f32_e32 v7, v11, v7
	v_frexp_mant_f32_e32 v11, v10
	s_mov_b32 s56, 0x3f2aaaab
	v_cmp_gt_f32_e32 vcc, s56, v11
	s_mov_b32 s56, 0x3f317218
	s_mov_b32 s7, 0x7f800000
	v_subbrev_co_u32_e32 v6, vcc, 0, v6, vcc
	v_sub_u32_e32 v11, 0, v6
	v_ldexp_f32 v10, v10, v11
	v_ldexp_f32 v7, v7, v11
	v_add_f32_e32 v11, -1.0, v10
	v_add_f32_e32 v44, 1.0, v10
	v_add_f32_e32 v42, 1.0, v11
	v_add_f32_e32 v45, -1.0, v44
	v_sub_f32_e32 v42, v10, v42
	v_sub_f32_e32 v10, v10, v45
	v_add_f32_e32 v42, v7, v42
	v_add_f32_e32 v7, v7, v10
	;; [unrolled: 1-line block ×3, first 2 shown]
	v_rcp_f32_e32 v45, v10
	v_add_f32_e32 v43, v11, v42
	v_sub_f32_e32 v11, v11, v43
	v_add_f32_e32 v11, v42, v11
	v_sub_f32_e32 v42, v44, v10
	v_add_f32_e32 v7, v7, v42
	v_mul_f32_e32 v42, v43, v45
	v_mul_f32_e32 v44, v10, v42
	v_fma_f32 v46, v42, v10, -v44
	v_fmac_f32_e32 v46, v42, v7
	v_add_f32_e32 v47, v44, v46
	v_sub_f32_e32 v48, v43, v47
	v_sub_f32_e32 v43, v43, v48
	;; [unrolled: 1-line block ×4, first 2 shown]
	v_add_f32_e32 v11, v11, v43
	v_sub_f32_e32 v43, v44, v46
	v_add_f32_e32 v11, v43, v11
	v_add_f32_e32 v43, v48, v11
	v_mul_f32_e32 v44, v45, v43
	v_mul_f32_e32 v46, v10, v44
	v_fma_f32 v10, v44, v10, -v46
	v_fmac_f32_e32 v10, v44, v7
	v_sub_f32_e32 v7, v48, v43
	v_add_f32_e32 v7, v11, v7
	v_add_f32_e32 v11, v46, v10
	v_sub_f32_e32 v47, v43, v11
	v_sub_f32_e32 v43, v43, v47
	;; [unrolled: 1-line block ×4, first 2 shown]
	v_add_f32_e32 v7, v7, v11
	v_sub_f32_e32 v10, v46, v10
	v_add_f32_e32 v7, v10, v7
	v_add_f32_e32 v10, v42, v44
	;; [unrolled: 1-line block ×3, first 2 shown]
	v_sub_f32_e32 v11, v10, v42
	v_mul_f32_e32 v7, v45, v7
	v_sub_f32_e32 v11, v44, v11
	v_add_f32_e32 v7, v11, v7
	v_cvt_f32_i32_e32 v6, v6
	v_add_f32_e32 v11, v10, v7
	v_mul_f32_e32 v42, v11, v11
	v_mov_b32_e32 v43, 0x3ecc95a3
	v_fmac_f32_e32 v43, 0x3e9b6dac, v42
	v_mov_b32_e32 v44, 0x3f2aaada
	v_fmac_f32_e32 v44, v42, v43
	v_mul_f32_e32 v43, 0x3f317218, v6
	v_fma_f32 v45, v6, s56, -v43
	v_fmac_f32_e32 v45, 0xb102e308, v6
	v_sub_f32_e32 v6, v11, v10
	v_sub_f32_e32 v6, v7, v6
	v_add_f32_e32 v7, v43, v45
	v_sub_f32_e32 v10, v7, v43
	v_ldexp_f32 v43, v11, 1
	v_mul_f32_e32 v11, v11, v42
	v_mul_f32_e32 v11, v11, v44
	v_add_f32_e32 v42, v43, v11
	v_sub_f32_e32 v43, v42, v43
	v_ldexp_f32 v6, v6, 1
	v_sub_f32_e32 v11, v11, v43
	v_add_f32_e32 v6, v6, v11
	v_add_f32_e32 v11, v42, v6
	v_sub_f32_e32 v42, v11, v42
	v_sub_f32_e32 v6, v6, v42
	v_add_f32_e32 v42, v7, v11
	v_sub_f32_e32 v43, v42, v7
	v_sub_f32_e32 v44, v42, v43
	v_sub_f32_e32 v10, v45, v10
	v_sub_f32_e32 v7, v7, v44
	v_sub_f32_e32 v11, v11, v43
	v_add_f32_e32 v7, v11, v7
	v_add_f32_e32 v11, v10, v6
	v_sub_f32_e32 v43, v11, v10
	v_sub_f32_e32 v44, v11, v43
	;; [unrolled: 1-line block ×4, first 2 shown]
	v_add_f32_e32 v7, v11, v7
	v_add_f32_e32 v6, v6, v10
	;; [unrolled: 1-line block ×3, first 2 shown]
	v_sub_f32_e32 v11, v10, v42
	v_sub_f32_e32 v7, v7, v11
	v_add_f32_e32 v6, v6, v7
	v_add_f32_e32 v6, v10, v6
	v_cmp_neq_f32_e32 vcc, s7, v9
	s_mov_b32 s7, 0x33800000
	v_cndmask_b32_e32 v6, v8, v6, vcc
	v_cmp_lt_f32_e64 vcc, |v9|, s7
	v_cndmask_b32_e32 v6, v6, v9, vcc
	v_add_f32_e32 v6, v3, v6
.LBB92_74:
	s_or_b64 exec, exec, s[30:31]
	v_mov_b32_e32 v3, v6
.LBB92_75:
	s_or_b64 exec, exec, s[36:37]
	s_nop 0
	v_mov_b32_dpp v6, v3 row_shr:8 row_mask:0xf bank_mask:0xf
	v_cmp_lt_u32_e32 vcc, 7, v4
	s_and_saveexec_b64 s[36:37], vcc
	s_cbranch_execz .LBB92_79
; %bb.76:
	v_max_f32_e32 v7, v3, v3
	v_max_f32_e32 v8, v6, v6
	v_min_f32_e32 v4, v8, v7
	v_cmp_u_f32_e32 vcc, v6, v6
	v_max_f32_e32 v7, v8, v7
	v_cndmask_b32_e32 v4, v4, v6, vcc
	v_cmp_u_f32_e64 s[30:31], v3, v3
	v_cndmask_b32_e32 v7, v7, v6, vcc
	v_cndmask_b32_e64 v4, v4, v3, s[30:31]
	v_cndmask_b32_e64 v3, v7, v3, s[30:31]
	s_movk_i32 s7, 0x1f8
	v_cmp_neq_f32_e32 vcc, v4, v3
	v_cmp_class_f32_e64 s[30:31], v4, s7
	s_or_b64 s[56:57], vcc, s[30:31]
	s_and_saveexec_b64 s[30:31], s[56:57]
	s_cbranch_execz .LBB92_78
; %bb.77:
	v_sub_f32_e32 v4, v4, v3
	s_mov_b32 s7, 0x3fb8aa3b
	v_mul_f32_e32 v6, 0x3fb8aa3b, v4
	v_fma_f32 v7, v4, s7, -v6
	v_rndne_f32_e32 v8, v6
	v_fmac_f32_e32 v7, 0x32a5705f, v4
	v_sub_f32_e32 v6, v6, v8
	v_add_f32_e32 v6, v6, v7
	v_exp_f32_e32 v6, v6
	v_cvt_i32_f32_e32 v7, v8
	s_mov_b32 s7, 0xc2ce8ed0
	v_cmp_ngt_f32_e32 vcc, s7, v4
	s_mov_b32 s7, 0x42b17218
	v_ldexp_f32 v6, v6, v7
	v_cndmask_b32_e32 v6, 0, v6, vcc
	v_mov_b32_e32 v8, 0x7f800000
	v_cmp_nlt_f32_e32 vcc, s7, v4
	v_cndmask_b32_e32 v4, v8, v6, vcc
	v_add_f32_e32 v9, 1.0, v4
	v_cvt_f64_f32_e32 v[6:7], v9
	v_add_f32_e32 v10, -1.0, v9
	v_sub_f32_e32 v11, v10, v9
	v_sub_f32_e32 v10, v4, v10
	v_frexp_exp_i32_f64_e32 v6, v[6:7]
	v_add_f32_e32 v7, 1.0, v11
	v_add_f32_e32 v7, v10, v7
	v_frexp_mant_f32_e32 v10, v9
	s_mov_b32 s56, 0x3f2aaaab
	v_cmp_gt_f32_e32 vcc, s56, v10
	s_mov_b32 s56, 0x3f317218
	s_mov_b32 s7, 0x7f800000
	v_subbrev_co_u32_e32 v6, vcc, 0, v6, vcc
	v_sub_u32_e32 v10, 0, v6
	v_ldexp_f32 v9, v9, v10
	v_ldexp_f32 v7, v7, v10
	v_add_f32_e32 v10, -1.0, v9
	v_add_f32_e32 v43, 1.0, v9
	v_add_f32_e32 v11, 1.0, v10
	v_add_f32_e32 v44, -1.0, v43
	v_sub_f32_e32 v11, v9, v11
	v_sub_f32_e32 v9, v9, v44
	v_add_f32_e32 v11, v7, v11
	v_add_f32_e32 v7, v7, v9
	;; [unrolled: 1-line block ×3, first 2 shown]
	v_rcp_f32_e32 v44, v9
	v_add_f32_e32 v42, v10, v11
	v_sub_f32_e32 v10, v10, v42
	v_add_f32_e32 v10, v11, v10
	v_sub_f32_e32 v11, v43, v9
	v_add_f32_e32 v7, v7, v11
	v_mul_f32_e32 v11, v42, v44
	v_mul_f32_e32 v43, v9, v11
	v_fma_f32 v45, v11, v9, -v43
	v_fmac_f32_e32 v45, v11, v7
	v_add_f32_e32 v46, v43, v45
	v_sub_f32_e32 v47, v42, v46
	v_sub_f32_e32 v42, v42, v47
	;; [unrolled: 1-line block ×4, first 2 shown]
	v_add_f32_e32 v10, v10, v42
	v_sub_f32_e32 v42, v43, v45
	v_add_f32_e32 v10, v42, v10
	v_add_f32_e32 v42, v47, v10
	v_mul_f32_e32 v43, v44, v42
	v_mul_f32_e32 v45, v9, v43
	v_fma_f32 v9, v43, v9, -v45
	v_fmac_f32_e32 v9, v43, v7
	v_sub_f32_e32 v7, v47, v42
	v_add_f32_e32 v7, v10, v7
	v_add_f32_e32 v10, v45, v9
	v_sub_f32_e32 v46, v42, v10
	v_sub_f32_e32 v42, v42, v46
	;; [unrolled: 1-line block ×4, first 2 shown]
	v_add_f32_e32 v7, v7, v10
	v_sub_f32_e32 v9, v45, v9
	v_add_f32_e32 v7, v9, v7
	v_add_f32_e32 v9, v11, v43
	;; [unrolled: 1-line block ×3, first 2 shown]
	v_sub_f32_e32 v10, v9, v11
	v_mul_f32_e32 v7, v44, v7
	v_sub_f32_e32 v10, v43, v10
	v_add_f32_e32 v7, v10, v7
	v_cvt_f32_i32_e32 v6, v6
	v_add_f32_e32 v10, v9, v7
	v_mul_f32_e32 v11, v10, v10
	v_mov_b32_e32 v42, 0x3ecc95a3
	v_fmac_f32_e32 v42, 0x3e9b6dac, v11
	v_mov_b32_e32 v43, 0x3f2aaada
	v_fmac_f32_e32 v43, v11, v42
	v_mul_f32_e32 v42, 0x3f317218, v6
	v_fma_f32 v44, v6, s56, -v42
	v_fmac_f32_e32 v44, 0xb102e308, v6
	v_sub_f32_e32 v6, v10, v9
	v_sub_f32_e32 v6, v7, v6
	v_add_f32_e32 v7, v42, v44
	v_sub_f32_e32 v9, v7, v42
	v_ldexp_f32 v42, v10, 1
	v_mul_f32_e32 v10, v10, v11
	v_mul_f32_e32 v10, v10, v43
	v_add_f32_e32 v11, v42, v10
	v_sub_f32_e32 v42, v11, v42
	v_ldexp_f32 v6, v6, 1
	v_sub_f32_e32 v10, v10, v42
	v_add_f32_e32 v6, v6, v10
	v_add_f32_e32 v10, v11, v6
	v_sub_f32_e32 v11, v10, v11
	v_sub_f32_e32 v6, v6, v11
	v_add_f32_e32 v11, v7, v10
	v_sub_f32_e32 v42, v11, v7
	v_sub_f32_e32 v43, v11, v42
	;; [unrolled: 1-line block ×5, first 2 shown]
	v_add_f32_e32 v7, v10, v7
	v_add_f32_e32 v10, v9, v6
	v_sub_f32_e32 v42, v10, v9
	v_sub_f32_e32 v43, v10, v42
	;; [unrolled: 1-line block ×4, first 2 shown]
	v_add_f32_e32 v7, v10, v7
	v_add_f32_e32 v6, v6, v9
	;; [unrolled: 1-line block ×3, first 2 shown]
	v_sub_f32_e32 v10, v9, v11
	v_sub_f32_e32 v7, v7, v10
	v_add_f32_e32 v6, v6, v7
	v_add_f32_e32 v6, v9, v6
	v_cmp_neq_f32_e32 vcc, s7, v4
	s_mov_b32 s7, 0x33800000
	v_cndmask_b32_e32 v6, v8, v6, vcc
	v_cmp_lt_f32_e64 vcc, |v4|, s7
	v_cndmask_b32_e32 v4, v6, v4, vcc
	v_add_f32_e32 v6, v3, v4
.LBB92_78:
	s_or_b64 exec, exec, s[30:31]
	v_mov_b32_e32 v3, v6
.LBB92_79:
	s_or_b64 exec, exec, s[36:37]
	v_and_b32_e32 v6, 16, v5
	v_mov_b32_dpp v4, v3 row_bcast:15 row_mask:0xf bank_mask:0xf
	v_cmp_ne_u32_e32 vcc, 0, v6
	s_and_saveexec_b64 s[36:37], vcc
	s_cbranch_execz .LBB92_83
; %bb.80:
	v_max_f32_e32 v7, v3, v3
	v_max_f32_e32 v8, v4, v4
	v_min_f32_e32 v6, v8, v7
	v_cmp_u_f32_e32 vcc, v4, v4
	v_max_f32_e32 v7, v8, v7
	v_cndmask_b32_e32 v6, v6, v4, vcc
	v_cmp_u_f32_e64 s[30:31], v3, v3
	v_cndmask_b32_e32 v7, v7, v4, vcc
	v_cndmask_b32_e64 v6, v6, v3, s[30:31]
	v_cndmask_b32_e64 v3, v7, v3, s[30:31]
	s_movk_i32 s7, 0x1f8
	v_cmp_neq_f32_e32 vcc, v6, v3
	v_cmp_class_f32_e64 s[30:31], v6, s7
	s_or_b64 s[56:57], vcc, s[30:31]
	s_and_saveexec_b64 s[30:31], s[56:57]
	s_cbranch_execz .LBB92_82
; %bb.81:
	v_sub_f32_e32 v4, v6, v3
	s_mov_b32 s7, 0x3fb8aa3b
	v_mul_f32_e32 v6, 0x3fb8aa3b, v4
	v_fma_f32 v7, v4, s7, -v6
	v_rndne_f32_e32 v8, v6
	v_fmac_f32_e32 v7, 0x32a5705f, v4
	v_sub_f32_e32 v6, v6, v8
	v_add_f32_e32 v6, v6, v7
	v_exp_f32_e32 v6, v6
	v_cvt_i32_f32_e32 v7, v8
	s_mov_b32 s7, 0xc2ce8ed0
	v_cmp_ngt_f32_e32 vcc, s7, v4
	s_mov_b32 s7, 0x42b17218
	v_ldexp_f32 v6, v6, v7
	v_cndmask_b32_e32 v6, 0, v6, vcc
	v_mov_b32_e32 v8, 0x7f800000
	v_cmp_nlt_f32_e32 vcc, s7, v4
	v_cndmask_b32_e32 v4, v8, v6, vcc
	v_add_f32_e32 v9, 1.0, v4
	v_cvt_f64_f32_e32 v[6:7], v9
	v_add_f32_e32 v10, -1.0, v9
	v_sub_f32_e32 v11, v10, v9
	v_sub_f32_e32 v10, v4, v10
	v_frexp_exp_i32_f64_e32 v6, v[6:7]
	v_add_f32_e32 v7, 1.0, v11
	v_add_f32_e32 v7, v10, v7
	v_frexp_mant_f32_e32 v10, v9
	s_mov_b32 s56, 0x3f2aaaab
	v_cmp_gt_f32_e32 vcc, s56, v10
	s_mov_b32 s56, 0x3f317218
	s_mov_b32 s7, 0x7f800000
	v_subbrev_co_u32_e32 v6, vcc, 0, v6, vcc
	v_sub_u32_e32 v10, 0, v6
	v_ldexp_f32 v9, v9, v10
	v_ldexp_f32 v7, v7, v10
	v_add_f32_e32 v10, -1.0, v9
	v_add_f32_e32 v43, 1.0, v9
	v_add_f32_e32 v11, 1.0, v10
	v_add_f32_e32 v44, -1.0, v43
	v_sub_f32_e32 v11, v9, v11
	v_sub_f32_e32 v9, v9, v44
	v_add_f32_e32 v11, v7, v11
	v_add_f32_e32 v7, v7, v9
	;; [unrolled: 1-line block ×3, first 2 shown]
	v_rcp_f32_e32 v44, v9
	v_add_f32_e32 v42, v10, v11
	v_sub_f32_e32 v10, v10, v42
	v_add_f32_e32 v10, v11, v10
	v_sub_f32_e32 v11, v43, v9
	v_add_f32_e32 v7, v7, v11
	v_mul_f32_e32 v11, v42, v44
	v_mul_f32_e32 v43, v9, v11
	v_fma_f32 v45, v11, v9, -v43
	v_fmac_f32_e32 v45, v11, v7
	v_add_f32_e32 v46, v43, v45
	v_sub_f32_e32 v47, v42, v46
	v_sub_f32_e32 v42, v42, v47
	;; [unrolled: 1-line block ×4, first 2 shown]
	v_add_f32_e32 v10, v10, v42
	v_sub_f32_e32 v42, v43, v45
	v_add_f32_e32 v10, v42, v10
	v_add_f32_e32 v42, v47, v10
	v_mul_f32_e32 v43, v44, v42
	v_mul_f32_e32 v45, v9, v43
	v_fma_f32 v9, v43, v9, -v45
	v_fmac_f32_e32 v9, v43, v7
	v_sub_f32_e32 v7, v47, v42
	v_add_f32_e32 v7, v10, v7
	v_add_f32_e32 v10, v45, v9
	v_sub_f32_e32 v46, v42, v10
	v_sub_f32_e32 v42, v42, v46
	;; [unrolled: 1-line block ×4, first 2 shown]
	v_add_f32_e32 v7, v7, v10
	v_sub_f32_e32 v9, v45, v9
	v_add_f32_e32 v7, v9, v7
	v_add_f32_e32 v9, v11, v43
	;; [unrolled: 1-line block ×3, first 2 shown]
	v_sub_f32_e32 v10, v9, v11
	v_mul_f32_e32 v7, v44, v7
	v_sub_f32_e32 v10, v43, v10
	v_add_f32_e32 v7, v10, v7
	v_cvt_f32_i32_e32 v6, v6
	v_add_f32_e32 v10, v9, v7
	v_mul_f32_e32 v11, v10, v10
	v_mov_b32_e32 v42, 0x3ecc95a3
	v_fmac_f32_e32 v42, 0x3e9b6dac, v11
	v_mov_b32_e32 v43, 0x3f2aaada
	v_fmac_f32_e32 v43, v11, v42
	v_mul_f32_e32 v42, 0x3f317218, v6
	v_fma_f32 v44, v6, s56, -v42
	v_fmac_f32_e32 v44, 0xb102e308, v6
	v_sub_f32_e32 v6, v10, v9
	v_sub_f32_e32 v6, v7, v6
	v_add_f32_e32 v7, v42, v44
	v_sub_f32_e32 v9, v7, v42
	v_ldexp_f32 v42, v10, 1
	v_mul_f32_e32 v10, v10, v11
	v_mul_f32_e32 v10, v10, v43
	v_add_f32_e32 v11, v42, v10
	v_sub_f32_e32 v42, v11, v42
	v_ldexp_f32 v6, v6, 1
	v_sub_f32_e32 v10, v10, v42
	v_add_f32_e32 v6, v6, v10
	v_add_f32_e32 v10, v11, v6
	v_sub_f32_e32 v11, v10, v11
	v_sub_f32_e32 v6, v6, v11
	v_add_f32_e32 v11, v7, v10
	v_sub_f32_e32 v42, v11, v7
	v_sub_f32_e32 v43, v11, v42
	;; [unrolled: 1-line block ×5, first 2 shown]
	v_add_f32_e32 v7, v10, v7
	v_add_f32_e32 v10, v9, v6
	v_sub_f32_e32 v42, v10, v9
	v_sub_f32_e32 v43, v10, v42
	;; [unrolled: 1-line block ×4, first 2 shown]
	v_add_f32_e32 v7, v10, v7
	v_add_f32_e32 v6, v6, v9
	v_add_f32_e32 v9, v11, v7
	v_sub_f32_e32 v10, v9, v11
	v_sub_f32_e32 v7, v7, v10
	v_add_f32_e32 v6, v6, v7
	v_add_f32_e32 v6, v9, v6
	v_cmp_neq_f32_e32 vcc, s7, v4
	s_mov_b32 s7, 0x33800000
	v_cndmask_b32_e32 v6, v8, v6, vcc
	v_cmp_lt_f32_e64 vcc, |v4|, s7
	v_cndmask_b32_e32 v4, v6, v4, vcc
	v_add_f32_e32 v4, v3, v4
.LBB92_82:
	s_or_b64 exec, exec, s[30:31]
	v_mov_b32_e32 v3, v4
.LBB92_83:
	s_or_b64 exec, exec, s[36:37]
	s_nop 0
	v_mov_b32_dpp v4, v3 row_bcast:31 row_mask:0xf bank_mask:0xf
	v_cmp_lt_u32_e32 vcc, 31, v5
	s_and_saveexec_b64 s[36:37], vcc
	s_cbranch_execz .LBB92_87
; %bb.84:
	v_max_f32_e32 v7, v3, v3
	v_max_f32_e32 v8, v4, v4
	v_min_f32_e32 v6, v8, v7
	v_cmp_u_f32_e32 vcc, v4, v4
	v_max_f32_e32 v7, v8, v7
	v_cndmask_b32_e32 v6, v6, v4, vcc
	v_cmp_u_f32_e64 s[30:31], v3, v3
	v_cndmask_b32_e32 v7, v7, v4, vcc
	v_cndmask_b32_e64 v6, v6, v3, s[30:31]
	v_cndmask_b32_e64 v3, v7, v3, s[30:31]
	s_movk_i32 s7, 0x1f8
	v_cmp_neq_f32_e32 vcc, v6, v3
	v_cmp_class_f32_e64 s[30:31], v6, s7
	s_or_b64 s[56:57], vcc, s[30:31]
	s_and_saveexec_b64 s[30:31], s[56:57]
	s_cbranch_execz .LBB92_86
; %bb.85:
	v_sub_f32_e32 v4, v6, v3
	s_mov_b32 s7, 0x3fb8aa3b
	v_mul_f32_e32 v6, 0x3fb8aa3b, v4
	v_fma_f32 v7, v4, s7, -v6
	v_rndne_f32_e32 v8, v6
	v_fmac_f32_e32 v7, 0x32a5705f, v4
	v_sub_f32_e32 v6, v6, v8
	v_add_f32_e32 v6, v6, v7
	v_exp_f32_e32 v6, v6
	v_cvt_i32_f32_e32 v7, v8
	s_mov_b32 s7, 0xc2ce8ed0
	v_cmp_ngt_f32_e32 vcc, s7, v4
	s_mov_b32 s7, 0x42b17218
	v_ldexp_f32 v6, v6, v7
	v_cndmask_b32_e32 v6, 0, v6, vcc
	v_mov_b32_e32 v8, 0x7f800000
	v_cmp_nlt_f32_e32 vcc, s7, v4
	v_cndmask_b32_e32 v4, v8, v6, vcc
	v_add_f32_e32 v9, 1.0, v4
	v_cvt_f64_f32_e32 v[6:7], v9
	v_add_f32_e32 v10, -1.0, v9
	v_sub_f32_e32 v11, v10, v9
	v_sub_f32_e32 v10, v4, v10
	v_frexp_exp_i32_f64_e32 v6, v[6:7]
	v_add_f32_e32 v7, 1.0, v11
	v_add_f32_e32 v7, v10, v7
	v_frexp_mant_f32_e32 v10, v9
	s_mov_b32 s56, 0x3f2aaaab
	v_cmp_gt_f32_e32 vcc, s56, v10
	s_mov_b32 s56, 0x3f317218
	s_mov_b32 s7, 0x7f800000
	v_subbrev_co_u32_e32 v6, vcc, 0, v6, vcc
	v_sub_u32_e32 v10, 0, v6
	v_ldexp_f32 v9, v9, v10
	v_ldexp_f32 v7, v7, v10
	v_add_f32_e32 v10, -1.0, v9
	v_add_f32_e32 v43, 1.0, v9
	v_add_f32_e32 v11, 1.0, v10
	v_add_f32_e32 v44, -1.0, v43
	v_sub_f32_e32 v11, v9, v11
	v_sub_f32_e32 v9, v9, v44
	v_add_f32_e32 v11, v7, v11
	v_add_f32_e32 v7, v7, v9
	;; [unrolled: 1-line block ×3, first 2 shown]
	v_rcp_f32_e32 v44, v9
	v_add_f32_e32 v42, v10, v11
	v_sub_f32_e32 v10, v10, v42
	v_add_f32_e32 v10, v11, v10
	v_sub_f32_e32 v11, v43, v9
	v_add_f32_e32 v7, v7, v11
	v_mul_f32_e32 v11, v42, v44
	v_mul_f32_e32 v43, v9, v11
	v_fma_f32 v45, v11, v9, -v43
	v_fmac_f32_e32 v45, v11, v7
	v_add_f32_e32 v46, v43, v45
	v_sub_f32_e32 v47, v42, v46
	v_sub_f32_e32 v42, v42, v47
	;; [unrolled: 1-line block ×4, first 2 shown]
	v_add_f32_e32 v10, v10, v42
	v_sub_f32_e32 v42, v43, v45
	v_add_f32_e32 v10, v42, v10
	v_add_f32_e32 v42, v47, v10
	v_mul_f32_e32 v43, v44, v42
	v_mul_f32_e32 v45, v9, v43
	v_fma_f32 v9, v43, v9, -v45
	v_fmac_f32_e32 v9, v43, v7
	v_sub_f32_e32 v7, v47, v42
	v_add_f32_e32 v7, v10, v7
	v_add_f32_e32 v10, v45, v9
	v_sub_f32_e32 v46, v42, v10
	v_sub_f32_e32 v42, v42, v46
	;; [unrolled: 1-line block ×4, first 2 shown]
	v_add_f32_e32 v7, v7, v10
	v_sub_f32_e32 v9, v45, v9
	v_add_f32_e32 v7, v9, v7
	v_add_f32_e32 v9, v11, v43
	;; [unrolled: 1-line block ×3, first 2 shown]
	v_sub_f32_e32 v10, v9, v11
	v_mul_f32_e32 v7, v44, v7
	v_sub_f32_e32 v10, v43, v10
	v_add_f32_e32 v7, v10, v7
	v_cvt_f32_i32_e32 v6, v6
	v_add_f32_e32 v10, v9, v7
	v_mul_f32_e32 v11, v10, v10
	v_mov_b32_e32 v42, 0x3ecc95a3
	v_fmac_f32_e32 v42, 0x3e9b6dac, v11
	v_mov_b32_e32 v43, 0x3f2aaada
	v_fmac_f32_e32 v43, v11, v42
	v_mul_f32_e32 v42, 0x3f317218, v6
	v_fma_f32 v44, v6, s56, -v42
	v_fmac_f32_e32 v44, 0xb102e308, v6
	v_sub_f32_e32 v6, v10, v9
	v_sub_f32_e32 v6, v7, v6
	v_add_f32_e32 v7, v42, v44
	v_sub_f32_e32 v9, v7, v42
	v_ldexp_f32 v42, v10, 1
	v_mul_f32_e32 v10, v10, v11
	v_mul_f32_e32 v10, v10, v43
	v_add_f32_e32 v11, v42, v10
	v_sub_f32_e32 v42, v11, v42
	v_ldexp_f32 v6, v6, 1
	v_sub_f32_e32 v10, v10, v42
	v_add_f32_e32 v6, v6, v10
	v_add_f32_e32 v10, v11, v6
	v_sub_f32_e32 v11, v10, v11
	v_sub_f32_e32 v6, v6, v11
	v_add_f32_e32 v11, v7, v10
	v_sub_f32_e32 v42, v11, v7
	v_sub_f32_e32 v43, v11, v42
	;; [unrolled: 1-line block ×5, first 2 shown]
	v_add_f32_e32 v7, v10, v7
	v_add_f32_e32 v10, v9, v6
	v_sub_f32_e32 v42, v10, v9
	v_sub_f32_e32 v43, v10, v42
	;; [unrolled: 1-line block ×4, first 2 shown]
	v_add_f32_e32 v7, v10, v7
	v_add_f32_e32 v6, v6, v9
	;; [unrolled: 1-line block ×3, first 2 shown]
	v_sub_f32_e32 v10, v9, v11
	v_sub_f32_e32 v7, v7, v10
	v_add_f32_e32 v6, v6, v7
	v_add_f32_e32 v6, v9, v6
	v_cmp_neq_f32_e32 vcc, s7, v4
	s_mov_b32 s7, 0x33800000
	v_cndmask_b32_e32 v6, v8, v6, vcc
	v_cmp_lt_f32_e64 vcc, |v4|, s7
	v_cndmask_b32_e32 v4, v6, v4, vcc
	v_add_f32_e32 v4, v3, v4
.LBB92_86:
	s_or_b64 exec, exec, s[30:31]
	v_mov_b32_e32 v3, v4
.LBB92_87:
	s_or_b64 exec, exec, s[36:37]
	v_or_b32_e32 v6, 63, v0
	v_lshrrev_b32_e32 v4, 6, v0
	v_cmp_eq_u32_e32 vcc, v0, v6
	s_and_saveexec_b64 s[30:31], vcc
; %bb.88:
	v_lshlrev_b32_e32 v6, 2, v4
	ds_write_b32 v6, v3
; %bb.89:
	s_or_b64 exec, exec, s[30:31]
	v_cmp_gt_u32_e32 vcc, 4, v0
	s_waitcnt lgkmcnt(0)
	s_barrier
	s_and_saveexec_b64 s[36:37], vcc
	s_cbranch_execz .LBB92_99
; %bb.90:
	ds_read_b32 v7, v31
	v_and_b32_e32 v6, 3, v5
	v_cmp_ne_u32_e32 vcc, 0, v6
	s_waitcnt lgkmcnt(0)
	v_mov_b32_dpp v8, v7 row_shr:1 row_mask:0xf bank_mask:0xf
	s_and_saveexec_b64 s[56:57], vcc
	s_cbranch_execz .LBB92_94
; %bb.91:
	v_max_f32_e32 v10, v7, v7
	v_max_f32_e32 v11, v8, v8
	v_min_f32_e32 v9, v11, v10
	v_cmp_u_f32_e32 vcc, v8, v8
	v_max_f32_e32 v10, v11, v10
	v_cndmask_b32_e32 v9, v9, v8, vcc
	v_cmp_u_f32_e64 s[30:31], v7, v7
	v_cndmask_b32_e32 v10, v10, v8, vcc
	v_cndmask_b32_e64 v9, v9, v7, s[30:31]
	v_cndmask_b32_e64 v7, v10, v7, s[30:31]
	s_movk_i32 s7, 0x1f8
	v_cmp_neq_f32_e32 vcc, v9, v7
	v_cmp_class_f32_e64 s[30:31], v9, s7
	s_or_b64 s[58:59], vcc, s[30:31]
	s_and_saveexec_b64 s[30:31], s[58:59]
	s_cbranch_execz .LBB92_93
; %bb.92:
	v_sub_f32_e32 v8, v9, v7
	s_mov_b32 s7, 0x3fb8aa3b
	v_mul_f32_e32 v9, 0x3fb8aa3b, v8
	v_fma_f32 v10, v8, s7, -v9
	v_rndne_f32_e32 v11, v9
	v_fmac_f32_e32 v10, 0x32a5705f, v8
	v_sub_f32_e32 v9, v9, v11
	v_add_f32_e32 v9, v9, v10
	v_exp_f32_e32 v9, v9
	v_cvt_i32_f32_e32 v10, v11
	s_mov_b32 s7, 0xc2ce8ed0
	v_cmp_ngt_f32_e32 vcc, s7, v8
	s_mov_b32 s7, 0x42b17218
	v_ldexp_f32 v9, v9, v10
	v_cndmask_b32_e32 v9, 0, v9, vcc
	v_mov_b32_e32 v10, 0x7f800000
	v_cmp_nlt_f32_e32 vcc, s7, v8
	v_cndmask_b32_e32 v11, v10, v9, vcc
	v_add_f32_e32 v42, 1.0, v11
	v_cvt_f64_f32_e32 v[8:9], v42
	v_add_f32_e32 v43, -1.0, v42
	v_sub_f32_e32 v44, v43, v42
	v_sub_f32_e32 v43, v11, v43
	v_frexp_exp_i32_f64_e32 v8, v[8:9]
	v_add_f32_e32 v9, 1.0, v44
	v_add_f32_e32 v9, v43, v9
	v_frexp_mant_f32_e32 v43, v42
	s_mov_b32 s58, 0x3f2aaaab
	v_cmp_gt_f32_e32 vcc, s58, v43
	s_mov_b32 s58, 0x3f317218
	s_mov_b32 s7, 0x7f800000
	v_subbrev_co_u32_e32 v8, vcc, 0, v8, vcc
	v_sub_u32_e32 v43, 0, v8
	v_ldexp_f32 v42, v42, v43
	v_ldexp_f32 v9, v9, v43
	v_add_f32_e32 v43, -1.0, v42
	v_add_f32_e32 v46, 1.0, v42
	v_add_f32_e32 v44, 1.0, v43
	v_add_f32_e32 v47, -1.0, v46
	v_sub_f32_e32 v44, v42, v44
	v_sub_f32_e32 v42, v42, v47
	v_add_f32_e32 v44, v9, v44
	v_add_f32_e32 v9, v9, v42
	;; [unrolled: 1-line block ×3, first 2 shown]
	v_rcp_f32_e32 v47, v42
	v_add_f32_e32 v45, v43, v44
	v_sub_f32_e32 v43, v43, v45
	v_add_f32_e32 v43, v44, v43
	v_sub_f32_e32 v44, v46, v42
	v_add_f32_e32 v9, v9, v44
	v_mul_f32_e32 v44, v45, v47
	v_mul_f32_e32 v46, v42, v44
	v_fma_f32 v48, v44, v42, -v46
	v_fmac_f32_e32 v48, v44, v9
	v_add_f32_e32 v49, v46, v48
	v_sub_f32_e32 v50, v45, v49
	v_sub_f32_e32 v45, v45, v50
	;; [unrolled: 1-line block ×4, first 2 shown]
	v_add_f32_e32 v43, v43, v45
	v_sub_f32_e32 v45, v46, v48
	v_add_f32_e32 v43, v45, v43
	v_add_f32_e32 v45, v50, v43
	v_mul_f32_e32 v46, v47, v45
	v_mul_f32_e32 v48, v42, v46
	v_fma_f32 v42, v46, v42, -v48
	v_fmac_f32_e32 v42, v46, v9
	v_sub_f32_e32 v9, v50, v45
	v_add_f32_e32 v9, v43, v9
	v_add_f32_e32 v43, v48, v42
	v_sub_f32_e32 v49, v45, v43
	v_sub_f32_e32 v45, v45, v49
	;; [unrolled: 1-line block ×4, first 2 shown]
	v_add_f32_e32 v9, v9, v43
	v_sub_f32_e32 v42, v48, v42
	v_add_f32_e32 v9, v42, v9
	v_add_f32_e32 v42, v44, v46
	;; [unrolled: 1-line block ×3, first 2 shown]
	v_sub_f32_e32 v43, v42, v44
	v_mul_f32_e32 v9, v47, v9
	v_sub_f32_e32 v43, v46, v43
	v_add_f32_e32 v9, v43, v9
	v_cvt_f32_i32_e32 v8, v8
	v_add_f32_e32 v43, v42, v9
	v_mul_f32_e32 v44, v43, v43
	v_mov_b32_e32 v45, 0x3ecc95a3
	v_fmac_f32_e32 v45, 0x3e9b6dac, v44
	v_mov_b32_e32 v46, 0x3f2aaada
	v_fmac_f32_e32 v46, v44, v45
	v_mul_f32_e32 v45, 0x3f317218, v8
	v_fma_f32 v47, v8, s58, -v45
	v_fmac_f32_e32 v47, 0xb102e308, v8
	v_sub_f32_e32 v8, v43, v42
	v_sub_f32_e32 v8, v9, v8
	v_add_f32_e32 v9, v45, v47
	v_sub_f32_e32 v42, v9, v45
	v_ldexp_f32 v45, v43, 1
	v_mul_f32_e32 v43, v43, v44
	v_mul_f32_e32 v43, v43, v46
	v_add_f32_e32 v44, v45, v43
	v_sub_f32_e32 v45, v44, v45
	v_ldexp_f32 v8, v8, 1
	v_sub_f32_e32 v43, v43, v45
	v_add_f32_e32 v8, v8, v43
	v_add_f32_e32 v43, v44, v8
	v_sub_f32_e32 v44, v43, v44
	v_sub_f32_e32 v8, v8, v44
	v_add_f32_e32 v44, v9, v43
	v_sub_f32_e32 v45, v44, v9
	v_sub_f32_e32 v46, v44, v45
	;; [unrolled: 1-line block ×5, first 2 shown]
	v_add_f32_e32 v9, v43, v9
	v_add_f32_e32 v43, v42, v8
	v_sub_f32_e32 v45, v43, v42
	v_sub_f32_e32 v46, v43, v45
	;; [unrolled: 1-line block ×4, first 2 shown]
	v_add_f32_e32 v9, v43, v9
	v_add_f32_e32 v8, v8, v42
	;; [unrolled: 1-line block ×3, first 2 shown]
	v_sub_f32_e32 v43, v42, v44
	v_sub_f32_e32 v9, v9, v43
	v_add_f32_e32 v8, v8, v9
	v_add_f32_e32 v8, v42, v8
	v_cmp_neq_f32_e32 vcc, s7, v11
	s_mov_b32 s7, 0x33800000
	v_cndmask_b32_e32 v8, v10, v8, vcc
	v_cmp_lt_f32_e64 vcc, |v11|, s7
	v_cndmask_b32_e32 v8, v8, v11, vcc
	v_add_f32_e32 v8, v7, v8
.LBB92_93:
	s_or_b64 exec, exec, s[30:31]
	v_mov_b32_e32 v7, v8
.LBB92_94:
	s_or_b64 exec, exec, s[56:57]
	s_nop 0
	v_mov_b32_dpp v8, v7 row_shr:2 row_mask:0xf bank_mask:0xf
	v_cmp_lt_u32_e32 vcc, 1, v6
	s_and_saveexec_b64 s[56:57], vcc
	s_cbranch_execz .LBB92_98
; %bb.95:
	v_max_f32_e32 v6, v7, v7
	v_max_f32_e32 v10, v8, v8
	v_min_f32_e32 v9, v10, v6
	v_cmp_u_f32_e32 vcc, v8, v8
	v_max_f32_e32 v6, v10, v6
	v_cndmask_b32_e32 v9, v9, v8, vcc
	v_cmp_u_f32_e64 s[30:31], v7, v7
	v_cndmask_b32_e32 v6, v6, v8, vcc
	v_cndmask_b32_e64 v9, v9, v7, s[30:31]
	v_cndmask_b32_e64 v6, v6, v7, s[30:31]
	s_movk_i32 s7, 0x1f8
	v_cmp_neq_f32_e32 vcc, v9, v6
	v_cmp_class_f32_e64 s[30:31], v9, s7
	s_or_b64 s[58:59], vcc, s[30:31]
	s_and_saveexec_b64 s[30:31], s[58:59]
	s_cbranch_execz .LBB92_97
; %bb.96:
	v_sub_f32_e32 v7, v9, v6
	s_mov_b32 s7, 0x3fb8aa3b
	v_mul_f32_e32 v8, 0x3fb8aa3b, v7
	v_fma_f32 v9, v7, s7, -v8
	v_rndne_f32_e32 v10, v8
	v_fmac_f32_e32 v9, 0x32a5705f, v7
	v_sub_f32_e32 v8, v8, v10
	v_add_f32_e32 v8, v8, v9
	v_exp_f32_e32 v8, v8
	v_cvt_i32_f32_e32 v9, v10
	s_mov_b32 s7, 0xc2ce8ed0
	v_cmp_ngt_f32_e32 vcc, s7, v7
	s_mov_b32 s7, 0x42b17218
	v_ldexp_f32 v8, v8, v9
	v_cndmask_b32_e32 v8, 0, v8, vcc
	v_mov_b32_e32 v9, 0x7f800000
	v_cmp_nlt_f32_e32 vcc, s7, v7
	v_cndmask_b32_e32 v10, v9, v8, vcc
	v_add_f32_e32 v11, 1.0, v10
	v_cvt_f64_f32_e32 v[7:8], v11
	v_add_f32_e32 v42, -1.0, v11
	v_sub_f32_e32 v43, v42, v11
	v_sub_f32_e32 v42, v10, v42
	v_frexp_exp_i32_f64_e32 v7, v[7:8]
	v_add_f32_e32 v8, 1.0, v43
	v_add_f32_e32 v8, v42, v8
	v_frexp_mant_f32_e32 v42, v11
	s_mov_b32 s58, 0x3f2aaaab
	v_cmp_gt_f32_e32 vcc, s58, v42
	s_mov_b32 s58, 0x3f317218
	s_mov_b32 s7, 0x7f800000
	v_subbrev_co_u32_e32 v7, vcc, 0, v7, vcc
	v_sub_u32_e32 v42, 0, v7
	v_ldexp_f32 v11, v11, v42
	v_ldexp_f32 v8, v8, v42
	v_add_f32_e32 v42, -1.0, v11
	v_add_f32_e32 v45, 1.0, v11
	v_add_f32_e32 v43, 1.0, v42
	v_add_f32_e32 v46, -1.0, v45
	v_sub_f32_e32 v43, v11, v43
	v_sub_f32_e32 v11, v11, v46
	v_add_f32_e32 v43, v8, v43
	v_add_f32_e32 v8, v8, v11
	;; [unrolled: 1-line block ×3, first 2 shown]
	v_rcp_f32_e32 v46, v11
	v_add_f32_e32 v44, v42, v43
	v_sub_f32_e32 v42, v42, v44
	v_add_f32_e32 v42, v43, v42
	v_sub_f32_e32 v43, v45, v11
	v_add_f32_e32 v8, v8, v43
	v_mul_f32_e32 v43, v44, v46
	v_mul_f32_e32 v45, v11, v43
	v_fma_f32 v47, v43, v11, -v45
	v_fmac_f32_e32 v47, v43, v8
	v_add_f32_e32 v48, v45, v47
	v_sub_f32_e32 v49, v44, v48
	v_sub_f32_e32 v44, v44, v49
	;; [unrolled: 1-line block ×4, first 2 shown]
	v_add_f32_e32 v42, v42, v44
	v_sub_f32_e32 v44, v45, v47
	v_add_f32_e32 v42, v44, v42
	v_add_f32_e32 v44, v49, v42
	v_mul_f32_e32 v45, v46, v44
	v_mul_f32_e32 v47, v11, v45
	v_fma_f32 v11, v45, v11, -v47
	v_fmac_f32_e32 v11, v45, v8
	v_sub_f32_e32 v8, v49, v44
	v_add_f32_e32 v8, v42, v8
	v_add_f32_e32 v42, v47, v11
	v_sub_f32_e32 v48, v44, v42
	v_sub_f32_e32 v44, v44, v48
	;; [unrolled: 1-line block ×4, first 2 shown]
	v_add_f32_e32 v8, v8, v42
	v_sub_f32_e32 v11, v47, v11
	v_add_f32_e32 v8, v11, v8
	v_add_f32_e32 v11, v43, v45
	;; [unrolled: 1-line block ×3, first 2 shown]
	v_sub_f32_e32 v42, v11, v43
	v_mul_f32_e32 v8, v46, v8
	v_sub_f32_e32 v42, v45, v42
	v_add_f32_e32 v8, v42, v8
	v_cvt_f32_i32_e32 v7, v7
	v_add_f32_e32 v42, v11, v8
	v_mul_f32_e32 v43, v42, v42
	v_mov_b32_e32 v44, 0x3ecc95a3
	v_fmac_f32_e32 v44, 0x3e9b6dac, v43
	v_mov_b32_e32 v45, 0x3f2aaada
	v_fmac_f32_e32 v45, v43, v44
	v_mul_f32_e32 v44, 0x3f317218, v7
	v_fma_f32 v46, v7, s58, -v44
	v_fmac_f32_e32 v46, 0xb102e308, v7
	v_sub_f32_e32 v7, v42, v11
	v_sub_f32_e32 v7, v8, v7
	v_add_f32_e32 v8, v44, v46
	v_sub_f32_e32 v11, v8, v44
	v_ldexp_f32 v44, v42, 1
	v_mul_f32_e32 v42, v42, v43
	v_mul_f32_e32 v42, v42, v45
	v_add_f32_e32 v43, v44, v42
	v_sub_f32_e32 v44, v43, v44
	v_ldexp_f32 v7, v7, 1
	v_sub_f32_e32 v42, v42, v44
	v_add_f32_e32 v7, v7, v42
	v_add_f32_e32 v42, v43, v7
	v_sub_f32_e32 v43, v42, v43
	v_sub_f32_e32 v7, v7, v43
	v_add_f32_e32 v43, v8, v42
	v_sub_f32_e32 v44, v43, v8
	v_sub_f32_e32 v45, v43, v44
	;; [unrolled: 1-line block ×5, first 2 shown]
	v_add_f32_e32 v8, v42, v8
	v_add_f32_e32 v42, v11, v7
	v_sub_f32_e32 v44, v42, v11
	v_sub_f32_e32 v45, v42, v44
	;; [unrolled: 1-line block ×4, first 2 shown]
	v_add_f32_e32 v8, v42, v8
	v_add_f32_e32 v7, v7, v11
	v_add_f32_e32 v11, v43, v8
	v_sub_f32_e32 v42, v11, v43
	v_sub_f32_e32 v8, v8, v42
	v_add_f32_e32 v7, v7, v8
	v_add_f32_e32 v7, v11, v7
	v_cmp_neq_f32_e32 vcc, s7, v10
	s_mov_b32 s7, 0x33800000
	v_cndmask_b32_e32 v7, v9, v7, vcc
	v_cmp_lt_f32_e64 vcc, |v10|, s7
	v_cndmask_b32_e32 v7, v7, v10, vcc
	v_add_f32_e32 v8, v6, v7
.LBB92_97:
	s_or_b64 exec, exec, s[30:31]
	v_mov_b32_e32 v7, v8
.LBB92_98:
	s_or_b64 exec, exec, s[56:57]
	ds_write_b32 v31, v7
.LBB92_99:
	s_or_b64 exec, exec, s[36:37]
	v_cmp_gt_u32_e32 vcc, 64, v0
	v_cmp_lt_u32_e64 s[30:31], 63, v0
	s_waitcnt lgkmcnt(0)
	s_barrier
                                        ; implicit-def: $vgpr42
	s_and_saveexec_b64 s[56:57], s[30:31]
	s_cbranch_execz .LBB92_103
; %bb.100:
	v_lshl_add_u32 v4, v4, 2, -4
	ds_read_b32 v42, v4
	v_max_f32_e32 v4, v3, v3
	v_cmp_u_f32_e64 s[36:37], v3, v3
	s_movk_i32 s7, 0x1f8
	s_waitcnt lgkmcnt(0)
	v_max_f32_e32 v6, v42, v42
	v_min_f32_e32 v7, v6, v4
	v_max_f32_e32 v4, v6, v4
	v_cmp_u_f32_e64 s[30:31], v42, v42
	v_cndmask_b32_e64 v6, v7, v42, s[30:31]
	v_cndmask_b32_e64 v4, v4, v42, s[30:31]
	;; [unrolled: 1-line block ×4, first 2 shown]
	v_cmp_neq_f32_e64 s[30:31], v6, v4
	v_cmp_class_f32_e64 s[36:37], v6, s7
	s_or_b64 s[30:31], s[30:31], s[36:37]
	v_mov_b32_e32 v3, v42
	s_and_saveexec_b64 s[36:37], s[30:31]
	s_cbranch_execz .LBB92_102
; %bb.101:
	v_sub_f32_e32 v3, v6, v4
	s_mov_b32 s7, 0x3fb8aa3b
	v_mul_f32_e32 v6, 0x3fb8aa3b, v3
	v_fma_f32 v7, v3, s7, -v6
	v_rndne_f32_e32 v8, v6
	v_fmac_f32_e32 v7, 0x32a5705f, v3
	v_sub_f32_e32 v6, v6, v8
	v_add_f32_e32 v6, v6, v7
	v_exp_f32_e32 v6, v6
	v_cvt_i32_f32_e32 v7, v8
	s_mov_b32 s7, 0xc2ce8ed0
	v_cmp_ngt_f32_e64 s[30:31], s7, v3
	s_mov_b32 s7, 0x42b17218
	v_ldexp_f32 v6, v6, v7
	v_cndmask_b32_e64 v6, 0, v6, s[30:31]
	v_mov_b32_e32 v8, 0x7f800000
	v_cmp_nlt_f32_e64 s[30:31], s7, v3
	v_cndmask_b32_e64 v3, v8, v6, s[30:31]
	v_add_f32_e32 v9, 1.0, v3
	v_cvt_f64_f32_e32 v[6:7], v9
	v_add_f32_e32 v10, -1.0, v9
	v_sub_f32_e32 v11, v10, v9
	v_sub_f32_e32 v10, v3, v10
	v_frexp_exp_i32_f64_e32 v6, v[6:7]
	v_add_f32_e32 v7, 1.0, v11
	v_add_f32_e32 v7, v10, v7
	v_frexp_mant_f32_e32 v10, v9
	s_mov_b32 s30, 0x3f2aaaab
	v_cmp_gt_f32_e64 s[30:31], s30, v10
	s_mov_b32 s7, 0x7f800000
	v_subbrev_co_u32_e64 v6, s[30:31], 0, v6, s[30:31]
	v_sub_u32_e32 v10, 0, v6
	v_ldexp_f32 v9, v9, v10
	v_ldexp_f32 v7, v7, v10
	v_add_f32_e32 v10, -1.0, v9
	v_add_f32_e32 v44, 1.0, v9
	v_add_f32_e32 v11, 1.0, v10
	v_add_f32_e32 v45, -1.0, v44
	v_sub_f32_e32 v11, v9, v11
	v_sub_f32_e32 v9, v9, v45
	v_add_f32_e32 v11, v7, v11
	v_add_f32_e32 v7, v7, v9
	v_add_f32_e32 v9, v44, v7
	v_rcp_f32_e32 v45, v9
	v_add_f32_e32 v43, v10, v11
	v_sub_f32_e32 v10, v10, v43
	v_add_f32_e32 v10, v11, v10
	v_sub_f32_e32 v11, v44, v9
	v_add_f32_e32 v7, v7, v11
	v_mul_f32_e32 v11, v43, v45
	v_mul_f32_e32 v44, v9, v11
	v_fma_f32 v46, v11, v9, -v44
	v_fmac_f32_e32 v46, v11, v7
	v_add_f32_e32 v47, v44, v46
	v_sub_f32_e32 v48, v43, v47
	v_sub_f32_e32 v43, v43, v48
	v_sub_f32_e32 v44, v47, v44
	v_sub_f32_e32 v43, v43, v47
	v_add_f32_e32 v10, v10, v43
	v_sub_f32_e32 v43, v44, v46
	v_add_f32_e32 v10, v43, v10
	v_add_f32_e32 v43, v48, v10
	v_mul_f32_e32 v44, v45, v43
	v_mul_f32_e32 v46, v9, v44
	v_fma_f32 v9, v44, v9, -v46
	v_fmac_f32_e32 v9, v44, v7
	v_sub_f32_e32 v7, v48, v43
	v_add_f32_e32 v7, v10, v7
	v_add_f32_e32 v10, v46, v9
	v_sub_f32_e32 v47, v43, v10
	v_sub_f32_e32 v43, v43, v47
	;; [unrolled: 1-line block ×4, first 2 shown]
	v_add_f32_e32 v7, v7, v10
	v_sub_f32_e32 v9, v46, v9
	v_add_f32_e32 v7, v9, v7
	v_add_f32_e32 v9, v11, v44
	;; [unrolled: 1-line block ×3, first 2 shown]
	v_sub_f32_e32 v10, v9, v11
	v_mul_f32_e32 v7, v45, v7
	v_sub_f32_e32 v10, v44, v10
	v_add_f32_e32 v7, v10, v7
	v_cvt_f32_i32_e32 v6, v6
	v_add_f32_e32 v10, v9, v7
	v_mul_f32_e32 v11, v10, v10
	v_mov_b32_e32 v43, 0x3ecc95a3
	v_fmac_f32_e32 v43, 0x3e9b6dac, v11
	v_mov_b32_e32 v44, 0x3f2aaada
	v_fmac_f32_e32 v44, v11, v43
	s_mov_b32 s30, 0x3f317218
	v_mul_f32_e32 v43, 0x3f317218, v6
	v_fma_f32 v45, v6, s30, -v43
	v_fmac_f32_e32 v45, 0xb102e308, v6
	v_sub_f32_e32 v6, v10, v9
	v_sub_f32_e32 v6, v7, v6
	v_add_f32_e32 v7, v43, v45
	v_sub_f32_e32 v9, v7, v43
	v_ldexp_f32 v43, v10, 1
	v_mul_f32_e32 v10, v10, v11
	v_mul_f32_e32 v10, v10, v44
	v_add_f32_e32 v11, v43, v10
	v_sub_f32_e32 v43, v11, v43
	v_ldexp_f32 v6, v6, 1
	v_sub_f32_e32 v10, v10, v43
	v_add_f32_e32 v6, v6, v10
	v_add_f32_e32 v10, v11, v6
	v_sub_f32_e32 v11, v10, v11
	v_sub_f32_e32 v6, v6, v11
	v_add_f32_e32 v11, v7, v10
	v_sub_f32_e32 v43, v11, v7
	v_sub_f32_e32 v44, v11, v43
	;; [unrolled: 1-line block ×5, first 2 shown]
	v_add_f32_e32 v7, v10, v7
	v_add_f32_e32 v10, v9, v6
	v_sub_f32_e32 v43, v10, v9
	v_sub_f32_e32 v44, v10, v43
	;; [unrolled: 1-line block ×4, first 2 shown]
	v_add_f32_e32 v7, v10, v7
	v_add_f32_e32 v6, v6, v9
	;; [unrolled: 1-line block ×3, first 2 shown]
	v_sub_f32_e32 v10, v9, v11
	v_sub_f32_e32 v7, v7, v10
	v_add_f32_e32 v6, v6, v7
	v_add_f32_e32 v6, v9, v6
	v_cmp_neq_f32_e64 s[30:31], s7, v3
	s_mov_b32 s7, 0x33800000
	v_cndmask_b32_e64 v6, v8, v6, s[30:31]
	v_cmp_lt_f32_e64 s[30:31], |v3|, s7
	v_cndmask_b32_e64 v3, v6, v3, s[30:31]
	v_add_f32_e32 v3, v4, v3
.LBB92_102:
	s_or_b64 exec, exec, s[36:37]
.LBB92_103:
	s_or_b64 exec, exec, s[56:57]
	v_subrev_co_u32_e64 v4, s[30:31], 1, v5
	v_and_b32_e32 v6, 64, v5
	v_cmp_lt_i32_e64 s[36:37], v4, v6
	v_cndmask_b32_e64 v4, v4, v5, s[36:37]
	v_lshlrev_b32_e32 v4, 2, v4
	ds_bpermute_b32 v43, v4, v3
	s_and_saveexec_b64 s[56:57], vcc
	s_cbranch_execz .LBB92_175
; %bb.104:
	v_mov_b32_e32 v8, 0
	ds_read_b32 v3, v8 offset:12
	s_and_saveexec_b64 s[36:37], s[30:31]
	s_cbranch_execz .LBB92_106
; %bb.105:
	s_add_i32 s58, s6, 64
	s_mov_b32 s59, 0
	s_lshl_b64 s[58:59], s[58:59], 3
	s_add_u32 s58, s54, s58
	s_addc_u32 s59, s55, s59
	v_mov_b32_e32 v4, 1
	s_waitcnt lgkmcnt(0)
	global_store_dwordx2 v8, v[3:4], s[58:59]
.LBB92_106:
	s_or_b64 exec, exec, s[36:37]
	v_xad_u32 v4, v5, -1, s6
	v_add_u32_e32 v7, 64, v4
	v_lshlrev_b64 v[6:7], 3, v[7:8]
	v_mov_b32_e32 v10, s55
	v_add_co_u32_e32 v9, vcc, s54, v6
	v_addc_co_u32_e32 v10, vcc, v10, v7, vcc
	global_load_dwordx2 v[6:7], v[9:10], off glc
	s_waitcnt vmcnt(0)
	v_cmp_eq_u16_sdwa s[58:59], v7, v8 src0_sel:BYTE_0 src1_sel:DWORD
	s_and_saveexec_b64 s[36:37], s[58:59]
	s_cbranch_execz .LBB92_110
; %bb.107:
	s_mov_b64 s[58:59], 0
	v_mov_b32_e32 v8, 0
.LBB92_108:                             ; =>This Inner Loop Header: Depth=1
	global_load_dwordx2 v[6:7], v[9:10], off glc
	s_waitcnt vmcnt(0)
	v_cmp_ne_u16_sdwa s[62:63], v7, v8 src0_sel:BYTE_0 src1_sel:DWORD
	s_or_b64 s[58:59], s[62:63], s[58:59]
	s_andn2_b64 exec, exec, s[58:59]
	s_cbranch_execnz .LBB92_108
; %bb.109:
	s_or_b64 exec, exec, s[58:59]
.LBB92_110:
	s_or_b64 exec, exec, s[36:37]
	v_and_b32_e32 v44, 63, v5
	v_mov_b32_e32 v10, 2
	v_lshlrev_b64 v[8:9], v5, -1
	v_cmp_ne_u32_e32 vcc, 63, v44
	v_cmp_eq_u16_sdwa s[36:37], v7, v10 src0_sel:BYTE_0 src1_sel:DWORD
	v_addc_co_u32_e32 v45, vcc, 0, v5, vcc
	v_and_b32_e32 v10, s37, v9
	v_lshlrev_b32_e32 v45, 2, v45
	v_or_b32_e32 v10, 0x80000000, v10
	ds_bpermute_b32 v46, v45, v6
	v_and_b32_e32 v11, s36, v8
	v_ffbl_b32_e32 v10, v10
	v_add_u32_e32 v10, 32, v10
	v_ffbl_b32_e32 v11, v11
	v_min_u32_e32 v10, v11, v10
	v_cmp_lt_u32_e32 vcc, v44, v10
	v_mov_b32_e32 v11, v6
	s_and_saveexec_b64 s[58:59], vcc
	s_cbranch_execz .LBB92_114
; %bb.111:
	v_max_f32_e32 v47, v6, v6
	s_waitcnt lgkmcnt(0)
	v_max_f32_e32 v48, v46, v46
	v_min_f32_e32 v11, v48, v47
	v_cmp_u_f32_e32 vcc, v46, v46
	v_max_f32_e32 v47, v48, v47
	v_cndmask_b32_e32 v11, v11, v46, vcc
	v_cmp_u_f32_e64 s[36:37], v6, v6
	v_cndmask_b32_e32 v47, v47, v46, vcc
	v_cndmask_b32_e64 v11, v11, v6, s[36:37]
	v_cndmask_b32_e64 v6, v47, v6, s[36:37]
	s_movk_i32 s7, 0x1f8
	v_cmp_neq_f32_e32 vcc, v11, v6
	v_cmp_class_f32_e64 s[36:37], v11, s7
	s_or_b64 s[62:63], vcc, s[36:37]
	s_and_saveexec_b64 s[36:37], s[62:63]
	s_cbranch_execz .LBB92_113
; %bb.112:
	v_sub_f32_e32 v11, v11, v6
	s_mov_b32 s7, 0x3fb8aa3b
	v_mul_f32_e32 v46, 0x3fb8aa3b, v11
	v_fma_f32 v47, v11, s7, -v46
	v_rndne_f32_e32 v48, v46
	v_fmac_f32_e32 v47, 0x32a5705f, v11
	v_sub_f32_e32 v46, v46, v48
	v_add_f32_e32 v46, v46, v47
	v_exp_f32_e32 v46, v46
	v_cvt_i32_f32_e32 v47, v48
	s_mov_b32 s7, 0xc2ce8ed0
	v_cmp_ngt_f32_e32 vcc, s7, v11
	s_mov_b32 s7, 0x42b17218
	v_ldexp_f32 v46, v46, v47
	v_cndmask_b32_e32 v46, 0, v46, vcc
	v_mov_b32_e32 v48, 0x7f800000
	v_cmp_nlt_f32_e32 vcc, s7, v11
	v_cndmask_b32_e32 v11, v48, v46, vcc
	v_add_f32_e32 v49, 1.0, v11
	v_cvt_f64_f32_e32 v[46:47], v49
	v_add_f32_e32 v50, -1.0, v49
	v_sub_f32_e32 v51, v50, v49
	v_sub_f32_e32 v50, v11, v50
	v_frexp_exp_i32_f64_e32 v46, v[46:47]
	v_add_f32_e32 v47, 1.0, v51
	v_add_f32_e32 v47, v50, v47
	v_frexp_mant_f32_e32 v50, v49
	s_mov_b32 s61, 0x3f2aaaab
	v_cmp_gt_f32_e32 vcc, s61, v50
	s_mov_b32 s61, 0x3f317218
	s_mov_b32 s7, 0x7f800000
	v_subbrev_co_u32_e32 v46, vcc, 0, v46, vcc
	v_sub_u32_e32 v50, 0, v46
	v_ldexp_f32 v49, v49, v50
	v_ldexp_f32 v47, v47, v50
	v_add_f32_e32 v50, -1.0, v49
	v_add_f32_e32 v53, 1.0, v49
	v_add_f32_e32 v51, 1.0, v50
	v_add_f32_e32 v54, -1.0, v53
	v_sub_f32_e32 v51, v49, v51
	v_sub_f32_e32 v49, v49, v54
	v_add_f32_e32 v51, v47, v51
	v_add_f32_e32 v47, v47, v49
	;; [unrolled: 1-line block ×3, first 2 shown]
	v_rcp_f32_e32 v54, v49
	v_add_f32_e32 v52, v50, v51
	v_sub_f32_e32 v50, v50, v52
	v_add_f32_e32 v50, v51, v50
	v_sub_f32_e32 v51, v53, v49
	v_add_f32_e32 v47, v47, v51
	v_mul_f32_e32 v51, v52, v54
	v_mul_f32_e32 v53, v49, v51
	v_fma_f32 v55, v51, v49, -v53
	v_fmac_f32_e32 v55, v51, v47
	v_add_f32_e32 v56, v53, v55
	v_sub_f32_e32 v57, v52, v56
	v_sub_f32_e32 v52, v52, v57
	;; [unrolled: 1-line block ×4, first 2 shown]
	v_add_f32_e32 v50, v50, v52
	v_sub_f32_e32 v52, v53, v55
	v_add_f32_e32 v50, v52, v50
	v_add_f32_e32 v52, v57, v50
	v_mul_f32_e32 v53, v54, v52
	v_mul_f32_e32 v55, v49, v53
	v_fma_f32 v49, v53, v49, -v55
	v_fmac_f32_e32 v49, v53, v47
	v_sub_f32_e32 v47, v57, v52
	v_add_f32_e32 v47, v50, v47
	v_add_f32_e32 v50, v55, v49
	v_sub_f32_e32 v56, v52, v50
	v_sub_f32_e32 v52, v52, v56
	;; [unrolled: 1-line block ×4, first 2 shown]
	v_add_f32_e32 v47, v47, v50
	v_sub_f32_e32 v49, v55, v49
	v_add_f32_e32 v47, v49, v47
	v_add_f32_e32 v49, v51, v53
	;; [unrolled: 1-line block ×3, first 2 shown]
	v_sub_f32_e32 v50, v49, v51
	v_mul_f32_e32 v47, v54, v47
	v_sub_f32_e32 v50, v53, v50
	v_add_f32_e32 v47, v50, v47
	v_cvt_f32_i32_e32 v46, v46
	v_add_f32_e32 v50, v49, v47
	v_mul_f32_e32 v51, v50, v50
	v_mov_b32_e32 v52, 0x3ecc95a3
	v_fmac_f32_e32 v52, 0x3e9b6dac, v51
	v_mov_b32_e32 v53, 0x3f2aaada
	v_fmac_f32_e32 v53, v51, v52
	v_mul_f32_e32 v52, 0x3f317218, v46
	v_fma_f32 v54, v46, s61, -v52
	v_fmac_f32_e32 v54, 0xb102e308, v46
	v_sub_f32_e32 v46, v50, v49
	v_sub_f32_e32 v46, v47, v46
	v_add_f32_e32 v47, v52, v54
	v_sub_f32_e32 v49, v47, v52
	v_ldexp_f32 v52, v50, 1
	v_mul_f32_e32 v50, v50, v51
	v_mul_f32_e32 v50, v50, v53
	v_add_f32_e32 v51, v52, v50
	v_sub_f32_e32 v52, v51, v52
	v_ldexp_f32 v46, v46, 1
	v_sub_f32_e32 v50, v50, v52
	v_add_f32_e32 v46, v46, v50
	v_add_f32_e32 v50, v51, v46
	v_sub_f32_e32 v51, v50, v51
	v_sub_f32_e32 v46, v46, v51
	v_add_f32_e32 v51, v47, v50
	v_sub_f32_e32 v52, v51, v47
	v_sub_f32_e32 v53, v51, v52
	;; [unrolled: 1-line block ×5, first 2 shown]
	v_add_f32_e32 v47, v50, v47
	v_add_f32_e32 v50, v49, v46
	v_sub_f32_e32 v52, v50, v49
	v_sub_f32_e32 v53, v50, v52
	;; [unrolled: 1-line block ×4, first 2 shown]
	v_add_f32_e32 v47, v50, v47
	v_add_f32_e32 v46, v46, v49
	;; [unrolled: 1-line block ×3, first 2 shown]
	v_sub_f32_e32 v50, v49, v51
	v_sub_f32_e32 v47, v47, v50
	v_add_f32_e32 v46, v46, v47
	v_add_f32_e32 v46, v49, v46
	v_cmp_neq_f32_e32 vcc, s7, v11
	s_mov_b32 s7, 0x33800000
	v_cndmask_b32_e32 v46, v48, v46, vcc
	v_cmp_lt_f32_e64 vcc, |v11|, s7
	v_cndmask_b32_e32 v11, v46, v11, vcc
	v_add_f32_e32 v46, v6, v11
.LBB92_113:
	s_or_b64 exec, exec, s[36:37]
	v_mov_b32_e32 v6, v46
	v_mov_b32_e32 v11, v46
.LBB92_114:
	s_or_b64 exec, exec, s[58:59]
	v_cmp_gt_u32_e32 vcc, 62, v44
	s_waitcnt lgkmcnt(0)
	v_cndmask_b32_e64 v46, 0, 2, vcc
	v_add_lshl_u32 v46, v46, v5, 2
	ds_bpermute_b32 v48, v46, v6
	v_add_u32_e32 v47, 2, v44
	v_cmp_le_u32_e32 vcc, v47, v10
	s_and_saveexec_b64 s[58:59], vcc
	s_cbranch_execz .LBB92_118
; %bb.115:
	v_max_f32_e32 v6, v11, v11
	s_waitcnt lgkmcnt(0)
	v_max_f32_e32 v50, v48, v48
	v_min_f32_e32 v49, v50, v6
	v_cmp_u_f32_e32 vcc, v48, v48
	v_max_f32_e32 v6, v50, v6
	v_cndmask_b32_e32 v49, v49, v48, vcc
	v_cmp_u_f32_e64 s[36:37], v11, v11
	v_cndmask_b32_e32 v6, v6, v48, vcc
	v_cndmask_b32_e64 v49, v49, v11, s[36:37]
	v_cndmask_b32_e64 v6, v6, v11, s[36:37]
	s_movk_i32 s7, 0x1f8
	v_cmp_neq_f32_e32 vcc, v49, v6
	v_cmp_class_f32_e64 s[36:37], v49, s7
	s_or_b64 s[62:63], vcc, s[36:37]
	s_and_saveexec_b64 s[36:37], s[62:63]
	s_cbranch_execz .LBB92_117
; %bb.116:
	v_sub_f32_e32 v11, v49, v6
	s_mov_b32 s7, 0x3fb8aa3b
	v_mul_f32_e32 v48, 0x3fb8aa3b, v11
	v_fma_f32 v49, v11, s7, -v48
	v_rndne_f32_e32 v50, v48
	v_fmac_f32_e32 v49, 0x32a5705f, v11
	v_sub_f32_e32 v48, v48, v50
	v_add_f32_e32 v48, v48, v49
	v_exp_f32_e32 v48, v48
	v_cvt_i32_f32_e32 v49, v50
	s_mov_b32 s7, 0xc2ce8ed0
	v_cmp_ngt_f32_e32 vcc, s7, v11
	s_mov_b32 s7, 0x42b17218
	v_ldexp_f32 v48, v48, v49
	v_cndmask_b32_e32 v48, 0, v48, vcc
	v_mov_b32_e32 v50, 0x7f800000
	v_cmp_nlt_f32_e32 vcc, s7, v11
	v_cndmask_b32_e32 v11, v50, v48, vcc
	v_add_f32_e32 v51, 1.0, v11
	v_cvt_f64_f32_e32 v[48:49], v51
	v_add_f32_e32 v52, -1.0, v51
	v_sub_f32_e32 v53, v52, v51
	v_sub_f32_e32 v52, v11, v52
	v_frexp_exp_i32_f64_e32 v48, v[48:49]
	v_add_f32_e32 v49, 1.0, v53
	v_add_f32_e32 v49, v52, v49
	v_frexp_mant_f32_e32 v52, v51
	s_mov_b32 s61, 0x3f2aaaab
	v_cmp_gt_f32_e32 vcc, s61, v52
	s_mov_b32 s61, 0x3f317218
	s_mov_b32 s7, 0x7f800000
	v_subbrev_co_u32_e32 v48, vcc, 0, v48, vcc
	v_sub_u32_e32 v52, 0, v48
	v_ldexp_f32 v51, v51, v52
	v_ldexp_f32 v49, v49, v52
	v_add_f32_e32 v52, -1.0, v51
	v_add_f32_e32 v55, 1.0, v51
	v_add_f32_e32 v53, 1.0, v52
	v_add_f32_e32 v56, -1.0, v55
	v_sub_f32_e32 v53, v51, v53
	v_sub_f32_e32 v51, v51, v56
	v_add_f32_e32 v53, v49, v53
	v_add_f32_e32 v49, v49, v51
	;; [unrolled: 1-line block ×3, first 2 shown]
	v_rcp_f32_e32 v56, v51
	v_add_f32_e32 v54, v52, v53
	v_sub_f32_e32 v52, v52, v54
	v_add_f32_e32 v52, v53, v52
	v_sub_f32_e32 v53, v55, v51
	v_add_f32_e32 v49, v49, v53
	v_mul_f32_e32 v53, v54, v56
	v_mul_f32_e32 v55, v51, v53
	v_fma_f32 v57, v53, v51, -v55
	v_fmac_f32_e32 v57, v53, v49
	v_add_f32_e32 v58, v55, v57
	v_sub_f32_e32 v59, v54, v58
	v_sub_f32_e32 v54, v54, v59
	;; [unrolled: 1-line block ×4, first 2 shown]
	v_add_f32_e32 v52, v52, v54
	v_sub_f32_e32 v54, v55, v57
	v_add_f32_e32 v52, v54, v52
	v_add_f32_e32 v54, v59, v52
	v_mul_f32_e32 v55, v56, v54
	v_mul_f32_e32 v57, v51, v55
	v_fma_f32 v51, v55, v51, -v57
	v_fmac_f32_e32 v51, v55, v49
	v_sub_f32_e32 v49, v59, v54
	v_add_f32_e32 v49, v52, v49
	v_add_f32_e32 v52, v57, v51
	v_sub_f32_e32 v58, v54, v52
	v_sub_f32_e32 v54, v54, v58
	;; [unrolled: 1-line block ×4, first 2 shown]
	v_add_f32_e32 v49, v49, v52
	v_sub_f32_e32 v51, v57, v51
	v_add_f32_e32 v49, v51, v49
	v_add_f32_e32 v51, v53, v55
	;; [unrolled: 1-line block ×3, first 2 shown]
	v_sub_f32_e32 v52, v51, v53
	v_mul_f32_e32 v49, v56, v49
	v_sub_f32_e32 v52, v55, v52
	v_add_f32_e32 v49, v52, v49
	v_cvt_f32_i32_e32 v48, v48
	v_add_f32_e32 v52, v51, v49
	v_mul_f32_e32 v53, v52, v52
	v_mov_b32_e32 v54, 0x3ecc95a3
	v_fmac_f32_e32 v54, 0x3e9b6dac, v53
	v_mov_b32_e32 v55, 0x3f2aaada
	v_fmac_f32_e32 v55, v53, v54
	v_mul_f32_e32 v54, 0x3f317218, v48
	v_fma_f32 v56, v48, s61, -v54
	v_fmac_f32_e32 v56, 0xb102e308, v48
	v_sub_f32_e32 v48, v52, v51
	v_sub_f32_e32 v48, v49, v48
	v_add_f32_e32 v49, v54, v56
	v_sub_f32_e32 v51, v49, v54
	v_ldexp_f32 v54, v52, 1
	v_mul_f32_e32 v52, v52, v53
	v_mul_f32_e32 v52, v52, v55
	v_add_f32_e32 v53, v54, v52
	v_sub_f32_e32 v54, v53, v54
	v_ldexp_f32 v48, v48, 1
	v_sub_f32_e32 v52, v52, v54
	v_add_f32_e32 v48, v48, v52
	v_add_f32_e32 v52, v53, v48
	v_sub_f32_e32 v53, v52, v53
	v_sub_f32_e32 v48, v48, v53
	v_add_f32_e32 v53, v49, v52
	v_sub_f32_e32 v54, v53, v49
	v_sub_f32_e32 v55, v53, v54
	;; [unrolled: 1-line block ×5, first 2 shown]
	v_add_f32_e32 v49, v52, v49
	v_add_f32_e32 v52, v51, v48
	v_sub_f32_e32 v54, v52, v51
	v_sub_f32_e32 v55, v52, v54
	;; [unrolled: 1-line block ×4, first 2 shown]
	v_add_f32_e32 v49, v52, v49
	v_add_f32_e32 v48, v48, v51
	;; [unrolled: 1-line block ×3, first 2 shown]
	v_sub_f32_e32 v52, v51, v53
	v_sub_f32_e32 v49, v49, v52
	v_add_f32_e32 v48, v48, v49
	v_add_f32_e32 v48, v51, v48
	v_cmp_neq_f32_e32 vcc, s7, v11
	s_mov_b32 s7, 0x33800000
	v_cndmask_b32_e32 v48, v50, v48, vcc
	v_cmp_lt_f32_e64 vcc, |v11|, s7
	v_cndmask_b32_e32 v11, v48, v11, vcc
	v_add_f32_e32 v48, v6, v11
.LBB92_117:
	s_or_b64 exec, exec, s[36:37]
	v_mov_b32_e32 v6, v48
	v_mov_b32_e32 v11, v48
.LBB92_118:
	s_or_b64 exec, exec, s[58:59]
	v_cmp_gt_u32_e32 vcc, 60, v44
	s_waitcnt lgkmcnt(0)
	v_cndmask_b32_e64 v48, 0, 4, vcc
	v_add_lshl_u32 v48, v48, v5, 2
	ds_bpermute_b32 v50, v48, v6
	v_add_u32_e32 v49, 4, v44
	v_cmp_le_u32_e32 vcc, v49, v10
	s_and_saveexec_b64 s[58:59], vcc
	s_cbranch_execz .LBB92_122
; %bb.119:
	v_max_f32_e32 v6, v11, v11
	s_waitcnt lgkmcnt(0)
	v_max_f32_e32 v52, v50, v50
	v_min_f32_e32 v51, v52, v6
	v_cmp_u_f32_e32 vcc, v50, v50
	v_max_f32_e32 v6, v52, v6
	v_cndmask_b32_e32 v51, v51, v50, vcc
	v_cmp_u_f32_e64 s[36:37], v11, v11
	v_cndmask_b32_e32 v6, v6, v50, vcc
	v_cndmask_b32_e64 v51, v51, v11, s[36:37]
	v_cndmask_b32_e64 v6, v6, v11, s[36:37]
	s_movk_i32 s7, 0x1f8
	v_cmp_neq_f32_e32 vcc, v51, v6
	v_cmp_class_f32_e64 s[36:37], v51, s7
	s_or_b64 s[62:63], vcc, s[36:37]
	s_and_saveexec_b64 s[36:37], s[62:63]
	s_cbranch_execz .LBB92_121
; %bb.120:
	v_sub_f32_e32 v11, v51, v6
	s_mov_b32 s7, 0x3fb8aa3b
	v_mul_f32_e32 v50, 0x3fb8aa3b, v11
	v_fma_f32 v51, v11, s7, -v50
	v_rndne_f32_e32 v52, v50
	v_fmac_f32_e32 v51, 0x32a5705f, v11
	v_sub_f32_e32 v50, v50, v52
	v_add_f32_e32 v50, v50, v51
	v_exp_f32_e32 v50, v50
	v_cvt_i32_f32_e32 v51, v52
	s_mov_b32 s7, 0xc2ce8ed0
	v_cmp_ngt_f32_e32 vcc, s7, v11
	s_mov_b32 s7, 0x42b17218
	v_ldexp_f32 v50, v50, v51
	v_cndmask_b32_e32 v50, 0, v50, vcc
	v_mov_b32_e32 v52, 0x7f800000
	v_cmp_nlt_f32_e32 vcc, s7, v11
	v_cndmask_b32_e32 v11, v52, v50, vcc
	v_add_f32_e32 v53, 1.0, v11
	v_cvt_f64_f32_e32 v[50:51], v53
	v_add_f32_e32 v54, -1.0, v53
	v_sub_f32_e32 v55, v54, v53
	v_sub_f32_e32 v54, v11, v54
	v_frexp_exp_i32_f64_e32 v50, v[50:51]
	v_add_f32_e32 v51, 1.0, v55
	v_add_f32_e32 v51, v54, v51
	v_frexp_mant_f32_e32 v54, v53
	s_mov_b32 s61, 0x3f2aaaab
	v_cmp_gt_f32_e32 vcc, s61, v54
	s_mov_b32 s61, 0x3f317218
	s_mov_b32 s7, 0x7f800000
	v_subbrev_co_u32_e32 v50, vcc, 0, v50, vcc
	v_sub_u32_e32 v54, 0, v50
	v_ldexp_f32 v53, v53, v54
	v_ldexp_f32 v51, v51, v54
	v_add_f32_e32 v54, -1.0, v53
	v_add_f32_e32 v57, 1.0, v53
	v_add_f32_e32 v55, 1.0, v54
	v_add_f32_e32 v58, -1.0, v57
	v_sub_f32_e32 v55, v53, v55
	v_sub_f32_e32 v53, v53, v58
	v_add_f32_e32 v55, v51, v55
	v_add_f32_e32 v51, v51, v53
	;; [unrolled: 1-line block ×3, first 2 shown]
	v_rcp_f32_e32 v58, v53
	v_add_f32_e32 v56, v54, v55
	v_sub_f32_e32 v54, v54, v56
	v_add_f32_e32 v54, v55, v54
	v_sub_f32_e32 v55, v57, v53
	v_add_f32_e32 v51, v51, v55
	v_mul_f32_e32 v55, v56, v58
	v_mul_f32_e32 v57, v53, v55
	v_fma_f32 v59, v55, v53, -v57
	v_fmac_f32_e32 v59, v55, v51
	v_add_f32_e32 v60, v57, v59
	v_sub_f32_e32 v61, v56, v60
	v_sub_f32_e32 v56, v56, v61
	;; [unrolled: 1-line block ×4, first 2 shown]
	v_add_f32_e32 v54, v54, v56
	v_sub_f32_e32 v56, v57, v59
	v_add_f32_e32 v54, v56, v54
	v_add_f32_e32 v56, v61, v54
	v_mul_f32_e32 v57, v58, v56
	v_mul_f32_e32 v59, v53, v57
	v_fma_f32 v53, v57, v53, -v59
	v_fmac_f32_e32 v53, v57, v51
	v_sub_f32_e32 v51, v61, v56
	v_add_f32_e32 v51, v54, v51
	v_add_f32_e32 v54, v59, v53
	v_sub_f32_e32 v60, v56, v54
	v_sub_f32_e32 v56, v56, v60
	;; [unrolled: 1-line block ×4, first 2 shown]
	v_add_f32_e32 v51, v51, v54
	v_sub_f32_e32 v53, v59, v53
	v_add_f32_e32 v51, v53, v51
	v_add_f32_e32 v53, v55, v57
	;; [unrolled: 1-line block ×3, first 2 shown]
	v_sub_f32_e32 v54, v53, v55
	v_mul_f32_e32 v51, v58, v51
	v_sub_f32_e32 v54, v57, v54
	v_add_f32_e32 v51, v54, v51
	v_cvt_f32_i32_e32 v50, v50
	v_add_f32_e32 v54, v53, v51
	v_mul_f32_e32 v55, v54, v54
	v_mov_b32_e32 v56, 0x3ecc95a3
	v_fmac_f32_e32 v56, 0x3e9b6dac, v55
	v_mov_b32_e32 v57, 0x3f2aaada
	v_fmac_f32_e32 v57, v55, v56
	v_mul_f32_e32 v56, 0x3f317218, v50
	v_fma_f32 v58, v50, s61, -v56
	v_fmac_f32_e32 v58, 0xb102e308, v50
	v_sub_f32_e32 v50, v54, v53
	v_sub_f32_e32 v50, v51, v50
	v_add_f32_e32 v51, v56, v58
	v_sub_f32_e32 v53, v51, v56
	v_ldexp_f32 v56, v54, 1
	v_mul_f32_e32 v54, v54, v55
	v_mul_f32_e32 v54, v54, v57
	v_add_f32_e32 v55, v56, v54
	v_sub_f32_e32 v56, v55, v56
	v_ldexp_f32 v50, v50, 1
	v_sub_f32_e32 v54, v54, v56
	v_add_f32_e32 v50, v50, v54
	v_add_f32_e32 v54, v55, v50
	v_sub_f32_e32 v55, v54, v55
	v_sub_f32_e32 v50, v50, v55
	v_add_f32_e32 v55, v51, v54
	v_sub_f32_e32 v56, v55, v51
	v_sub_f32_e32 v57, v55, v56
	;; [unrolled: 1-line block ×5, first 2 shown]
	v_add_f32_e32 v51, v54, v51
	v_add_f32_e32 v54, v53, v50
	v_sub_f32_e32 v56, v54, v53
	v_sub_f32_e32 v57, v54, v56
	;; [unrolled: 1-line block ×4, first 2 shown]
	v_add_f32_e32 v51, v54, v51
	v_add_f32_e32 v50, v50, v53
	;; [unrolled: 1-line block ×3, first 2 shown]
	v_sub_f32_e32 v54, v53, v55
	v_sub_f32_e32 v51, v51, v54
	v_add_f32_e32 v50, v50, v51
	v_add_f32_e32 v50, v53, v50
	v_cmp_neq_f32_e32 vcc, s7, v11
	s_mov_b32 s7, 0x33800000
	v_cndmask_b32_e32 v50, v52, v50, vcc
	v_cmp_lt_f32_e64 vcc, |v11|, s7
	v_cndmask_b32_e32 v11, v50, v11, vcc
	v_add_f32_e32 v50, v6, v11
.LBB92_121:
	s_or_b64 exec, exec, s[36:37]
	v_mov_b32_e32 v6, v50
	v_mov_b32_e32 v11, v50
.LBB92_122:
	s_or_b64 exec, exec, s[58:59]
	v_cmp_gt_u32_e32 vcc, 56, v44
	s_waitcnt lgkmcnt(0)
	v_cndmask_b32_e64 v50, 0, 8, vcc
	v_add_lshl_u32 v50, v50, v5, 2
	ds_bpermute_b32 v52, v50, v6
	v_add_u32_e32 v51, 8, v44
	v_cmp_le_u32_e32 vcc, v51, v10
	s_and_saveexec_b64 s[58:59], vcc
	s_cbranch_execz .LBB92_126
; %bb.123:
	v_max_f32_e32 v6, v11, v11
	s_waitcnt lgkmcnt(0)
	v_max_f32_e32 v54, v52, v52
	v_min_f32_e32 v53, v54, v6
	v_cmp_u_f32_e32 vcc, v52, v52
	v_max_f32_e32 v6, v54, v6
	v_cndmask_b32_e32 v53, v53, v52, vcc
	v_cmp_u_f32_e64 s[36:37], v11, v11
	v_cndmask_b32_e32 v6, v6, v52, vcc
	v_cndmask_b32_e64 v53, v53, v11, s[36:37]
	v_cndmask_b32_e64 v6, v6, v11, s[36:37]
	s_movk_i32 s7, 0x1f8
	v_cmp_neq_f32_e32 vcc, v53, v6
	v_cmp_class_f32_e64 s[36:37], v53, s7
	s_or_b64 s[62:63], vcc, s[36:37]
	s_and_saveexec_b64 s[36:37], s[62:63]
	s_cbranch_execz .LBB92_125
; %bb.124:
	v_sub_f32_e32 v11, v53, v6
	s_mov_b32 s7, 0x3fb8aa3b
	v_mul_f32_e32 v52, 0x3fb8aa3b, v11
	v_fma_f32 v53, v11, s7, -v52
	v_rndne_f32_e32 v54, v52
	v_fmac_f32_e32 v53, 0x32a5705f, v11
	v_sub_f32_e32 v52, v52, v54
	v_add_f32_e32 v52, v52, v53
	v_exp_f32_e32 v52, v52
	v_cvt_i32_f32_e32 v53, v54
	s_mov_b32 s7, 0xc2ce8ed0
	v_cmp_ngt_f32_e32 vcc, s7, v11
	s_mov_b32 s7, 0x42b17218
	v_ldexp_f32 v52, v52, v53
	v_cndmask_b32_e32 v52, 0, v52, vcc
	v_mov_b32_e32 v54, 0x7f800000
	v_cmp_nlt_f32_e32 vcc, s7, v11
	v_cndmask_b32_e32 v11, v54, v52, vcc
	v_add_f32_e32 v55, 1.0, v11
	v_cvt_f64_f32_e32 v[52:53], v55
	v_add_f32_e32 v56, -1.0, v55
	v_sub_f32_e32 v57, v56, v55
	v_sub_f32_e32 v56, v11, v56
	v_frexp_exp_i32_f64_e32 v52, v[52:53]
	v_add_f32_e32 v53, 1.0, v57
	v_add_f32_e32 v53, v56, v53
	v_frexp_mant_f32_e32 v56, v55
	s_mov_b32 s61, 0x3f2aaaab
	v_cmp_gt_f32_e32 vcc, s61, v56
	s_mov_b32 s61, 0x3f317218
	s_mov_b32 s7, 0x7f800000
	v_subbrev_co_u32_e32 v52, vcc, 0, v52, vcc
	v_sub_u32_e32 v56, 0, v52
	v_ldexp_f32 v55, v55, v56
	v_ldexp_f32 v53, v53, v56
	v_add_f32_e32 v56, -1.0, v55
	v_add_f32_e32 v59, 1.0, v55
	v_add_f32_e32 v57, 1.0, v56
	v_add_f32_e32 v60, -1.0, v59
	v_sub_f32_e32 v57, v55, v57
	v_sub_f32_e32 v55, v55, v60
	v_add_f32_e32 v57, v53, v57
	v_add_f32_e32 v53, v53, v55
	v_add_f32_e32 v55, v59, v53
	v_rcp_f32_e32 v60, v55
	v_add_f32_e32 v58, v56, v57
	v_sub_f32_e32 v56, v56, v58
	v_add_f32_e32 v56, v57, v56
	v_sub_f32_e32 v57, v59, v55
	v_add_f32_e32 v53, v53, v57
	v_mul_f32_e32 v57, v58, v60
	v_mul_f32_e32 v59, v55, v57
	v_fma_f32 v61, v57, v55, -v59
	v_fmac_f32_e32 v61, v57, v53
	v_add_f32_e32 v62, v59, v61
	v_sub_f32_e32 v63, v58, v62
	v_sub_f32_e32 v58, v58, v63
	;; [unrolled: 1-line block ×4, first 2 shown]
	v_add_f32_e32 v56, v56, v58
	v_sub_f32_e32 v58, v59, v61
	v_add_f32_e32 v56, v58, v56
	v_add_f32_e32 v58, v63, v56
	v_mul_f32_e32 v59, v60, v58
	v_mul_f32_e32 v61, v55, v59
	v_fma_f32 v55, v59, v55, -v61
	v_fmac_f32_e32 v55, v59, v53
	v_sub_f32_e32 v53, v63, v58
	v_add_f32_e32 v53, v56, v53
	v_add_f32_e32 v56, v61, v55
	v_sub_f32_e32 v62, v58, v56
	v_sub_f32_e32 v58, v58, v62
	v_sub_f32_e32 v61, v56, v61
	v_sub_f32_e32 v56, v58, v56
	v_add_f32_e32 v53, v53, v56
	v_sub_f32_e32 v55, v61, v55
	v_add_f32_e32 v53, v55, v53
	v_add_f32_e32 v55, v57, v59
	;; [unrolled: 1-line block ×3, first 2 shown]
	v_sub_f32_e32 v56, v55, v57
	v_mul_f32_e32 v53, v60, v53
	v_sub_f32_e32 v56, v59, v56
	v_add_f32_e32 v53, v56, v53
	v_cvt_f32_i32_e32 v52, v52
	v_add_f32_e32 v56, v55, v53
	v_mul_f32_e32 v57, v56, v56
	v_mov_b32_e32 v58, 0x3ecc95a3
	v_fmac_f32_e32 v58, 0x3e9b6dac, v57
	v_mov_b32_e32 v59, 0x3f2aaada
	v_fmac_f32_e32 v59, v57, v58
	v_mul_f32_e32 v58, 0x3f317218, v52
	v_fma_f32 v60, v52, s61, -v58
	v_fmac_f32_e32 v60, 0xb102e308, v52
	v_sub_f32_e32 v52, v56, v55
	v_sub_f32_e32 v52, v53, v52
	v_add_f32_e32 v53, v58, v60
	v_sub_f32_e32 v55, v53, v58
	v_ldexp_f32 v58, v56, 1
	v_mul_f32_e32 v56, v56, v57
	v_mul_f32_e32 v56, v56, v59
	v_add_f32_e32 v57, v58, v56
	v_sub_f32_e32 v58, v57, v58
	v_ldexp_f32 v52, v52, 1
	v_sub_f32_e32 v56, v56, v58
	v_add_f32_e32 v52, v52, v56
	v_add_f32_e32 v56, v57, v52
	v_sub_f32_e32 v57, v56, v57
	v_sub_f32_e32 v52, v52, v57
	v_add_f32_e32 v57, v53, v56
	v_sub_f32_e32 v58, v57, v53
	v_sub_f32_e32 v59, v57, v58
	;; [unrolled: 1-line block ×5, first 2 shown]
	v_add_f32_e32 v53, v56, v53
	v_add_f32_e32 v56, v55, v52
	v_sub_f32_e32 v58, v56, v55
	v_sub_f32_e32 v59, v56, v58
	;; [unrolled: 1-line block ×4, first 2 shown]
	v_add_f32_e32 v53, v56, v53
	v_add_f32_e32 v52, v52, v55
	;; [unrolled: 1-line block ×3, first 2 shown]
	v_sub_f32_e32 v56, v55, v57
	v_sub_f32_e32 v53, v53, v56
	v_add_f32_e32 v52, v52, v53
	v_add_f32_e32 v52, v55, v52
	v_cmp_neq_f32_e32 vcc, s7, v11
	s_mov_b32 s7, 0x33800000
	v_cndmask_b32_e32 v52, v54, v52, vcc
	v_cmp_lt_f32_e64 vcc, |v11|, s7
	v_cndmask_b32_e32 v11, v52, v11, vcc
	v_add_f32_e32 v52, v6, v11
.LBB92_125:
	s_or_b64 exec, exec, s[36:37]
	v_mov_b32_e32 v6, v52
	v_mov_b32_e32 v11, v52
.LBB92_126:
	s_or_b64 exec, exec, s[58:59]
	v_cmp_gt_u32_e32 vcc, 48, v44
	s_waitcnt lgkmcnt(0)
	v_cndmask_b32_e64 v52, 0, 16, vcc
	v_add_lshl_u32 v52, v52, v5, 2
	ds_bpermute_b32 v54, v52, v6
	v_add_u32_e32 v53, 16, v44
	v_cmp_le_u32_e32 vcc, v53, v10
	s_and_saveexec_b64 s[58:59], vcc
	s_cbranch_execz .LBB92_130
; %bb.127:
	v_max_f32_e32 v6, v11, v11
	s_waitcnt lgkmcnt(0)
	v_max_f32_e32 v56, v54, v54
	v_min_f32_e32 v55, v56, v6
	v_cmp_u_f32_e32 vcc, v54, v54
	v_max_f32_e32 v6, v56, v6
	v_cndmask_b32_e32 v55, v55, v54, vcc
	v_cmp_u_f32_e64 s[36:37], v11, v11
	v_cndmask_b32_e32 v6, v6, v54, vcc
	v_cndmask_b32_e64 v55, v55, v11, s[36:37]
	v_cndmask_b32_e64 v6, v6, v11, s[36:37]
	s_movk_i32 s7, 0x1f8
	v_cmp_neq_f32_e32 vcc, v55, v6
	v_cmp_class_f32_e64 s[36:37], v55, s7
	s_or_b64 s[62:63], vcc, s[36:37]
	s_and_saveexec_b64 s[36:37], s[62:63]
	s_cbranch_execz .LBB92_129
; %bb.128:
	v_sub_f32_e32 v11, v55, v6
	s_mov_b32 s7, 0x3fb8aa3b
	v_mul_f32_e32 v54, 0x3fb8aa3b, v11
	v_fma_f32 v55, v11, s7, -v54
	v_rndne_f32_e32 v56, v54
	v_fmac_f32_e32 v55, 0x32a5705f, v11
	v_sub_f32_e32 v54, v54, v56
	v_add_f32_e32 v54, v54, v55
	v_exp_f32_e32 v54, v54
	v_cvt_i32_f32_e32 v55, v56
	s_mov_b32 s7, 0xc2ce8ed0
	v_cmp_ngt_f32_e32 vcc, s7, v11
	s_mov_b32 s7, 0x42b17218
	v_ldexp_f32 v54, v54, v55
	v_cndmask_b32_e32 v54, 0, v54, vcc
	v_mov_b32_e32 v56, 0x7f800000
	v_cmp_nlt_f32_e32 vcc, s7, v11
	v_cndmask_b32_e32 v11, v56, v54, vcc
	v_add_f32_e32 v57, 1.0, v11
	v_cvt_f64_f32_e32 v[54:55], v57
	v_add_f32_e32 v58, -1.0, v57
	v_sub_f32_e32 v59, v58, v57
	v_sub_f32_e32 v58, v11, v58
	v_frexp_exp_i32_f64_e32 v54, v[54:55]
	v_add_f32_e32 v55, 1.0, v59
	v_add_f32_e32 v55, v58, v55
	v_frexp_mant_f32_e32 v58, v57
	s_mov_b32 s61, 0x3f2aaaab
	v_cmp_gt_f32_e32 vcc, s61, v58
	s_mov_b32 s61, 0x3f317218
	s_mov_b32 s7, 0x7f800000
	v_subbrev_co_u32_e32 v54, vcc, 0, v54, vcc
	v_sub_u32_e32 v58, 0, v54
	v_ldexp_f32 v57, v57, v58
	v_ldexp_f32 v55, v55, v58
	v_add_f32_e32 v58, -1.0, v57
	v_add_f32_e32 v61, 1.0, v57
	v_add_f32_e32 v59, 1.0, v58
	v_add_f32_e32 v62, -1.0, v61
	v_sub_f32_e32 v59, v57, v59
	v_sub_f32_e32 v57, v57, v62
	v_add_f32_e32 v59, v55, v59
	v_add_f32_e32 v55, v55, v57
	;; [unrolled: 1-line block ×3, first 2 shown]
	v_rcp_f32_e32 v62, v57
	v_add_f32_e32 v60, v58, v59
	v_sub_f32_e32 v58, v58, v60
	v_add_f32_e32 v58, v59, v58
	v_sub_f32_e32 v59, v61, v57
	v_add_f32_e32 v55, v55, v59
	v_mul_f32_e32 v59, v60, v62
	v_mul_f32_e32 v61, v57, v59
	v_fma_f32 v63, v59, v57, -v61
	v_fmac_f32_e32 v63, v59, v55
	v_add_f32_e32 v64, v61, v63
	v_sub_f32_e32 v65, v60, v64
	v_sub_f32_e32 v60, v60, v65
	;; [unrolled: 1-line block ×4, first 2 shown]
	v_add_f32_e32 v58, v58, v60
	v_sub_f32_e32 v60, v61, v63
	v_add_f32_e32 v58, v60, v58
	v_add_f32_e32 v60, v65, v58
	v_mul_f32_e32 v61, v62, v60
	v_mul_f32_e32 v63, v57, v61
	v_fma_f32 v57, v61, v57, -v63
	v_fmac_f32_e32 v57, v61, v55
	v_sub_f32_e32 v55, v65, v60
	v_add_f32_e32 v55, v58, v55
	v_add_f32_e32 v58, v63, v57
	v_sub_f32_e32 v64, v60, v58
	v_sub_f32_e32 v60, v60, v64
	;; [unrolled: 1-line block ×4, first 2 shown]
	v_add_f32_e32 v55, v55, v58
	v_sub_f32_e32 v57, v63, v57
	v_add_f32_e32 v55, v57, v55
	v_add_f32_e32 v57, v59, v61
	;; [unrolled: 1-line block ×3, first 2 shown]
	v_sub_f32_e32 v58, v57, v59
	v_mul_f32_e32 v55, v62, v55
	v_sub_f32_e32 v58, v61, v58
	v_add_f32_e32 v55, v58, v55
	v_cvt_f32_i32_e32 v54, v54
	v_add_f32_e32 v58, v57, v55
	v_mul_f32_e32 v59, v58, v58
	v_mov_b32_e32 v60, 0x3ecc95a3
	v_fmac_f32_e32 v60, 0x3e9b6dac, v59
	v_mov_b32_e32 v61, 0x3f2aaada
	v_fmac_f32_e32 v61, v59, v60
	v_mul_f32_e32 v60, 0x3f317218, v54
	v_fma_f32 v62, v54, s61, -v60
	v_fmac_f32_e32 v62, 0xb102e308, v54
	v_sub_f32_e32 v54, v58, v57
	v_sub_f32_e32 v54, v55, v54
	v_add_f32_e32 v55, v60, v62
	v_sub_f32_e32 v57, v55, v60
	v_ldexp_f32 v60, v58, 1
	v_mul_f32_e32 v58, v58, v59
	v_mul_f32_e32 v58, v58, v61
	v_add_f32_e32 v59, v60, v58
	v_sub_f32_e32 v60, v59, v60
	v_ldexp_f32 v54, v54, 1
	v_sub_f32_e32 v58, v58, v60
	v_add_f32_e32 v54, v54, v58
	v_add_f32_e32 v58, v59, v54
	v_sub_f32_e32 v59, v58, v59
	v_sub_f32_e32 v54, v54, v59
	v_add_f32_e32 v59, v55, v58
	v_sub_f32_e32 v60, v59, v55
	v_sub_f32_e32 v61, v59, v60
	;; [unrolled: 1-line block ×5, first 2 shown]
	v_add_f32_e32 v55, v58, v55
	v_add_f32_e32 v58, v57, v54
	v_sub_f32_e32 v60, v58, v57
	v_sub_f32_e32 v61, v58, v60
	;; [unrolled: 1-line block ×4, first 2 shown]
	v_add_f32_e32 v55, v58, v55
	v_add_f32_e32 v54, v54, v57
	;; [unrolled: 1-line block ×3, first 2 shown]
	v_sub_f32_e32 v58, v57, v59
	v_sub_f32_e32 v55, v55, v58
	v_add_f32_e32 v54, v54, v55
	v_add_f32_e32 v54, v57, v54
	v_cmp_neq_f32_e32 vcc, s7, v11
	s_mov_b32 s7, 0x33800000
	v_cndmask_b32_e32 v54, v56, v54, vcc
	v_cmp_lt_f32_e64 vcc, |v11|, s7
	v_cndmask_b32_e32 v11, v54, v11, vcc
	v_add_f32_e32 v54, v6, v11
.LBB92_129:
	s_or_b64 exec, exec, s[36:37]
	v_mov_b32_e32 v6, v54
	v_mov_b32_e32 v11, v54
.LBB92_130:
	s_or_b64 exec, exec, s[58:59]
	s_waitcnt lgkmcnt(0)
	v_mov_b32_e32 v54, 0x80
	v_lshl_or_b32 v55, v5, 2, v54
	ds_bpermute_b32 v6, v55, v6
	v_add_u32_e32 v56, 32, v44
	v_cmp_le_u32_e32 vcc, v56, v10
	s_and_saveexec_b64 s[58:59], vcc
	s_cbranch_execz .LBB92_134
; %bb.131:
	v_max_f32_e32 v5, v11, v11
	s_waitcnt lgkmcnt(0)
	v_max_f32_e32 v54, v6, v6
	v_min_f32_e32 v10, v54, v5
	v_cmp_u_f32_e32 vcc, v6, v6
	v_max_f32_e32 v5, v54, v5
	v_cndmask_b32_e32 v10, v10, v6, vcc
	v_cmp_u_f32_e64 s[36:37], v11, v11
	v_cndmask_b32_e32 v5, v5, v6, vcc
	v_cndmask_b32_e64 v10, v10, v11, s[36:37]
	v_cndmask_b32_e64 v5, v5, v11, s[36:37]
	s_movk_i32 s7, 0x1f8
	v_cmp_neq_f32_e32 vcc, v10, v5
	v_cmp_class_f32_e64 s[36:37], v10, s7
	s_or_b64 s[62:63], vcc, s[36:37]
	s_and_saveexec_b64 s[36:37], s[62:63]
	s_cbranch_execz .LBB92_133
; %bb.132:
	v_sub_f32_e32 v6, v10, v5
	s_mov_b32 s7, 0x3fb8aa3b
	v_mul_f32_e32 v10, 0x3fb8aa3b, v6
	v_fma_f32 v11, v6, s7, -v10
	v_rndne_f32_e32 v54, v10
	v_fmac_f32_e32 v11, 0x32a5705f, v6
	v_sub_f32_e32 v10, v10, v54
	v_add_f32_e32 v10, v10, v11
	v_exp_f32_e32 v10, v10
	v_cvt_i32_f32_e32 v11, v54
	s_mov_b32 s7, 0xc2ce8ed0
	v_cmp_ngt_f32_e32 vcc, s7, v6
	s_mov_b32 s7, 0x42b17218
	v_ldexp_f32 v10, v10, v11
	v_cndmask_b32_e32 v10, 0, v10, vcc
	v_mov_b32_e32 v54, 0x7f800000
	v_cmp_nlt_f32_e32 vcc, s7, v6
	v_cndmask_b32_e32 v6, v54, v10, vcc
	v_add_f32_e32 v57, 1.0, v6
	v_cvt_f64_f32_e32 v[10:11], v57
	v_add_f32_e32 v58, -1.0, v57
	v_sub_f32_e32 v59, v58, v57
	v_sub_f32_e32 v58, v6, v58
	v_frexp_exp_i32_f64_e32 v10, v[10:11]
	v_add_f32_e32 v11, 1.0, v59
	v_add_f32_e32 v11, v58, v11
	v_frexp_mant_f32_e32 v58, v57
	s_mov_b32 s61, 0x3f2aaaab
	v_cmp_gt_f32_e32 vcc, s61, v58
	s_mov_b32 s61, 0x3f317218
	s_mov_b32 s7, 0x7f800000
	v_subbrev_co_u32_e32 v10, vcc, 0, v10, vcc
	v_sub_u32_e32 v58, 0, v10
	v_ldexp_f32 v57, v57, v58
	v_ldexp_f32 v11, v11, v58
	v_add_f32_e32 v58, -1.0, v57
	v_add_f32_e32 v61, 1.0, v57
	v_add_f32_e32 v59, 1.0, v58
	v_add_f32_e32 v62, -1.0, v61
	v_sub_f32_e32 v59, v57, v59
	v_sub_f32_e32 v57, v57, v62
	v_add_f32_e32 v59, v11, v59
	v_add_f32_e32 v11, v11, v57
	;; [unrolled: 1-line block ×3, first 2 shown]
	v_rcp_f32_e32 v62, v57
	v_add_f32_e32 v60, v58, v59
	v_sub_f32_e32 v58, v58, v60
	v_add_f32_e32 v58, v59, v58
	v_sub_f32_e32 v59, v61, v57
	v_add_f32_e32 v11, v11, v59
	v_mul_f32_e32 v59, v60, v62
	v_mul_f32_e32 v61, v57, v59
	v_fma_f32 v63, v59, v57, -v61
	v_fmac_f32_e32 v63, v59, v11
	v_add_f32_e32 v64, v61, v63
	v_sub_f32_e32 v65, v60, v64
	v_sub_f32_e32 v60, v60, v65
	v_sub_f32_e32 v61, v64, v61
	v_sub_f32_e32 v60, v60, v64
	v_add_f32_e32 v58, v58, v60
	v_sub_f32_e32 v60, v61, v63
	v_add_f32_e32 v58, v60, v58
	v_add_f32_e32 v60, v65, v58
	v_mul_f32_e32 v61, v62, v60
	v_mul_f32_e32 v63, v57, v61
	v_fma_f32 v57, v61, v57, -v63
	v_fmac_f32_e32 v57, v61, v11
	v_sub_f32_e32 v11, v65, v60
	v_add_f32_e32 v11, v58, v11
	v_add_f32_e32 v58, v63, v57
	v_sub_f32_e32 v64, v60, v58
	v_sub_f32_e32 v60, v60, v64
	v_sub_f32_e32 v63, v58, v63
	v_sub_f32_e32 v58, v60, v58
	v_add_f32_e32 v11, v11, v58
	v_sub_f32_e32 v57, v63, v57
	v_add_f32_e32 v11, v57, v11
	v_add_f32_e32 v57, v59, v61
	;; [unrolled: 1-line block ×3, first 2 shown]
	v_sub_f32_e32 v58, v57, v59
	v_mul_f32_e32 v11, v62, v11
	v_sub_f32_e32 v58, v61, v58
	v_add_f32_e32 v11, v58, v11
	v_cvt_f32_i32_e32 v10, v10
	v_add_f32_e32 v58, v57, v11
	v_mul_f32_e32 v59, v58, v58
	v_mov_b32_e32 v60, 0x3ecc95a3
	v_fmac_f32_e32 v60, 0x3e9b6dac, v59
	v_mov_b32_e32 v61, 0x3f2aaada
	v_fmac_f32_e32 v61, v59, v60
	v_mul_f32_e32 v60, 0x3f317218, v10
	v_fma_f32 v62, v10, s61, -v60
	v_fmac_f32_e32 v62, 0xb102e308, v10
	v_sub_f32_e32 v10, v58, v57
	v_sub_f32_e32 v10, v11, v10
	v_add_f32_e32 v11, v60, v62
	v_sub_f32_e32 v57, v11, v60
	v_ldexp_f32 v60, v58, 1
	v_mul_f32_e32 v58, v58, v59
	v_mul_f32_e32 v58, v58, v61
	v_add_f32_e32 v59, v60, v58
	v_sub_f32_e32 v60, v59, v60
	v_ldexp_f32 v10, v10, 1
	v_sub_f32_e32 v58, v58, v60
	v_add_f32_e32 v10, v10, v58
	v_add_f32_e32 v58, v59, v10
	v_sub_f32_e32 v59, v58, v59
	v_sub_f32_e32 v10, v10, v59
	v_add_f32_e32 v59, v11, v58
	v_sub_f32_e32 v60, v59, v11
	v_sub_f32_e32 v61, v59, v60
	;; [unrolled: 1-line block ×5, first 2 shown]
	v_add_f32_e32 v11, v58, v11
	v_add_f32_e32 v58, v57, v10
	v_sub_f32_e32 v60, v58, v57
	v_sub_f32_e32 v61, v58, v60
	;; [unrolled: 1-line block ×4, first 2 shown]
	v_add_f32_e32 v11, v58, v11
	v_add_f32_e32 v10, v10, v57
	;; [unrolled: 1-line block ×3, first 2 shown]
	v_sub_f32_e32 v58, v57, v59
	v_sub_f32_e32 v11, v11, v58
	v_add_f32_e32 v10, v10, v11
	v_add_f32_e32 v10, v57, v10
	v_cmp_neq_f32_e32 vcc, s7, v6
	s_mov_b32 s7, 0x33800000
	v_cndmask_b32_e32 v10, v54, v10, vcc
	v_cmp_lt_f32_e64 vcc, |v6|, s7
	v_cndmask_b32_e32 v6, v10, v6, vcc
	v_add_f32_e32 v6, v5, v6
.LBB92_133:
	s_or_b64 exec, exec, s[36:37]
	v_mov_b32_e32 v11, v6
.LBB92_134:
	s_or_b64 exec, exec, s[58:59]
	v_mov_b32_e32 v5, 0
	s_movk_i32 s7, 0x1f8
	s_mov_b32 s61, 0x3fb8aa3b
	s_mov_b32 s62, 0xc2ce8ed0
	;; [unrolled: 1-line block ×5, first 2 shown]
	v_mov_b32_e32 v57, 0x3f2aaada
	s_mov_b32 s66, 0x3f317218
	s_mov_b32 s67, 0x33800000
	v_mov_b32_e32 v58, 2
	v_mov_b32_e32 v59, 0x7f800000
	s_branch .LBB92_137
.LBB92_135:                             ;   in Loop: Header=BB92_137 Depth=1
	s_or_b64 exec, exec, s[36:37]
	v_subrev_u32_e32 v4, 64, v4
	s_mov_b64 s[36:37], 0
.LBB92_136:                             ;   in Loop: Header=BB92_137 Depth=1
	s_and_b64 vcc, exec, s[36:37]
	s_cbranch_vccnz .LBB92_169
.LBB92_137:                             ; =>This Loop Header: Depth=1
                                        ;     Child Loop BB92_140 Depth 2
	v_cmp_ne_u16_sdwa s[36:37], v7, v58 src0_sel:BYTE_0 src1_sel:DWORD
	v_mov_b32_e32 v54, v11
	s_cmp_lg_u64 s[36:37], exec
	s_mov_b64 s[36:37], -1
                                        ; implicit-def: $vgpr11
                                        ; implicit-def: $vgpr7
	s_cbranch_scc1 .LBB92_136
; %bb.138:                              ;   in Loop: Header=BB92_137 Depth=1
	s_waitcnt lgkmcnt(0)
	v_lshlrev_b64 v[6:7], 3, v[4:5]
	v_mov_b32_e32 v11, s55
	v_add_co_u32_e32 v10, vcc, s54, v6
	v_addc_co_u32_e32 v11, vcc, v11, v7, vcc
	global_load_dwordx2 v[6:7], v[10:11], off glc
	s_waitcnt vmcnt(0)
	v_cmp_eq_u16_sdwa s[58:59], v7, v5 src0_sel:BYTE_0 src1_sel:DWORD
	s_and_saveexec_b64 s[36:37], s[58:59]
	s_cbranch_execz .LBB92_142
; %bb.139:                              ;   in Loop: Header=BB92_137 Depth=1
	s_mov_b64 s[58:59], 0
.LBB92_140:                             ;   Parent Loop BB92_137 Depth=1
                                        ; =>  This Inner Loop Header: Depth=2
	global_load_dwordx2 v[6:7], v[10:11], off glc
	s_waitcnt vmcnt(0)
	v_cmp_ne_u16_sdwa s[68:69], v7, v5 src0_sel:BYTE_0 src1_sel:DWORD
	s_or_b64 s[58:59], s[68:69], s[58:59]
	s_andn2_b64 exec, exec, s[58:59]
	s_cbranch_execnz .LBB92_140
; %bb.141:                              ;   in Loop: Header=BB92_137 Depth=1
	s_or_b64 exec, exec, s[58:59]
.LBB92_142:                             ;   in Loop: Header=BB92_137 Depth=1
	s_or_b64 exec, exec, s[36:37]
	v_cmp_eq_u16_sdwa s[36:37], v7, v58 src0_sel:BYTE_0 src1_sel:DWORD
	v_and_b32_e32 v10, s37, v9
	v_or_b32_e32 v10, 0x80000000, v10
	ds_bpermute_b32 v60, v45, v6
	v_and_b32_e32 v11, s36, v8
	v_ffbl_b32_e32 v10, v10
	v_add_u32_e32 v10, 32, v10
	v_ffbl_b32_e32 v11, v11
	v_min_u32_e32 v10, v11, v10
	v_cmp_lt_u32_e32 vcc, v44, v10
	v_mov_b32_e32 v11, v6
	s_and_saveexec_b64 s[58:59], vcc
	s_cbranch_execz .LBB92_146
; %bb.143:                              ;   in Loop: Header=BB92_137 Depth=1
	v_max_f32_e32 v61, v6, v6
	s_waitcnt lgkmcnt(0)
	v_max_f32_e32 v62, v60, v60
	v_min_f32_e32 v11, v62, v61
	v_cmp_u_f32_e32 vcc, v60, v60
	v_max_f32_e32 v61, v62, v61
	v_cndmask_b32_e32 v11, v11, v60, vcc
	v_cmp_u_f32_e64 s[36:37], v6, v6
	v_cndmask_b32_e32 v61, v61, v60, vcc
	v_cndmask_b32_e64 v11, v11, v6, s[36:37]
	v_cndmask_b32_e64 v6, v61, v6, s[36:37]
	v_cmp_neq_f32_e32 vcc, v11, v6
	v_cmp_class_f32_e64 s[36:37], v11, s7
	s_or_b64 s[68:69], vcc, s[36:37]
	s_and_saveexec_b64 s[36:37], s[68:69]
	s_cbranch_execz .LBB92_145
; %bb.144:                              ;   in Loop: Header=BB92_137 Depth=1
	v_sub_f32_e32 v11, v11, v6
	v_mul_f32_e32 v60, 0x3fb8aa3b, v11
	v_fma_f32 v61, v11, s61, -v60
	v_rndne_f32_e32 v62, v60
	v_fmac_f32_e32 v61, 0x32a5705f, v11
	v_sub_f32_e32 v60, v60, v62
	v_add_f32_e32 v60, v60, v61
	v_cvt_i32_f32_e32 v61, v62
	v_exp_f32_e32 v60, v60
	v_cmp_ngt_f32_e32 vcc, s62, v11
	v_ldexp_f32 v60, v60, v61
	v_cndmask_b32_e32 v60, 0, v60, vcc
	v_cmp_nlt_f32_e32 vcc, s63, v11
	v_cndmask_b32_e32 v11, v59, v60, vcc
	v_add_f32_e32 v62, 1.0, v11
	v_cvt_f64_f32_e32 v[60:61], v62
	v_add_f32_e32 v63, -1.0, v62
	v_sub_f32_e32 v64, v63, v62
	v_sub_f32_e32 v63, v11, v63
	v_frexp_exp_i32_f64_e32 v60, v[60:61]
	v_frexp_mant_f32_e32 v61, v62
	v_cmp_gt_f32_e32 vcc, s65, v61
	v_add_f32_e32 v64, 1.0, v64
	v_add_f32_e32 v63, v63, v64
	v_subbrev_co_u32_e32 v60, vcc, 0, v60, vcc
	v_sub_u32_e32 v61, 0, v60
	v_ldexp_f32 v62, v62, v61
	v_ldexp_f32 v61, v63, v61
	v_add_f32_e32 v63, -1.0, v62
	v_add_f32_e32 v66, 1.0, v62
	v_add_f32_e32 v64, 1.0, v63
	v_add_f32_e32 v67, -1.0, v66
	v_sub_f32_e32 v64, v62, v64
	v_sub_f32_e32 v62, v62, v67
	v_add_f32_e32 v64, v61, v64
	v_add_f32_e32 v61, v61, v62
	;; [unrolled: 1-line block ×3, first 2 shown]
	v_rcp_f32_e32 v67, v62
	v_add_f32_e32 v65, v63, v64
	v_sub_f32_e32 v63, v63, v65
	v_add_f32_e32 v63, v64, v63
	v_sub_f32_e32 v64, v66, v62
	v_add_f32_e32 v61, v61, v64
	v_mul_f32_e32 v64, v65, v67
	v_mul_f32_e32 v66, v62, v64
	v_fma_f32 v68, v64, v62, -v66
	v_fmac_f32_e32 v68, v64, v61
	v_add_f32_e32 v69, v66, v68
	v_sub_f32_e32 v70, v65, v69
	v_sub_f32_e32 v65, v65, v70
	;; [unrolled: 1-line block ×4, first 2 shown]
	v_add_f32_e32 v63, v63, v65
	v_sub_f32_e32 v65, v66, v68
	v_add_f32_e32 v63, v65, v63
	v_add_f32_e32 v65, v70, v63
	v_mul_f32_e32 v66, v67, v65
	v_mul_f32_e32 v68, v62, v66
	v_fma_f32 v62, v66, v62, -v68
	v_fmac_f32_e32 v62, v66, v61
	v_sub_f32_e32 v61, v70, v65
	v_add_f32_e32 v61, v63, v61
	v_add_f32_e32 v63, v68, v62
	v_sub_f32_e32 v69, v65, v63
	v_sub_f32_e32 v65, v65, v69
	;; [unrolled: 1-line block ×4, first 2 shown]
	v_add_f32_e32 v61, v61, v63
	v_sub_f32_e32 v62, v68, v62
	v_cvt_f32_i32_e32 v60, v60
	v_add_f32_e32 v61, v62, v61
	v_add_f32_e32 v62, v64, v66
	;; [unrolled: 1-line block ×3, first 2 shown]
	v_sub_f32_e32 v63, v62, v64
	v_mul_f32_e32 v61, v67, v61
	v_sub_f32_e32 v63, v66, v63
	v_add_f32_e32 v61, v63, v61
	v_mul_f32_e32 v66, 0x3f317218, v60
	v_add_f32_e32 v63, v62, v61
	v_fma_f32 v67, v60, s66, -v66
	v_mul_f32_e32 v64, v63, v63
	v_mov_b32_e32 v65, 0x3ecc95a3
	v_fmac_f32_e32 v67, 0xb102e308, v60
	v_sub_f32_e32 v60, v63, v62
	v_fmac_f32_e32 v65, 0x3e9b6dac, v64
	v_sub_f32_e32 v60, v61, v60
	v_add_f32_e32 v61, v66, v67
	v_fma_f32 v65, v64, v65, v57
	v_sub_f32_e32 v62, v61, v66
	v_ldexp_f32 v66, v63, 1
	v_mul_f32_e32 v63, v63, v64
	v_mul_f32_e32 v63, v63, v65
	v_add_f32_e32 v64, v66, v63
	v_sub_f32_e32 v65, v64, v66
	v_ldexp_f32 v60, v60, 1
	v_sub_f32_e32 v63, v63, v65
	v_add_f32_e32 v60, v60, v63
	v_add_f32_e32 v63, v64, v60
	v_sub_f32_e32 v64, v63, v64
	v_sub_f32_e32 v60, v60, v64
	v_add_f32_e32 v64, v61, v63
	v_sub_f32_e32 v65, v64, v61
	v_sub_f32_e32 v66, v64, v65
	;; [unrolled: 1-line block ×5, first 2 shown]
	v_add_f32_e32 v61, v63, v61
	v_add_f32_e32 v63, v62, v60
	v_sub_f32_e32 v65, v63, v62
	v_sub_f32_e32 v66, v63, v65
	;; [unrolled: 1-line block ×4, first 2 shown]
	v_add_f32_e32 v61, v63, v61
	v_add_f32_e32 v60, v60, v62
	;; [unrolled: 1-line block ×3, first 2 shown]
	v_sub_f32_e32 v63, v62, v64
	v_sub_f32_e32 v61, v61, v63
	v_add_f32_e32 v60, v60, v61
	v_add_f32_e32 v60, v62, v60
	v_cmp_neq_f32_e32 vcc, s64, v11
	v_cndmask_b32_e32 v60, v59, v60, vcc
	v_cmp_lt_f32_e64 vcc, |v11|, s67
	v_cndmask_b32_e32 v11, v60, v11, vcc
	v_add_f32_e32 v60, v6, v11
.LBB92_145:                             ;   in Loop: Header=BB92_137 Depth=1
	s_or_b64 exec, exec, s[36:37]
	v_mov_b32_e32 v6, v60
	v_mov_b32_e32 v11, v60
.LBB92_146:                             ;   in Loop: Header=BB92_137 Depth=1
	s_or_b64 exec, exec, s[58:59]
	s_waitcnt lgkmcnt(0)
	ds_bpermute_b32 v60, v46, v6
	v_cmp_le_u32_e32 vcc, v47, v10
	s_and_saveexec_b64 s[58:59], vcc
	s_cbranch_execz .LBB92_150
; %bb.147:                              ;   in Loop: Header=BB92_137 Depth=1
	v_max_f32_e32 v6, v11, v11
	s_waitcnt lgkmcnt(0)
	v_max_f32_e32 v62, v60, v60
	v_min_f32_e32 v61, v62, v6
	v_cmp_u_f32_e32 vcc, v60, v60
	v_max_f32_e32 v6, v62, v6
	v_cndmask_b32_e32 v61, v61, v60, vcc
	v_cmp_u_f32_e64 s[36:37], v11, v11
	v_cndmask_b32_e32 v6, v6, v60, vcc
	v_cndmask_b32_e64 v61, v61, v11, s[36:37]
	v_cndmask_b32_e64 v6, v6, v11, s[36:37]
	v_cmp_neq_f32_e32 vcc, v61, v6
	v_cmp_class_f32_e64 s[36:37], v61, s7
	s_or_b64 s[68:69], vcc, s[36:37]
	s_and_saveexec_b64 s[36:37], s[68:69]
	s_cbranch_execz .LBB92_149
; %bb.148:                              ;   in Loop: Header=BB92_137 Depth=1
	v_sub_f32_e32 v11, v61, v6
	v_mul_f32_e32 v60, 0x3fb8aa3b, v11
	v_fma_f32 v61, v11, s61, -v60
	v_rndne_f32_e32 v62, v60
	v_fmac_f32_e32 v61, 0x32a5705f, v11
	v_sub_f32_e32 v60, v60, v62
	v_add_f32_e32 v60, v60, v61
	v_cvt_i32_f32_e32 v61, v62
	v_exp_f32_e32 v60, v60
	v_cmp_ngt_f32_e32 vcc, s62, v11
	v_ldexp_f32 v60, v60, v61
	v_cndmask_b32_e32 v60, 0, v60, vcc
	v_cmp_nlt_f32_e32 vcc, s63, v11
	v_cndmask_b32_e32 v11, v59, v60, vcc
	v_add_f32_e32 v62, 1.0, v11
	v_cvt_f64_f32_e32 v[60:61], v62
	v_add_f32_e32 v63, -1.0, v62
	v_sub_f32_e32 v64, v63, v62
	v_sub_f32_e32 v63, v11, v63
	v_frexp_exp_i32_f64_e32 v60, v[60:61]
	v_frexp_mant_f32_e32 v61, v62
	v_cmp_gt_f32_e32 vcc, s65, v61
	v_add_f32_e32 v64, 1.0, v64
	v_add_f32_e32 v63, v63, v64
	v_subbrev_co_u32_e32 v60, vcc, 0, v60, vcc
	v_sub_u32_e32 v61, 0, v60
	v_ldexp_f32 v62, v62, v61
	v_ldexp_f32 v61, v63, v61
	v_add_f32_e32 v63, -1.0, v62
	v_add_f32_e32 v66, 1.0, v62
	v_add_f32_e32 v64, 1.0, v63
	v_add_f32_e32 v67, -1.0, v66
	v_sub_f32_e32 v64, v62, v64
	v_sub_f32_e32 v62, v62, v67
	v_add_f32_e32 v64, v61, v64
	v_add_f32_e32 v61, v61, v62
	v_add_f32_e32 v62, v66, v61
	v_rcp_f32_e32 v67, v62
	v_add_f32_e32 v65, v63, v64
	v_sub_f32_e32 v63, v63, v65
	v_add_f32_e32 v63, v64, v63
	v_sub_f32_e32 v64, v66, v62
	v_add_f32_e32 v61, v61, v64
	v_mul_f32_e32 v64, v65, v67
	v_mul_f32_e32 v66, v62, v64
	v_fma_f32 v68, v64, v62, -v66
	v_fmac_f32_e32 v68, v64, v61
	v_add_f32_e32 v69, v66, v68
	v_sub_f32_e32 v70, v65, v69
	v_sub_f32_e32 v65, v65, v70
	;; [unrolled: 1-line block ×4, first 2 shown]
	v_add_f32_e32 v63, v63, v65
	v_sub_f32_e32 v65, v66, v68
	v_add_f32_e32 v63, v65, v63
	v_add_f32_e32 v65, v70, v63
	v_mul_f32_e32 v66, v67, v65
	v_mul_f32_e32 v68, v62, v66
	v_fma_f32 v62, v66, v62, -v68
	v_fmac_f32_e32 v62, v66, v61
	v_sub_f32_e32 v61, v70, v65
	v_add_f32_e32 v61, v63, v61
	v_add_f32_e32 v63, v68, v62
	v_sub_f32_e32 v69, v65, v63
	v_sub_f32_e32 v65, v65, v69
	;; [unrolled: 1-line block ×4, first 2 shown]
	v_add_f32_e32 v61, v61, v63
	v_sub_f32_e32 v62, v68, v62
	v_cvt_f32_i32_e32 v60, v60
	v_add_f32_e32 v61, v62, v61
	v_add_f32_e32 v62, v64, v66
	;; [unrolled: 1-line block ×3, first 2 shown]
	v_sub_f32_e32 v63, v62, v64
	v_mul_f32_e32 v61, v67, v61
	v_sub_f32_e32 v63, v66, v63
	v_add_f32_e32 v61, v63, v61
	v_mul_f32_e32 v66, 0x3f317218, v60
	v_add_f32_e32 v63, v62, v61
	v_fma_f32 v67, v60, s66, -v66
	v_mul_f32_e32 v64, v63, v63
	v_mov_b32_e32 v65, 0x3ecc95a3
	v_fmac_f32_e32 v67, 0xb102e308, v60
	v_sub_f32_e32 v60, v63, v62
	v_fmac_f32_e32 v65, 0x3e9b6dac, v64
	v_sub_f32_e32 v60, v61, v60
	v_add_f32_e32 v61, v66, v67
	v_fma_f32 v65, v64, v65, v57
	v_sub_f32_e32 v62, v61, v66
	v_ldexp_f32 v66, v63, 1
	v_mul_f32_e32 v63, v63, v64
	v_mul_f32_e32 v63, v63, v65
	v_add_f32_e32 v64, v66, v63
	v_sub_f32_e32 v65, v64, v66
	v_ldexp_f32 v60, v60, 1
	v_sub_f32_e32 v63, v63, v65
	v_add_f32_e32 v60, v60, v63
	v_add_f32_e32 v63, v64, v60
	v_sub_f32_e32 v64, v63, v64
	v_sub_f32_e32 v60, v60, v64
	v_add_f32_e32 v64, v61, v63
	v_sub_f32_e32 v65, v64, v61
	v_sub_f32_e32 v66, v64, v65
	;; [unrolled: 1-line block ×5, first 2 shown]
	v_add_f32_e32 v61, v63, v61
	v_add_f32_e32 v63, v62, v60
	v_sub_f32_e32 v65, v63, v62
	v_sub_f32_e32 v66, v63, v65
	;; [unrolled: 1-line block ×4, first 2 shown]
	v_add_f32_e32 v61, v63, v61
	v_add_f32_e32 v60, v60, v62
	;; [unrolled: 1-line block ×3, first 2 shown]
	v_sub_f32_e32 v63, v62, v64
	v_sub_f32_e32 v61, v61, v63
	v_add_f32_e32 v60, v60, v61
	v_add_f32_e32 v60, v62, v60
	v_cmp_neq_f32_e32 vcc, s64, v11
	v_cndmask_b32_e32 v60, v59, v60, vcc
	v_cmp_lt_f32_e64 vcc, |v11|, s67
	v_cndmask_b32_e32 v11, v60, v11, vcc
	v_add_f32_e32 v60, v6, v11
.LBB92_149:                             ;   in Loop: Header=BB92_137 Depth=1
	s_or_b64 exec, exec, s[36:37]
	v_mov_b32_e32 v6, v60
	v_mov_b32_e32 v11, v60
.LBB92_150:                             ;   in Loop: Header=BB92_137 Depth=1
	s_or_b64 exec, exec, s[58:59]
	s_waitcnt lgkmcnt(0)
	ds_bpermute_b32 v60, v48, v6
	v_cmp_le_u32_e32 vcc, v49, v10
	s_and_saveexec_b64 s[58:59], vcc
	s_cbranch_execz .LBB92_154
; %bb.151:                              ;   in Loop: Header=BB92_137 Depth=1
	v_max_f32_e32 v6, v11, v11
	s_waitcnt lgkmcnt(0)
	v_max_f32_e32 v62, v60, v60
	v_min_f32_e32 v61, v62, v6
	v_cmp_u_f32_e32 vcc, v60, v60
	v_max_f32_e32 v6, v62, v6
	v_cndmask_b32_e32 v61, v61, v60, vcc
	v_cmp_u_f32_e64 s[36:37], v11, v11
	v_cndmask_b32_e32 v6, v6, v60, vcc
	v_cndmask_b32_e64 v61, v61, v11, s[36:37]
	v_cndmask_b32_e64 v6, v6, v11, s[36:37]
	v_cmp_neq_f32_e32 vcc, v61, v6
	v_cmp_class_f32_e64 s[36:37], v61, s7
	s_or_b64 s[68:69], vcc, s[36:37]
	s_and_saveexec_b64 s[36:37], s[68:69]
	s_cbranch_execz .LBB92_153
; %bb.152:                              ;   in Loop: Header=BB92_137 Depth=1
	v_sub_f32_e32 v11, v61, v6
	v_mul_f32_e32 v60, 0x3fb8aa3b, v11
	v_fma_f32 v61, v11, s61, -v60
	v_rndne_f32_e32 v62, v60
	v_fmac_f32_e32 v61, 0x32a5705f, v11
	v_sub_f32_e32 v60, v60, v62
	v_add_f32_e32 v60, v60, v61
	v_cvt_i32_f32_e32 v61, v62
	v_exp_f32_e32 v60, v60
	v_cmp_ngt_f32_e32 vcc, s62, v11
	v_ldexp_f32 v60, v60, v61
	v_cndmask_b32_e32 v60, 0, v60, vcc
	v_cmp_nlt_f32_e32 vcc, s63, v11
	v_cndmask_b32_e32 v11, v59, v60, vcc
	v_add_f32_e32 v62, 1.0, v11
	v_cvt_f64_f32_e32 v[60:61], v62
	v_add_f32_e32 v63, -1.0, v62
	v_sub_f32_e32 v64, v63, v62
	v_sub_f32_e32 v63, v11, v63
	v_frexp_exp_i32_f64_e32 v60, v[60:61]
	v_frexp_mant_f32_e32 v61, v62
	v_cmp_gt_f32_e32 vcc, s65, v61
	v_add_f32_e32 v64, 1.0, v64
	v_add_f32_e32 v63, v63, v64
	v_subbrev_co_u32_e32 v60, vcc, 0, v60, vcc
	v_sub_u32_e32 v61, 0, v60
	v_ldexp_f32 v62, v62, v61
	v_ldexp_f32 v61, v63, v61
	v_add_f32_e32 v63, -1.0, v62
	v_add_f32_e32 v66, 1.0, v62
	v_add_f32_e32 v64, 1.0, v63
	v_add_f32_e32 v67, -1.0, v66
	v_sub_f32_e32 v64, v62, v64
	v_sub_f32_e32 v62, v62, v67
	v_add_f32_e32 v64, v61, v64
	v_add_f32_e32 v61, v61, v62
	v_add_f32_e32 v62, v66, v61
	v_rcp_f32_e32 v67, v62
	v_add_f32_e32 v65, v63, v64
	v_sub_f32_e32 v63, v63, v65
	v_add_f32_e32 v63, v64, v63
	v_sub_f32_e32 v64, v66, v62
	v_add_f32_e32 v61, v61, v64
	v_mul_f32_e32 v64, v65, v67
	v_mul_f32_e32 v66, v62, v64
	v_fma_f32 v68, v64, v62, -v66
	v_fmac_f32_e32 v68, v64, v61
	v_add_f32_e32 v69, v66, v68
	v_sub_f32_e32 v70, v65, v69
	v_sub_f32_e32 v65, v65, v70
	;; [unrolled: 1-line block ×4, first 2 shown]
	v_add_f32_e32 v63, v63, v65
	v_sub_f32_e32 v65, v66, v68
	v_add_f32_e32 v63, v65, v63
	v_add_f32_e32 v65, v70, v63
	v_mul_f32_e32 v66, v67, v65
	v_mul_f32_e32 v68, v62, v66
	v_fma_f32 v62, v66, v62, -v68
	v_fmac_f32_e32 v62, v66, v61
	v_sub_f32_e32 v61, v70, v65
	v_add_f32_e32 v61, v63, v61
	v_add_f32_e32 v63, v68, v62
	v_sub_f32_e32 v69, v65, v63
	v_sub_f32_e32 v65, v65, v69
	v_sub_f32_e32 v68, v63, v68
	v_sub_f32_e32 v63, v65, v63
	v_add_f32_e32 v61, v61, v63
	v_sub_f32_e32 v62, v68, v62
	v_cvt_f32_i32_e32 v60, v60
	v_add_f32_e32 v61, v62, v61
	v_add_f32_e32 v62, v64, v66
	;; [unrolled: 1-line block ×3, first 2 shown]
	v_sub_f32_e32 v63, v62, v64
	v_mul_f32_e32 v61, v67, v61
	v_sub_f32_e32 v63, v66, v63
	v_add_f32_e32 v61, v63, v61
	v_mul_f32_e32 v66, 0x3f317218, v60
	v_add_f32_e32 v63, v62, v61
	v_fma_f32 v67, v60, s66, -v66
	v_mul_f32_e32 v64, v63, v63
	v_mov_b32_e32 v65, 0x3ecc95a3
	v_fmac_f32_e32 v67, 0xb102e308, v60
	v_sub_f32_e32 v60, v63, v62
	v_fmac_f32_e32 v65, 0x3e9b6dac, v64
	v_sub_f32_e32 v60, v61, v60
	v_add_f32_e32 v61, v66, v67
	v_fma_f32 v65, v64, v65, v57
	v_sub_f32_e32 v62, v61, v66
	v_ldexp_f32 v66, v63, 1
	v_mul_f32_e32 v63, v63, v64
	v_mul_f32_e32 v63, v63, v65
	v_add_f32_e32 v64, v66, v63
	v_sub_f32_e32 v65, v64, v66
	v_ldexp_f32 v60, v60, 1
	v_sub_f32_e32 v63, v63, v65
	v_add_f32_e32 v60, v60, v63
	v_add_f32_e32 v63, v64, v60
	v_sub_f32_e32 v64, v63, v64
	v_sub_f32_e32 v60, v60, v64
	v_add_f32_e32 v64, v61, v63
	v_sub_f32_e32 v65, v64, v61
	v_sub_f32_e32 v66, v64, v65
	;; [unrolled: 1-line block ×5, first 2 shown]
	v_add_f32_e32 v61, v63, v61
	v_add_f32_e32 v63, v62, v60
	v_sub_f32_e32 v65, v63, v62
	v_sub_f32_e32 v66, v63, v65
	;; [unrolled: 1-line block ×4, first 2 shown]
	v_add_f32_e32 v61, v63, v61
	v_add_f32_e32 v60, v60, v62
	;; [unrolled: 1-line block ×3, first 2 shown]
	v_sub_f32_e32 v63, v62, v64
	v_sub_f32_e32 v61, v61, v63
	v_add_f32_e32 v60, v60, v61
	v_add_f32_e32 v60, v62, v60
	v_cmp_neq_f32_e32 vcc, s64, v11
	v_cndmask_b32_e32 v60, v59, v60, vcc
	v_cmp_lt_f32_e64 vcc, |v11|, s67
	v_cndmask_b32_e32 v11, v60, v11, vcc
	v_add_f32_e32 v60, v6, v11
.LBB92_153:                             ;   in Loop: Header=BB92_137 Depth=1
	s_or_b64 exec, exec, s[36:37]
	v_mov_b32_e32 v6, v60
	v_mov_b32_e32 v11, v60
.LBB92_154:                             ;   in Loop: Header=BB92_137 Depth=1
	s_or_b64 exec, exec, s[58:59]
	s_waitcnt lgkmcnt(0)
	ds_bpermute_b32 v60, v50, v6
	v_cmp_le_u32_e32 vcc, v51, v10
	s_and_saveexec_b64 s[58:59], vcc
	s_cbranch_execz .LBB92_158
; %bb.155:                              ;   in Loop: Header=BB92_137 Depth=1
	v_max_f32_e32 v6, v11, v11
	s_waitcnt lgkmcnt(0)
	v_max_f32_e32 v62, v60, v60
	v_min_f32_e32 v61, v62, v6
	v_cmp_u_f32_e32 vcc, v60, v60
	v_max_f32_e32 v6, v62, v6
	v_cndmask_b32_e32 v61, v61, v60, vcc
	v_cmp_u_f32_e64 s[36:37], v11, v11
	v_cndmask_b32_e32 v6, v6, v60, vcc
	v_cndmask_b32_e64 v61, v61, v11, s[36:37]
	v_cndmask_b32_e64 v6, v6, v11, s[36:37]
	v_cmp_neq_f32_e32 vcc, v61, v6
	v_cmp_class_f32_e64 s[36:37], v61, s7
	s_or_b64 s[68:69], vcc, s[36:37]
	s_and_saveexec_b64 s[36:37], s[68:69]
	s_cbranch_execz .LBB92_157
; %bb.156:                              ;   in Loop: Header=BB92_137 Depth=1
	v_sub_f32_e32 v11, v61, v6
	v_mul_f32_e32 v60, 0x3fb8aa3b, v11
	v_fma_f32 v61, v11, s61, -v60
	v_rndne_f32_e32 v62, v60
	v_fmac_f32_e32 v61, 0x32a5705f, v11
	v_sub_f32_e32 v60, v60, v62
	v_add_f32_e32 v60, v60, v61
	v_cvt_i32_f32_e32 v61, v62
	v_exp_f32_e32 v60, v60
	v_cmp_ngt_f32_e32 vcc, s62, v11
	v_ldexp_f32 v60, v60, v61
	v_cndmask_b32_e32 v60, 0, v60, vcc
	v_cmp_nlt_f32_e32 vcc, s63, v11
	v_cndmask_b32_e32 v11, v59, v60, vcc
	v_add_f32_e32 v62, 1.0, v11
	v_cvt_f64_f32_e32 v[60:61], v62
	v_add_f32_e32 v63, -1.0, v62
	v_sub_f32_e32 v64, v63, v62
	v_sub_f32_e32 v63, v11, v63
	v_frexp_exp_i32_f64_e32 v60, v[60:61]
	v_frexp_mant_f32_e32 v61, v62
	v_cmp_gt_f32_e32 vcc, s65, v61
	v_add_f32_e32 v64, 1.0, v64
	v_add_f32_e32 v63, v63, v64
	v_subbrev_co_u32_e32 v60, vcc, 0, v60, vcc
	v_sub_u32_e32 v61, 0, v60
	v_ldexp_f32 v62, v62, v61
	v_ldexp_f32 v61, v63, v61
	v_add_f32_e32 v63, -1.0, v62
	v_add_f32_e32 v66, 1.0, v62
	v_add_f32_e32 v64, 1.0, v63
	v_add_f32_e32 v67, -1.0, v66
	v_sub_f32_e32 v64, v62, v64
	v_sub_f32_e32 v62, v62, v67
	v_add_f32_e32 v64, v61, v64
	v_add_f32_e32 v61, v61, v62
	;; [unrolled: 1-line block ×3, first 2 shown]
	v_rcp_f32_e32 v67, v62
	v_add_f32_e32 v65, v63, v64
	v_sub_f32_e32 v63, v63, v65
	v_add_f32_e32 v63, v64, v63
	v_sub_f32_e32 v64, v66, v62
	v_add_f32_e32 v61, v61, v64
	v_mul_f32_e32 v64, v65, v67
	v_mul_f32_e32 v66, v62, v64
	v_fma_f32 v68, v64, v62, -v66
	v_fmac_f32_e32 v68, v64, v61
	v_add_f32_e32 v69, v66, v68
	v_sub_f32_e32 v70, v65, v69
	v_sub_f32_e32 v65, v65, v70
	v_sub_f32_e32 v66, v69, v66
	v_sub_f32_e32 v65, v65, v69
	v_add_f32_e32 v63, v63, v65
	v_sub_f32_e32 v65, v66, v68
	v_add_f32_e32 v63, v65, v63
	v_add_f32_e32 v65, v70, v63
	v_mul_f32_e32 v66, v67, v65
	v_mul_f32_e32 v68, v62, v66
	v_fma_f32 v62, v66, v62, -v68
	v_fmac_f32_e32 v62, v66, v61
	v_sub_f32_e32 v61, v70, v65
	v_add_f32_e32 v61, v63, v61
	v_add_f32_e32 v63, v68, v62
	v_sub_f32_e32 v69, v65, v63
	v_sub_f32_e32 v65, v65, v69
	v_sub_f32_e32 v68, v63, v68
	v_sub_f32_e32 v63, v65, v63
	v_add_f32_e32 v61, v61, v63
	v_sub_f32_e32 v62, v68, v62
	v_cvt_f32_i32_e32 v60, v60
	v_add_f32_e32 v61, v62, v61
	v_add_f32_e32 v62, v64, v66
	;; [unrolled: 1-line block ×3, first 2 shown]
	v_sub_f32_e32 v63, v62, v64
	v_mul_f32_e32 v61, v67, v61
	v_sub_f32_e32 v63, v66, v63
	v_add_f32_e32 v61, v63, v61
	v_mul_f32_e32 v66, 0x3f317218, v60
	v_add_f32_e32 v63, v62, v61
	v_fma_f32 v67, v60, s66, -v66
	v_mul_f32_e32 v64, v63, v63
	v_mov_b32_e32 v65, 0x3ecc95a3
	v_fmac_f32_e32 v67, 0xb102e308, v60
	v_sub_f32_e32 v60, v63, v62
	v_fmac_f32_e32 v65, 0x3e9b6dac, v64
	v_sub_f32_e32 v60, v61, v60
	v_add_f32_e32 v61, v66, v67
	v_fma_f32 v65, v64, v65, v57
	v_sub_f32_e32 v62, v61, v66
	v_ldexp_f32 v66, v63, 1
	v_mul_f32_e32 v63, v63, v64
	v_mul_f32_e32 v63, v63, v65
	v_add_f32_e32 v64, v66, v63
	v_sub_f32_e32 v65, v64, v66
	v_ldexp_f32 v60, v60, 1
	v_sub_f32_e32 v63, v63, v65
	v_add_f32_e32 v60, v60, v63
	v_add_f32_e32 v63, v64, v60
	v_sub_f32_e32 v64, v63, v64
	v_sub_f32_e32 v60, v60, v64
	v_add_f32_e32 v64, v61, v63
	v_sub_f32_e32 v65, v64, v61
	v_sub_f32_e32 v66, v64, v65
	;; [unrolled: 1-line block ×5, first 2 shown]
	v_add_f32_e32 v61, v63, v61
	v_add_f32_e32 v63, v62, v60
	v_sub_f32_e32 v65, v63, v62
	v_sub_f32_e32 v66, v63, v65
	;; [unrolled: 1-line block ×4, first 2 shown]
	v_add_f32_e32 v61, v63, v61
	v_add_f32_e32 v60, v60, v62
	;; [unrolled: 1-line block ×3, first 2 shown]
	v_sub_f32_e32 v63, v62, v64
	v_sub_f32_e32 v61, v61, v63
	v_add_f32_e32 v60, v60, v61
	v_add_f32_e32 v60, v62, v60
	v_cmp_neq_f32_e32 vcc, s64, v11
	v_cndmask_b32_e32 v60, v59, v60, vcc
	v_cmp_lt_f32_e64 vcc, |v11|, s67
	v_cndmask_b32_e32 v11, v60, v11, vcc
	v_add_f32_e32 v60, v6, v11
.LBB92_157:                             ;   in Loop: Header=BB92_137 Depth=1
	s_or_b64 exec, exec, s[36:37]
	v_mov_b32_e32 v6, v60
	v_mov_b32_e32 v11, v60
.LBB92_158:                             ;   in Loop: Header=BB92_137 Depth=1
	s_or_b64 exec, exec, s[58:59]
	s_waitcnt lgkmcnt(0)
	ds_bpermute_b32 v60, v52, v6
	v_cmp_le_u32_e32 vcc, v53, v10
	s_and_saveexec_b64 s[58:59], vcc
	s_cbranch_execz .LBB92_162
; %bb.159:                              ;   in Loop: Header=BB92_137 Depth=1
	v_max_f32_e32 v6, v11, v11
	s_waitcnt lgkmcnt(0)
	v_max_f32_e32 v62, v60, v60
	v_min_f32_e32 v61, v62, v6
	v_cmp_u_f32_e32 vcc, v60, v60
	v_max_f32_e32 v6, v62, v6
	v_cndmask_b32_e32 v61, v61, v60, vcc
	v_cmp_u_f32_e64 s[36:37], v11, v11
	v_cndmask_b32_e32 v6, v6, v60, vcc
	v_cndmask_b32_e64 v61, v61, v11, s[36:37]
	v_cndmask_b32_e64 v6, v6, v11, s[36:37]
	v_cmp_neq_f32_e32 vcc, v61, v6
	v_cmp_class_f32_e64 s[36:37], v61, s7
	s_or_b64 s[68:69], vcc, s[36:37]
	s_and_saveexec_b64 s[36:37], s[68:69]
	s_cbranch_execz .LBB92_161
; %bb.160:                              ;   in Loop: Header=BB92_137 Depth=1
	v_sub_f32_e32 v11, v61, v6
	v_mul_f32_e32 v60, 0x3fb8aa3b, v11
	v_fma_f32 v61, v11, s61, -v60
	v_rndne_f32_e32 v62, v60
	v_fmac_f32_e32 v61, 0x32a5705f, v11
	v_sub_f32_e32 v60, v60, v62
	v_add_f32_e32 v60, v60, v61
	v_cvt_i32_f32_e32 v61, v62
	v_exp_f32_e32 v60, v60
	v_cmp_ngt_f32_e32 vcc, s62, v11
	v_ldexp_f32 v60, v60, v61
	v_cndmask_b32_e32 v60, 0, v60, vcc
	v_cmp_nlt_f32_e32 vcc, s63, v11
	v_cndmask_b32_e32 v11, v59, v60, vcc
	v_add_f32_e32 v62, 1.0, v11
	v_cvt_f64_f32_e32 v[60:61], v62
	v_add_f32_e32 v63, -1.0, v62
	v_sub_f32_e32 v64, v63, v62
	v_sub_f32_e32 v63, v11, v63
	v_frexp_exp_i32_f64_e32 v60, v[60:61]
	v_frexp_mant_f32_e32 v61, v62
	v_cmp_gt_f32_e32 vcc, s65, v61
	v_add_f32_e32 v64, 1.0, v64
	v_add_f32_e32 v63, v63, v64
	v_subbrev_co_u32_e32 v60, vcc, 0, v60, vcc
	v_sub_u32_e32 v61, 0, v60
	v_ldexp_f32 v62, v62, v61
	v_ldexp_f32 v61, v63, v61
	v_add_f32_e32 v63, -1.0, v62
	v_add_f32_e32 v66, 1.0, v62
	v_add_f32_e32 v64, 1.0, v63
	v_add_f32_e32 v67, -1.0, v66
	v_sub_f32_e32 v64, v62, v64
	v_sub_f32_e32 v62, v62, v67
	v_add_f32_e32 v64, v61, v64
	v_add_f32_e32 v61, v61, v62
	;; [unrolled: 1-line block ×3, first 2 shown]
	v_rcp_f32_e32 v67, v62
	v_add_f32_e32 v65, v63, v64
	v_sub_f32_e32 v63, v63, v65
	v_add_f32_e32 v63, v64, v63
	v_sub_f32_e32 v64, v66, v62
	v_add_f32_e32 v61, v61, v64
	v_mul_f32_e32 v64, v65, v67
	v_mul_f32_e32 v66, v62, v64
	v_fma_f32 v68, v64, v62, -v66
	v_fmac_f32_e32 v68, v64, v61
	v_add_f32_e32 v69, v66, v68
	v_sub_f32_e32 v70, v65, v69
	v_sub_f32_e32 v65, v65, v70
	v_sub_f32_e32 v66, v69, v66
	v_sub_f32_e32 v65, v65, v69
	v_add_f32_e32 v63, v63, v65
	v_sub_f32_e32 v65, v66, v68
	v_add_f32_e32 v63, v65, v63
	v_add_f32_e32 v65, v70, v63
	v_mul_f32_e32 v66, v67, v65
	v_mul_f32_e32 v68, v62, v66
	v_fma_f32 v62, v66, v62, -v68
	v_fmac_f32_e32 v62, v66, v61
	v_sub_f32_e32 v61, v70, v65
	v_add_f32_e32 v61, v63, v61
	v_add_f32_e32 v63, v68, v62
	v_sub_f32_e32 v69, v65, v63
	v_sub_f32_e32 v65, v65, v69
	;; [unrolled: 1-line block ×4, first 2 shown]
	v_add_f32_e32 v61, v61, v63
	v_sub_f32_e32 v62, v68, v62
	v_cvt_f32_i32_e32 v60, v60
	v_add_f32_e32 v61, v62, v61
	v_add_f32_e32 v62, v64, v66
	;; [unrolled: 1-line block ×3, first 2 shown]
	v_sub_f32_e32 v63, v62, v64
	v_mul_f32_e32 v61, v67, v61
	v_sub_f32_e32 v63, v66, v63
	v_add_f32_e32 v61, v63, v61
	v_mul_f32_e32 v66, 0x3f317218, v60
	v_add_f32_e32 v63, v62, v61
	v_fma_f32 v67, v60, s66, -v66
	v_mul_f32_e32 v64, v63, v63
	v_mov_b32_e32 v65, 0x3ecc95a3
	v_fmac_f32_e32 v67, 0xb102e308, v60
	v_sub_f32_e32 v60, v63, v62
	v_fmac_f32_e32 v65, 0x3e9b6dac, v64
	v_sub_f32_e32 v60, v61, v60
	v_add_f32_e32 v61, v66, v67
	v_fma_f32 v65, v64, v65, v57
	v_sub_f32_e32 v62, v61, v66
	v_ldexp_f32 v66, v63, 1
	v_mul_f32_e32 v63, v63, v64
	v_mul_f32_e32 v63, v63, v65
	v_add_f32_e32 v64, v66, v63
	v_sub_f32_e32 v65, v64, v66
	v_ldexp_f32 v60, v60, 1
	v_sub_f32_e32 v63, v63, v65
	v_add_f32_e32 v60, v60, v63
	v_add_f32_e32 v63, v64, v60
	v_sub_f32_e32 v64, v63, v64
	v_sub_f32_e32 v60, v60, v64
	v_add_f32_e32 v64, v61, v63
	v_sub_f32_e32 v65, v64, v61
	v_sub_f32_e32 v66, v64, v65
	;; [unrolled: 1-line block ×5, first 2 shown]
	v_add_f32_e32 v61, v63, v61
	v_add_f32_e32 v63, v62, v60
	v_sub_f32_e32 v65, v63, v62
	v_sub_f32_e32 v66, v63, v65
	;; [unrolled: 1-line block ×4, first 2 shown]
	v_add_f32_e32 v61, v63, v61
	v_add_f32_e32 v60, v60, v62
	;; [unrolled: 1-line block ×3, first 2 shown]
	v_sub_f32_e32 v63, v62, v64
	v_sub_f32_e32 v61, v61, v63
	v_add_f32_e32 v60, v60, v61
	v_add_f32_e32 v60, v62, v60
	v_cmp_neq_f32_e32 vcc, s64, v11
	v_cndmask_b32_e32 v60, v59, v60, vcc
	v_cmp_lt_f32_e64 vcc, |v11|, s67
	v_cndmask_b32_e32 v11, v60, v11, vcc
	v_add_f32_e32 v60, v6, v11
.LBB92_161:                             ;   in Loop: Header=BB92_137 Depth=1
	s_or_b64 exec, exec, s[36:37]
	v_mov_b32_e32 v6, v60
	v_mov_b32_e32 v11, v60
.LBB92_162:                             ;   in Loop: Header=BB92_137 Depth=1
	s_or_b64 exec, exec, s[58:59]
	s_waitcnt lgkmcnt(0)
	ds_bpermute_b32 v60, v55, v6
	v_cmp_le_u32_e32 vcc, v56, v10
	s_and_saveexec_b64 s[58:59], vcc
	s_cbranch_execz .LBB92_166
; %bb.163:                              ;   in Loop: Header=BB92_137 Depth=1
	v_max_f32_e32 v6, v11, v11
	s_waitcnt lgkmcnt(0)
	v_max_f32_e32 v61, v60, v60
	v_min_f32_e32 v10, v61, v6
	v_cmp_u_f32_e32 vcc, v60, v60
	v_max_f32_e32 v6, v61, v6
	v_cndmask_b32_e32 v10, v10, v60, vcc
	v_cmp_u_f32_e64 s[36:37], v11, v11
	v_cndmask_b32_e32 v6, v6, v60, vcc
	v_cndmask_b32_e64 v10, v10, v11, s[36:37]
	v_cndmask_b32_e64 v6, v6, v11, s[36:37]
	v_cmp_neq_f32_e32 vcc, v10, v6
	v_cmp_class_f32_e64 s[36:37], v10, s7
	s_or_b64 s[68:69], vcc, s[36:37]
	s_and_saveexec_b64 s[36:37], s[68:69]
	s_cbranch_execz .LBB92_165
; %bb.164:                              ;   in Loop: Header=BB92_137 Depth=1
	v_sub_f32_e32 v10, v10, v6
	v_mul_f32_e32 v11, 0x3fb8aa3b, v10
	v_fma_f32 v60, v10, s61, -v11
	v_rndne_f32_e32 v61, v11
	v_fmac_f32_e32 v60, 0x32a5705f, v10
	v_sub_f32_e32 v11, v11, v61
	v_add_f32_e32 v11, v11, v60
	v_cvt_i32_f32_e32 v60, v61
	v_exp_f32_e32 v11, v11
	v_cmp_ngt_f32_e32 vcc, s62, v10
	v_ldexp_f32 v11, v11, v60
	v_cndmask_b32_e32 v11, 0, v11, vcc
	v_cmp_nlt_f32_e32 vcc, s63, v10
	v_cndmask_b32_e32 v60, v59, v11, vcc
	v_add_f32_e32 v61, 1.0, v60
	v_cvt_f64_f32_e32 v[10:11], v61
	v_add_f32_e32 v62, -1.0, v61
	v_sub_f32_e32 v63, v62, v61
	v_sub_f32_e32 v62, v60, v62
	v_frexp_exp_i32_f64_e32 v10, v[10:11]
	v_frexp_mant_f32_e32 v11, v61
	v_cmp_gt_f32_e32 vcc, s65, v11
	v_add_f32_e32 v63, 1.0, v63
	v_add_f32_e32 v62, v62, v63
	v_subbrev_co_u32_e32 v10, vcc, 0, v10, vcc
	v_sub_u32_e32 v11, 0, v10
	v_ldexp_f32 v61, v61, v11
	v_ldexp_f32 v11, v62, v11
	v_add_f32_e32 v62, -1.0, v61
	v_add_f32_e32 v65, 1.0, v61
	v_add_f32_e32 v63, 1.0, v62
	v_add_f32_e32 v66, -1.0, v65
	v_sub_f32_e32 v63, v61, v63
	v_sub_f32_e32 v61, v61, v66
	v_add_f32_e32 v63, v11, v63
	v_add_f32_e32 v11, v11, v61
	;; [unrolled: 1-line block ×3, first 2 shown]
	v_rcp_f32_e32 v66, v61
	v_add_f32_e32 v64, v62, v63
	v_sub_f32_e32 v62, v62, v64
	v_add_f32_e32 v62, v63, v62
	v_sub_f32_e32 v63, v65, v61
	v_add_f32_e32 v11, v11, v63
	v_mul_f32_e32 v63, v64, v66
	v_mul_f32_e32 v65, v61, v63
	v_fma_f32 v67, v63, v61, -v65
	v_fmac_f32_e32 v67, v63, v11
	v_add_f32_e32 v68, v65, v67
	v_sub_f32_e32 v69, v64, v68
	v_sub_f32_e32 v64, v64, v69
	;; [unrolled: 1-line block ×4, first 2 shown]
	v_add_f32_e32 v62, v62, v64
	v_sub_f32_e32 v64, v65, v67
	v_add_f32_e32 v62, v64, v62
	v_add_f32_e32 v64, v69, v62
	v_mul_f32_e32 v65, v66, v64
	v_mul_f32_e32 v67, v61, v65
	v_fma_f32 v61, v65, v61, -v67
	v_fmac_f32_e32 v61, v65, v11
	v_sub_f32_e32 v11, v69, v64
	v_add_f32_e32 v11, v62, v11
	v_add_f32_e32 v62, v67, v61
	v_sub_f32_e32 v68, v64, v62
	v_sub_f32_e32 v64, v64, v68
	;; [unrolled: 1-line block ×4, first 2 shown]
	v_add_f32_e32 v11, v11, v62
	v_sub_f32_e32 v61, v67, v61
	v_cvt_f32_i32_e32 v10, v10
	v_add_f32_e32 v11, v61, v11
	v_add_f32_e32 v61, v63, v65
	;; [unrolled: 1-line block ×3, first 2 shown]
	v_sub_f32_e32 v62, v61, v63
	v_mul_f32_e32 v11, v66, v11
	v_sub_f32_e32 v62, v65, v62
	v_add_f32_e32 v11, v62, v11
	v_mul_f32_e32 v65, 0x3f317218, v10
	v_add_f32_e32 v62, v61, v11
	v_fma_f32 v66, v10, s66, -v65
	v_mul_f32_e32 v63, v62, v62
	v_mov_b32_e32 v64, 0x3ecc95a3
	v_fmac_f32_e32 v66, 0xb102e308, v10
	v_sub_f32_e32 v10, v62, v61
	v_fmac_f32_e32 v64, 0x3e9b6dac, v63
	v_sub_f32_e32 v10, v11, v10
	v_add_f32_e32 v11, v65, v66
	v_fma_f32 v64, v63, v64, v57
	v_sub_f32_e32 v61, v11, v65
	v_ldexp_f32 v65, v62, 1
	v_mul_f32_e32 v62, v62, v63
	v_mul_f32_e32 v62, v62, v64
	v_add_f32_e32 v63, v65, v62
	v_sub_f32_e32 v64, v63, v65
	v_ldexp_f32 v10, v10, 1
	v_sub_f32_e32 v62, v62, v64
	v_add_f32_e32 v10, v10, v62
	v_add_f32_e32 v62, v63, v10
	v_sub_f32_e32 v63, v62, v63
	v_sub_f32_e32 v10, v10, v63
	v_add_f32_e32 v63, v11, v62
	v_sub_f32_e32 v64, v63, v11
	v_sub_f32_e32 v65, v63, v64
	;; [unrolled: 1-line block ×5, first 2 shown]
	v_add_f32_e32 v11, v62, v11
	v_add_f32_e32 v62, v61, v10
	v_sub_f32_e32 v64, v62, v61
	v_sub_f32_e32 v65, v62, v64
	;; [unrolled: 1-line block ×4, first 2 shown]
	v_add_f32_e32 v11, v62, v11
	v_add_f32_e32 v10, v10, v61
	;; [unrolled: 1-line block ×3, first 2 shown]
	v_sub_f32_e32 v62, v61, v63
	v_sub_f32_e32 v11, v11, v62
	v_add_f32_e32 v10, v10, v11
	v_add_f32_e32 v10, v61, v10
	v_cmp_neq_f32_e32 vcc, s64, v60
	v_cndmask_b32_e32 v10, v59, v10, vcc
	v_cmp_lt_f32_e64 vcc, |v60|, s67
	v_cndmask_b32_e32 v10, v10, v60, vcc
	v_add_f32_e32 v60, v6, v10
.LBB92_165:                             ;   in Loop: Header=BB92_137 Depth=1
	s_or_b64 exec, exec, s[36:37]
	v_mov_b32_e32 v11, v60
.LBB92_166:                             ;   in Loop: Header=BB92_137 Depth=1
	s_or_b64 exec, exec, s[58:59]
	v_max_f32_e32 v6, v54, v54
	s_waitcnt lgkmcnt(0)
	v_max_f32_e32 v60, v11, v11
	v_min_f32_e32 v10, v60, v6
	v_cmp_u_f32_e32 vcc, v11, v11
	v_max_f32_e32 v6, v60, v6
	v_cndmask_b32_e32 v10, v10, v11, vcc
	v_cmp_u_f32_e64 s[36:37], v54, v54
	v_cndmask_b32_e32 v6, v6, v11, vcc
	v_cndmask_b32_e64 v10, v10, v54, s[36:37]
	v_cndmask_b32_e64 v6, v6, v54, s[36:37]
	v_cmp_neq_f32_e32 vcc, v10, v6
	v_cmp_class_f32_e64 s[36:37], v10, s7
	s_or_b64 s[36:37], vcc, s[36:37]
	s_and_saveexec_b64 s[58:59], s[36:37]
	s_xor_b64 s[36:37], exec, s[58:59]
	s_cbranch_execz .LBB92_135
; %bb.167:                              ;   in Loop: Header=BB92_137 Depth=1
	v_sub_f32_e32 v10, v10, v6
	v_mul_f32_e32 v11, 0x3fb8aa3b, v10
	v_fma_f32 v60, v10, s61, -v11
	v_rndne_f32_e32 v61, v11
	v_fmac_f32_e32 v60, 0x32a5705f, v10
	v_sub_f32_e32 v11, v11, v61
	v_add_f32_e32 v11, v11, v60
	v_cvt_i32_f32_e32 v60, v61
	v_exp_f32_e32 v11, v11
	v_cmp_ngt_f32_e32 vcc, s62, v10
	v_ldexp_f32 v11, v11, v60
	v_cndmask_b32_e32 v11, 0, v11, vcc
	v_cmp_nlt_f32_e32 vcc, s63, v10
	v_cndmask_b32_e32 v60, v59, v11, vcc
	v_add_f32_e32 v61, 1.0, v60
	v_cvt_f64_f32_e32 v[10:11], v61
	v_add_f32_e32 v62, -1.0, v61
	v_sub_f32_e32 v63, v62, v61
	v_sub_f32_e32 v62, v60, v62
	v_frexp_exp_i32_f64_e32 v10, v[10:11]
	v_frexp_mant_f32_e32 v11, v61
	v_cmp_gt_f32_e32 vcc, s65, v11
	v_add_f32_e32 v63, 1.0, v63
	v_add_f32_e32 v62, v62, v63
	v_subbrev_co_u32_e32 v10, vcc, 0, v10, vcc
	v_sub_u32_e32 v11, 0, v10
	v_ldexp_f32 v61, v61, v11
	v_ldexp_f32 v11, v62, v11
	v_add_f32_e32 v62, -1.0, v61
	v_add_f32_e32 v65, 1.0, v61
	v_add_f32_e32 v63, 1.0, v62
	v_add_f32_e32 v66, -1.0, v65
	v_sub_f32_e32 v63, v61, v63
	v_sub_f32_e32 v61, v61, v66
	v_add_f32_e32 v63, v11, v63
	v_add_f32_e32 v11, v11, v61
	;; [unrolled: 1-line block ×3, first 2 shown]
	v_rcp_f32_e32 v66, v61
	v_add_f32_e32 v64, v62, v63
	v_sub_f32_e32 v62, v62, v64
	v_add_f32_e32 v62, v63, v62
	v_sub_f32_e32 v63, v65, v61
	v_add_f32_e32 v11, v11, v63
	v_mul_f32_e32 v63, v64, v66
	v_mul_f32_e32 v65, v61, v63
	v_fma_f32 v67, v63, v61, -v65
	v_fmac_f32_e32 v67, v63, v11
	v_add_f32_e32 v68, v65, v67
	v_sub_f32_e32 v69, v64, v68
	v_sub_f32_e32 v64, v64, v69
	;; [unrolled: 1-line block ×4, first 2 shown]
	v_add_f32_e32 v62, v62, v64
	v_sub_f32_e32 v64, v65, v67
	v_add_f32_e32 v62, v64, v62
	v_add_f32_e32 v64, v69, v62
	v_mul_f32_e32 v65, v66, v64
	v_mul_f32_e32 v67, v61, v65
	v_fma_f32 v61, v65, v61, -v67
	v_fmac_f32_e32 v61, v65, v11
	v_sub_f32_e32 v11, v69, v64
	v_add_f32_e32 v11, v62, v11
	v_add_f32_e32 v62, v67, v61
	v_sub_f32_e32 v68, v64, v62
	v_sub_f32_e32 v64, v64, v68
	;; [unrolled: 1-line block ×4, first 2 shown]
	v_add_f32_e32 v11, v11, v62
	v_sub_f32_e32 v61, v67, v61
	v_cvt_f32_i32_e32 v10, v10
	v_add_f32_e32 v11, v61, v11
	v_add_f32_e32 v61, v63, v65
	;; [unrolled: 1-line block ×3, first 2 shown]
	v_sub_f32_e32 v62, v61, v63
	v_mul_f32_e32 v11, v66, v11
	v_sub_f32_e32 v62, v65, v62
	v_add_f32_e32 v11, v62, v11
	v_mul_f32_e32 v65, 0x3f317218, v10
	v_add_f32_e32 v62, v61, v11
	v_fma_f32 v66, v10, s66, -v65
	v_mul_f32_e32 v63, v62, v62
	v_mov_b32_e32 v64, 0x3ecc95a3
	v_fmac_f32_e32 v66, 0xb102e308, v10
	v_sub_f32_e32 v10, v62, v61
	v_fmac_f32_e32 v64, 0x3e9b6dac, v63
	v_sub_f32_e32 v10, v11, v10
	v_add_f32_e32 v11, v65, v66
	v_fma_f32 v64, v63, v64, v57
	v_sub_f32_e32 v61, v11, v65
	v_ldexp_f32 v65, v62, 1
	v_mul_f32_e32 v62, v62, v63
	v_mul_f32_e32 v62, v62, v64
	v_add_f32_e32 v63, v65, v62
	v_sub_f32_e32 v64, v63, v65
	v_ldexp_f32 v10, v10, 1
	v_sub_f32_e32 v62, v62, v64
	v_add_f32_e32 v10, v10, v62
	v_add_f32_e32 v62, v63, v10
	v_sub_f32_e32 v63, v62, v63
	v_sub_f32_e32 v10, v10, v63
	v_add_f32_e32 v63, v11, v62
	v_sub_f32_e32 v64, v63, v11
	v_sub_f32_e32 v65, v63, v64
	;; [unrolled: 1-line block ×5, first 2 shown]
	v_add_f32_e32 v11, v62, v11
	v_add_f32_e32 v62, v61, v10
	v_sub_f32_e32 v64, v62, v61
	v_sub_f32_e32 v65, v62, v64
	v_sub_f32_e32 v61, v61, v65
	v_sub_f32_e32 v10, v10, v64
	v_add_f32_e32 v11, v62, v11
	v_add_f32_e32 v10, v10, v61
	;; [unrolled: 1-line block ×3, first 2 shown]
	v_sub_f32_e32 v62, v61, v63
	v_sub_f32_e32 v11, v11, v62
	v_add_f32_e32 v10, v10, v11
	v_add_f32_e32 v10, v61, v10
	v_cmp_neq_f32_e32 vcc, s64, v60
	v_cndmask_b32_e32 v10, v59, v10, vcc
	v_cmp_lt_f32_e64 vcc, |v60|, s67
	v_cndmask_b32_e32 v10, v10, v60, vcc
	v_add_f32_e32 v11, v6, v10
	s_branch .LBB92_135
.LBB92_168:
                                        ; implicit-def: $vgpr3_vgpr4_vgpr5_vgpr6_vgpr7_vgpr8_vgpr9_vgpr10_vgpr11_vgpr12_vgpr13_vgpr14_vgpr15_vgpr16_vgpr17_vgpr18
	s_cbranch_execnz .LBB92_210
	s_branch .LBB92_317
.LBB92_169:
	s_and_saveexec_b64 s[58:59], s[30:31]
	s_cbranch_execz .LBB92_173
; %bb.170:
	v_max_f32_e32 v4, v3, v3
	s_waitcnt lgkmcnt(0)
	v_max_f32_e32 v6, v54, v54
	v_min_f32_e32 v5, v6, v4
	v_cmp_u_f32_e32 vcc, v54, v54
	v_max_f32_e32 v4, v6, v4
	v_cndmask_b32_e32 v5, v5, v54, vcc
	v_cmp_u_f32_e64 s[36:37], v3, v3
	v_cndmask_b32_e32 v4, v4, v54, vcc
	v_cndmask_b32_e64 v5, v5, v3, s[36:37]
	v_cndmask_b32_e64 v4, v4, v3, s[36:37]
	s_movk_i32 s7, 0x1f8
	v_cmp_neq_f32_e32 vcc, v5, v4
	v_cmp_class_f32_e64 s[36:37], v5, s7
	s_or_b64 s[62:63], vcc, s[36:37]
	v_mov_b32_e32 v3, v54
	s_and_saveexec_b64 s[36:37], s[62:63]
	s_cbranch_execz .LBB92_172
; %bb.171:
	v_sub_f32_e32 v3, v5, v4
	s_mov_b32 s7, 0x3fb8aa3b
	v_mul_f32_e32 v5, 0x3fb8aa3b, v3
	v_fma_f32 v6, v3, s7, -v5
	v_rndne_f32_e32 v7, v5
	v_fmac_f32_e32 v6, 0x32a5705f, v3
	v_sub_f32_e32 v5, v5, v7
	v_add_f32_e32 v5, v5, v6
	v_exp_f32_e32 v5, v5
	v_cvt_i32_f32_e32 v6, v7
	s_mov_b32 s7, 0xc2ce8ed0
	v_cmp_ngt_f32_e32 vcc, s7, v3
	s_mov_b32 s7, 0x42b17218
	v_ldexp_f32 v5, v5, v6
	v_cndmask_b32_e32 v5, 0, v5, vcc
	v_mov_b32_e32 v7, 0x7f800000
	v_cmp_nlt_f32_e32 vcc, s7, v3
	v_cndmask_b32_e32 v3, v7, v5, vcc
	v_add_f32_e32 v8, 1.0, v3
	v_cvt_f64_f32_e32 v[5:6], v8
	v_add_f32_e32 v9, -1.0, v8
	v_sub_f32_e32 v10, v9, v8
	v_sub_f32_e32 v9, v3, v9
	v_frexp_exp_i32_f64_e32 v5, v[5:6]
	v_add_f32_e32 v6, 1.0, v10
	v_add_f32_e32 v6, v9, v6
	v_frexp_mant_f32_e32 v9, v8
	s_mov_b32 s61, 0x3f2aaaab
	v_cmp_gt_f32_e32 vcc, s61, v9
	s_mov_b32 s61, 0x3f317218
	s_mov_b32 s7, 0x7f800000
	v_subbrev_co_u32_e32 v5, vcc, 0, v5, vcc
	v_sub_u32_e32 v9, 0, v5
	v_ldexp_f32 v8, v8, v9
	v_ldexp_f32 v6, v6, v9
	v_add_f32_e32 v9, -1.0, v8
	v_add_f32_e32 v44, 1.0, v8
	v_add_f32_e32 v10, 1.0, v9
	v_add_f32_e32 v45, -1.0, v44
	v_sub_f32_e32 v10, v8, v10
	v_sub_f32_e32 v8, v8, v45
	v_add_f32_e32 v10, v6, v10
	v_add_f32_e32 v6, v6, v8
	;; [unrolled: 1-line block ×3, first 2 shown]
	v_rcp_f32_e32 v45, v8
	v_add_f32_e32 v11, v9, v10
	v_sub_f32_e32 v9, v9, v11
	v_add_f32_e32 v9, v10, v9
	v_sub_f32_e32 v10, v44, v8
	v_add_f32_e32 v6, v6, v10
	v_mul_f32_e32 v10, v11, v45
	v_mul_f32_e32 v44, v8, v10
	v_fma_f32 v46, v10, v8, -v44
	v_fmac_f32_e32 v46, v10, v6
	v_add_f32_e32 v47, v44, v46
	v_sub_f32_e32 v48, v11, v47
	v_sub_f32_e32 v11, v11, v48
	;; [unrolled: 1-line block ×4, first 2 shown]
	v_add_f32_e32 v9, v9, v11
	v_sub_f32_e32 v11, v44, v46
	v_add_f32_e32 v9, v11, v9
	v_add_f32_e32 v11, v48, v9
	v_mul_f32_e32 v44, v45, v11
	v_mul_f32_e32 v46, v8, v44
	v_fma_f32 v8, v44, v8, -v46
	v_fmac_f32_e32 v8, v44, v6
	v_sub_f32_e32 v6, v48, v11
	v_add_f32_e32 v6, v9, v6
	v_add_f32_e32 v9, v46, v8
	v_sub_f32_e32 v47, v11, v9
	v_sub_f32_e32 v11, v11, v47
	v_sub_f32_e32 v46, v9, v46
	v_sub_f32_e32 v9, v11, v9
	v_add_f32_e32 v6, v6, v9
	v_sub_f32_e32 v8, v46, v8
	v_add_f32_e32 v6, v8, v6
	v_add_f32_e32 v8, v10, v44
	;; [unrolled: 1-line block ×3, first 2 shown]
	v_sub_f32_e32 v9, v8, v10
	v_mul_f32_e32 v6, v45, v6
	v_sub_f32_e32 v9, v44, v9
	v_add_f32_e32 v6, v9, v6
	v_cvt_f32_i32_e32 v5, v5
	v_add_f32_e32 v9, v8, v6
	v_mul_f32_e32 v10, v9, v9
	v_mov_b32_e32 v11, 0x3ecc95a3
	v_fmac_f32_e32 v11, 0x3e9b6dac, v10
	v_mov_b32_e32 v44, 0x3f2aaada
	v_fmac_f32_e32 v44, v10, v11
	v_mul_f32_e32 v11, 0x3f317218, v5
	v_fma_f32 v45, v5, s61, -v11
	v_fmac_f32_e32 v45, 0xb102e308, v5
	v_sub_f32_e32 v5, v9, v8
	v_sub_f32_e32 v5, v6, v5
	v_add_f32_e32 v6, v11, v45
	v_sub_f32_e32 v8, v6, v11
	v_ldexp_f32 v11, v9, 1
	v_mul_f32_e32 v9, v9, v10
	v_mul_f32_e32 v9, v9, v44
	v_add_f32_e32 v10, v11, v9
	v_sub_f32_e32 v11, v10, v11
	v_ldexp_f32 v5, v5, 1
	v_sub_f32_e32 v9, v9, v11
	v_add_f32_e32 v5, v5, v9
	v_add_f32_e32 v9, v10, v5
	v_sub_f32_e32 v10, v9, v10
	v_sub_f32_e32 v5, v5, v10
	v_add_f32_e32 v10, v6, v9
	v_sub_f32_e32 v11, v10, v6
	v_sub_f32_e32 v44, v10, v11
	;; [unrolled: 1-line block ×5, first 2 shown]
	v_add_f32_e32 v6, v9, v6
	v_add_f32_e32 v9, v8, v5
	v_sub_f32_e32 v11, v9, v8
	v_sub_f32_e32 v44, v9, v11
	;; [unrolled: 1-line block ×4, first 2 shown]
	v_add_f32_e32 v6, v9, v6
	v_add_f32_e32 v5, v5, v8
	;; [unrolled: 1-line block ×3, first 2 shown]
	v_sub_f32_e32 v9, v8, v10
	v_sub_f32_e32 v6, v6, v9
	v_add_f32_e32 v5, v5, v6
	v_add_f32_e32 v5, v8, v5
	v_cmp_neq_f32_e32 vcc, s7, v3
	s_mov_b32 s7, 0x33800000
	v_cndmask_b32_e32 v5, v7, v5, vcc
	v_cmp_lt_f32_e64 vcc, |v3|, s7
	v_cndmask_b32_e32 v3, v5, v3, vcc
	v_add_f32_e32 v3, v4, v3
.LBB92_172:
	s_or_b64 exec, exec, s[36:37]
	s_add_i32 s6, s6, 64
	s_mov_b32 s7, 0
	s_lshl_b64 s[6:7], s[6:7], 3
	s_add_u32 s6, s54, s6
	s_addc_u32 s7, s55, s7
	v_mov_b32_e32 v5, 0
	v_mov_b32_e32 v4, 2
	global_store_dwordx2 v5, v[3:4], s[6:7]
.LBB92_173:
	s_or_b64 exec, exec, s[58:59]
	v_cmp_eq_u32_e32 vcc, 0, v0
	s_and_b64 exec, exec, vcc
; %bb.174:
	v_mov_b32_e32 v3, 0
	ds_write_b32 v3, v54 offset:12
.LBB92_175:
	s_or_b64 exec, exec, s[56:57]
	v_mov_b32_e32 v3, 0
	s_waitcnt vmcnt(0) lgkmcnt(0)
	s_barrier
	ds_read_b32 v3, v3 offset:12
	v_cmp_ne_u32_e32 vcc, 0, v0
	v_mov_b32_e32 v5, v1
	s_and_saveexec_b64 s[6:7], vcc
	s_cbranch_execz .LBB92_179
; %bb.176:
	v_cndmask_b32_e64 v5, v43, v42, s[30:31]
	v_max_f32_e32 v4, v5, v5
	v_min_f32_e32 v6, v4, v41
	v_cmp_u_f32_e32 vcc, v5, v5
	v_max_f32_e32 v4, v4, v41
	v_cndmask_b32_e32 v6, v6, v5, vcc
	v_cndmask_b32_e32 v4, v4, v5, vcc
	v_cndmask_b32_e64 v6, v6, v1, s[28:29]
	v_cndmask_b32_e64 v4, v4, v1, s[28:29]
	s_movk_i32 s28, 0x1f8
	v_cmp_neq_f32_e32 vcc, v6, v4
	v_cmp_class_f32_e64 s[28:29], v6, s28
	s_or_b64 s[30:31], vcc, s[28:29]
	s_and_saveexec_b64 s[28:29], s[30:31]
	s_cbranch_execz .LBB92_178
; %bb.177:
	v_sub_f32_e32 v5, v6, v4
	s_mov_b32 s30, 0x3fb8aa3b
	v_mul_f32_e32 v6, 0x3fb8aa3b, v5
	v_fma_f32 v7, v5, s30, -v6
	v_rndne_f32_e32 v8, v6
	v_fmac_f32_e32 v7, 0x32a5705f, v5
	v_sub_f32_e32 v6, v6, v8
	v_add_f32_e32 v6, v6, v7
	v_exp_f32_e32 v6, v6
	v_cvt_i32_f32_e32 v7, v8
	s_mov_b32 s30, 0xc2ce8ed0
	v_cmp_ngt_f32_e32 vcc, s30, v5
	s_mov_b32 s30, 0x42b17218
	v_ldexp_f32 v6, v6, v7
	v_cndmask_b32_e32 v6, 0, v6, vcc
	v_mov_b32_e32 v7, 0x7f800000
	v_cmp_nlt_f32_e32 vcc, s30, v5
	v_cndmask_b32_e32 v8, v7, v6, vcc
	v_add_f32_e32 v9, 1.0, v8
	v_cvt_f64_f32_e32 v[5:6], v9
	v_add_f32_e32 v10, -1.0, v9
	v_sub_f32_e32 v11, v10, v9
	v_sub_f32_e32 v10, v8, v10
	v_frexp_exp_i32_f64_e32 v5, v[5:6]
	v_add_f32_e32 v6, 1.0, v11
	v_add_f32_e32 v6, v10, v6
	v_frexp_mant_f32_e32 v10, v9
	s_mov_b32 s31, 0x3f2aaaab
	v_cmp_gt_f32_e32 vcc, s31, v10
	s_mov_b32 s31, 0x3f317218
	s_mov_b32 s30, 0x7f800000
	v_subbrev_co_u32_e32 v5, vcc, 0, v5, vcc
	v_sub_u32_e32 v10, 0, v5
	v_ldexp_f32 v9, v9, v10
	v_ldexp_f32 v6, v6, v10
	v_add_f32_e32 v10, -1.0, v9
	v_add_f32_e32 v42, 1.0, v9
	v_add_f32_e32 v11, 1.0, v10
	v_add_f32_e32 v43, -1.0, v42
	v_sub_f32_e32 v11, v9, v11
	v_sub_f32_e32 v9, v9, v43
	v_add_f32_e32 v11, v6, v11
	v_add_f32_e32 v6, v6, v9
	;; [unrolled: 1-line block ×3, first 2 shown]
	v_rcp_f32_e32 v43, v9
	v_add_f32_e32 v41, v10, v11
	v_sub_f32_e32 v10, v10, v41
	v_add_f32_e32 v10, v11, v10
	v_sub_f32_e32 v11, v42, v9
	v_add_f32_e32 v6, v6, v11
	v_mul_f32_e32 v11, v41, v43
	v_mul_f32_e32 v42, v9, v11
	v_fma_f32 v44, v11, v9, -v42
	v_fmac_f32_e32 v44, v11, v6
	v_add_f32_e32 v45, v42, v44
	v_sub_f32_e32 v46, v41, v45
	v_sub_f32_e32 v41, v41, v46
	;; [unrolled: 1-line block ×4, first 2 shown]
	v_add_f32_e32 v10, v10, v41
	v_sub_f32_e32 v41, v42, v44
	v_add_f32_e32 v10, v41, v10
	v_add_f32_e32 v41, v46, v10
	v_mul_f32_e32 v42, v43, v41
	v_mul_f32_e32 v44, v9, v42
	v_fma_f32 v9, v42, v9, -v44
	v_fmac_f32_e32 v9, v42, v6
	v_sub_f32_e32 v6, v46, v41
	v_add_f32_e32 v6, v10, v6
	v_add_f32_e32 v10, v44, v9
	v_sub_f32_e32 v45, v41, v10
	v_sub_f32_e32 v41, v41, v45
	;; [unrolled: 1-line block ×4, first 2 shown]
	v_add_f32_e32 v6, v6, v10
	v_sub_f32_e32 v9, v44, v9
	v_add_f32_e32 v6, v9, v6
	v_add_f32_e32 v9, v11, v42
	;; [unrolled: 1-line block ×3, first 2 shown]
	v_sub_f32_e32 v10, v9, v11
	v_mul_f32_e32 v6, v43, v6
	v_sub_f32_e32 v10, v42, v10
	v_add_f32_e32 v6, v10, v6
	v_cvt_f32_i32_e32 v5, v5
	v_add_f32_e32 v10, v9, v6
	v_mul_f32_e32 v11, v10, v10
	v_mov_b32_e32 v41, 0x3ecc95a3
	v_fmac_f32_e32 v41, 0x3e9b6dac, v11
	v_mov_b32_e32 v42, 0x3f2aaada
	v_fmac_f32_e32 v42, v11, v41
	v_mul_f32_e32 v41, 0x3f317218, v5
	v_fma_f32 v43, v5, s31, -v41
	v_fmac_f32_e32 v43, 0xb102e308, v5
	v_sub_f32_e32 v5, v10, v9
	v_sub_f32_e32 v5, v6, v5
	v_add_f32_e32 v6, v41, v43
	v_sub_f32_e32 v9, v6, v41
	v_ldexp_f32 v41, v10, 1
	v_mul_f32_e32 v10, v10, v11
	v_mul_f32_e32 v10, v10, v42
	v_add_f32_e32 v11, v41, v10
	v_sub_f32_e32 v41, v11, v41
	v_ldexp_f32 v5, v5, 1
	v_sub_f32_e32 v10, v10, v41
	v_add_f32_e32 v5, v5, v10
	v_add_f32_e32 v10, v11, v5
	v_sub_f32_e32 v11, v10, v11
	v_sub_f32_e32 v5, v5, v11
	v_add_f32_e32 v11, v6, v10
	v_sub_f32_e32 v41, v11, v6
	v_sub_f32_e32 v42, v11, v41
	;; [unrolled: 1-line block ×5, first 2 shown]
	v_add_f32_e32 v6, v10, v6
	v_add_f32_e32 v10, v9, v5
	v_sub_f32_e32 v41, v10, v9
	v_sub_f32_e32 v42, v10, v41
	;; [unrolled: 1-line block ×4, first 2 shown]
	v_add_f32_e32 v6, v10, v6
	v_add_f32_e32 v5, v5, v9
	v_add_f32_e32 v9, v11, v6
	v_sub_f32_e32 v10, v9, v11
	v_sub_f32_e32 v6, v6, v10
	v_add_f32_e32 v5, v5, v6
	v_add_f32_e32 v5, v9, v5
	v_cmp_neq_f32_e32 vcc, s30, v8
	s_mov_b32 s30, 0x33800000
	v_cndmask_b32_e32 v5, v7, v5, vcc
	v_cmp_lt_f32_e64 vcc, |v8|, s30
	v_cndmask_b32_e32 v5, v5, v8, vcc
	v_add_f32_e32 v5, v4, v5
.LBB92_178:
	s_or_b64 exec, exec, s[28:29]
.LBB92_179:
	s_or_b64 exec, exec, s[6:7]
	v_max_f32_e32 v4, v5, v5
	s_waitcnt lgkmcnt(0)
	v_max_f32_e32 v7, v3, v3
	v_min_f32_e32 v6, v7, v4
	v_cmp_u_f32_e32 vcc, v3, v3
	v_max_f32_e32 v4, v7, v4
	v_cndmask_b32_e32 v6, v6, v3, vcc
	v_cmp_u_f32_e64 s[6:7], v5, v5
	v_cndmask_b32_e32 v4, v4, v3, vcc
	v_cndmask_b32_e64 v6, v6, v5, s[6:7]
	v_cndmask_b32_e64 v4, v4, v5, s[6:7]
	s_movk_i32 s28, 0x1f8
	v_cmp_neq_f32_e32 vcc, v6, v4
	v_cmp_class_f32_e64 s[6:7], v6, s28
	s_or_b64 s[30:31], vcc, s[6:7]
	s_and_saveexec_b64 s[6:7], s[30:31]
	s_cbranch_execz .LBB92_181
; %bb.180:
	v_sub_f32_e32 v3, v6, v4
	s_mov_b32 s29, 0x3fb8aa3b
	v_mul_f32_e32 v5, 0x3fb8aa3b, v3
	v_fma_f32 v6, v3, s29, -v5
	v_rndne_f32_e32 v7, v5
	v_fmac_f32_e32 v6, 0x32a5705f, v3
	v_sub_f32_e32 v5, v5, v7
	v_add_f32_e32 v5, v5, v6
	v_exp_f32_e32 v5, v5
	v_cvt_i32_f32_e32 v6, v7
	s_mov_b32 s29, 0xc2ce8ed0
	v_cmp_ngt_f32_e32 vcc, s29, v3
	s_mov_b32 s29, 0x42b17218
	v_ldexp_f32 v5, v5, v6
	v_cndmask_b32_e32 v5, 0, v5, vcc
	v_mov_b32_e32 v7, 0x7f800000
	v_cmp_nlt_f32_e32 vcc, s29, v3
	v_cndmask_b32_e32 v3, v7, v5, vcc
	v_add_f32_e32 v8, 1.0, v3
	v_cvt_f64_f32_e32 v[5:6], v8
	v_add_f32_e32 v9, -1.0, v8
	v_sub_f32_e32 v10, v9, v8
	v_sub_f32_e32 v9, v3, v9
	v_frexp_exp_i32_f64_e32 v5, v[5:6]
	v_add_f32_e32 v6, 1.0, v10
	v_add_f32_e32 v6, v9, v6
	v_frexp_mant_f32_e32 v9, v8
	s_mov_b32 s30, 0x3f2aaaab
	v_cmp_gt_f32_e32 vcc, s30, v9
	s_mov_b32 s30, 0x3f317218
	s_mov_b32 s29, 0x7f800000
	v_subbrev_co_u32_e32 v5, vcc, 0, v5, vcc
	v_sub_u32_e32 v9, 0, v5
	v_ldexp_f32 v8, v8, v9
	v_ldexp_f32 v6, v6, v9
	v_add_f32_e32 v9, -1.0, v8
	v_add_f32_e32 v41, 1.0, v8
	v_add_f32_e32 v10, 1.0, v9
	v_add_f32_e32 v42, -1.0, v41
	v_sub_f32_e32 v10, v8, v10
	v_sub_f32_e32 v8, v8, v42
	v_add_f32_e32 v10, v6, v10
	v_add_f32_e32 v6, v6, v8
	;; [unrolled: 1-line block ×3, first 2 shown]
	v_rcp_f32_e32 v42, v8
	v_add_f32_e32 v11, v9, v10
	v_sub_f32_e32 v9, v9, v11
	v_add_f32_e32 v9, v10, v9
	v_sub_f32_e32 v10, v41, v8
	v_add_f32_e32 v6, v6, v10
	v_mul_f32_e32 v10, v11, v42
	v_mul_f32_e32 v41, v8, v10
	v_fma_f32 v43, v10, v8, -v41
	v_fmac_f32_e32 v43, v10, v6
	v_add_f32_e32 v44, v41, v43
	v_sub_f32_e32 v45, v11, v44
	v_sub_f32_e32 v11, v11, v45
	;; [unrolled: 1-line block ×4, first 2 shown]
	v_add_f32_e32 v9, v9, v11
	v_sub_f32_e32 v11, v41, v43
	v_add_f32_e32 v9, v11, v9
	v_add_f32_e32 v11, v45, v9
	v_mul_f32_e32 v41, v42, v11
	v_mul_f32_e32 v43, v8, v41
	v_fma_f32 v8, v41, v8, -v43
	v_fmac_f32_e32 v8, v41, v6
	v_sub_f32_e32 v6, v45, v11
	v_add_f32_e32 v6, v9, v6
	v_add_f32_e32 v9, v43, v8
	v_sub_f32_e32 v44, v11, v9
	v_sub_f32_e32 v11, v11, v44
	;; [unrolled: 1-line block ×4, first 2 shown]
	v_add_f32_e32 v6, v6, v9
	v_sub_f32_e32 v8, v43, v8
	v_add_f32_e32 v6, v8, v6
	v_add_f32_e32 v8, v10, v41
	;; [unrolled: 1-line block ×3, first 2 shown]
	v_sub_f32_e32 v9, v8, v10
	v_mul_f32_e32 v6, v42, v6
	v_sub_f32_e32 v9, v41, v9
	v_add_f32_e32 v6, v9, v6
	v_cvt_f32_i32_e32 v5, v5
	v_add_f32_e32 v9, v8, v6
	v_mul_f32_e32 v10, v9, v9
	v_mov_b32_e32 v11, 0x3ecc95a3
	v_fmac_f32_e32 v11, 0x3e9b6dac, v10
	v_mov_b32_e32 v41, 0x3f2aaada
	v_fmac_f32_e32 v41, v10, v11
	v_mul_f32_e32 v11, 0x3f317218, v5
	v_fma_f32 v42, v5, s30, -v11
	v_fmac_f32_e32 v42, 0xb102e308, v5
	v_sub_f32_e32 v5, v9, v8
	v_sub_f32_e32 v5, v6, v5
	v_add_f32_e32 v6, v11, v42
	v_sub_f32_e32 v8, v6, v11
	v_ldexp_f32 v11, v9, 1
	v_mul_f32_e32 v9, v9, v10
	v_mul_f32_e32 v9, v9, v41
	v_add_f32_e32 v10, v11, v9
	v_sub_f32_e32 v11, v10, v11
	v_ldexp_f32 v5, v5, 1
	v_sub_f32_e32 v9, v9, v11
	v_add_f32_e32 v5, v5, v9
	v_add_f32_e32 v9, v10, v5
	v_sub_f32_e32 v10, v9, v10
	v_sub_f32_e32 v5, v5, v10
	v_add_f32_e32 v10, v6, v9
	v_sub_f32_e32 v11, v10, v6
	v_sub_f32_e32 v41, v10, v11
	;; [unrolled: 1-line block ×5, first 2 shown]
	v_add_f32_e32 v6, v9, v6
	v_add_f32_e32 v9, v8, v5
	v_sub_f32_e32 v11, v9, v8
	v_sub_f32_e32 v41, v9, v11
	;; [unrolled: 1-line block ×4, first 2 shown]
	v_add_f32_e32 v6, v9, v6
	v_add_f32_e32 v5, v5, v8
	;; [unrolled: 1-line block ×3, first 2 shown]
	v_sub_f32_e32 v9, v8, v10
	v_sub_f32_e32 v6, v6, v9
	v_add_f32_e32 v5, v5, v6
	v_add_f32_e32 v5, v8, v5
	v_cmp_neq_f32_e32 vcc, s29, v3
	s_mov_b32 s29, 0x33800000
	v_cndmask_b32_e32 v5, v7, v5, vcc
	v_cmp_lt_f32_e64 vcc, |v3|, s29
	v_cndmask_b32_e32 v3, v5, v3, vcc
	v_add_f32_e32 v3, v4, v3
.LBB92_181:
	s_or_b64 exec, exec, s[6:7]
	v_max_f32_e32 v4, v3, v3
	v_min_f32_e32 v5, v4, v34
	v_cmp_u_f32_e32 vcc, v3, v3
	v_max_f32_e32 v4, v4, v34
	v_cndmask_b32_e32 v5, v5, v3, vcc
	v_cndmask_b32_e32 v4, v4, v3, vcc
	v_cndmask_b32_e64 v6, v5, v2, s[0:1]
	v_cndmask_b32_e64 v5, v4, v2, s[0:1]
	v_cmp_neq_f32_e32 vcc, v6, v5
	v_cmp_class_f32_e64 s[0:1], v6, s28
	s_or_b64 s[6:7], vcc, s[0:1]
	v_mov_b32_e32 v4, v3
	s_and_saveexec_b64 s[0:1], s[6:7]
	s_cbranch_execz .LBB92_183
; %bb.182:
	v_sub_f32_e32 v4, v6, v5
	s_mov_b32 s6, 0x3fb8aa3b
	v_mul_f32_e32 v6, 0x3fb8aa3b, v4
	v_fma_f32 v7, v4, s6, -v6
	v_rndne_f32_e32 v8, v6
	v_fmac_f32_e32 v7, 0x32a5705f, v4
	v_sub_f32_e32 v6, v6, v8
	v_add_f32_e32 v6, v6, v7
	v_exp_f32_e32 v6, v6
	v_cvt_i32_f32_e32 v7, v8
	s_mov_b32 s6, 0xc2ce8ed0
	v_cmp_ngt_f32_e32 vcc, s6, v4
	s_mov_b32 s6, 0x42b17218
	v_ldexp_f32 v6, v6, v7
	v_cndmask_b32_e32 v6, 0, v6, vcc
	v_mov_b32_e32 v8, 0x7f800000
	v_cmp_nlt_f32_e32 vcc, s6, v4
	v_cndmask_b32_e32 v4, v8, v6, vcc
	v_add_f32_e32 v9, 1.0, v4
	v_cvt_f64_f32_e32 v[6:7], v9
	v_add_f32_e32 v10, -1.0, v9
	v_sub_f32_e32 v11, v10, v9
	v_sub_f32_e32 v10, v4, v10
	v_frexp_exp_i32_f64_e32 v6, v[6:7]
	v_add_f32_e32 v7, 1.0, v11
	v_add_f32_e32 v7, v10, v7
	v_frexp_mant_f32_e32 v10, v9
	s_mov_b32 s7, 0x3f2aaaab
	v_cmp_gt_f32_e32 vcc, s7, v10
	s_mov_b32 s7, 0x3f317218
	s_mov_b32 s6, 0x7f800000
	v_subbrev_co_u32_e32 v6, vcc, 0, v6, vcc
	v_sub_u32_e32 v10, 0, v6
	v_ldexp_f32 v9, v9, v10
	v_ldexp_f32 v7, v7, v10
	v_add_f32_e32 v10, -1.0, v9
	v_add_f32_e32 v42, 1.0, v9
	v_add_f32_e32 v11, 1.0, v10
	v_add_f32_e32 v43, -1.0, v42
	v_sub_f32_e32 v11, v9, v11
	v_sub_f32_e32 v9, v9, v43
	v_add_f32_e32 v11, v7, v11
	v_add_f32_e32 v7, v7, v9
	;; [unrolled: 1-line block ×3, first 2 shown]
	v_rcp_f32_e32 v43, v9
	v_add_f32_e32 v41, v10, v11
	v_sub_f32_e32 v10, v10, v41
	v_add_f32_e32 v10, v11, v10
	v_sub_f32_e32 v11, v42, v9
	v_add_f32_e32 v7, v7, v11
	v_mul_f32_e32 v11, v41, v43
	v_mul_f32_e32 v42, v9, v11
	v_fma_f32 v44, v11, v9, -v42
	v_fmac_f32_e32 v44, v11, v7
	v_add_f32_e32 v45, v42, v44
	v_sub_f32_e32 v46, v41, v45
	v_sub_f32_e32 v41, v41, v46
	;; [unrolled: 1-line block ×4, first 2 shown]
	v_add_f32_e32 v10, v10, v41
	v_sub_f32_e32 v41, v42, v44
	v_add_f32_e32 v10, v41, v10
	v_add_f32_e32 v41, v46, v10
	v_mul_f32_e32 v42, v43, v41
	v_mul_f32_e32 v44, v9, v42
	v_fma_f32 v9, v42, v9, -v44
	v_fmac_f32_e32 v9, v42, v7
	v_sub_f32_e32 v7, v46, v41
	v_add_f32_e32 v7, v10, v7
	v_add_f32_e32 v10, v44, v9
	v_sub_f32_e32 v45, v41, v10
	v_sub_f32_e32 v41, v41, v45
	;; [unrolled: 1-line block ×4, first 2 shown]
	v_add_f32_e32 v7, v7, v10
	v_sub_f32_e32 v9, v44, v9
	v_add_f32_e32 v7, v9, v7
	v_add_f32_e32 v9, v11, v42
	;; [unrolled: 1-line block ×3, first 2 shown]
	v_sub_f32_e32 v10, v9, v11
	v_mul_f32_e32 v7, v43, v7
	v_sub_f32_e32 v10, v42, v10
	v_add_f32_e32 v7, v10, v7
	v_cvt_f32_i32_e32 v6, v6
	v_add_f32_e32 v10, v9, v7
	v_mul_f32_e32 v11, v10, v10
	v_mov_b32_e32 v41, 0x3ecc95a3
	v_fmac_f32_e32 v41, 0x3e9b6dac, v11
	v_mov_b32_e32 v42, 0x3f2aaada
	v_fmac_f32_e32 v42, v11, v41
	v_mul_f32_e32 v41, 0x3f317218, v6
	v_fma_f32 v43, v6, s7, -v41
	v_fmac_f32_e32 v43, 0xb102e308, v6
	v_sub_f32_e32 v6, v10, v9
	v_sub_f32_e32 v6, v7, v6
	v_add_f32_e32 v7, v41, v43
	v_sub_f32_e32 v9, v7, v41
	v_ldexp_f32 v41, v10, 1
	v_mul_f32_e32 v10, v10, v11
	v_mul_f32_e32 v10, v10, v42
	v_add_f32_e32 v11, v41, v10
	v_sub_f32_e32 v41, v11, v41
	v_ldexp_f32 v6, v6, 1
	v_sub_f32_e32 v10, v10, v41
	v_add_f32_e32 v6, v6, v10
	v_add_f32_e32 v10, v11, v6
	v_sub_f32_e32 v11, v10, v11
	v_sub_f32_e32 v6, v6, v11
	v_add_f32_e32 v11, v7, v10
	v_sub_f32_e32 v41, v11, v7
	v_sub_f32_e32 v42, v11, v41
	;; [unrolled: 1-line block ×5, first 2 shown]
	v_add_f32_e32 v7, v10, v7
	v_add_f32_e32 v10, v9, v6
	v_sub_f32_e32 v41, v10, v9
	v_sub_f32_e32 v42, v10, v41
	v_sub_f32_e32 v9, v9, v42
	v_sub_f32_e32 v6, v6, v41
	v_add_f32_e32 v7, v10, v7
	v_add_f32_e32 v6, v6, v9
	;; [unrolled: 1-line block ×3, first 2 shown]
	v_sub_f32_e32 v10, v9, v11
	v_sub_f32_e32 v7, v7, v10
	v_add_f32_e32 v6, v6, v7
	v_add_f32_e32 v6, v9, v6
	v_cmp_neq_f32_e32 vcc, s6, v4
	s_mov_b32 s6, 0x33800000
	v_cndmask_b32_e32 v6, v8, v6, vcc
	v_cmp_lt_f32_e64 vcc, |v4|, s6
	v_cndmask_b32_e32 v4, v6, v4, vcc
	v_add_f32_e32 v4, v5, v4
.LBB92_183:
	s_or_b64 exec, exec, s[0:1]
	v_max_f32_e32 v5, v4, v4
	v_min_f32_e32 v6, v5, v12
	v_cmp_u_f32_e32 vcc, v4, v4
	v_max_f32_e32 v5, v5, v12
	v_cndmask_b32_e32 v6, v6, v4, vcc
	v_cndmask_b32_e32 v5, v5, v4, vcc
	v_cndmask_b32_e64 v7, v6, v29, s[2:3]
	v_cndmask_b32_e64 v6, v5, v29, s[2:3]
	s_movk_i32 s2, 0x1f8
	v_cmp_neq_f32_e32 vcc, v7, v6
	v_cmp_class_f32_e64 s[0:1], v7, s2
	s_or_b64 s[6:7], vcc, s[0:1]
	v_mov_b32_e32 v5, v4
	s_and_saveexec_b64 s[0:1], s[6:7]
	s_cbranch_execz .LBB92_185
; %bb.184:
	v_sub_f32_e32 v5, v7, v6
	s_mov_b32 s3, 0x3fb8aa3b
	v_mul_f32_e32 v7, 0x3fb8aa3b, v5
	v_fma_f32 v8, v5, s3, -v7
	v_rndne_f32_e32 v9, v7
	v_fmac_f32_e32 v8, 0x32a5705f, v5
	v_sub_f32_e32 v7, v7, v9
	v_add_f32_e32 v7, v7, v8
	v_exp_f32_e32 v7, v7
	v_cvt_i32_f32_e32 v8, v9
	s_mov_b32 s3, 0xc2ce8ed0
	v_cmp_ngt_f32_e32 vcc, s3, v5
	s_mov_b32 s3, 0x42b17218
	v_ldexp_f32 v7, v7, v8
	v_cndmask_b32_e32 v7, 0, v7, vcc
	v_mov_b32_e32 v9, 0x7f800000
	v_cmp_nlt_f32_e32 vcc, s3, v5
	v_cndmask_b32_e32 v5, v9, v7, vcc
	v_add_f32_e32 v10, 1.0, v5
	v_cvt_f64_f32_e32 v[7:8], v10
	v_add_f32_e32 v11, -1.0, v10
	v_sub_f32_e32 v12, v11, v10
	v_sub_f32_e32 v11, v5, v11
	v_frexp_exp_i32_f64_e32 v7, v[7:8]
	v_add_f32_e32 v8, 1.0, v12
	v_add_f32_e32 v8, v11, v8
	v_frexp_mant_f32_e32 v11, v10
	s_mov_b32 s6, 0x3f2aaaab
	v_cmp_gt_f32_e32 vcc, s6, v11
	s_mov_b32 s6, 0x3f317218
	s_mov_b32 s3, 0x7f800000
	v_subbrev_co_u32_e32 v7, vcc, 0, v7, vcc
	v_sub_u32_e32 v11, 0, v7
	v_ldexp_f32 v10, v10, v11
	v_ldexp_f32 v8, v8, v11
	v_add_f32_e32 v11, -1.0, v10
	v_add_f32_e32 v42, 1.0, v10
	v_add_f32_e32 v12, 1.0, v11
	v_add_f32_e32 v43, -1.0, v42
	v_sub_f32_e32 v12, v10, v12
	v_sub_f32_e32 v10, v10, v43
	v_add_f32_e32 v12, v8, v12
	v_add_f32_e32 v8, v8, v10
	;; [unrolled: 1-line block ×3, first 2 shown]
	v_rcp_f32_e32 v43, v10
	v_add_f32_e32 v41, v11, v12
	v_sub_f32_e32 v11, v11, v41
	v_add_f32_e32 v11, v12, v11
	v_sub_f32_e32 v12, v42, v10
	v_add_f32_e32 v8, v8, v12
	v_mul_f32_e32 v12, v41, v43
	v_mul_f32_e32 v42, v10, v12
	v_fma_f32 v44, v12, v10, -v42
	v_fmac_f32_e32 v44, v12, v8
	v_add_f32_e32 v45, v42, v44
	v_sub_f32_e32 v46, v41, v45
	v_sub_f32_e32 v41, v41, v46
	;; [unrolled: 1-line block ×4, first 2 shown]
	v_add_f32_e32 v11, v11, v41
	v_sub_f32_e32 v41, v42, v44
	v_add_f32_e32 v11, v41, v11
	v_add_f32_e32 v41, v46, v11
	v_mul_f32_e32 v42, v43, v41
	v_mul_f32_e32 v44, v10, v42
	v_fma_f32 v10, v42, v10, -v44
	v_fmac_f32_e32 v10, v42, v8
	v_sub_f32_e32 v8, v46, v41
	v_add_f32_e32 v8, v11, v8
	v_add_f32_e32 v11, v44, v10
	v_sub_f32_e32 v45, v41, v11
	v_sub_f32_e32 v41, v41, v45
	;; [unrolled: 1-line block ×4, first 2 shown]
	v_add_f32_e32 v8, v8, v11
	v_sub_f32_e32 v10, v44, v10
	v_add_f32_e32 v8, v10, v8
	v_add_f32_e32 v10, v12, v42
	;; [unrolled: 1-line block ×3, first 2 shown]
	v_sub_f32_e32 v11, v10, v12
	v_mul_f32_e32 v8, v43, v8
	v_sub_f32_e32 v11, v42, v11
	v_add_f32_e32 v8, v11, v8
	v_cvt_f32_i32_e32 v7, v7
	v_add_f32_e32 v11, v10, v8
	v_mul_f32_e32 v12, v11, v11
	v_mov_b32_e32 v41, 0x3ecc95a3
	v_fmac_f32_e32 v41, 0x3e9b6dac, v12
	v_mov_b32_e32 v42, 0x3f2aaada
	v_fmac_f32_e32 v42, v12, v41
	v_mul_f32_e32 v41, 0x3f317218, v7
	v_fma_f32 v43, v7, s6, -v41
	v_fmac_f32_e32 v43, 0xb102e308, v7
	v_sub_f32_e32 v7, v11, v10
	v_sub_f32_e32 v7, v8, v7
	v_add_f32_e32 v8, v41, v43
	v_sub_f32_e32 v10, v8, v41
	v_ldexp_f32 v41, v11, 1
	v_mul_f32_e32 v11, v11, v12
	v_mul_f32_e32 v11, v11, v42
	v_add_f32_e32 v12, v41, v11
	v_sub_f32_e32 v41, v12, v41
	v_ldexp_f32 v7, v7, 1
	v_sub_f32_e32 v11, v11, v41
	v_add_f32_e32 v7, v7, v11
	v_add_f32_e32 v11, v12, v7
	v_sub_f32_e32 v12, v11, v12
	v_sub_f32_e32 v7, v7, v12
	v_add_f32_e32 v12, v8, v11
	v_sub_f32_e32 v41, v12, v8
	v_sub_f32_e32 v42, v12, v41
	;; [unrolled: 1-line block ×5, first 2 shown]
	v_add_f32_e32 v8, v11, v8
	v_add_f32_e32 v11, v10, v7
	v_sub_f32_e32 v41, v11, v10
	v_sub_f32_e32 v42, v11, v41
	v_sub_f32_e32 v10, v10, v42
	v_sub_f32_e32 v7, v7, v41
	v_add_f32_e32 v8, v11, v8
	v_add_f32_e32 v7, v7, v10
	;; [unrolled: 1-line block ×3, first 2 shown]
	v_sub_f32_e32 v11, v10, v12
	v_sub_f32_e32 v8, v8, v11
	v_add_f32_e32 v7, v7, v8
	v_add_f32_e32 v7, v10, v7
	v_cmp_neq_f32_e32 vcc, s3, v5
	s_mov_b32 s3, 0x33800000
	v_cndmask_b32_e32 v7, v9, v7, vcc
	v_cmp_lt_f32_e64 vcc, |v5|, s3
	v_cndmask_b32_e32 v5, v7, v5, vcc
	v_add_f32_e32 v5, v6, v5
.LBB92_185:
	s_or_b64 exec, exec, s[0:1]
	v_max_f32_e32 v6, v5, v5
	v_min_f32_e32 v7, v6, v13
	v_cmp_u_f32_e32 vcc, v5, v5
	v_max_f32_e32 v6, v6, v13
	v_cndmask_b32_e32 v7, v7, v5, vcc
	v_cndmask_b32_e32 v6, v6, v5, vcc
	v_cndmask_b32_e64 v8, v7, v30, s[4:5]
	v_cndmask_b32_e64 v7, v6, v30, s[4:5]
	v_cmp_neq_f32_e32 vcc, v8, v7
	v_cmp_class_f32_e64 s[0:1], v8, s2
	s_or_b64 s[2:3], vcc, s[0:1]
	v_mov_b32_e32 v6, v5
	s_and_saveexec_b64 s[0:1], s[2:3]
	s_cbranch_execz .LBB92_187
; %bb.186:
	v_sub_f32_e32 v6, v8, v7
	s_mov_b32 s2, 0x3fb8aa3b
	v_mul_f32_e32 v8, 0x3fb8aa3b, v6
	v_fma_f32 v9, v6, s2, -v8
	v_rndne_f32_e32 v10, v8
	v_fmac_f32_e32 v9, 0x32a5705f, v6
	v_sub_f32_e32 v8, v8, v10
	v_add_f32_e32 v8, v8, v9
	v_exp_f32_e32 v8, v8
	v_cvt_i32_f32_e32 v9, v10
	s_mov_b32 s2, 0xc2ce8ed0
	v_cmp_ngt_f32_e32 vcc, s2, v6
	s_mov_b32 s2, 0x42b17218
	v_ldexp_f32 v8, v8, v9
	v_cndmask_b32_e32 v8, 0, v8, vcc
	v_mov_b32_e32 v10, 0x7f800000
	v_cmp_nlt_f32_e32 vcc, s2, v6
	v_cndmask_b32_e32 v6, v10, v8, vcc
	v_add_f32_e32 v11, 1.0, v6
	v_cvt_f64_f32_e32 v[8:9], v11
	v_add_f32_e32 v12, -1.0, v11
	v_sub_f32_e32 v13, v12, v11
	v_sub_f32_e32 v12, v6, v12
	v_frexp_exp_i32_f64_e32 v8, v[8:9]
	v_add_f32_e32 v9, 1.0, v13
	v_add_f32_e32 v9, v12, v9
	v_frexp_mant_f32_e32 v12, v11
	s_mov_b32 s3, 0x3f2aaaab
	v_cmp_gt_f32_e32 vcc, s3, v12
	s_mov_b32 s3, 0x3f317218
	s_mov_b32 s2, 0x7f800000
	v_subbrev_co_u32_e32 v8, vcc, 0, v8, vcc
	v_sub_u32_e32 v12, 0, v8
	v_ldexp_f32 v11, v11, v12
	v_ldexp_f32 v9, v9, v12
	v_add_f32_e32 v12, -1.0, v11
	v_add_f32_e32 v42, 1.0, v11
	v_add_f32_e32 v13, 1.0, v12
	v_add_f32_e32 v43, -1.0, v42
	v_sub_f32_e32 v13, v11, v13
	v_sub_f32_e32 v11, v11, v43
	v_add_f32_e32 v13, v9, v13
	v_add_f32_e32 v9, v9, v11
	;; [unrolled: 1-line block ×3, first 2 shown]
	v_rcp_f32_e32 v43, v11
	v_add_f32_e32 v41, v12, v13
	v_sub_f32_e32 v12, v12, v41
	v_add_f32_e32 v12, v13, v12
	v_sub_f32_e32 v13, v42, v11
	v_add_f32_e32 v9, v9, v13
	v_mul_f32_e32 v13, v41, v43
	v_mul_f32_e32 v42, v11, v13
	v_fma_f32 v44, v13, v11, -v42
	v_fmac_f32_e32 v44, v13, v9
	v_add_f32_e32 v45, v42, v44
	v_sub_f32_e32 v46, v41, v45
	v_sub_f32_e32 v41, v41, v46
	;; [unrolled: 1-line block ×4, first 2 shown]
	v_add_f32_e32 v12, v12, v41
	v_sub_f32_e32 v41, v42, v44
	v_add_f32_e32 v12, v41, v12
	v_add_f32_e32 v41, v46, v12
	v_mul_f32_e32 v42, v43, v41
	v_mul_f32_e32 v44, v11, v42
	v_fma_f32 v11, v42, v11, -v44
	v_fmac_f32_e32 v11, v42, v9
	v_sub_f32_e32 v9, v46, v41
	v_add_f32_e32 v9, v12, v9
	v_add_f32_e32 v12, v44, v11
	v_sub_f32_e32 v45, v41, v12
	v_sub_f32_e32 v41, v41, v45
	;; [unrolled: 1-line block ×4, first 2 shown]
	v_add_f32_e32 v9, v9, v12
	v_sub_f32_e32 v11, v44, v11
	v_add_f32_e32 v9, v11, v9
	v_add_f32_e32 v11, v13, v42
	;; [unrolled: 1-line block ×3, first 2 shown]
	v_sub_f32_e32 v12, v11, v13
	v_mul_f32_e32 v9, v43, v9
	v_sub_f32_e32 v12, v42, v12
	v_add_f32_e32 v9, v12, v9
	v_cvt_f32_i32_e32 v8, v8
	v_add_f32_e32 v12, v11, v9
	v_mul_f32_e32 v13, v12, v12
	v_mov_b32_e32 v41, 0x3ecc95a3
	v_fmac_f32_e32 v41, 0x3e9b6dac, v13
	v_mov_b32_e32 v42, 0x3f2aaada
	v_fmac_f32_e32 v42, v13, v41
	v_mul_f32_e32 v41, 0x3f317218, v8
	v_fma_f32 v43, v8, s3, -v41
	v_fmac_f32_e32 v43, 0xb102e308, v8
	v_sub_f32_e32 v8, v12, v11
	v_sub_f32_e32 v8, v9, v8
	v_add_f32_e32 v9, v41, v43
	v_sub_f32_e32 v11, v9, v41
	v_ldexp_f32 v41, v12, 1
	v_mul_f32_e32 v12, v12, v13
	v_mul_f32_e32 v12, v12, v42
	v_add_f32_e32 v13, v41, v12
	v_sub_f32_e32 v41, v13, v41
	v_ldexp_f32 v8, v8, 1
	v_sub_f32_e32 v12, v12, v41
	v_add_f32_e32 v8, v8, v12
	v_add_f32_e32 v12, v13, v8
	v_sub_f32_e32 v13, v12, v13
	v_sub_f32_e32 v8, v8, v13
	v_add_f32_e32 v13, v9, v12
	v_sub_f32_e32 v41, v13, v9
	v_sub_f32_e32 v42, v13, v41
	;; [unrolled: 1-line block ×5, first 2 shown]
	v_add_f32_e32 v9, v12, v9
	v_add_f32_e32 v12, v11, v8
	v_sub_f32_e32 v41, v12, v11
	v_sub_f32_e32 v42, v12, v41
	;; [unrolled: 1-line block ×4, first 2 shown]
	v_add_f32_e32 v9, v12, v9
	v_add_f32_e32 v8, v8, v11
	v_add_f32_e32 v11, v13, v9
	v_sub_f32_e32 v12, v11, v13
	v_sub_f32_e32 v9, v9, v12
	v_add_f32_e32 v8, v8, v9
	v_add_f32_e32 v8, v11, v8
	v_cmp_neq_f32_e32 vcc, s2, v6
	s_mov_b32 s2, 0x33800000
	v_cndmask_b32_e32 v8, v10, v8, vcc
	v_cmp_lt_f32_e64 vcc, |v6|, s2
	v_cndmask_b32_e32 v6, v8, v6, vcc
	v_add_f32_e32 v6, v7, v6
.LBB92_187:
	s_or_b64 exec, exec, s[0:1]
	v_max_f32_e32 v7, v6, v6
	v_min_f32_e32 v8, v7, v14
	v_cmp_u_f32_e32 vcc, v6, v6
	v_max_f32_e32 v7, v7, v14
	v_cndmask_b32_e32 v8, v8, v6, vcc
	v_cndmask_b32_e32 v7, v7, v6, vcc
	v_cndmask_b32_e64 v9, v8, v27, s[34:35]
	v_cndmask_b32_e64 v8, v7, v27, s[34:35]
	s_movk_i32 s2, 0x1f8
	v_cmp_neq_f32_e32 vcc, v9, v8
	v_cmp_class_f32_e64 s[0:1], v9, s2
	s_or_b64 s[4:5], vcc, s[0:1]
	v_mov_b32_e32 v7, v6
	s_and_saveexec_b64 s[0:1], s[4:5]
	s_cbranch_execz .LBB92_189
; %bb.188:
	v_sub_f32_e32 v7, v9, v8
	s_mov_b32 s3, 0x3fb8aa3b
	v_mul_f32_e32 v9, 0x3fb8aa3b, v7
	v_fma_f32 v10, v7, s3, -v9
	v_rndne_f32_e32 v11, v9
	v_fmac_f32_e32 v10, 0x32a5705f, v7
	v_sub_f32_e32 v9, v9, v11
	v_add_f32_e32 v9, v9, v10
	v_exp_f32_e32 v9, v9
	v_cvt_i32_f32_e32 v10, v11
	s_mov_b32 s3, 0xc2ce8ed0
	v_cmp_ngt_f32_e32 vcc, s3, v7
	s_mov_b32 s3, 0x42b17218
	v_ldexp_f32 v9, v9, v10
	v_cndmask_b32_e32 v9, 0, v9, vcc
	v_mov_b32_e32 v11, 0x7f800000
	v_cmp_nlt_f32_e32 vcc, s3, v7
	v_cndmask_b32_e32 v7, v11, v9, vcc
	v_add_f32_e32 v12, 1.0, v7
	v_cvt_f64_f32_e32 v[9:10], v12
	v_add_f32_e32 v13, -1.0, v12
	v_sub_f32_e32 v14, v13, v12
	v_sub_f32_e32 v13, v7, v13
	v_frexp_exp_i32_f64_e32 v9, v[9:10]
	v_add_f32_e32 v10, 1.0, v14
	v_add_f32_e32 v10, v13, v10
	v_frexp_mant_f32_e32 v13, v12
	s_mov_b32 s4, 0x3f2aaaab
	v_cmp_gt_f32_e32 vcc, s4, v13
	s_mov_b32 s4, 0x3f317218
	s_mov_b32 s3, 0x7f800000
	v_subbrev_co_u32_e32 v9, vcc, 0, v9, vcc
	v_sub_u32_e32 v13, 0, v9
	v_ldexp_f32 v12, v12, v13
	v_ldexp_f32 v10, v10, v13
	v_add_f32_e32 v13, -1.0, v12
	v_add_f32_e32 v42, 1.0, v12
	v_add_f32_e32 v14, 1.0, v13
	v_add_f32_e32 v43, -1.0, v42
	v_sub_f32_e32 v14, v12, v14
	v_sub_f32_e32 v12, v12, v43
	v_add_f32_e32 v14, v10, v14
	v_add_f32_e32 v10, v10, v12
	;; [unrolled: 1-line block ×3, first 2 shown]
	v_rcp_f32_e32 v43, v12
	v_add_f32_e32 v41, v13, v14
	v_sub_f32_e32 v13, v13, v41
	v_add_f32_e32 v13, v14, v13
	v_sub_f32_e32 v14, v42, v12
	v_add_f32_e32 v10, v10, v14
	v_mul_f32_e32 v14, v41, v43
	v_mul_f32_e32 v42, v12, v14
	v_fma_f32 v44, v14, v12, -v42
	v_fmac_f32_e32 v44, v14, v10
	v_add_f32_e32 v45, v42, v44
	v_sub_f32_e32 v46, v41, v45
	v_sub_f32_e32 v41, v41, v46
	;; [unrolled: 1-line block ×4, first 2 shown]
	v_add_f32_e32 v13, v13, v41
	v_sub_f32_e32 v41, v42, v44
	v_add_f32_e32 v13, v41, v13
	v_add_f32_e32 v41, v46, v13
	v_mul_f32_e32 v42, v43, v41
	v_mul_f32_e32 v44, v12, v42
	v_fma_f32 v12, v42, v12, -v44
	v_fmac_f32_e32 v12, v42, v10
	v_sub_f32_e32 v10, v46, v41
	v_add_f32_e32 v10, v13, v10
	v_add_f32_e32 v13, v44, v12
	v_sub_f32_e32 v45, v41, v13
	v_sub_f32_e32 v41, v41, v45
	;; [unrolled: 1-line block ×4, first 2 shown]
	v_add_f32_e32 v10, v10, v13
	v_sub_f32_e32 v12, v44, v12
	v_add_f32_e32 v10, v12, v10
	v_add_f32_e32 v12, v14, v42
	;; [unrolled: 1-line block ×3, first 2 shown]
	v_sub_f32_e32 v13, v12, v14
	v_mul_f32_e32 v10, v43, v10
	v_sub_f32_e32 v13, v42, v13
	v_add_f32_e32 v10, v13, v10
	v_cvt_f32_i32_e32 v9, v9
	v_add_f32_e32 v13, v12, v10
	v_mul_f32_e32 v14, v13, v13
	v_mov_b32_e32 v41, 0x3ecc95a3
	v_fmac_f32_e32 v41, 0x3e9b6dac, v14
	v_mov_b32_e32 v42, 0x3f2aaada
	v_fmac_f32_e32 v42, v14, v41
	v_mul_f32_e32 v41, 0x3f317218, v9
	v_fma_f32 v43, v9, s4, -v41
	v_fmac_f32_e32 v43, 0xb102e308, v9
	v_sub_f32_e32 v9, v13, v12
	v_sub_f32_e32 v9, v10, v9
	v_add_f32_e32 v10, v41, v43
	v_sub_f32_e32 v12, v10, v41
	v_ldexp_f32 v41, v13, 1
	v_mul_f32_e32 v13, v13, v14
	v_mul_f32_e32 v13, v13, v42
	v_add_f32_e32 v14, v41, v13
	v_sub_f32_e32 v41, v14, v41
	v_ldexp_f32 v9, v9, 1
	v_sub_f32_e32 v13, v13, v41
	v_add_f32_e32 v9, v9, v13
	v_add_f32_e32 v13, v14, v9
	v_sub_f32_e32 v14, v13, v14
	v_sub_f32_e32 v9, v9, v14
	v_add_f32_e32 v14, v10, v13
	v_sub_f32_e32 v41, v14, v10
	v_sub_f32_e32 v42, v14, v41
	;; [unrolled: 1-line block ×5, first 2 shown]
	v_add_f32_e32 v10, v13, v10
	v_add_f32_e32 v13, v12, v9
	v_sub_f32_e32 v41, v13, v12
	v_sub_f32_e32 v42, v13, v41
	;; [unrolled: 1-line block ×4, first 2 shown]
	v_add_f32_e32 v10, v13, v10
	v_add_f32_e32 v9, v9, v12
	v_add_f32_e32 v12, v14, v10
	v_sub_f32_e32 v13, v12, v14
	v_sub_f32_e32 v10, v10, v13
	v_add_f32_e32 v9, v9, v10
	v_add_f32_e32 v9, v12, v9
	v_cmp_neq_f32_e32 vcc, s3, v7
	s_mov_b32 s3, 0x33800000
	v_cndmask_b32_e32 v9, v11, v9, vcc
	v_cmp_lt_f32_e64 vcc, |v7|, s3
	v_cndmask_b32_e32 v7, v9, v7, vcc
	v_add_f32_e32 v7, v8, v7
.LBB92_189:
	s_or_b64 exec, exec, s[0:1]
	v_max_f32_e32 v8, v7, v7
	v_min_f32_e32 v9, v8, v15
	v_cmp_u_f32_e32 vcc, v7, v7
	v_max_f32_e32 v8, v8, v15
	v_cndmask_b32_e32 v9, v9, v7, vcc
	v_cndmask_b32_e32 v8, v8, v7, vcc
	v_cndmask_b32_e64 v10, v9, v28, s[8:9]
	v_cndmask_b32_e64 v9, v8, v28, s[8:9]
	v_cmp_neq_f32_e32 vcc, v10, v9
	v_cmp_class_f32_e64 s[0:1], v10, s2
	s_or_b64 s[2:3], vcc, s[0:1]
	v_mov_b32_e32 v8, v7
	s_and_saveexec_b64 s[0:1], s[2:3]
	s_cbranch_execz .LBB92_191
; %bb.190:
	v_sub_f32_e32 v8, v10, v9
	s_mov_b32 s2, 0x3fb8aa3b
	v_mul_f32_e32 v10, 0x3fb8aa3b, v8
	v_fma_f32 v11, v8, s2, -v10
	v_rndne_f32_e32 v12, v10
	v_fmac_f32_e32 v11, 0x32a5705f, v8
	v_sub_f32_e32 v10, v10, v12
	v_add_f32_e32 v10, v10, v11
	v_exp_f32_e32 v10, v10
	v_cvt_i32_f32_e32 v11, v12
	s_mov_b32 s2, 0xc2ce8ed0
	v_cmp_ngt_f32_e32 vcc, s2, v8
	s_mov_b32 s2, 0x42b17218
	v_ldexp_f32 v10, v10, v11
	v_cndmask_b32_e32 v10, 0, v10, vcc
	v_mov_b32_e32 v12, 0x7f800000
	v_cmp_nlt_f32_e32 vcc, s2, v8
	v_cndmask_b32_e32 v8, v12, v10, vcc
	v_add_f32_e32 v13, 1.0, v8
	v_cvt_f64_f32_e32 v[10:11], v13
	v_add_f32_e32 v14, -1.0, v13
	v_sub_f32_e32 v15, v14, v13
	v_sub_f32_e32 v14, v8, v14
	v_frexp_exp_i32_f64_e32 v10, v[10:11]
	v_add_f32_e32 v11, 1.0, v15
	v_add_f32_e32 v11, v14, v11
	v_frexp_mant_f32_e32 v14, v13
	s_mov_b32 s3, 0x3f2aaaab
	v_cmp_gt_f32_e32 vcc, s3, v14
	s_mov_b32 s3, 0x3f317218
	s_mov_b32 s2, 0x7f800000
	v_subbrev_co_u32_e32 v10, vcc, 0, v10, vcc
	v_sub_u32_e32 v14, 0, v10
	v_ldexp_f32 v13, v13, v14
	v_ldexp_f32 v11, v11, v14
	v_add_f32_e32 v14, -1.0, v13
	v_add_f32_e32 v42, 1.0, v13
	v_add_f32_e32 v15, 1.0, v14
	v_add_f32_e32 v43, -1.0, v42
	v_sub_f32_e32 v15, v13, v15
	v_sub_f32_e32 v13, v13, v43
	v_add_f32_e32 v15, v11, v15
	v_add_f32_e32 v11, v11, v13
	;; [unrolled: 1-line block ×3, first 2 shown]
	v_rcp_f32_e32 v43, v13
	v_add_f32_e32 v41, v14, v15
	v_sub_f32_e32 v14, v14, v41
	v_add_f32_e32 v14, v15, v14
	v_sub_f32_e32 v15, v42, v13
	v_add_f32_e32 v11, v11, v15
	v_mul_f32_e32 v15, v41, v43
	v_mul_f32_e32 v42, v13, v15
	v_fma_f32 v44, v15, v13, -v42
	v_fmac_f32_e32 v44, v15, v11
	v_add_f32_e32 v45, v42, v44
	v_sub_f32_e32 v46, v41, v45
	v_sub_f32_e32 v41, v41, v46
	;; [unrolled: 1-line block ×4, first 2 shown]
	v_add_f32_e32 v14, v14, v41
	v_sub_f32_e32 v41, v42, v44
	v_add_f32_e32 v14, v41, v14
	v_add_f32_e32 v41, v46, v14
	v_mul_f32_e32 v42, v43, v41
	v_mul_f32_e32 v44, v13, v42
	v_fma_f32 v13, v42, v13, -v44
	v_fmac_f32_e32 v13, v42, v11
	v_sub_f32_e32 v11, v46, v41
	v_add_f32_e32 v11, v14, v11
	v_add_f32_e32 v14, v44, v13
	v_sub_f32_e32 v45, v41, v14
	v_sub_f32_e32 v41, v41, v45
	;; [unrolled: 1-line block ×4, first 2 shown]
	v_add_f32_e32 v11, v11, v14
	v_sub_f32_e32 v13, v44, v13
	v_add_f32_e32 v11, v13, v11
	v_add_f32_e32 v13, v15, v42
	;; [unrolled: 1-line block ×3, first 2 shown]
	v_sub_f32_e32 v14, v13, v15
	v_mul_f32_e32 v11, v43, v11
	v_sub_f32_e32 v14, v42, v14
	v_add_f32_e32 v11, v14, v11
	v_cvt_f32_i32_e32 v10, v10
	v_add_f32_e32 v14, v13, v11
	v_mul_f32_e32 v15, v14, v14
	v_mov_b32_e32 v41, 0x3ecc95a3
	v_fmac_f32_e32 v41, 0x3e9b6dac, v15
	v_mov_b32_e32 v42, 0x3f2aaada
	v_fmac_f32_e32 v42, v15, v41
	v_mul_f32_e32 v41, 0x3f317218, v10
	v_fma_f32 v43, v10, s3, -v41
	v_fmac_f32_e32 v43, 0xb102e308, v10
	v_sub_f32_e32 v10, v14, v13
	v_sub_f32_e32 v10, v11, v10
	v_add_f32_e32 v11, v41, v43
	v_sub_f32_e32 v13, v11, v41
	v_ldexp_f32 v41, v14, 1
	v_mul_f32_e32 v14, v14, v15
	v_mul_f32_e32 v14, v14, v42
	v_add_f32_e32 v15, v41, v14
	v_sub_f32_e32 v41, v15, v41
	v_ldexp_f32 v10, v10, 1
	v_sub_f32_e32 v14, v14, v41
	v_add_f32_e32 v10, v10, v14
	v_add_f32_e32 v14, v15, v10
	v_sub_f32_e32 v15, v14, v15
	v_sub_f32_e32 v10, v10, v15
	v_add_f32_e32 v15, v11, v14
	v_sub_f32_e32 v41, v15, v11
	v_sub_f32_e32 v42, v15, v41
	;; [unrolled: 1-line block ×5, first 2 shown]
	v_add_f32_e32 v11, v14, v11
	v_add_f32_e32 v14, v13, v10
	v_sub_f32_e32 v41, v14, v13
	v_sub_f32_e32 v42, v14, v41
	;; [unrolled: 1-line block ×4, first 2 shown]
	v_add_f32_e32 v11, v14, v11
	v_add_f32_e32 v10, v10, v13
	;; [unrolled: 1-line block ×3, first 2 shown]
	v_sub_f32_e32 v14, v13, v15
	v_sub_f32_e32 v11, v11, v14
	v_add_f32_e32 v10, v10, v11
	v_add_f32_e32 v10, v13, v10
	v_cmp_neq_f32_e32 vcc, s2, v8
	s_mov_b32 s2, 0x33800000
	v_cndmask_b32_e32 v10, v12, v10, vcc
	v_cmp_lt_f32_e64 vcc, |v8|, s2
	v_cndmask_b32_e32 v8, v10, v8, vcc
	v_add_f32_e32 v8, v9, v8
.LBB92_191:
	s_or_b64 exec, exec, s[0:1]
	v_max_f32_e32 v9, v8, v8
	v_min_f32_e32 v10, v9, v16
	v_cmp_u_f32_e32 vcc, v8, v8
	v_max_f32_e32 v9, v9, v16
	v_cndmask_b32_e32 v10, v10, v8, vcc
	v_cndmask_b32_e32 v9, v9, v8, vcc
	v_cndmask_b32_e64 v11, v10, v25, s[10:11]
	v_cndmask_b32_e64 v10, v9, v25, s[10:11]
	s_movk_i32 s2, 0x1f8
	v_cmp_neq_f32_e32 vcc, v11, v10
	v_cmp_class_f32_e64 s[0:1], v11, s2
	s_or_b64 s[4:5], vcc, s[0:1]
	v_mov_b32_e32 v9, v8
	s_and_saveexec_b64 s[0:1], s[4:5]
	s_cbranch_execz .LBB92_193
; %bb.192:
	v_sub_f32_e32 v9, v11, v10
	s_mov_b32 s3, 0x3fb8aa3b
	v_mul_f32_e32 v11, 0x3fb8aa3b, v9
	v_fma_f32 v12, v9, s3, -v11
	v_rndne_f32_e32 v13, v11
	v_fmac_f32_e32 v12, 0x32a5705f, v9
	v_sub_f32_e32 v11, v11, v13
	v_add_f32_e32 v11, v11, v12
	v_exp_f32_e32 v11, v11
	v_cvt_i32_f32_e32 v12, v13
	s_mov_b32 s3, 0xc2ce8ed0
	v_cmp_ngt_f32_e32 vcc, s3, v9
	s_mov_b32 s3, 0x42b17218
	v_ldexp_f32 v11, v11, v12
	v_cndmask_b32_e32 v11, 0, v11, vcc
	v_mov_b32_e32 v13, 0x7f800000
	v_cmp_nlt_f32_e32 vcc, s3, v9
	v_cndmask_b32_e32 v9, v13, v11, vcc
	v_add_f32_e32 v14, 1.0, v9
	v_cvt_f64_f32_e32 v[11:12], v14
	v_add_f32_e32 v15, -1.0, v14
	v_sub_f32_e32 v16, v15, v14
	v_sub_f32_e32 v15, v9, v15
	v_frexp_exp_i32_f64_e32 v11, v[11:12]
	v_add_f32_e32 v12, 1.0, v16
	v_add_f32_e32 v12, v15, v12
	v_frexp_mant_f32_e32 v15, v14
	s_mov_b32 s4, 0x3f2aaaab
	v_cmp_gt_f32_e32 vcc, s4, v15
	s_mov_b32 s4, 0x3f317218
	s_mov_b32 s3, 0x7f800000
	v_subbrev_co_u32_e32 v11, vcc, 0, v11, vcc
	v_sub_u32_e32 v15, 0, v11
	v_ldexp_f32 v14, v14, v15
	v_ldexp_f32 v12, v12, v15
	v_add_f32_e32 v15, -1.0, v14
	v_add_f32_e32 v42, 1.0, v14
	v_add_f32_e32 v16, 1.0, v15
	v_add_f32_e32 v43, -1.0, v42
	v_sub_f32_e32 v16, v14, v16
	v_sub_f32_e32 v14, v14, v43
	v_add_f32_e32 v16, v12, v16
	v_add_f32_e32 v12, v12, v14
	;; [unrolled: 1-line block ×3, first 2 shown]
	v_rcp_f32_e32 v43, v14
	v_add_f32_e32 v41, v15, v16
	v_sub_f32_e32 v15, v15, v41
	v_add_f32_e32 v15, v16, v15
	v_sub_f32_e32 v16, v42, v14
	v_add_f32_e32 v12, v12, v16
	v_mul_f32_e32 v16, v41, v43
	v_mul_f32_e32 v42, v14, v16
	v_fma_f32 v44, v16, v14, -v42
	v_fmac_f32_e32 v44, v16, v12
	v_add_f32_e32 v45, v42, v44
	v_sub_f32_e32 v46, v41, v45
	v_sub_f32_e32 v41, v41, v46
	;; [unrolled: 1-line block ×4, first 2 shown]
	v_add_f32_e32 v15, v15, v41
	v_sub_f32_e32 v41, v42, v44
	v_add_f32_e32 v15, v41, v15
	v_add_f32_e32 v41, v46, v15
	v_mul_f32_e32 v42, v43, v41
	v_mul_f32_e32 v44, v14, v42
	v_fma_f32 v14, v42, v14, -v44
	v_fmac_f32_e32 v14, v42, v12
	v_sub_f32_e32 v12, v46, v41
	v_add_f32_e32 v12, v15, v12
	v_add_f32_e32 v15, v44, v14
	v_sub_f32_e32 v45, v41, v15
	v_sub_f32_e32 v41, v41, v45
	;; [unrolled: 1-line block ×4, first 2 shown]
	v_add_f32_e32 v12, v12, v15
	v_sub_f32_e32 v14, v44, v14
	v_add_f32_e32 v12, v14, v12
	v_add_f32_e32 v14, v16, v42
	;; [unrolled: 1-line block ×3, first 2 shown]
	v_sub_f32_e32 v15, v14, v16
	v_mul_f32_e32 v12, v43, v12
	v_sub_f32_e32 v15, v42, v15
	v_add_f32_e32 v12, v15, v12
	v_cvt_f32_i32_e32 v11, v11
	v_add_f32_e32 v15, v14, v12
	v_mul_f32_e32 v16, v15, v15
	v_mov_b32_e32 v41, 0x3ecc95a3
	v_fmac_f32_e32 v41, 0x3e9b6dac, v16
	v_mov_b32_e32 v42, 0x3f2aaada
	v_fmac_f32_e32 v42, v16, v41
	v_mul_f32_e32 v41, 0x3f317218, v11
	v_fma_f32 v43, v11, s4, -v41
	v_fmac_f32_e32 v43, 0xb102e308, v11
	v_sub_f32_e32 v11, v15, v14
	v_sub_f32_e32 v11, v12, v11
	v_add_f32_e32 v12, v41, v43
	v_sub_f32_e32 v14, v12, v41
	v_ldexp_f32 v41, v15, 1
	v_mul_f32_e32 v15, v15, v16
	v_mul_f32_e32 v15, v15, v42
	v_add_f32_e32 v16, v41, v15
	v_sub_f32_e32 v41, v16, v41
	v_ldexp_f32 v11, v11, 1
	v_sub_f32_e32 v15, v15, v41
	v_add_f32_e32 v11, v11, v15
	v_add_f32_e32 v15, v16, v11
	v_sub_f32_e32 v16, v15, v16
	v_sub_f32_e32 v11, v11, v16
	v_add_f32_e32 v16, v12, v15
	v_sub_f32_e32 v41, v16, v12
	v_sub_f32_e32 v42, v16, v41
	;; [unrolled: 1-line block ×5, first 2 shown]
	v_add_f32_e32 v12, v15, v12
	v_add_f32_e32 v15, v14, v11
	v_sub_f32_e32 v41, v15, v14
	v_sub_f32_e32 v42, v15, v41
	v_sub_f32_e32 v14, v14, v42
	v_sub_f32_e32 v11, v11, v41
	v_add_f32_e32 v12, v15, v12
	v_add_f32_e32 v11, v11, v14
	;; [unrolled: 1-line block ×3, first 2 shown]
	v_sub_f32_e32 v15, v14, v16
	v_sub_f32_e32 v12, v12, v15
	v_add_f32_e32 v11, v11, v12
	v_add_f32_e32 v11, v14, v11
	v_cmp_neq_f32_e32 vcc, s3, v9
	s_mov_b32 s3, 0x33800000
	v_cndmask_b32_e32 v11, v13, v11, vcc
	v_cmp_lt_f32_e64 vcc, |v9|, s3
	v_cndmask_b32_e32 v9, v11, v9, vcc
	v_add_f32_e32 v9, v10, v9
.LBB92_193:
	s_or_b64 exec, exec, s[0:1]
	v_max_f32_e32 v10, v9, v9
	v_min_f32_e32 v11, v10, v17
	v_cmp_u_f32_e32 vcc, v9, v9
	v_max_f32_e32 v10, v10, v17
	v_cndmask_b32_e32 v11, v11, v9, vcc
	v_cndmask_b32_e32 v10, v10, v9, vcc
	v_cndmask_b32_e64 v12, v11, v26, s[12:13]
	v_cndmask_b32_e64 v11, v10, v26, s[12:13]
	v_cmp_neq_f32_e32 vcc, v12, v11
	v_cmp_class_f32_e64 s[0:1], v12, s2
	s_or_b64 s[2:3], vcc, s[0:1]
	v_mov_b32_e32 v10, v9
	s_and_saveexec_b64 s[0:1], s[2:3]
	s_cbranch_execz .LBB92_195
; %bb.194:
	v_sub_f32_e32 v10, v12, v11
	s_mov_b32 s2, 0x3fb8aa3b
	v_mul_f32_e32 v12, 0x3fb8aa3b, v10
	v_fma_f32 v13, v10, s2, -v12
	v_rndne_f32_e32 v14, v12
	v_fmac_f32_e32 v13, 0x32a5705f, v10
	v_sub_f32_e32 v12, v12, v14
	v_add_f32_e32 v12, v12, v13
	v_exp_f32_e32 v12, v12
	v_cvt_i32_f32_e32 v13, v14
	s_mov_b32 s2, 0xc2ce8ed0
	v_cmp_ngt_f32_e32 vcc, s2, v10
	s_mov_b32 s2, 0x42b17218
	v_ldexp_f32 v12, v12, v13
	v_cndmask_b32_e32 v12, 0, v12, vcc
	v_mov_b32_e32 v14, 0x7f800000
	v_cmp_nlt_f32_e32 vcc, s2, v10
	v_cndmask_b32_e32 v10, v14, v12, vcc
	v_add_f32_e32 v15, 1.0, v10
	v_cvt_f64_f32_e32 v[12:13], v15
	v_add_f32_e32 v16, -1.0, v15
	v_sub_f32_e32 v17, v16, v15
	v_sub_f32_e32 v16, v10, v16
	v_frexp_exp_i32_f64_e32 v12, v[12:13]
	v_add_f32_e32 v13, 1.0, v17
	v_add_f32_e32 v13, v16, v13
	v_frexp_mant_f32_e32 v16, v15
	s_mov_b32 s3, 0x3f2aaaab
	v_cmp_gt_f32_e32 vcc, s3, v16
	s_mov_b32 s3, 0x3f317218
	s_mov_b32 s2, 0x7f800000
	v_subbrev_co_u32_e32 v12, vcc, 0, v12, vcc
	v_sub_u32_e32 v16, 0, v12
	v_ldexp_f32 v15, v15, v16
	v_ldexp_f32 v13, v13, v16
	v_add_f32_e32 v16, -1.0, v15
	v_add_f32_e32 v42, 1.0, v15
	v_add_f32_e32 v17, 1.0, v16
	v_add_f32_e32 v43, -1.0, v42
	v_sub_f32_e32 v17, v15, v17
	v_sub_f32_e32 v15, v15, v43
	v_add_f32_e32 v17, v13, v17
	v_add_f32_e32 v13, v13, v15
	;; [unrolled: 1-line block ×3, first 2 shown]
	v_rcp_f32_e32 v43, v15
	v_add_f32_e32 v41, v16, v17
	v_sub_f32_e32 v16, v16, v41
	v_add_f32_e32 v16, v17, v16
	v_sub_f32_e32 v17, v42, v15
	v_add_f32_e32 v13, v13, v17
	v_mul_f32_e32 v17, v41, v43
	v_mul_f32_e32 v42, v15, v17
	v_fma_f32 v44, v17, v15, -v42
	v_fmac_f32_e32 v44, v17, v13
	v_add_f32_e32 v45, v42, v44
	v_sub_f32_e32 v46, v41, v45
	v_sub_f32_e32 v41, v41, v46
	;; [unrolled: 1-line block ×4, first 2 shown]
	v_add_f32_e32 v16, v16, v41
	v_sub_f32_e32 v41, v42, v44
	v_add_f32_e32 v16, v41, v16
	v_add_f32_e32 v41, v46, v16
	v_mul_f32_e32 v42, v43, v41
	v_mul_f32_e32 v44, v15, v42
	v_fma_f32 v15, v42, v15, -v44
	v_fmac_f32_e32 v15, v42, v13
	v_sub_f32_e32 v13, v46, v41
	v_add_f32_e32 v13, v16, v13
	v_add_f32_e32 v16, v44, v15
	v_sub_f32_e32 v45, v41, v16
	v_sub_f32_e32 v41, v41, v45
	;; [unrolled: 1-line block ×4, first 2 shown]
	v_add_f32_e32 v13, v13, v16
	v_sub_f32_e32 v15, v44, v15
	v_add_f32_e32 v13, v15, v13
	v_add_f32_e32 v15, v17, v42
	;; [unrolled: 1-line block ×3, first 2 shown]
	v_sub_f32_e32 v16, v15, v17
	v_mul_f32_e32 v13, v43, v13
	v_sub_f32_e32 v16, v42, v16
	v_add_f32_e32 v13, v16, v13
	v_cvt_f32_i32_e32 v12, v12
	v_add_f32_e32 v16, v15, v13
	v_mul_f32_e32 v17, v16, v16
	v_mov_b32_e32 v41, 0x3ecc95a3
	v_fmac_f32_e32 v41, 0x3e9b6dac, v17
	v_mov_b32_e32 v42, 0x3f2aaada
	v_fmac_f32_e32 v42, v17, v41
	v_mul_f32_e32 v41, 0x3f317218, v12
	v_fma_f32 v43, v12, s3, -v41
	v_fmac_f32_e32 v43, 0xb102e308, v12
	v_sub_f32_e32 v12, v16, v15
	v_sub_f32_e32 v12, v13, v12
	v_add_f32_e32 v13, v41, v43
	v_sub_f32_e32 v15, v13, v41
	v_ldexp_f32 v41, v16, 1
	v_mul_f32_e32 v16, v16, v17
	v_mul_f32_e32 v16, v16, v42
	v_add_f32_e32 v17, v41, v16
	v_sub_f32_e32 v41, v17, v41
	v_ldexp_f32 v12, v12, 1
	v_sub_f32_e32 v16, v16, v41
	v_add_f32_e32 v12, v12, v16
	v_add_f32_e32 v16, v17, v12
	v_sub_f32_e32 v17, v16, v17
	v_sub_f32_e32 v12, v12, v17
	v_add_f32_e32 v17, v13, v16
	v_sub_f32_e32 v41, v17, v13
	v_sub_f32_e32 v42, v17, v41
	;; [unrolled: 1-line block ×5, first 2 shown]
	v_add_f32_e32 v13, v16, v13
	v_add_f32_e32 v16, v15, v12
	v_sub_f32_e32 v41, v16, v15
	v_sub_f32_e32 v42, v16, v41
	;; [unrolled: 1-line block ×4, first 2 shown]
	v_add_f32_e32 v13, v16, v13
	v_add_f32_e32 v12, v12, v15
	;; [unrolled: 1-line block ×3, first 2 shown]
	v_sub_f32_e32 v16, v15, v17
	v_sub_f32_e32 v13, v13, v16
	v_add_f32_e32 v12, v12, v13
	v_add_f32_e32 v12, v15, v12
	v_cmp_neq_f32_e32 vcc, s2, v10
	s_mov_b32 s2, 0x33800000
	v_cndmask_b32_e32 v12, v14, v12, vcc
	v_cmp_lt_f32_e64 vcc, |v10|, s2
	v_cndmask_b32_e32 v10, v12, v10, vcc
	v_add_f32_e32 v10, v11, v10
.LBB92_195:
	s_or_b64 exec, exec, s[0:1]
	v_max_f32_e32 v11, v10, v10
	v_min_f32_e32 v12, v11, v18
	v_cmp_u_f32_e32 vcc, v10, v10
	v_max_f32_e32 v11, v11, v18
	v_cndmask_b32_e32 v12, v12, v10, vcc
	v_cndmask_b32_e32 v11, v11, v10, vcc
	v_cndmask_b32_e64 v13, v12, v23, s[14:15]
	v_cndmask_b32_e64 v12, v11, v23, s[14:15]
	s_movk_i32 s2, 0x1f8
	v_cmp_neq_f32_e32 vcc, v13, v12
	v_cmp_class_f32_e64 s[0:1], v13, s2
	s_or_b64 s[4:5], vcc, s[0:1]
	v_mov_b32_e32 v11, v10
	s_and_saveexec_b64 s[0:1], s[4:5]
	s_cbranch_execz .LBB92_197
; %bb.196:
	v_sub_f32_e32 v11, v13, v12
	s_mov_b32 s3, 0x3fb8aa3b
	v_mul_f32_e32 v13, 0x3fb8aa3b, v11
	v_fma_f32 v14, v11, s3, -v13
	v_rndne_f32_e32 v15, v13
	v_fmac_f32_e32 v14, 0x32a5705f, v11
	v_sub_f32_e32 v13, v13, v15
	v_add_f32_e32 v13, v13, v14
	v_exp_f32_e32 v13, v13
	v_cvt_i32_f32_e32 v14, v15
	s_mov_b32 s3, 0xc2ce8ed0
	v_cmp_ngt_f32_e32 vcc, s3, v11
	s_mov_b32 s3, 0x42b17218
	v_ldexp_f32 v13, v13, v14
	v_cndmask_b32_e32 v13, 0, v13, vcc
	v_mov_b32_e32 v15, 0x7f800000
	v_cmp_nlt_f32_e32 vcc, s3, v11
	v_cndmask_b32_e32 v11, v15, v13, vcc
	v_add_f32_e32 v16, 1.0, v11
	v_cvt_f64_f32_e32 v[13:14], v16
	v_add_f32_e32 v17, -1.0, v16
	v_sub_f32_e32 v18, v17, v16
	v_sub_f32_e32 v17, v11, v17
	v_frexp_exp_i32_f64_e32 v13, v[13:14]
	v_add_f32_e32 v14, 1.0, v18
	v_add_f32_e32 v14, v17, v14
	v_frexp_mant_f32_e32 v17, v16
	s_mov_b32 s4, 0x3f2aaaab
	v_cmp_gt_f32_e32 vcc, s4, v17
	s_mov_b32 s4, 0x3f317218
	s_mov_b32 s3, 0x7f800000
	v_subbrev_co_u32_e32 v13, vcc, 0, v13, vcc
	v_sub_u32_e32 v17, 0, v13
	v_ldexp_f32 v16, v16, v17
	v_ldexp_f32 v14, v14, v17
	v_add_f32_e32 v17, -1.0, v16
	v_add_f32_e32 v42, 1.0, v16
	v_add_f32_e32 v18, 1.0, v17
	v_add_f32_e32 v43, -1.0, v42
	v_sub_f32_e32 v18, v16, v18
	v_sub_f32_e32 v16, v16, v43
	v_add_f32_e32 v18, v14, v18
	v_add_f32_e32 v14, v14, v16
	;; [unrolled: 1-line block ×3, first 2 shown]
	v_rcp_f32_e32 v43, v16
	v_add_f32_e32 v41, v17, v18
	v_sub_f32_e32 v17, v17, v41
	v_add_f32_e32 v17, v18, v17
	v_sub_f32_e32 v18, v42, v16
	v_add_f32_e32 v14, v14, v18
	v_mul_f32_e32 v18, v41, v43
	v_mul_f32_e32 v42, v16, v18
	v_fma_f32 v44, v18, v16, -v42
	v_fmac_f32_e32 v44, v18, v14
	v_add_f32_e32 v45, v42, v44
	v_sub_f32_e32 v46, v41, v45
	v_sub_f32_e32 v41, v41, v46
	;; [unrolled: 1-line block ×4, first 2 shown]
	v_add_f32_e32 v17, v17, v41
	v_sub_f32_e32 v41, v42, v44
	v_add_f32_e32 v17, v41, v17
	v_add_f32_e32 v41, v46, v17
	v_mul_f32_e32 v42, v43, v41
	v_mul_f32_e32 v44, v16, v42
	v_fma_f32 v16, v42, v16, -v44
	v_fmac_f32_e32 v16, v42, v14
	v_sub_f32_e32 v14, v46, v41
	v_add_f32_e32 v14, v17, v14
	v_add_f32_e32 v17, v44, v16
	v_sub_f32_e32 v45, v41, v17
	v_sub_f32_e32 v41, v41, v45
	v_sub_f32_e32 v44, v17, v44
	v_sub_f32_e32 v17, v41, v17
	v_add_f32_e32 v14, v14, v17
	v_sub_f32_e32 v16, v44, v16
	v_add_f32_e32 v14, v16, v14
	v_add_f32_e32 v16, v18, v42
	v_add_f32_e32 v14, v45, v14
	v_sub_f32_e32 v17, v16, v18
	v_mul_f32_e32 v14, v43, v14
	v_sub_f32_e32 v17, v42, v17
	v_add_f32_e32 v14, v17, v14
	v_cvt_f32_i32_e32 v13, v13
	v_add_f32_e32 v17, v16, v14
	v_mul_f32_e32 v18, v17, v17
	v_mov_b32_e32 v41, 0x3ecc95a3
	v_fmac_f32_e32 v41, 0x3e9b6dac, v18
	v_mov_b32_e32 v42, 0x3f2aaada
	v_fmac_f32_e32 v42, v18, v41
	v_mul_f32_e32 v41, 0x3f317218, v13
	v_fma_f32 v43, v13, s4, -v41
	v_fmac_f32_e32 v43, 0xb102e308, v13
	v_sub_f32_e32 v13, v17, v16
	v_sub_f32_e32 v13, v14, v13
	v_add_f32_e32 v14, v41, v43
	v_sub_f32_e32 v16, v14, v41
	v_ldexp_f32 v41, v17, 1
	v_mul_f32_e32 v17, v17, v18
	v_mul_f32_e32 v17, v17, v42
	v_add_f32_e32 v18, v41, v17
	v_sub_f32_e32 v41, v18, v41
	v_ldexp_f32 v13, v13, 1
	v_sub_f32_e32 v17, v17, v41
	v_add_f32_e32 v13, v13, v17
	v_add_f32_e32 v17, v18, v13
	v_sub_f32_e32 v18, v17, v18
	v_sub_f32_e32 v13, v13, v18
	v_add_f32_e32 v18, v14, v17
	v_sub_f32_e32 v41, v18, v14
	v_sub_f32_e32 v42, v18, v41
	;; [unrolled: 1-line block ×5, first 2 shown]
	v_add_f32_e32 v14, v17, v14
	v_add_f32_e32 v17, v16, v13
	v_sub_f32_e32 v41, v17, v16
	v_sub_f32_e32 v42, v17, v41
	;; [unrolled: 1-line block ×4, first 2 shown]
	v_add_f32_e32 v14, v17, v14
	v_add_f32_e32 v13, v13, v16
	v_add_f32_e32 v16, v18, v14
	v_sub_f32_e32 v17, v16, v18
	v_sub_f32_e32 v14, v14, v17
	v_add_f32_e32 v13, v13, v14
	v_add_f32_e32 v13, v16, v13
	v_cmp_neq_f32_e32 vcc, s3, v11
	s_mov_b32 s3, 0x33800000
	v_cndmask_b32_e32 v13, v15, v13, vcc
	v_cmp_lt_f32_e64 vcc, |v11|, s3
	v_cndmask_b32_e32 v11, v13, v11, vcc
	v_add_f32_e32 v11, v12, v11
.LBB92_197:
	s_or_b64 exec, exec, s[0:1]
	v_max_f32_e32 v12, v11, v11
	v_min_f32_e32 v13, v12, v35
	v_cmp_u_f32_e32 vcc, v11, v11
	v_max_f32_e32 v12, v12, v35
	v_cndmask_b32_e32 v13, v13, v11, vcc
	v_cndmask_b32_e32 v12, v12, v11, vcc
	v_cndmask_b32_e64 v14, v13, v24, s[16:17]
	v_cndmask_b32_e64 v13, v12, v24, s[16:17]
	v_cmp_neq_f32_e32 vcc, v14, v13
	v_cmp_class_f32_e64 s[0:1], v14, s2
	s_or_b64 s[2:3], vcc, s[0:1]
	v_mov_b32_e32 v12, v11
	s_and_saveexec_b64 s[0:1], s[2:3]
	s_cbranch_execz .LBB92_199
; %bb.198:
	v_sub_f32_e32 v12, v14, v13
	s_mov_b32 s2, 0x3fb8aa3b
	v_mul_f32_e32 v14, 0x3fb8aa3b, v12
	v_fma_f32 v15, v12, s2, -v14
	v_rndne_f32_e32 v16, v14
	v_fmac_f32_e32 v15, 0x32a5705f, v12
	v_sub_f32_e32 v14, v14, v16
	v_add_f32_e32 v14, v14, v15
	v_exp_f32_e32 v14, v14
	v_cvt_i32_f32_e32 v15, v16
	s_mov_b32 s2, 0xc2ce8ed0
	v_cmp_ngt_f32_e32 vcc, s2, v12
	s_mov_b32 s2, 0x42b17218
	v_ldexp_f32 v14, v14, v15
	v_cndmask_b32_e32 v14, 0, v14, vcc
	v_mov_b32_e32 v16, 0x7f800000
	v_cmp_nlt_f32_e32 vcc, s2, v12
	v_cndmask_b32_e32 v12, v16, v14, vcc
	v_add_f32_e32 v17, 1.0, v12
	v_cvt_f64_f32_e32 v[14:15], v17
	v_add_f32_e32 v18, -1.0, v17
	v_sub_f32_e32 v35, v18, v17
	v_sub_f32_e32 v18, v12, v18
	v_frexp_exp_i32_f64_e32 v14, v[14:15]
	v_add_f32_e32 v15, 1.0, v35
	v_add_f32_e32 v15, v18, v15
	v_frexp_mant_f32_e32 v18, v17
	s_mov_b32 s3, 0x3f2aaaab
	v_cmp_gt_f32_e32 vcc, s3, v18
	s_mov_b32 s3, 0x3f317218
	s_mov_b32 s2, 0x7f800000
	v_subbrev_co_u32_e32 v14, vcc, 0, v14, vcc
	v_sub_u32_e32 v18, 0, v14
	v_ldexp_f32 v17, v17, v18
	v_ldexp_f32 v15, v15, v18
	v_add_f32_e32 v18, -1.0, v17
	v_add_f32_e32 v42, 1.0, v17
	v_add_f32_e32 v35, 1.0, v18
	v_add_f32_e32 v43, -1.0, v42
	v_sub_f32_e32 v35, v17, v35
	v_sub_f32_e32 v17, v17, v43
	v_add_f32_e32 v35, v15, v35
	v_add_f32_e32 v15, v15, v17
	;; [unrolled: 1-line block ×3, first 2 shown]
	v_rcp_f32_e32 v43, v17
	v_add_f32_e32 v41, v18, v35
	v_sub_f32_e32 v18, v18, v41
	v_add_f32_e32 v18, v35, v18
	v_sub_f32_e32 v35, v42, v17
	v_add_f32_e32 v15, v15, v35
	v_mul_f32_e32 v35, v41, v43
	v_mul_f32_e32 v42, v17, v35
	v_fma_f32 v44, v35, v17, -v42
	v_fmac_f32_e32 v44, v35, v15
	v_add_f32_e32 v45, v42, v44
	v_sub_f32_e32 v46, v41, v45
	v_sub_f32_e32 v41, v41, v46
	v_sub_f32_e32 v42, v45, v42
	v_sub_f32_e32 v41, v41, v45
	v_add_f32_e32 v18, v18, v41
	v_sub_f32_e32 v41, v42, v44
	v_add_f32_e32 v18, v41, v18
	v_add_f32_e32 v41, v46, v18
	v_mul_f32_e32 v42, v43, v41
	v_mul_f32_e32 v44, v17, v42
	v_fma_f32 v17, v42, v17, -v44
	v_fmac_f32_e32 v17, v42, v15
	v_sub_f32_e32 v15, v46, v41
	v_add_f32_e32 v15, v18, v15
	v_add_f32_e32 v18, v44, v17
	v_sub_f32_e32 v45, v41, v18
	v_sub_f32_e32 v41, v41, v45
	;; [unrolled: 1-line block ×4, first 2 shown]
	v_add_f32_e32 v15, v15, v18
	v_sub_f32_e32 v17, v44, v17
	v_add_f32_e32 v15, v17, v15
	v_add_f32_e32 v17, v35, v42
	v_add_f32_e32 v15, v45, v15
	v_sub_f32_e32 v18, v17, v35
	v_mul_f32_e32 v15, v43, v15
	v_sub_f32_e32 v18, v42, v18
	v_add_f32_e32 v15, v18, v15
	v_cvt_f32_i32_e32 v14, v14
	v_add_f32_e32 v18, v17, v15
	v_mul_f32_e32 v35, v18, v18
	v_mov_b32_e32 v41, 0x3ecc95a3
	v_fmac_f32_e32 v41, 0x3e9b6dac, v35
	v_mov_b32_e32 v42, 0x3f2aaada
	v_fmac_f32_e32 v42, v35, v41
	v_mul_f32_e32 v41, 0x3f317218, v14
	v_fma_f32 v43, v14, s3, -v41
	v_fmac_f32_e32 v43, 0xb102e308, v14
	v_sub_f32_e32 v14, v18, v17
	v_sub_f32_e32 v14, v15, v14
	v_add_f32_e32 v15, v41, v43
	v_sub_f32_e32 v17, v15, v41
	v_ldexp_f32 v41, v18, 1
	v_mul_f32_e32 v18, v18, v35
	v_mul_f32_e32 v18, v18, v42
	v_add_f32_e32 v35, v41, v18
	v_sub_f32_e32 v41, v35, v41
	v_ldexp_f32 v14, v14, 1
	v_sub_f32_e32 v18, v18, v41
	v_add_f32_e32 v14, v14, v18
	v_add_f32_e32 v18, v35, v14
	v_sub_f32_e32 v35, v18, v35
	v_sub_f32_e32 v14, v14, v35
	v_add_f32_e32 v35, v15, v18
	v_sub_f32_e32 v41, v35, v15
	v_sub_f32_e32 v42, v35, v41
	;; [unrolled: 1-line block ×5, first 2 shown]
	v_add_f32_e32 v15, v18, v15
	v_add_f32_e32 v18, v17, v14
	v_sub_f32_e32 v41, v18, v17
	v_sub_f32_e32 v42, v18, v41
	;; [unrolled: 1-line block ×4, first 2 shown]
	v_add_f32_e32 v15, v18, v15
	v_add_f32_e32 v14, v14, v17
	;; [unrolled: 1-line block ×3, first 2 shown]
	v_sub_f32_e32 v18, v17, v35
	v_sub_f32_e32 v15, v15, v18
	v_add_f32_e32 v14, v14, v15
	v_add_f32_e32 v14, v17, v14
	v_cmp_neq_f32_e32 vcc, s2, v12
	s_mov_b32 s2, 0x33800000
	v_cndmask_b32_e32 v14, v16, v14, vcc
	v_cmp_lt_f32_e64 vcc, |v12|, s2
	v_cndmask_b32_e32 v12, v14, v12, vcc
	v_add_f32_e32 v12, v13, v12
.LBB92_199:
	s_or_b64 exec, exec, s[0:1]
	v_max_f32_e32 v13, v12, v12
	v_min_f32_e32 v14, v13, v36
	v_cmp_u_f32_e32 vcc, v12, v12
	v_max_f32_e32 v13, v13, v36
	v_cndmask_b32_e32 v14, v14, v12, vcc
	v_cndmask_b32_e32 v13, v13, v12, vcc
	v_cndmask_b32_e64 v15, v14, v21, s[18:19]
	v_cndmask_b32_e64 v14, v13, v21, s[18:19]
	s_movk_i32 s2, 0x1f8
	v_cmp_neq_f32_e32 vcc, v15, v14
	v_cmp_class_f32_e64 s[0:1], v15, s2
	s_or_b64 s[4:5], vcc, s[0:1]
	v_mov_b32_e32 v13, v12
	s_and_saveexec_b64 s[0:1], s[4:5]
	s_cbranch_execz .LBB92_201
; %bb.200:
	v_sub_f32_e32 v13, v15, v14
	s_mov_b32 s3, 0x3fb8aa3b
	v_mul_f32_e32 v15, 0x3fb8aa3b, v13
	v_fma_f32 v16, v13, s3, -v15
	v_rndne_f32_e32 v17, v15
	v_fmac_f32_e32 v16, 0x32a5705f, v13
	v_sub_f32_e32 v15, v15, v17
	v_add_f32_e32 v15, v15, v16
	v_exp_f32_e32 v15, v15
	v_cvt_i32_f32_e32 v16, v17
	s_mov_b32 s3, 0xc2ce8ed0
	v_cmp_ngt_f32_e32 vcc, s3, v13
	s_mov_b32 s3, 0x42b17218
	v_ldexp_f32 v15, v15, v16
	v_cndmask_b32_e32 v15, 0, v15, vcc
	v_mov_b32_e32 v17, 0x7f800000
	v_cmp_nlt_f32_e32 vcc, s3, v13
	v_cndmask_b32_e32 v13, v17, v15, vcc
	v_add_f32_e32 v18, 1.0, v13
	v_cvt_f64_f32_e32 v[15:16], v18
	v_add_f32_e32 v35, -1.0, v18
	v_sub_f32_e32 v36, v35, v18
	v_sub_f32_e32 v35, v13, v35
	v_frexp_exp_i32_f64_e32 v15, v[15:16]
	v_add_f32_e32 v16, 1.0, v36
	v_add_f32_e32 v16, v35, v16
	v_frexp_mant_f32_e32 v35, v18
	s_mov_b32 s4, 0x3f2aaaab
	v_cmp_gt_f32_e32 vcc, s4, v35
	s_mov_b32 s4, 0x3f317218
	s_mov_b32 s3, 0x7f800000
	v_subbrev_co_u32_e32 v15, vcc, 0, v15, vcc
	v_sub_u32_e32 v35, 0, v15
	v_ldexp_f32 v18, v18, v35
	v_ldexp_f32 v16, v16, v35
	v_add_f32_e32 v35, -1.0, v18
	v_add_f32_e32 v42, 1.0, v18
	v_add_f32_e32 v36, 1.0, v35
	v_add_f32_e32 v43, -1.0, v42
	v_sub_f32_e32 v36, v18, v36
	v_sub_f32_e32 v18, v18, v43
	v_add_f32_e32 v36, v16, v36
	v_add_f32_e32 v16, v16, v18
	;; [unrolled: 1-line block ×3, first 2 shown]
	v_rcp_f32_e32 v43, v18
	v_add_f32_e32 v41, v35, v36
	v_sub_f32_e32 v35, v35, v41
	v_add_f32_e32 v35, v36, v35
	v_sub_f32_e32 v36, v42, v18
	v_add_f32_e32 v16, v16, v36
	v_mul_f32_e32 v36, v41, v43
	v_mul_f32_e32 v42, v18, v36
	v_fma_f32 v44, v36, v18, -v42
	v_fmac_f32_e32 v44, v36, v16
	v_add_f32_e32 v45, v42, v44
	v_sub_f32_e32 v46, v41, v45
	v_sub_f32_e32 v41, v41, v46
	;; [unrolled: 1-line block ×4, first 2 shown]
	v_add_f32_e32 v35, v35, v41
	v_sub_f32_e32 v41, v42, v44
	v_add_f32_e32 v35, v41, v35
	v_add_f32_e32 v41, v46, v35
	v_mul_f32_e32 v42, v43, v41
	v_mul_f32_e32 v44, v18, v42
	v_fma_f32 v18, v42, v18, -v44
	v_fmac_f32_e32 v18, v42, v16
	v_sub_f32_e32 v16, v46, v41
	v_add_f32_e32 v16, v35, v16
	v_add_f32_e32 v35, v44, v18
	v_sub_f32_e32 v45, v41, v35
	v_sub_f32_e32 v41, v41, v45
	;; [unrolled: 1-line block ×4, first 2 shown]
	v_add_f32_e32 v16, v16, v35
	v_sub_f32_e32 v18, v44, v18
	v_add_f32_e32 v16, v18, v16
	v_add_f32_e32 v18, v36, v42
	;; [unrolled: 1-line block ×3, first 2 shown]
	v_sub_f32_e32 v35, v18, v36
	v_mul_f32_e32 v16, v43, v16
	v_sub_f32_e32 v35, v42, v35
	v_add_f32_e32 v16, v35, v16
	v_cvt_f32_i32_e32 v15, v15
	v_add_f32_e32 v35, v18, v16
	v_mul_f32_e32 v36, v35, v35
	v_mov_b32_e32 v41, 0x3ecc95a3
	v_fmac_f32_e32 v41, 0x3e9b6dac, v36
	v_mov_b32_e32 v42, 0x3f2aaada
	v_fmac_f32_e32 v42, v36, v41
	v_mul_f32_e32 v41, 0x3f317218, v15
	v_fma_f32 v43, v15, s4, -v41
	v_fmac_f32_e32 v43, 0xb102e308, v15
	v_sub_f32_e32 v15, v35, v18
	v_sub_f32_e32 v15, v16, v15
	v_add_f32_e32 v16, v41, v43
	v_sub_f32_e32 v18, v16, v41
	v_ldexp_f32 v41, v35, 1
	v_mul_f32_e32 v35, v35, v36
	v_mul_f32_e32 v35, v35, v42
	v_add_f32_e32 v36, v41, v35
	v_sub_f32_e32 v41, v36, v41
	v_ldexp_f32 v15, v15, 1
	v_sub_f32_e32 v35, v35, v41
	v_add_f32_e32 v15, v15, v35
	v_add_f32_e32 v35, v36, v15
	v_sub_f32_e32 v36, v35, v36
	v_sub_f32_e32 v15, v15, v36
	v_add_f32_e32 v36, v16, v35
	v_sub_f32_e32 v41, v36, v16
	v_sub_f32_e32 v42, v36, v41
	;; [unrolled: 1-line block ×5, first 2 shown]
	v_add_f32_e32 v16, v35, v16
	v_add_f32_e32 v35, v18, v15
	v_sub_f32_e32 v41, v35, v18
	v_sub_f32_e32 v42, v35, v41
	;; [unrolled: 1-line block ×4, first 2 shown]
	v_add_f32_e32 v16, v35, v16
	v_add_f32_e32 v15, v15, v18
	;; [unrolled: 1-line block ×3, first 2 shown]
	v_sub_f32_e32 v35, v18, v36
	v_sub_f32_e32 v16, v16, v35
	v_add_f32_e32 v15, v15, v16
	v_add_f32_e32 v15, v18, v15
	v_cmp_neq_f32_e32 vcc, s3, v13
	s_mov_b32 s3, 0x33800000
	v_cndmask_b32_e32 v15, v17, v15, vcc
	v_cmp_lt_f32_e64 vcc, |v13|, s3
	v_cndmask_b32_e32 v13, v15, v13, vcc
	v_add_f32_e32 v13, v14, v13
.LBB92_201:
	s_or_b64 exec, exec, s[0:1]
	v_max_f32_e32 v14, v13, v13
	v_min_f32_e32 v15, v14, v37
	v_cmp_u_f32_e32 vcc, v13, v13
	v_max_f32_e32 v14, v14, v37
	v_cndmask_b32_e32 v15, v15, v13, vcc
	v_cndmask_b32_e32 v14, v14, v13, vcc
	v_cndmask_b32_e64 v16, v15, v22, s[20:21]
	v_cndmask_b32_e64 v15, v14, v22, s[20:21]
	v_cmp_neq_f32_e32 vcc, v16, v15
	v_cmp_class_f32_e64 s[0:1], v16, s2
	s_or_b64 s[2:3], vcc, s[0:1]
	v_mov_b32_e32 v14, v13
	s_and_saveexec_b64 s[0:1], s[2:3]
	s_cbranch_execz .LBB92_203
; %bb.202:
	v_sub_f32_e32 v14, v16, v15
	s_mov_b32 s2, 0x3fb8aa3b
	v_mul_f32_e32 v16, 0x3fb8aa3b, v14
	v_fma_f32 v17, v14, s2, -v16
	v_rndne_f32_e32 v18, v16
	v_fmac_f32_e32 v17, 0x32a5705f, v14
	v_sub_f32_e32 v16, v16, v18
	v_add_f32_e32 v16, v16, v17
	v_exp_f32_e32 v16, v16
	v_cvt_i32_f32_e32 v17, v18
	s_mov_b32 s2, 0xc2ce8ed0
	v_cmp_ngt_f32_e32 vcc, s2, v14
	s_mov_b32 s2, 0x42b17218
	v_ldexp_f32 v16, v16, v17
	v_cndmask_b32_e32 v16, 0, v16, vcc
	v_mov_b32_e32 v18, 0x7f800000
	v_cmp_nlt_f32_e32 vcc, s2, v14
	v_cndmask_b32_e32 v14, v18, v16, vcc
	v_add_f32_e32 v35, 1.0, v14
	v_cvt_f64_f32_e32 v[16:17], v35
	v_add_f32_e32 v36, -1.0, v35
	v_sub_f32_e32 v37, v36, v35
	v_sub_f32_e32 v36, v14, v36
	v_frexp_exp_i32_f64_e32 v16, v[16:17]
	v_add_f32_e32 v17, 1.0, v37
	v_add_f32_e32 v17, v36, v17
	v_frexp_mant_f32_e32 v36, v35
	s_mov_b32 s3, 0x3f2aaaab
	v_cmp_gt_f32_e32 vcc, s3, v36
	s_mov_b32 s3, 0x3f317218
	s_mov_b32 s2, 0x7f800000
	v_subbrev_co_u32_e32 v16, vcc, 0, v16, vcc
	v_sub_u32_e32 v36, 0, v16
	v_ldexp_f32 v35, v35, v36
	v_ldexp_f32 v17, v17, v36
	v_add_f32_e32 v36, -1.0, v35
	v_add_f32_e32 v42, 1.0, v35
	v_add_f32_e32 v37, 1.0, v36
	v_add_f32_e32 v43, -1.0, v42
	v_sub_f32_e32 v37, v35, v37
	v_sub_f32_e32 v35, v35, v43
	v_add_f32_e32 v37, v17, v37
	v_add_f32_e32 v17, v17, v35
	;; [unrolled: 1-line block ×3, first 2 shown]
	v_rcp_f32_e32 v43, v35
	v_add_f32_e32 v41, v36, v37
	v_sub_f32_e32 v36, v36, v41
	v_add_f32_e32 v36, v37, v36
	v_sub_f32_e32 v37, v42, v35
	v_add_f32_e32 v17, v17, v37
	v_mul_f32_e32 v37, v41, v43
	v_mul_f32_e32 v42, v35, v37
	v_fma_f32 v44, v37, v35, -v42
	v_fmac_f32_e32 v44, v37, v17
	v_add_f32_e32 v45, v42, v44
	v_sub_f32_e32 v46, v41, v45
	v_sub_f32_e32 v41, v41, v46
	v_sub_f32_e32 v42, v45, v42
	v_sub_f32_e32 v41, v41, v45
	v_add_f32_e32 v36, v36, v41
	v_sub_f32_e32 v41, v42, v44
	v_add_f32_e32 v36, v41, v36
	v_add_f32_e32 v41, v46, v36
	v_mul_f32_e32 v42, v43, v41
	v_mul_f32_e32 v44, v35, v42
	v_fma_f32 v35, v42, v35, -v44
	v_fmac_f32_e32 v35, v42, v17
	v_sub_f32_e32 v17, v46, v41
	v_add_f32_e32 v17, v36, v17
	v_add_f32_e32 v36, v44, v35
	v_sub_f32_e32 v45, v41, v36
	v_sub_f32_e32 v41, v41, v45
	;; [unrolled: 1-line block ×4, first 2 shown]
	v_add_f32_e32 v17, v17, v36
	v_sub_f32_e32 v35, v44, v35
	v_add_f32_e32 v17, v35, v17
	v_add_f32_e32 v35, v37, v42
	;; [unrolled: 1-line block ×3, first 2 shown]
	v_sub_f32_e32 v36, v35, v37
	v_mul_f32_e32 v17, v43, v17
	v_sub_f32_e32 v36, v42, v36
	v_add_f32_e32 v17, v36, v17
	v_cvt_f32_i32_e32 v16, v16
	v_add_f32_e32 v36, v35, v17
	v_mul_f32_e32 v37, v36, v36
	v_mov_b32_e32 v41, 0x3ecc95a3
	v_fmac_f32_e32 v41, 0x3e9b6dac, v37
	v_mov_b32_e32 v42, 0x3f2aaada
	v_fmac_f32_e32 v42, v37, v41
	v_mul_f32_e32 v41, 0x3f317218, v16
	v_fma_f32 v43, v16, s3, -v41
	v_fmac_f32_e32 v43, 0xb102e308, v16
	v_sub_f32_e32 v16, v36, v35
	v_sub_f32_e32 v16, v17, v16
	v_add_f32_e32 v17, v41, v43
	v_sub_f32_e32 v35, v17, v41
	v_ldexp_f32 v41, v36, 1
	v_mul_f32_e32 v36, v36, v37
	v_mul_f32_e32 v36, v36, v42
	v_add_f32_e32 v37, v41, v36
	v_sub_f32_e32 v41, v37, v41
	v_ldexp_f32 v16, v16, 1
	v_sub_f32_e32 v36, v36, v41
	v_add_f32_e32 v16, v16, v36
	v_add_f32_e32 v36, v37, v16
	v_sub_f32_e32 v37, v36, v37
	v_sub_f32_e32 v16, v16, v37
	v_add_f32_e32 v37, v17, v36
	v_sub_f32_e32 v41, v37, v17
	v_sub_f32_e32 v42, v37, v41
	;; [unrolled: 1-line block ×5, first 2 shown]
	v_add_f32_e32 v17, v36, v17
	v_add_f32_e32 v36, v35, v16
	v_sub_f32_e32 v41, v36, v35
	v_sub_f32_e32 v42, v36, v41
	;; [unrolled: 1-line block ×4, first 2 shown]
	v_add_f32_e32 v17, v36, v17
	v_add_f32_e32 v16, v16, v35
	;; [unrolled: 1-line block ×3, first 2 shown]
	v_sub_f32_e32 v36, v35, v37
	v_sub_f32_e32 v17, v17, v36
	v_add_f32_e32 v16, v16, v17
	v_add_f32_e32 v16, v35, v16
	v_cmp_neq_f32_e32 vcc, s2, v14
	s_mov_b32 s2, 0x33800000
	v_cndmask_b32_e32 v16, v18, v16, vcc
	v_cmp_lt_f32_e64 vcc, |v14|, s2
	v_cndmask_b32_e32 v14, v16, v14, vcc
	v_add_f32_e32 v14, v15, v14
.LBB92_203:
	s_or_b64 exec, exec, s[0:1]
	v_max_f32_e32 v15, v14, v14
	v_min_f32_e32 v16, v15, v38
	v_cmp_u_f32_e32 vcc, v14, v14
	v_max_f32_e32 v15, v15, v38
	v_cndmask_b32_e32 v16, v16, v14, vcc
	v_cndmask_b32_e32 v15, v15, v14, vcc
	v_cndmask_b32_e64 v17, v16, v19, s[22:23]
	v_cndmask_b32_e64 v16, v15, v19, s[22:23]
	s_movk_i32 s2, 0x1f8
	v_cmp_neq_f32_e32 vcc, v17, v16
	v_cmp_class_f32_e64 s[0:1], v17, s2
	s_or_b64 s[4:5], vcc, s[0:1]
	v_mov_b32_e32 v15, v14
	s_and_saveexec_b64 s[0:1], s[4:5]
	s_cbranch_execz .LBB92_205
; %bb.204:
	v_sub_f32_e32 v15, v17, v16
	s_mov_b32 s3, 0x3fb8aa3b
	v_mul_f32_e32 v17, 0x3fb8aa3b, v15
	v_fma_f32 v18, v15, s3, -v17
	v_rndne_f32_e32 v35, v17
	v_fmac_f32_e32 v18, 0x32a5705f, v15
	v_sub_f32_e32 v17, v17, v35
	v_add_f32_e32 v17, v17, v18
	v_exp_f32_e32 v17, v17
	v_cvt_i32_f32_e32 v18, v35
	s_mov_b32 s3, 0xc2ce8ed0
	v_cmp_ngt_f32_e32 vcc, s3, v15
	s_mov_b32 s3, 0x42b17218
	v_ldexp_f32 v17, v17, v18
	v_cndmask_b32_e32 v17, 0, v17, vcc
	v_mov_b32_e32 v35, 0x7f800000
	v_cmp_nlt_f32_e32 vcc, s3, v15
	v_cndmask_b32_e32 v15, v35, v17, vcc
	v_add_f32_e32 v36, 1.0, v15
	v_cvt_f64_f32_e32 v[17:18], v36
	v_add_f32_e32 v37, -1.0, v36
	v_sub_f32_e32 v38, v37, v36
	v_sub_f32_e32 v37, v15, v37
	v_frexp_exp_i32_f64_e32 v17, v[17:18]
	v_add_f32_e32 v18, 1.0, v38
	v_add_f32_e32 v18, v37, v18
	v_frexp_mant_f32_e32 v37, v36
	s_mov_b32 s4, 0x3f2aaaab
	v_cmp_gt_f32_e32 vcc, s4, v37
	s_mov_b32 s4, 0x3f317218
	s_mov_b32 s3, 0x7f800000
	v_subbrev_co_u32_e32 v17, vcc, 0, v17, vcc
	v_sub_u32_e32 v37, 0, v17
	v_ldexp_f32 v36, v36, v37
	v_ldexp_f32 v18, v18, v37
	v_add_f32_e32 v37, -1.0, v36
	v_add_f32_e32 v42, 1.0, v36
	v_add_f32_e32 v38, 1.0, v37
	v_add_f32_e32 v43, -1.0, v42
	v_sub_f32_e32 v38, v36, v38
	v_sub_f32_e32 v36, v36, v43
	v_add_f32_e32 v38, v18, v38
	v_add_f32_e32 v18, v18, v36
	v_add_f32_e32 v36, v42, v18
	v_rcp_f32_e32 v43, v36
	v_add_f32_e32 v41, v37, v38
	v_sub_f32_e32 v37, v37, v41
	v_add_f32_e32 v37, v38, v37
	v_sub_f32_e32 v38, v42, v36
	v_add_f32_e32 v18, v18, v38
	v_mul_f32_e32 v38, v41, v43
	v_mul_f32_e32 v42, v36, v38
	v_fma_f32 v44, v38, v36, -v42
	v_fmac_f32_e32 v44, v38, v18
	v_add_f32_e32 v45, v42, v44
	v_sub_f32_e32 v46, v41, v45
	v_sub_f32_e32 v41, v41, v46
	;; [unrolled: 1-line block ×4, first 2 shown]
	v_add_f32_e32 v37, v37, v41
	v_sub_f32_e32 v41, v42, v44
	v_add_f32_e32 v37, v41, v37
	v_add_f32_e32 v41, v46, v37
	v_mul_f32_e32 v42, v43, v41
	v_mul_f32_e32 v44, v36, v42
	v_fma_f32 v36, v42, v36, -v44
	v_fmac_f32_e32 v36, v42, v18
	v_sub_f32_e32 v18, v46, v41
	v_add_f32_e32 v18, v37, v18
	v_add_f32_e32 v37, v44, v36
	v_sub_f32_e32 v45, v41, v37
	v_sub_f32_e32 v41, v41, v45
	;; [unrolled: 1-line block ×4, first 2 shown]
	v_add_f32_e32 v18, v18, v37
	v_sub_f32_e32 v36, v44, v36
	v_add_f32_e32 v18, v36, v18
	v_add_f32_e32 v36, v38, v42
	;; [unrolled: 1-line block ×3, first 2 shown]
	v_sub_f32_e32 v37, v36, v38
	v_mul_f32_e32 v18, v43, v18
	v_sub_f32_e32 v37, v42, v37
	v_add_f32_e32 v18, v37, v18
	v_cvt_f32_i32_e32 v17, v17
	v_add_f32_e32 v37, v36, v18
	v_mul_f32_e32 v38, v37, v37
	v_mov_b32_e32 v41, 0x3ecc95a3
	v_fmac_f32_e32 v41, 0x3e9b6dac, v38
	v_mov_b32_e32 v42, 0x3f2aaada
	v_fmac_f32_e32 v42, v38, v41
	v_mul_f32_e32 v41, 0x3f317218, v17
	v_fma_f32 v43, v17, s4, -v41
	v_fmac_f32_e32 v43, 0xb102e308, v17
	v_sub_f32_e32 v17, v37, v36
	v_sub_f32_e32 v17, v18, v17
	v_add_f32_e32 v18, v41, v43
	v_sub_f32_e32 v36, v18, v41
	v_ldexp_f32 v41, v37, 1
	v_mul_f32_e32 v37, v37, v38
	v_mul_f32_e32 v37, v37, v42
	v_add_f32_e32 v38, v41, v37
	v_sub_f32_e32 v41, v38, v41
	v_ldexp_f32 v17, v17, 1
	v_sub_f32_e32 v37, v37, v41
	v_add_f32_e32 v17, v17, v37
	v_add_f32_e32 v37, v38, v17
	v_sub_f32_e32 v38, v37, v38
	v_sub_f32_e32 v17, v17, v38
	v_add_f32_e32 v38, v18, v37
	v_sub_f32_e32 v41, v38, v18
	v_sub_f32_e32 v42, v38, v41
	;; [unrolled: 1-line block ×5, first 2 shown]
	v_add_f32_e32 v18, v37, v18
	v_add_f32_e32 v37, v36, v17
	v_sub_f32_e32 v41, v37, v36
	v_sub_f32_e32 v42, v37, v41
	;; [unrolled: 1-line block ×4, first 2 shown]
	v_add_f32_e32 v18, v37, v18
	v_add_f32_e32 v17, v17, v36
	;; [unrolled: 1-line block ×3, first 2 shown]
	v_sub_f32_e32 v37, v36, v38
	v_sub_f32_e32 v18, v18, v37
	v_add_f32_e32 v17, v17, v18
	v_add_f32_e32 v17, v36, v17
	v_cmp_neq_f32_e32 vcc, s3, v15
	s_mov_b32 s3, 0x33800000
	v_cndmask_b32_e32 v17, v35, v17, vcc
	v_cmp_lt_f32_e64 vcc, |v15|, s3
	v_cndmask_b32_e32 v15, v17, v15, vcc
	v_add_f32_e32 v15, v16, v15
.LBB92_205:
	s_or_b64 exec, exec, s[0:1]
	v_max_f32_e32 v16, v15, v15
	v_min_f32_e32 v17, v16, v39
	v_cmp_u_f32_e32 vcc, v15, v15
	v_max_f32_e32 v16, v16, v39
	v_cndmask_b32_e32 v17, v17, v15, vcc
	v_cndmask_b32_e32 v16, v16, v15, vcc
	v_cndmask_b32_e64 v18, v17, v20, s[24:25]
	v_cndmask_b32_e64 v17, v16, v20, s[24:25]
	v_cmp_neq_f32_e32 vcc, v18, v17
	v_cmp_class_f32_e64 s[0:1], v18, s2
	s_or_b64 s[2:3], vcc, s[0:1]
	v_mov_b32_e32 v16, v15
	s_and_saveexec_b64 s[0:1], s[2:3]
	s_cbranch_execz .LBB92_207
; %bb.206:
	v_sub_f32_e32 v16, v18, v17
	s_mov_b32 s2, 0x3fb8aa3b
	v_mul_f32_e32 v18, 0x3fb8aa3b, v16
	v_fma_f32 v35, v16, s2, -v18
	v_rndne_f32_e32 v36, v18
	v_fmac_f32_e32 v35, 0x32a5705f, v16
	v_sub_f32_e32 v18, v18, v36
	v_add_f32_e32 v18, v18, v35
	v_exp_f32_e32 v18, v18
	v_cvt_i32_f32_e32 v35, v36
	s_mov_b32 s2, 0xc2ce8ed0
	v_cmp_ngt_f32_e32 vcc, s2, v16
	s_mov_b32 s2, 0x42b17218
	v_ldexp_f32 v18, v18, v35
	v_cndmask_b32_e32 v18, 0, v18, vcc
	v_mov_b32_e32 v37, 0x7f800000
	v_cmp_nlt_f32_e32 vcc, s2, v16
	v_cndmask_b32_e32 v16, v37, v18, vcc
	v_add_f32_e32 v18, 1.0, v16
	v_cvt_f64_f32_e32 v[35:36], v18
	v_add_f32_e32 v38, -1.0, v18
	v_sub_f32_e32 v39, v38, v18
	v_sub_f32_e32 v38, v16, v38
	v_frexp_exp_i32_f64_e32 v35, v[35:36]
	v_add_f32_e32 v36, 1.0, v39
	v_add_f32_e32 v36, v38, v36
	v_frexp_mant_f32_e32 v38, v18
	s_mov_b32 s3, 0x3f2aaaab
	v_cmp_gt_f32_e32 vcc, s3, v38
	s_mov_b32 s3, 0x3f317218
	s_mov_b32 s2, 0x7f800000
	v_subbrev_co_u32_e32 v35, vcc, 0, v35, vcc
	v_sub_u32_e32 v38, 0, v35
	v_ldexp_f32 v18, v18, v38
	v_ldexp_f32 v36, v36, v38
	v_add_f32_e32 v38, -1.0, v18
	v_add_f32_e32 v42, 1.0, v18
	v_add_f32_e32 v39, 1.0, v38
	v_add_f32_e32 v43, -1.0, v42
	v_sub_f32_e32 v39, v18, v39
	v_sub_f32_e32 v18, v18, v43
	v_add_f32_e32 v18, v36, v18
	v_add_f32_e32 v39, v36, v39
	;; [unrolled: 1-line block ×3, first 2 shown]
	v_rcp_f32_e32 v43, v36
	v_add_f32_e32 v41, v38, v39
	v_sub_f32_e32 v38, v38, v41
	v_add_f32_e32 v38, v39, v38
	v_sub_f32_e32 v39, v42, v36
	v_add_f32_e32 v18, v18, v39
	v_mul_f32_e32 v39, v41, v43
	v_mul_f32_e32 v42, v36, v39
	v_fma_f32 v44, v39, v36, -v42
	v_fmac_f32_e32 v44, v39, v18
	v_add_f32_e32 v45, v42, v44
	v_sub_f32_e32 v46, v41, v45
	v_sub_f32_e32 v41, v41, v46
	;; [unrolled: 1-line block ×4, first 2 shown]
	v_add_f32_e32 v38, v38, v41
	v_sub_f32_e32 v41, v42, v44
	v_add_f32_e32 v38, v41, v38
	v_add_f32_e32 v41, v46, v38
	v_mul_f32_e32 v42, v43, v41
	v_mul_f32_e32 v44, v36, v42
	v_fma_f32 v36, v42, v36, -v44
	v_fmac_f32_e32 v36, v42, v18
	v_sub_f32_e32 v18, v46, v41
	v_add_f32_e32 v18, v38, v18
	v_add_f32_e32 v38, v44, v36
	v_sub_f32_e32 v45, v41, v38
	v_sub_f32_e32 v41, v41, v45
	;; [unrolled: 1-line block ×4, first 2 shown]
	v_add_f32_e32 v18, v18, v38
	v_sub_f32_e32 v36, v44, v36
	v_add_f32_e32 v18, v36, v18
	v_add_f32_e32 v36, v39, v42
	;; [unrolled: 1-line block ×3, first 2 shown]
	v_sub_f32_e32 v38, v36, v39
	v_mul_f32_e32 v18, v43, v18
	v_sub_f32_e32 v38, v42, v38
	v_add_f32_e32 v18, v38, v18
	v_cvt_f32_i32_e32 v35, v35
	v_add_f32_e32 v38, v36, v18
	v_mul_f32_e32 v39, v38, v38
	v_mov_b32_e32 v41, 0x3ecc95a3
	v_fmac_f32_e32 v41, 0x3e9b6dac, v39
	v_mov_b32_e32 v42, 0x3f2aaada
	v_fmac_f32_e32 v42, v39, v41
	v_mul_f32_e32 v41, 0x3f317218, v35
	v_fma_f32 v43, v35, s3, -v41
	v_fmac_f32_e32 v43, 0xb102e308, v35
	v_sub_f32_e32 v35, v38, v36
	v_sub_f32_e32 v18, v18, v35
	v_add_f32_e32 v35, v41, v43
	v_sub_f32_e32 v36, v35, v41
	v_ldexp_f32 v41, v38, 1
	v_mul_f32_e32 v38, v38, v39
	v_mul_f32_e32 v38, v38, v42
	v_add_f32_e32 v39, v41, v38
	v_sub_f32_e32 v41, v39, v41
	v_ldexp_f32 v18, v18, 1
	v_sub_f32_e32 v38, v38, v41
	v_add_f32_e32 v18, v18, v38
	v_add_f32_e32 v38, v39, v18
	v_sub_f32_e32 v39, v38, v39
	v_sub_f32_e32 v18, v18, v39
	v_add_f32_e32 v39, v35, v38
	v_sub_f32_e32 v41, v39, v35
	v_sub_f32_e32 v42, v39, v41
	;; [unrolled: 1-line block ×5, first 2 shown]
	v_add_f32_e32 v35, v38, v35
	v_add_f32_e32 v38, v36, v18
	v_sub_f32_e32 v41, v38, v36
	v_sub_f32_e32 v42, v38, v41
	;; [unrolled: 1-line block ×4, first 2 shown]
	v_add_f32_e32 v35, v38, v35
	v_add_f32_e32 v18, v18, v36
	;; [unrolled: 1-line block ×3, first 2 shown]
	v_sub_f32_e32 v38, v36, v39
	v_sub_f32_e32 v35, v35, v38
	v_add_f32_e32 v18, v18, v35
	v_add_f32_e32 v18, v36, v18
	v_cmp_neq_f32_e32 vcc, s2, v16
	s_mov_b32 s2, 0x33800000
	v_cndmask_b32_e32 v18, v37, v18, vcc
	v_cmp_lt_f32_e64 vcc, |v16|, s2
	v_cndmask_b32_e32 v16, v18, v16, vcc
	v_add_f32_e32 v16, v17, v16
.LBB92_207:
	s_or_b64 exec, exec, s[0:1]
	v_max_f32_e32 v17, v16, v16
	v_min_f32_e32 v18, v17, v40
	v_cmp_u_f32_e32 vcc, v16, v16
	v_max_f32_e32 v17, v17, v40
	v_cndmask_b32_e32 v18, v18, v16, vcc
	v_cndmask_b32_e32 v17, v17, v16, vcc
	v_cndmask_b32_e64 v35, v18, v33, s[26:27]
	v_cndmask_b32_e64 v18, v17, v33, s[26:27]
	s_movk_i32 s0, 0x1f8
	v_cmp_neq_f32_e32 vcc, v35, v18
	v_cmp_class_f32_e64 s[0:1], v35, s0
	s_or_b64 s[2:3], vcc, s[0:1]
	v_mov_b32_e32 v17, v16
	s_and_saveexec_b64 s[0:1], s[2:3]
	s_cbranch_execz .LBB92_209
; %bb.208:
	v_sub_f32_e32 v17, v35, v18
	s_mov_b32 s2, 0x3fb8aa3b
	v_mul_f32_e32 v35, 0x3fb8aa3b, v17
	v_fma_f32 v36, v17, s2, -v35
	v_rndne_f32_e32 v37, v35
	v_fmac_f32_e32 v36, 0x32a5705f, v17
	v_sub_f32_e32 v35, v35, v37
	v_add_f32_e32 v35, v35, v36
	v_exp_f32_e32 v35, v35
	v_cvt_i32_f32_e32 v36, v37
	s_mov_b32 s2, 0xc2ce8ed0
	v_cmp_ngt_f32_e32 vcc, s2, v17
	s_mov_b32 s2, 0x42b17218
	v_ldexp_f32 v35, v35, v36
	v_cndmask_b32_e32 v35, 0, v35, vcc
	v_mov_b32_e32 v37, 0x7f800000
	v_cmp_nlt_f32_e32 vcc, s2, v17
	v_cndmask_b32_e32 v17, v37, v35, vcc
	v_add_f32_e32 v38, 1.0, v17
	v_cvt_f64_f32_e32 v[35:36], v38
	v_add_f32_e32 v39, -1.0, v38
	v_sub_f32_e32 v40, v39, v38
	v_sub_f32_e32 v39, v17, v39
	v_frexp_exp_i32_f64_e32 v35, v[35:36]
	v_add_f32_e32 v36, 1.0, v40
	v_add_f32_e32 v36, v39, v36
	v_frexp_mant_f32_e32 v39, v38
	s_mov_b32 s3, 0x3f2aaaab
	v_cmp_gt_f32_e32 vcc, s3, v39
	s_mov_b32 s3, 0x3f317218
	s_mov_b32 s2, 0x7f800000
	v_subbrev_co_u32_e32 v35, vcc, 0, v35, vcc
	v_sub_u32_e32 v39, 0, v35
	v_ldexp_f32 v38, v38, v39
	v_ldexp_f32 v36, v36, v39
	v_add_f32_e32 v39, -1.0, v38
	v_add_f32_e32 v42, 1.0, v38
	v_add_f32_e32 v40, 1.0, v39
	v_add_f32_e32 v43, -1.0, v42
	v_sub_f32_e32 v40, v38, v40
	v_sub_f32_e32 v38, v38, v43
	v_add_f32_e32 v40, v36, v40
	v_add_f32_e32 v36, v36, v38
	;; [unrolled: 1-line block ×3, first 2 shown]
	v_rcp_f32_e32 v43, v38
	v_add_f32_e32 v41, v39, v40
	v_sub_f32_e32 v39, v39, v41
	v_add_f32_e32 v39, v40, v39
	v_sub_f32_e32 v40, v42, v38
	v_add_f32_e32 v36, v36, v40
	v_mul_f32_e32 v40, v41, v43
	v_mul_f32_e32 v42, v38, v40
	v_fma_f32 v44, v40, v38, -v42
	v_fmac_f32_e32 v44, v40, v36
	v_add_f32_e32 v45, v42, v44
	v_sub_f32_e32 v46, v41, v45
	v_sub_f32_e32 v41, v41, v46
	;; [unrolled: 1-line block ×4, first 2 shown]
	v_add_f32_e32 v39, v39, v41
	v_sub_f32_e32 v41, v42, v44
	v_add_f32_e32 v39, v41, v39
	v_add_f32_e32 v41, v46, v39
	v_mul_f32_e32 v42, v43, v41
	v_mul_f32_e32 v44, v38, v42
	v_fma_f32 v38, v42, v38, -v44
	v_fmac_f32_e32 v38, v42, v36
	v_sub_f32_e32 v36, v46, v41
	v_add_f32_e32 v36, v39, v36
	v_add_f32_e32 v39, v44, v38
	v_sub_f32_e32 v45, v41, v39
	v_sub_f32_e32 v41, v41, v45
	;; [unrolled: 1-line block ×4, first 2 shown]
	v_add_f32_e32 v36, v36, v39
	v_sub_f32_e32 v38, v44, v38
	v_add_f32_e32 v36, v38, v36
	v_add_f32_e32 v38, v40, v42
	;; [unrolled: 1-line block ×3, first 2 shown]
	v_sub_f32_e32 v39, v38, v40
	v_mul_f32_e32 v36, v43, v36
	v_sub_f32_e32 v39, v42, v39
	v_add_f32_e32 v36, v39, v36
	v_cvt_f32_i32_e32 v35, v35
	v_add_f32_e32 v39, v38, v36
	v_mul_f32_e32 v40, v39, v39
	v_mov_b32_e32 v41, 0x3ecc95a3
	v_fmac_f32_e32 v41, 0x3e9b6dac, v40
	v_mov_b32_e32 v42, 0x3f2aaada
	v_fmac_f32_e32 v42, v40, v41
	v_mul_f32_e32 v41, 0x3f317218, v35
	v_fma_f32 v43, v35, s3, -v41
	v_fmac_f32_e32 v43, 0xb102e308, v35
	v_sub_f32_e32 v35, v39, v38
	v_sub_f32_e32 v35, v36, v35
	v_add_f32_e32 v36, v41, v43
	v_sub_f32_e32 v38, v36, v41
	v_ldexp_f32 v41, v39, 1
	v_mul_f32_e32 v39, v39, v40
	v_mul_f32_e32 v39, v39, v42
	v_add_f32_e32 v40, v41, v39
	v_sub_f32_e32 v41, v40, v41
	v_ldexp_f32 v35, v35, 1
	v_sub_f32_e32 v39, v39, v41
	v_add_f32_e32 v35, v35, v39
	v_add_f32_e32 v39, v40, v35
	v_sub_f32_e32 v40, v39, v40
	v_sub_f32_e32 v35, v35, v40
	v_add_f32_e32 v40, v36, v39
	v_sub_f32_e32 v41, v40, v36
	v_sub_f32_e32 v42, v40, v41
	;; [unrolled: 1-line block ×5, first 2 shown]
	v_add_f32_e32 v36, v39, v36
	v_add_f32_e32 v39, v38, v35
	v_sub_f32_e32 v41, v39, v38
	v_sub_f32_e32 v42, v39, v41
	;; [unrolled: 1-line block ×4, first 2 shown]
	v_add_f32_e32 v36, v39, v36
	v_add_f32_e32 v35, v35, v38
	;; [unrolled: 1-line block ×3, first 2 shown]
	v_sub_f32_e32 v39, v38, v40
	v_sub_f32_e32 v36, v36, v39
	v_add_f32_e32 v35, v35, v36
	v_add_f32_e32 v35, v38, v35
	v_cmp_neq_f32_e32 vcc, s2, v17
	s_mov_b32 s2, 0x33800000
	v_cndmask_b32_e32 v35, v37, v35, vcc
	v_cmp_lt_f32_e64 vcc, |v17|, s2
	v_cndmask_b32_e32 v17, v35, v17, vcc
	v_add_f32_e32 v17, v18, v17
.LBB92_209:
	s_or_b64 exec, exec, s[0:1]
	s_branch .LBB92_317
.LBB92_210:
	s_cmp_lg_u64 s[44:45], 0
	s_cselect_b64 s[2:3], -1, 0
	v_cmp_eq_u32_e64 s[0:1], 0, v0
	v_cmp_ne_u32_e32 vcc, 0, v0
	s_and_b64 s[0:1], s[0:1], s[2:3]
	s_and_saveexec_b64 s[2:3], s[0:1]
	s_cbranch_execz .LBB92_214
; %bb.211:
	v_mov_b32_e32 v3, 0
	global_load_dword v3, v3, s[40:41]
	v_max_f32_e32 v4, v1, v1
	s_movk_i32 s4, 0x1f8
	s_waitcnt vmcnt(0)
	v_max_f32_e32 v5, v3, v3
	v_min_f32_e32 v6, v5, v4
	v_max_f32_e32 v4, v5, v4
	v_cmp_u_f32_e64 s[0:1], v3, v3
	v_cndmask_b32_e64 v5, v6, v3, s[0:1]
	v_cndmask_b32_e64 v6, v4, v3, s[0:1]
	v_cmp_u_f32_e64 s[0:1], v1, v1
	v_cndmask_b32_e64 v4, v5, v1, s[0:1]
	v_cndmask_b32_e64 v1, v6, v1, s[0:1]
	v_cmp_neq_f32_e64 s[0:1], v4, v1
	v_cmp_class_f32_e64 s[4:5], v4, s4
	s_or_b64 s[0:1], s[0:1], s[4:5]
	s_and_saveexec_b64 s[4:5], s[0:1]
	s_cbranch_execz .LBB92_213
; %bb.212:
	v_sub_f32_e32 v3, v4, v1
	s_mov_b32 s0, 0x3fb8aa3b
	v_mul_f32_e32 v4, 0x3fb8aa3b, v3
	v_fma_f32 v5, v3, s0, -v4
	v_rndne_f32_e32 v6, v4
	v_fmac_f32_e32 v5, 0x32a5705f, v3
	v_sub_f32_e32 v4, v4, v6
	v_add_f32_e32 v4, v4, v5
	v_exp_f32_e32 v4, v4
	v_cvt_i32_f32_e32 v5, v6
	s_mov_b32 s0, 0xc2ce8ed0
	v_cmp_ngt_f32_e64 s[0:1], s0, v3
	s_mov_b32 s6, 0x7f800000
	v_ldexp_f32 v4, v4, v5
	v_cndmask_b32_e64 v4, 0, v4, s[0:1]
	s_mov_b32 s0, 0x42b17218
	v_mov_b32_e32 v5, 0x7f800000
	v_cmp_nlt_f32_e64 s[0:1], s0, v3
	v_cndmask_b32_e64 v6, v5, v4, s[0:1]
	v_add_f32_e32 v7, 1.0, v6
	v_cvt_f64_f32_e32 v[3:4], v7
	v_add_f32_e32 v8, -1.0, v7
	v_sub_f32_e32 v9, v8, v7
	v_sub_f32_e32 v8, v6, v8
	v_frexp_exp_i32_f64_e32 v3, v[3:4]
	v_add_f32_e32 v4, 1.0, v9
	v_add_f32_e32 v4, v8, v4
	v_frexp_mant_f32_e32 v8, v7
	s_mov_b32 s0, 0x3f2aaaab
	v_cmp_gt_f32_e64 s[0:1], s0, v8
	v_subbrev_co_u32_e64 v3, s[0:1], 0, v3, s[0:1]
	v_sub_u32_e32 v8, 0, v3
	v_ldexp_f32 v7, v7, v8
	v_ldexp_f32 v4, v4, v8
	v_add_f32_e32 v8, -1.0, v7
	v_add_f32_e32 v11, 1.0, v7
	v_add_f32_e32 v9, 1.0, v8
	v_add_f32_e32 v12, -1.0, v11
	v_sub_f32_e32 v9, v7, v9
	v_sub_f32_e32 v7, v7, v12
	v_add_f32_e32 v9, v4, v9
	v_add_f32_e32 v4, v4, v7
	;; [unrolled: 1-line block ×3, first 2 shown]
	v_rcp_f32_e32 v12, v7
	v_add_f32_e32 v10, v8, v9
	v_sub_f32_e32 v8, v8, v10
	v_add_f32_e32 v8, v9, v8
	v_sub_f32_e32 v9, v11, v7
	v_add_f32_e32 v4, v4, v9
	v_mul_f32_e32 v9, v10, v12
	v_mul_f32_e32 v11, v7, v9
	v_fma_f32 v13, v9, v7, -v11
	v_fmac_f32_e32 v13, v9, v4
	v_add_f32_e32 v14, v11, v13
	v_sub_f32_e32 v15, v10, v14
	v_sub_f32_e32 v10, v10, v15
	;; [unrolled: 1-line block ×4, first 2 shown]
	v_add_f32_e32 v8, v8, v10
	v_sub_f32_e32 v10, v11, v13
	v_add_f32_e32 v8, v10, v8
	v_add_f32_e32 v10, v15, v8
	v_mul_f32_e32 v11, v12, v10
	v_mul_f32_e32 v13, v7, v11
	v_fma_f32 v7, v11, v7, -v13
	v_fmac_f32_e32 v7, v11, v4
	v_sub_f32_e32 v4, v15, v10
	v_add_f32_e32 v4, v8, v4
	v_add_f32_e32 v8, v13, v7
	v_sub_f32_e32 v14, v10, v8
	v_sub_f32_e32 v10, v10, v14
	;; [unrolled: 1-line block ×4, first 2 shown]
	v_add_f32_e32 v4, v4, v8
	v_sub_f32_e32 v7, v13, v7
	v_add_f32_e32 v4, v7, v4
	v_add_f32_e32 v7, v9, v11
	;; [unrolled: 1-line block ×3, first 2 shown]
	v_sub_f32_e32 v8, v7, v9
	v_mul_f32_e32 v4, v12, v4
	v_sub_f32_e32 v8, v11, v8
	v_add_f32_e32 v4, v8, v4
	v_cvt_f32_i32_e32 v3, v3
	v_add_f32_e32 v8, v7, v4
	v_mul_f32_e32 v9, v8, v8
	v_mov_b32_e32 v10, 0x3ecc95a3
	v_fmac_f32_e32 v10, 0x3e9b6dac, v9
	v_mov_b32_e32 v11, 0x3f2aaada
	v_fmac_f32_e32 v11, v9, v10
	s_mov_b32 s0, 0x3f317218
	v_mul_f32_e32 v10, 0x3f317218, v3
	v_fma_f32 v12, v3, s0, -v10
	v_fmac_f32_e32 v12, 0xb102e308, v3
	v_sub_f32_e32 v3, v8, v7
	v_sub_f32_e32 v3, v4, v3
	v_add_f32_e32 v4, v10, v12
	v_sub_f32_e32 v7, v4, v10
	v_ldexp_f32 v10, v8, 1
	v_mul_f32_e32 v8, v8, v9
	v_mul_f32_e32 v8, v8, v11
	v_add_f32_e32 v9, v10, v8
	v_sub_f32_e32 v10, v9, v10
	v_ldexp_f32 v3, v3, 1
	v_sub_f32_e32 v8, v8, v10
	v_add_f32_e32 v3, v3, v8
	v_add_f32_e32 v8, v9, v3
	v_sub_f32_e32 v9, v8, v9
	v_sub_f32_e32 v3, v3, v9
	v_add_f32_e32 v9, v4, v8
	v_sub_f32_e32 v10, v9, v4
	v_sub_f32_e32 v11, v9, v10
	;; [unrolled: 1-line block ×5, first 2 shown]
	v_add_f32_e32 v4, v8, v4
	v_add_f32_e32 v8, v7, v3
	v_sub_f32_e32 v10, v8, v7
	v_sub_f32_e32 v11, v8, v10
	;; [unrolled: 1-line block ×4, first 2 shown]
	v_add_f32_e32 v4, v8, v4
	v_add_f32_e32 v3, v3, v7
	;; [unrolled: 1-line block ×3, first 2 shown]
	v_sub_f32_e32 v8, v7, v9
	v_sub_f32_e32 v4, v4, v8
	v_add_f32_e32 v3, v3, v4
	v_add_f32_e32 v3, v7, v3
	v_cmp_neq_f32_e64 s[0:1], s6, v6
	v_cndmask_b32_e64 v3, v5, v3, s[0:1]
	s_mov_b32 s0, 0x33800000
	v_cmp_lt_f32_e64 s[0:1], |v6|, s0
	v_cndmask_b32_e64 v3, v3, v6, s[0:1]
	v_add_f32_e32 v3, v1, v3
.LBB92_213:
	s_or_b64 exec, exec, s[4:5]
	v_mov_b32_e32 v1, v3
.LBB92_214:
	s_or_b64 exec, exec, s[2:3]
	v_max_f32_e32 v16, v1, v1
	v_min_f32_e32 v17, v16, v34
	v_cmp_u_f32_e64 s[28:29], v1, v1
	v_cndmask_b32_e64 v3, v17, v1, s[28:29]
	v_cmp_u_f32_e64 s[0:1], v2, v2
	v_max_f32_e32 v18, v16, v34
	v_cndmask_b32_e64 v4, v3, v2, s[0:1]
	v_cndmask_b32_e64 v3, v18, v1, s[28:29]
	;; [unrolled: 1-line block ×3, first 2 shown]
	s_movk_i32 s6, 0x1f8
	v_cmp_neq_f32_e64 s[2:3], v4, v3
	v_cmp_class_f32_e64 s[4:5], v4, s6
	s_or_b64 s[2:3], s[2:3], s[4:5]
	v_mov_b32_e32 v36, v1
	s_and_saveexec_b64 s[4:5], s[2:3]
	s_cbranch_execz .LBB92_216
; %bb.215:
	v_sub_f32_e32 v4, v4, v3
	s_mov_b32 s2, 0x3fb8aa3b
	v_mul_f32_e32 v5, 0x3fb8aa3b, v4
	v_fma_f32 v6, v4, s2, -v5
	v_rndne_f32_e32 v7, v5
	v_fmac_f32_e32 v6, 0x32a5705f, v4
	v_sub_f32_e32 v5, v5, v7
	v_add_f32_e32 v5, v5, v6
	v_exp_f32_e32 v5, v5
	v_cvt_i32_f32_e32 v6, v7
	s_mov_b32 s2, 0xc2ce8ed0
	v_cmp_ngt_f32_e64 s[2:3], s2, v4
	s_mov_b32 s7, 0x7f800000
	v_ldexp_f32 v5, v5, v6
	v_cndmask_b32_e64 v5, 0, v5, s[2:3]
	s_mov_b32 s2, 0x42b17218
	v_mov_b32_e32 v6, 0x7f800000
	v_cmp_nlt_f32_e64 s[2:3], s2, v4
	v_cndmask_b32_e64 v7, v6, v5, s[2:3]
	v_add_f32_e32 v8, 1.0, v7
	v_cvt_f64_f32_e32 v[4:5], v8
	v_add_f32_e32 v9, -1.0, v8
	v_sub_f32_e32 v10, v9, v8
	v_sub_f32_e32 v9, v7, v9
	v_frexp_exp_i32_f64_e32 v4, v[4:5]
	v_add_f32_e32 v5, 1.0, v10
	v_add_f32_e32 v5, v9, v5
	v_frexp_mant_f32_e32 v9, v8
	s_mov_b32 s2, 0x3f2aaaab
	v_cmp_gt_f32_e64 s[2:3], s2, v9
	v_subbrev_co_u32_e64 v4, s[2:3], 0, v4, s[2:3]
	v_sub_u32_e32 v9, 0, v4
	v_ldexp_f32 v8, v8, v9
	v_ldexp_f32 v5, v5, v9
	v_add_f32_e32 v9, -1.0, v8
	v_add_f32_e32 v12, 1.0, v8
	v_add_f32_e32 v10, 1.0, v9
	v_add_f32_e32 v13, -1.0, v12
	v_sub_f32_e32 v10, v8, v10
	v_sub_f32_e32 v8, v8, v13
	v_add_f32_e32 v10, v5, v10
	v_add_f32_e32 v5, v5, v8
	;; [unrolled: 1-line block ×3, first 2 shown]
	v_rcp_f32_e32 v13, v8
	v_add_f32_e32 v11, v9, v10
	v_sub_f32_e32 v9, v9, v11
	v_add_f32_e32 v9, v10, v9
	v_sub_f32_e32 v10, v12, v8
	v_add_f32_e32 v5, v5, v10
	v_mul_f32_e32 v10, v11, v13
	v_mul_f32_e32 v12, v8, v10
	v_fma_f32 v14, v10, v8, -v12
	v_fmac_f32_e32 v14, v10, v5
	v_add_f32_e32 v15, v12, v14
	v_sub_f32_e32 v35, v11, v15
	v_sub_f32_e32 v11, v11, v35
	;; [unrolled: 1-line block ×4, first 2 shown]
	v_add_f32_e32 v9, v9, v11
	v_sub_f32_e32 v11, v12, v14
	v_add_f32_e32 v9, v11, v9
	v_add_f32_e32 v11, v35, v9
	v_mul_f32_e32 v12, v13, v11
	v_mul_f32_e32 v14, v8, v12
	v_fma_f32 v8, v12, v8, -v14
	v_fmac_f32_e32 v8, v12, v5
	v_sub_f32_e32 v5, v35, v11
	v_add_f32_e32 v5, v9, v5
	v_add_f32_e32 v9, v14, v8
	v_sub_f32_e32 v15, v11, v9
	v_sub_f32_e32 v11, v11, v15
	;; [unrolled: 1-line block ×4, first 2 shown]
	v_add_f32_e32 v5, v5, v9
	v_sub_f32_e32 v8, v14, v8
	v_add_f32_e32 v5, v8, v5
	v_add_f32_e32 v8, v10, v12
	;; [unrolled: 1-line block ×3, first 2 shown]
	v_sub_f32_e32 v9, v8, v10
	v_mul_f32_e32 v5, v13, v5
	v_sub_f32_e32 v9, v12, v9
	v_add_f32_e32 v5, v9, v5
	v_cvt_f32_i32_e32 v4, v4
	v_add_f32_e32 v9, v8, v5
	v_mul_f32_e32 v10, v9, v9
	v_mov_b32_e32 v11, 0x3ecc95a3
	v_fmac_f32_e32 v11, 0x3e9b6dac, v10
	v_mov_b32_e32 v12, 0x3f2aaada
	v_fmac_f32_e32 v12, v10, v11
	s_mov_b32 s2, 0x3f317218
	v_mul_f32_e32 v11, 0x3f317218, v4
	v_fma_f32 v13, v4, s2, -v11
	v_fmac_f32_e32 v13, 0xb102e308, v4
	v_sub_f32_e32 v4, v9, v8
	v_sub_f32_e32 v4, v5, v4
	v_add_f32_e32 v5, v11, v13
	v_sub_f32_e32 v8, v5, v11
	v_ldexp_f32 v11, v9, 1
	v_mul_f32_e32 v9, v9, v10
	v_mul_f32_e32 v9, v9, v12
	v_add_f32_e32 v10, v11, v9
	v_sub_f32_e32 v11, v10, v11
	v_ldexp_f32 v4, v4, 1
	v_sub_f32_e32 v9, v9, v11
	v_add_f32_e32 v4, v4, v9
	v_add_f32_e32 v9, v10, v4
	v_sub_f32_e32 v10, v9, v10
	v_sub_f32_e32 v4, v4, v10
	v_add_f32_e32 v10, v5, v9
	v_sub_f32_e32 v11, v10, v5
	v_sub_f32_e32 v12, v10, v11
	;; [unrolled: 1-line block ×5, first 2 shown]
	v_add_f32_e32 v5, v9, v5
	v_add_f32_e32 v9, v8, v4
	v_sub_f32_e32 v11, v9, v8
	v_sub_f32_e32 v12, v9, v11
	;; [unrolled: 1-line block ×4, first 2 shown]
	v_add_f32_e32 v5, v9, v5
	v_add_f32_e32 v4, v4, v8
	;; [unrolled: 1-line block ×3, first 2 shown]
	v_sub_f32_e32 v9, v8, v10
	v_sub_f32_e32 v5, v5, v9
	v_add_f32_e32 v4, v4, v5
	v_add_f32_e32 v4, v8, v4
	v_cmp_neq_f32_e64 s[2:3], s7, v7
	v_cndmask_b32_e64 v4, v6, v4, s[2:3]
	s_mov_b32 s2, 0x33800000
	v_cmp_lt_f32_e64 s[2:3], |v7|, s2
	v_cndmask_b32_e64 v4, v4, v7, s[2:3]
	v_add_f32_e32 v36, v3, v4
.LBB92_216:
	s_or_b64 exec, exec, s[4:5]
	v_max_f32_e32 v3, v29, v29
	v_max_f32_e32 v4, v36, v36
	v_min_f32_e32 v5, v4, v3
	v_cmp_u_f32_e64 s[4:5], v36, v36
	v_max_f32_e32 v4, v4, v3
	v_cndmask_b32_e64 v5, v5, v36, s[4:5]
	v_cmp_u_f32_e64 s[2:3], v29, v29
	v_cndmask_b32_e64 v4, v4, v36, s[4:5]
	v_cndmask_b32_e64 v5, v5, v29, s[2:3]
	;; [unrolled: 1-line block ×3, first 2 shown]
	v_cmp_neq_f32_e64 s[4:5], v5, v4
	v_cmp_class_f32_e64 s[6:7], v5, s6
	s_or_b64 s[4:5], s[4:5], s[6:7]
	s_and_saveexec_b64 s[6:7], s[4:5]
	s_cbranch_execz .LBB92_218
; %bb.217:
	v_sub_f32_e32 v5, v5, v4
	s_mov_b32 s4, 0x3fb8aa3b
	v_mul_f32_e32 v6, 0x3fb8aa3b, v5
	v_fma_f32 v7, v5, s4, -v6
	v_rndne_f32_e32 v8, v6
	v_fmac_f32_e32 v7, 0x32a5705f, v5
	v_sub_f32_e32 v6, v6, v8
	v_add_f32_e32 v6, v6, v7
	v_exp_f32_e32 v6, v6
	v_cvt_i32_f32_e32 v7, v8
	s_mov_b32 s4, 0xc2ce8ed0
	v_cmp_ngt_f32_e64 s[4:5], s4, v5
	s_mov_b32 s8, 0x7f800000
	v_ldexp_f32 v6, v6, v7
	v_cndmask_b32_e64 v6, 0, v6, s[4:5]
	s_mov_b32 s4, 0x42b17218
	v_mov_b32_e32 v7, 0x7f800000
	v_cmp_nlt_f32_e64 s[4:5], s4, v5
	v_cndmask_b32_e64 v8, v7, v6, s[4:5]
	v_add_f32_e32 v9, 1.0, v8
	v_cvt_f64_f32_e32 v[5:6], v9
	v_add_f32_e32 v10, -1.0, v9
	v_sub_f32_e32 v11, v10, v9
	v_sub_f32_e32 v10, v8, v10
	v_frexp_exp_i32_f64_e32 v5, v[5:6]
	v_add_f32_e32 v6, 1.0, v11
	v_add_f32_e32 v6, v10, v6
	v_frexp_mant_f32_e32 v10, v9
	s_mov_b32 s4, 0x3f2aaaab
	v_cmp_gt_f32_e64 s[4:5], s4, v10
	v_subbrev_co_u32_e64 v5, s[4:5], 0, v5, s[4:5]
	v_sub_u32_e32 v10, 0, v5
	v_ldexp_f32 v9, v9, v10
	v_ldexp_f32 v6, v6, v10
	v_add_f32_e32 v10, -1.0, v9
	v_add_f32_e32 v13, 1.0, v9
	v_add_f32_e32 v11, 1.0, v10
	v_add_f32_e32 v14, -1.0, v13
	v_sub_f32_e32 v11, v9, v11
	v_sub_f32_e32 v9, v9, v14
	v_add_f32_e32 v11, v6, v11
	v_add_f32_e32 v6, v6, v9
	;; [unrolled: 1-line block ×3, first 2 shown]
	v_rcp_f32_e32 v14, v9
	v_add_f32_e32 v12, v10, v11
	v_sub_f32_e32 v10, v10, v12
	v_add_f32_e32 v10, v11, v10
	v_sub_f32_e32 v11, v13, v9
	v_add_f32_e32 v6, v6, v11
	v_mul_f32_e32 v11, v12, v14
	v_mul_f32_e32 v13, v9, v11
	v_fma_f32 v15, v11, v9, -v13
	v_fmac_f32_e32 v15, v11, v6
	v_add_f32_e32 v35, v13, v15
	v_sub_f32_e32 v36, v12, v35
	v_sub_f32_e32 v12, v12, v36
	;; [unrolled: 1-line block ×4, first 2 shown]
	v_add_f32_e32 v10, v10, v12
	v_sub_f32_e32 v12, v13, v15
	v_add_f32_e32 v10, v12, v10
	v_add_f32_e32 v12, v36, v10
	v_mul_f32_e32 v13, v14, v12
	v_mul_f32_e32 v15, v9, v13
	v_fma_f32 v9, v13, v9, -v15
	v_fmac_f32_e32 v9, v13, v6
	v_sub_f32_e32 v6, v36, v12
	v_add_f32_e32 v6, v10, v6
	v_add_f32_e32 v10, v15, v9
	v_sub_f32_e32 v35, v12, v10
	v_sub_f32_e32 v12, v12, v35
	;; [unrolled: 1-line block ×4, first 2 shown]
	v_add_f32_e32 v6, v6, v10
	v_sub_f32_e32 v9, v15, v9
	v_add_f32_e32 v6, v9, v6
	v_add_f32_e32 v9, v11, v13
	v_add_f32_e32 v6, v35, v6
	v_sub_f32_e32 v10, v9, v11
	v_mul_f32_e32 v6, v14, v6
	v_sub_f32_e32 v10, v13, v10
	v_add_f32_e32 v6, v10, v6
	v_cvt_f32_i32_e32 v5, v5
	v_add_f32_e32 v10, v9, v6
	v_mul_f32_e32 v11, v10, v10
	v_mov_b32_e32 v12, 0x3ecc95a3
	v_fmac_f32_e32 v12, 0x3e9b6dac, v11
	v_mov_b32_e32 v13, 0x3f2aaada
	v_fmac_f32_e32 v13, v11, v12
	s_mov_b32 s4, 0x3f317218
	v_mul_f32_e32 v12, 0x3f317218, v5
	v_fma_f32 v14, v5, s4, -v12
	v_fmac_f32_e32 v14, 0xb102e308, v5
	v_sub_f32_e32 v5, v10, v9
	v_sub_f32_e32 v5, v6, v5
	v_add_f32_e32 v6, v12, v14
	v_sub_f32_e32 v9, v6, v12
	v_ldexp_f32 v12, v10, 1
	v_mul_f32_e32 v10, v10, v11
	v_mul_f32_e32 v10, v10, v13
	v_add_f32_e32 v11, v12, v10
	v_sub_f32_e32 v12, v11, v12
	v_ldexp_f32 v5, v5, 1
	v_sub_f32_e32 v10, v10, v12
	v_add_f32_e32 v5, v5, v10
	v_add_f32_e32 v10, v11, v5
	v_sub_f32_e32 v11, v10, v11
	v_sub_f32_e32 v5, v5, v11
	v_add_f32_e32 v11, v6, v10
	v_sub_f32_e32 v12, v11, v6
	v_sub_f32_e32 v13, v11, v12
	;; [unrolled: 1-line block ×5, first 2 shown]
	v_add_f32_e32 v6, v10, v6
	v_add_f32_e32 v10, v9, v5
	v_sub_f32_e32 v12, v10, v9
	v_sub_f32_e32 v13, v10, v12
	;; [unrolled: 1-line block ×4, first 2 shown]
	v_add_f32_e32 v6, v10, v6
	v_add_f32_e32 v5, v5, v9
	;; [unrolled: 1-line block ×3, first 2 shown]
	v_sub_f32_e32 v10, v9, v11
	v_sub_f32_e32 v6, v6, v10
	v_add_f32_e32 v5, v5, v6
	v_add_f32_e32 v5, v9, v5
	v_cmp_neq_f32_e64 s[4:5], s8, v8
	v_cndmask_b32_e64 v5, v7, v5, s[4:5]
	s_mov_b32 s4, 0x33800000
	v_cmp_lt_f32_e64 s[4:5], |v8|, s4
	v_cndmask_b32_e64 v5, v5, v8, s[4:5]
	v_add_f32_e32 v36, v4, v5
.LBB92_218:
	s_or_b64 exec, exec, s[6:7]
	v_max_f32_e32 v4, v30, v30
	v_max_f32_e32 v5, v36, v36
	v_min_f32_e32 v6, v5, v4
	v_cmp_u_f32_e64 s[6:7], v36, v36
	v_max_f32_e32 v5, v5, v4
	v_cndmask_b32_e64 v6, v6, v36, s[6:7]
	v_cmp_u_f32_e64 s[4:5], v30, v30
	v_cndmask_b32_e64 v5, v5, v36, s[6:7]
	v_cndmask_b32_e64 v6, v6, v30, s[4:5]
	v_cndmask_b32_e64 v5, v5, v30, s[4:5]
	s_movk_i32 s10, 0x1f8
	v_cmp_neq_f32_e64 s[6:7], v6, v5
	v_cmp_class_f32_e64 s[8:9], v6, s10
	s_or_b64 s[6:7], s[6:7], s[8:9]
	s_and_saveexec_b64 s[8:9], s[6:7]
	s_cbranch_execz .LBB92_220
; %bb.219:
	v_sub_f32_e32 v6, v6, v5
	s_mov_b32 s6, 0x3fb8aa3b
	v_mul_f32_e32 v7, 0x3fb8aa3b, v6
	v_fma_f32 v8, v6, s6, -v7
	v_rndne_f32_e32 v9, v7
	v_fmac_f32_e32 v8, 0x32a5705f, v6
	v_sub_f32_e32 v7, v7, v9
	v_add_f32_e32 v7, v7, v8
	v_exp_f32_e32 v7, v7
	v_cvt_i32_f32_e32 v8, v9
	s_mov_b32 s6, 0xc2ce8ed0
	v_cmp_ngt_f32_e64 s[6:7], s6, v6
	s_mov_b32 s11, 0x7f800000
	v_ldexp_f32 v7, v7, v8
	v_cndmask_b32_e64 v7, 0, v7, s[6:7]
	s_mov_b32 s6, 0x42b17218
	v_mov_b32_e32 v8, 0x7f800000
	v_cmp_nlt_f32_e64 s[6:7], s6, v6
	v_cndmask_b32_e64 v9, v8, v7, s[6:7]
	v_add_f32_e32 v10, 1.0, v9
	v_cvt_f64_f32_e32 v[6:7], v10
	v_add_f32_e32 v11, -1.0, v10
	v_sub_f32_e32 v12, v11, v10
	v_sub_f32_e32 v11, v9, v11
	v_frexp_exp_i32_f64_e32 v6, v[6:7]
	v_add_f32_e32 v7, 1.0, v12
	v_add_f32_e32 v7, v11, v7
	v_frexp_mant_f32_e32 v11, v10
	s_mov_b32 s6, 0x3f2aaaab
	v_cmp_gt_f32_e64 s[6:7], s6, v11
	v_subbrev_co_u32_e64 v6, s[6:7], 0, v6, s[6:7]
	v_sub_u32_e32 v11, 0, v6
	v_ldexp_f32 v10, v10, v11
	v_ldexp_f32 v7, v7, v11
	v_add_f32_e32 v11, -1.0, v10
	v_add_f32_e32 v14, 1.0, v10
	v_add_f32_e32 v12, 1.0, v11
	v_add_f32_e32 v15, -1.0, v14
	v_sub_f32_e32 v12, v10, v12
	v_sub_f32_e32 v10, v10, v15
	v_add_f32_e32 v12, v7, v12
	v_add_f32_e32 v7, v7, v10
	;; [unrolled: 1-line block ×3, first 2 shown]
	v_rcp_f32_e32 v15, v10
	v_add_f32_e32 v13, v11, v12
	v_sub_f32_e32 v11, v11, v13
	v_add_f32_e32 v11, v12, v11
	v_sub_f32_e32 v12, v14, v10
	v_add_f32_e32 v7, v7, v12
	v_mul_f32_e32 v12, v13, v15
	v_mul_f32_e32 v14, v10, v12
	v_fma_f32 v35, v12, v10, -v14
	v_fmac_f32_e32 v35, v12, v7
	v_add_f32_e32 v36, v14, v35
	v_sub_f32_e32 v37, v13, v36
	v_sub_f32_e32 v13, v13, v37
	;; [unrolled: 1-line block ×4, first 2 shown]
	v_add_f32_e32 v11, v11, v13
	v_sub_f32_e32 v13, v14, v35
	v_add_f32_e32 v11, v13, v11
	v_add_f32_e32 v13, v37, v11
	v_mul_f32_e32 v14, v15, v13
	v_mul_f32_e32 v35, v10, v14
	v_fma_f32 v10, v14, v10, -v35
	v_fmac_f32_e32 v10, v14, v7
	v_sub_f32_e32 v7, v37, v13
	v_add_f32_e32 v7, v11, v7
	v_add_f32_e32 v11, v35, v10
	v_sub_f32_e32 v36, v13, v11
	v_sub_f32_e32 v13, v13, v36
	;; [unrolled: 1-line block ×4, first 2 shown]
	v_add_f32_e32 v7, v7, v11
	v_sub_f32_e32 v10, v35, v10
	v_add_f32_e32 v7, v10, v7
	v_add_f32_e32 v10, v12, v14
	;; [unrolled: 1-line block ×3, first 2 shown]
	v_sub_f32_e32 v11, v10, v12
	v_mul_f32_e32 v7, v15, v7
	v_sub_f32_e32 v11, v14, v11
	v_add_f32_e32 v7, v11, v7
	v_cvt_f32_i32_e32 v6, v6
	v_add_f32_e32 v11, v10, v7
	v_mul_f32_e32 v12, v11, v11
	v_mov_b32_e32 v13, 0x3ecc95a3
	v_fmac_f32_e32 v13, 0x3e9b6dac, v12
	v_mov_b32_e32 v14, 0x3f2aaada
	v_fmac_f32_e32 v14, v12, v13
	s_mov_b32 s6, 0x3f317218
	v_mul_f32_e32 v13, 0x3f317218, v6
	v_fma_f32 v15, v6, s6, -v13
	v_fmac_f32_e32 v15, 0xb102e308, v6
	v_sub_f32_e32 v6, v11, v10
	v_sub_f32_e32 v6, v7, v6
	v_add_f32_e32 v7, v13, v15
	v_sub_f32_e32 v10, v7, v13
	v_ldexp_f32 v13, v11, 1
	v_mul_f32_e32 v11, v11, v12
	v_mul_f32_e32 v11, v11, v14
	v_add_f32_e32 v12, v13, v11
	v_sub_f32_e32 v13, v12, v13
	v_ldexp_f32 v6, v6, 1
	v_sub_f32_e32 v11, v11, v13
	v_add_f32_e32 v6, v6, v11
	v_add_f32_e32 v11, v12, v6
	v_sub_f32_e32 v12, v11, v12
	v_sub_f32_e32 v6, v6, v12
	v_add_f32_e32 v12, v7, v11
	v_sub_f32_e32 v13, v12, v7
	v_sub_f32_e32 v14, v12, v13
	;; [unrolled: 1-line block ×5, first 2 shown]
	v_add_f32_e32 v7, v11, v7
	v_add_f32_e32 v11, v10, v6
	v_sub_f32_e32 v13, v11, v10
	v_sub_f32_e32 v14, v11, v13
	;; [unrolled: 1-line block ×4, first 2 shown]
	v_add_f32_e32 v7, v11, v7
	v_add_f32_e32 v6, v6, v10
	;; [unrolled: 1-line block ×3, first 2 shown]
	v_sub_f32_e32 v11, v10, v12
	v_sub_f32_e32 v7, v7, v11
	v_add_f32_e32 v6, v6, v7
	v_add_f32_e32 v6, v10, v6
	v_cmp_neq_f32_e64 s[6:7], s11, v9
	v_cndmask_b32_e64 v6, v8, v6, s[6:7]
	s_mov_b32 s6, 0x33800000
	v_cmp_lt_f32_e64 s[6:7], |v9|, s6
	v_cndmask_b32_e64 v6, v6, v9, s[6:7]
	v_add_f32_e32 v36, v5, v6
.LBB92_220:
	s_or_b64 exec, exec, s[8:9]
	v_max_f32_e32 v5, v27, v27
	v_max_f32_e32 v6, v36, v36
	v_min_f32_e32 v7, v6, v5
	v_cmp_u_f32_e64 s[8:9], v36, v36
	v_max_f32_e32 v6, v6, v5
	v_cndmask_b32_e64 v7, v7, v36, s[8:9]
	v_cmp_u_f32_e64 s[6:7], v27, v27
	v_cndmask_b32_e64 v6, v6, v36, s[8:9]
	v_cndmask_b32_e64 v7, v7, v27, s[6:7]
	;; [unrolled: 1-line block ×3, first 2 shown]
	v_cmp_neq_f32_e64 s[8:9], v7, v6
	v_cmp_class_f32_e64 s[10:11], v7, s10
	s_or_b64 s[8:9], s[8:9], s[10:11]
	s_and_saveexec_b64 s[10:11], s[8:9]
	s_cbranch_execz .LBB92_222
; %bb.221:
	v_sub_f32_e32 v7, v7, v6
	s_mov_b32 s8, 0x3fb8aa3b
	v_mul_f32_e32 v8, 0x3fb8aa3b, v7
	v_fma_f32 v9, v7, s8, -v8
	v_rndne_f32_e32 v10, v8
	v_fmac_f32_e32 v9, 0x32a5705f, v7
	v_sub_f32_e32 v8, v8, v10
	v_add_f32_e32 v8, v8, v9
	v_exp_f32_e32 v8, v8
	v_cvt_i32_f32_e32 v9, v10
	s_mov_b32 s8, 0xc2ce8ed0
	v_cmp_ngt_f32_e64 s[8:9], s8, v7
	s_mov_b32 s12, 0x7f800000
	v_ldexp_f32 v8, v8, v9
	v_cndmask_b32_e64 v8, 0, v8, s[8:9]
	s_mov_b32 s8, 0x42b17218
	v_mov_b32_e32 v9, 0x7f800000
	v_cmp_nlt_f32_e64 s[8:9], s8, v7
	v_cndmask_b32_e64 v10, v9, v8, s[8:9]
	v_add_f32_e32 v11, 1.0, v10
	v_cvt_f64_f32_e32 v[7:8], v11
	v_add_f32_e32 v12, -1.0, v11
	v_sub_f32_e32 v13, v12, v11
	v_sub_f32_e32 v12, v10, v12
	v_frexp_exp_i32_f64_e32 v7, v[7:8]
	v_add_f32_e32 v8, 1.0, v13
	v_add_f32_e32 v8, v12, v8
	v_frexp_mant_f32_e32 v12, v11
	s_mov_b32 s8, 0x3f2aaaab
	v_cmp_gt_f32_e64 s[8:9], s8, v12
	v_subbrev_co_u32_e64 v7, s[8:9], 0, v7, s[8:9]
	v_sub_u32_e32 v12, 0, v7
	v_ldexp_f32 v11, v11, v12
	v_ldexp_f32 v8, v8, v12
	v_add_f32_e32 v12, -1.0, v11
	v_add_f32_e32 v15, 1.0, v11
	v_add_f32_e32 v13, 1.0, v12
	v_add_f32_e32 v35, -1.0, v15
	v_sub_f32_e32 v13, v11, v13
	v_sub_f32_e32 v11, v11, v35
	v_add_f32_e32 v13, v8, v13
	v_add_f32_e32 v8, v8, v11
	;; [unrolled: 1-line block ×3, first 2 shown]
	v_rcp_f32_e32 v35, v11
	v_add_f32_e32 v14, v12, v13
	v_sub_f32_e32 v12, v12, v14
	v_add_f32_e32 v12, v13, v12
	v_sub_f32_e32 v13, v15, v11
	v_add_f32_e32 v8, v8, v13
	v_mul_f32_e32 v13, v14, v35
	v_mul_f32_e32 v15, v11, v13
	v_fma_f32 v36, v13, v11, -v15
	v_fmac_f32_e32 v36, v13, v8
	v_add_f32_e32 v37, v15, v36
	v_sub_f32_e32 v38, v14, v37
	v_sub_f32_e32 v14, v14, v38
	;; [unrolled: 1-line block ×4, first 2 shown]
	v_add_f32_e32 v12, v12, v14
	v_sub_f32_e32 v14, v15, v36
	v_add_f32_e32 v12, v14, v12
	v_add_f32_e32 v14, v38, v12
	v_mul_f32_e32 v15, v35, v14
	v_mul_f32_e32 v36, v11, v15
	v_fma_f32 v11, v15, v11, -v36
	v_fmac_f32_e32 v11, v15, v8
	v_sub_f32_e32 v8, v38, v14
	v_add_f32_e32 v8, v12, v8
	v_add_f32_e32 v12, v36, v11
	v_sub_f32_e32 v37, v14, v12
	v_sub_f32_e32 v14, v14, v37
	;; [unrolled: 1-line block ×4, first 2 shown]
	v_add_f32_e32 v8, v8, v12
	v_sub_f32_e32 v11, v36, v11
	v_add_f32_e32 v8, v11, v8
	v_add_f32_e32 v11, v13, v15
	;; [unrolled: 1-line block ×3, first 2 shown]
	v_sub_f32_e32 v12, v11, v13
	v_mul_f32_e32 v8, v35, v8
	v_sub_f32_e32 v12, v15, v12
	v_add_f32_e32 v8, v12, v8
	v_cvt_f32_i32_e32 v7, v7
	v_add_f32_e32 v12, v11, v8
	v_mul_f32_e32 v13, v12, v12
	v_mov_b32_e32 v14, 0x3ecc95a3
	v_fmac_f32_e32 v14, 0x3e9b6dac, v13
	v_mov_b32_e32 v15, 0x3f2aaada
	v_fmac_f32_e32 v15, v13, v14
	s_mov_b32 s8, 0x3f317218
	v_mul_f32_e32 v14, 0x3f317218, v7
	v_fma_f32 v35, v7, s8, -v14
	v_fmac_f32_e32 v35, 0xb102e308, v7
	v_sub_f32_e32 v7, v12, v11
	v_sub_f32_e32 v7, v8, v7
	v_add_f32_e32 v8, v14, v35
	v_sub_f32_e32 v11, v8, v14
	v_ldexp_f32 v14, v12, 1
	v_mul_f32_e32 v12, v12, v13
	v_mul_f32_e32 v12, v12, v15
	v_add_f32_e32 v13, v14, v12
	v_sub_f32_e32 v14, v13, v14
	v_ldexp_f32 v7, v7, 1
	v_sub_f32_e32 v12, v12, v14
	v_add_f32_e32 v7, v7, v12
	v_add_f32_e32 v12, v13, v7
	v_sub_f32_e32 v13, v12, v13
	v_sub_f32_e32 v7, v7, v13
	v_add_f32_e32 v13, v8, v12
	v_sub_f32_e32 v14, v13, v8
	v_sub_f32_e32 v15, v13, v14
	;; [unrolled: 1-line block ×5, first 2 shown]
	v_add_f32_e32 v8, v12, v8
	v_add_f32_e32 v12, v11, v7
	v_sub_f32_e32 v14, v12, v11
	v_sub_f32_e32 v15, v12, v14
	;; [unrolled: 1-line block ×4, first 2 shown]
	v_add_f32_e32 v8, v12, v8
	v_add_f32_e32 v7, v7, v11
	;; [unrolled: 1-line block ×3, first 2 shown]
	v_sub_f32_e32 v12, v11, v13
	v_sub_f32_e32 v8, v8, v12
	v_add_f32_e32 v7, v7, v8
	v_add_f32_e32 v7, v11, v7
	v_cmp_neq_f32_e64 s[8:9], s12, v10
	v_cndmask_b32_e64 v7, v9, v7, s[8:9]
	s_mov_b32 s8, 0x33800000
	v_cmp_lt_f32_e64 s[8:9], |v10|, s8
	v_cndmask_b32_e64 v7, v7, v10, s[8:9]
	v_add_f32_e32 v36, v6, v7
.LBB92_222:
	s_or_b64 exec, exec, s[10:11]
	v_max_f32_e32 v6, v28, v28
	v_max_f32_e32 v7, v36, v36
	v_min_f32_e32 v8, v7, v6
	v_cmp_u_f32_e64 s[10:11], v36, v36
	v_max_f32_e32 v7, v7, v6
	v_cndmask_b32_e64 v8, v8, v36, s[10:11]
	v_cmp_u_f32_e64 s[8:9], v28, v28
	v_cndmask_b32_e64 v7, v7, v36, s[10:11]
	v_cndmask_b32_e64 v8, v8, v28, s[8:9]
	;; [unrolled: 1-line block ×3, first 2 shown]
	s_movk_i32 s14, 0x1f8
	v_cmp_neq_f32_e64 s[10:11], v8, v7
	v_cmp_class_f32_e64 s[12:13], v8, s14
	s_or_b64 s[10:11], s[10:11], s[12:13]
	s_and_saveexec_b64 s[12:13], s[10:11]
	s_cbranch_execz .LBB92_224
; %bb.223:
	v_sub_f32_e32 v8, v8, v7
	s_mov_b32 s10, 0x3fb8aa3b
	v_mul_f32_e32 v9, 0x3fb8aa3b, v8
	v_fma_f32 v10, v8, s10, -v9
	v_rndne_f32_e32 v11, v9
	v_fmac_f32_e32 v10, 0x32a5705f, v8
	v_sub_f32_e32 v9, v9, v11
	v_add_f32_e32 v9, v9, v10
	v_exp_f32_e32 v9, v9
	v_cvt_i32_f32_e32 v10, v11
	s_mov_b32 s10, 0xc2ce8ed0
	v_cmp_ngt_f32_e64 s[10:11], s10, v8
	s_mov_b32 s15, 0x7f800000
	v_ldexp_f32 v9, v9, v10
	v_cndmask_b32_e64 v9, 0, v9, s[10:11]
	s_mov_b32 s10, 0x42b17218
	v_mov_b32_e32 v10, 0x7f800000
	v_cmp_nlt_f32_e64 s[10:11], s10, v8
	v_cndmask_b32_e64 v11, v10, v9, s[10:11]
	v_add_f32_e32 v12, 1.0, v11
	v_cvt_f64_f32_e32 v[8:9], v12
	v_add_f32_e32 v13, -1.0, v12
	v_sub_f32_e32 v14, v13, v12
	v_sub_f32_e32 v13, v11, v13
	v_frexp_exp_i32_f64_e32 v8, v[8:9]
	v_add_f32_e32 v9, 1.0, v14
	v_add_f32_e32 v9, v13, v9
	v_frexp_mant_f32_e32 v13, v12
	s_mov_b32 s10, 0x3f2aaaab
	v_cmp_gt_f32_e64 s[10:11], s10, v13
	v_subbrev_co_u32_e64 v8, s[10:11], 0, v8, s[10:11]
	v_sub_u32_e32 v13, 0, v8
	v_ldexp_f32 v12, v12, v13
	v_ldexp_f32 v9, v9, v13
	v_add_f32_e32 v13, -1.0, v12
	v_add_f32_e32 v35, 1.0, v12
	v_add_f32_e32 v14, 1.0, v13
	v_add_f32_e32 v36, -1.0, v35
	v_sub_f32_e32 v14, v12, v14
	v_sub_f32_e32 v12, v12, v36
	v_add_f32_e32 v14, v9, v14
	v_add_f32_e32 v9, v9, v12
	;; [unrolled: 1-line block ×3, first 2 shown]
	v_rcp_f32_e32 v36, v12
	v_add_f32_e32 v15, v13, v14
	v_sub_f32_e32 v13, v13, v15
	v_add_f32_e32 v13, v14, v13
	v_sub_f32_e32 v14, v35, v12
	v_add_f32_e32 v9, v9, v14
	v_mul_f32_e32 v14, v15, v36
	v_mul_f32_e32 v35, v12, v14
	v_fma_f32 v37, v14, v12, -v35
	v_fmac_f32_e32 v37, v14, v9
	v_add_f32_e32 v38, v35, v37
	v_sub_f32_e32 v39, v15, v38
	v_sub_f32_e32 v15, v15, v39
	;; [unrolled: 1-line block ×4, first 2 shown]
	v_add_f32_e32 v13, v13, v15
	v_sub_f32_e32 v15, v35, v37
	v_add_f32_e32 v13, v15, v13
	v_add_f32_e32 v15, v39, v13
	v_mul_f32_e32 v35, v36, v15
	v_mul_f32_e32 v37, v12, v35
	v_fma_f32 v12, v35, v12, -v37
	v_fmac_f32_e32 v12, v35, v9
	v_sub_f32_e32 v9, v39, v15
	v_add_f32_e32 v9, v13, v9
	v_add_f32_e32 v13, v37, v12
	v_sub_f32_e32 v38, v15, v13
	v_sub_f32_e32 v15, v15, v38
	;; [unrolled: 1-line block ×4, first 2 shown]
	v_add_f32_e32 v9, v9, v13
	v_sub_f32_e32 v12, v37, v12
	v_add_f32_e32 v9, v12, v9
	v_add_f32_e32 v12, v14, v35
	;; [unrolled: 1-line block ×3, first 2 shown]
	v_sub_f32_e32 v13, v12, v14
	v_mul_f32_e32 v9, v36, v9
	v_sub_f32_e32 v13, v35, v13
	v_add_f32_e32 v9, v13, v9
	v_cvt_f32_i32_e32 v8, v8
	v_add_f32_e32 v13, v12, v9
	v_mul_f32_e32 v14, v13, v13
	v_mov_b32_e32 v15, 0x3ecc95a3
	v_fmac_f32_e32 v15, 0x3e9b6dac, v14
	v_mov_b32_e32 v35, 0x3f2aaada
	v_fmac_f32_e32 v35, v14, v15
	s_mov_b32 s10, 0x3f317218
	v_mul_f32_e32 v15, 0x3f317218, v8
	v_fma_f32 v36, v8, s10, -v15
	v_fmac_f32_e32 v36, 0xb102e308, v8
	v_sub_f32_e32 v8, v13, v12
	v_sub_f32_e32 v8, v9, v8
	v_add_f32_e32 v9, v15, v36
	v_sub_f32_e32 v12, v9, v15
	v_ldexp_f32 v15, v13, 1
	v_mul_f32_e32 v13, v13, v14
	v_mul_f32_e32 v13, v13, v35
	v_add_f32_e32 v14, v15, v13
	v_sub_f32_e32 v15, v14, v15
	v_ldexp_f32 v8, v8, 1
	v_sub_f32_e32 v13, v13, v15
	v_add_f32_e32 v8, v8, v13
	v_add_f32_e32 v13, v14, v8
	v_sub_f32_e32 v14, v13, v14
	v_sub_f32_e32 v8, v8, v14
	v_add_f32_e32 v14, v9, v13
	v_sub_f32_e32 v15, v14, v9
	v_sub_f32_e32 v35, v14, v15
	;; [unrolled: 1-line block ×5, first 2 shown]
	v_add_f32_e32 v9, v13, v9
	v_add_f32_e32 v13, v12, v8
	v_sub_f32_e32 v15, v13, v12
	v_sub_f32_e32 v35, v13, v15
	;; [unrolled: 1-line block ×4, first 2 shown]
	v_add_f32_e32 v9, v13, v9
	v_add_f32_e32 v8, v8, v12
	;; [unrolled: 1-line block ×3, first 2 shown]
	v_sub_f32_e32 v13, v12, v14
	v_sub_f32_e32 v9, v9, v13
	v_add_f32_e32 v8, v8, v9
	v_add_f32_e32 v8, v12, v8
	v_cmp_neq_f32_e64 s[10:11], s15, v11
	v_cndmask_b32_e64 v8, v10, v8, s[10:11]
	s_mov_b32 s10, 0x33800000
	v_cmp_lt_f32_e64 s[10:11], |v11|, s10
	v_cndmask_b32_e64 v8, v8, v11, s[10:11]
	v_add_f32_e32 v36, v7, v8
.LBB92_224:
	s_or_b64 exec, exec, s[12:13]
	v_max_f32_e32 v7, v25, v25
	v_max_f32_e32 v8, v36, v36
	v_min_f32_e32 v9, v8, v7
	v_cmp_u_f32_e64 s[12:13], v36, v36
	v_max_f32_e32 v8, v8, v7
	v_cndmask_b32_e64 v9, v9, v36, s[12:13]
	v_cmp_u_f32_e64 s[10:11], v25, v25
	v_cndmask_b32_e64 v8, v8, v36, s[12:13]
	v_cndmask_b32_e64 v9, v9, v25, s[10:11]
	;; [unrolled: 1-line block ×3, first 2 shown]
	v_cmp_neq_f32_e64 s[12:13], v9, v8
	v_cmp_class_f32_e64 s[14:15], v9, s14
	s_or_b64 s[12:13], s[12:13], s[14:15]
	s_and_saveexec_b64 s[14:15], s[12:13]
	s_cbranch_execz .LBB92_226
; %bb.225:
	v_sub_f32_e32 v9, v9, v8
	s_mov_b32 s12, 0x3fb8aa3b
	v_mul_f32_e32 v10, 0x3fb8aa3b, v9
	v_fma_f32 v11, v9, s12, -v10
	v_rndne_f32_e32 v12, v10
	v_fmac_f32_e32 v11, 0x32a5705f, v9
	v_sub_f32_e32 v10, v10, v12
	v_add_f32_e32 v10, v10, v11
	v_exp_f32_e32 v10, v10
	v_cvt_i32_f32_e32 v11, v12
	s_mov_b32 s12, 0xc2ce8ed0
	v_cmp_ngt_f32_e64 s[12:13], s12, v9
	s_mov_b32 s16, 0x7f800000
	v_ldexp_f32 v10, v10, v11
	v_cndmask_b32_e64 v10, 0, v10, s[12:13]
	s_mov_b32 s12, 0x42b17218
	v_mov_b32_e32 v11, 0x7f800000
	v_cmp_nlt_f32_e64 s[12:13], s12, v9
	v_cndmask_b32_e64 v12, v11, v10, s[12:13]
	v_add_f32_e32 v13, 1.0, v12
	v_cvt_f64_f32_e32 v[9:10], v13
	v_add_f32_e32 v14, -1.0, v13
	v_sub_f32_e32 v15, v14, v13
	v_sub_f32_e32 v14, v12, v14
	v_frexp_exp_i32_f64_e32 v9, v[9:10]
	v_add_f32_e32 v10, 1.0, v15
	v_add_f32_e32 v10, v14, v10
	v_frexp_mant_f32_e32 v14, v13
	s_mov_b32 s12, 0x3f2aaaab
	v_cmp_gt_f32_e64 s[12:13], s12, v14
	v_subbrev_co_u32_e64 v9, s[12:13], 0, v9, s[12:13]
	v_sub_u32_e32 v14, 0, v9
	v_ldexp_f32 v13, v13, v14
	v_ldexp_f32 v10, v10, v14
	v_add_f32_e32 v14, -1.0, v13
	v_add_f32_e32 v36, 1.0, v13
	v_add_f32_e32 v15, 1.0, v14
	v_add_f32_e32 v37, -1.0, v36
	v_sub_f32_e32 v15, v13, v15
	v_sub_f32_e32 v13, v13, v37
	v_add_f32_e32 v15, v10, v15
	v_add_f32_e32 v10, v10, v13
	;; [unrolled: 1-line block ×3, first 2 shown]
	v_rcp_f32_e32 v37, v13
	v_add_f32_e32 v35, v14, v15
	v_sub_f32_e32 v14, v14, v35
	v_add_f32_e32 v14, v15, v14
	v_sub_f32_e32 v15, v36, v13
	v_add_f32_e32 v10, v10, v15
	v_mul_f32_e32 v15, v35, v37
	v_mul_f32_e32 v36, v13, v15
	v_fma_f32 v38, v15, v13, -v36
	v_fmac_f32_e32 v38, v15, v10
	v_add_f32_e32 v39, v36, v38
	v_sub_f32_e32 v40, v35, v39
	v_sub_f32_e32 v35, v35, v40
	;; [unrolled: 1-line block ×4, first 2 shown]
	v_add_f32_e32 v14, v14, v35
	v_sub_f32_e32 v35, v36, v38
	v_add_f32_e32 v14, v35, v14
	v_add_f32_e32 v35, v40, v14
	v_mul_f32_e32 v36, v37, v35
	v_mul_f32_e32 v38, v13, v36
	v_fma_f32 v13, v36, v13, -v38
	v_fmac_f32_e32 v13, v36, v10
	v_sub_f32_e32 v10, v40, v35
	v_add_f32_e32 v10, v14, v10
	v_add_f32_e32 v14, v38, v13
	v_sub_f32_e32 v39, v35, v14
	v_sub_f32_e32 v35, v35, v39
	;; [unrolled: 1-line block ×4, first 2 shown]
	v_add_f32_e32 v10, v10, v14
	v_sub_f32_e32 v13, v38, v13
	v_add_f32_e32 v10, v13, v10
	v_add_f32_e32 v13, v15, v36
	;; [unrolled: 1-line block ×3, first 2 shown]
	v_sub_f32_e32 v14, v13, v15
	v_mul_f32_e32 v10, v37, v10
	v_sub_f32_e32 v14, v36, v14
	v_add_f32_e32 v10, v14, v10
	v_cvt_f32_i32_e32 v9, v9
	v_add_f32_e32 v14, v13, v10
	v_mul_f32_e32 v15, v14, v14
	v_mov_b32_e32 v35, 0x3ecc95a3
	v_fmac_f32_e32 v35, 0x3e9b6dac, v15
	v_mov_b32_e32 v36, 0x3f2aaada
	v_fmac_f32_e32 v36, v15, v35
	s_mov_b32 s12, 0x3f317218
	v_mul_f32_e32 v35, 0x3f317218, v9
	v_fma_f32 v37, v9, s12, -v35
	v_fmac_f32_e32 v37, 0xb102e308, v9
	v_sub_f32_e32 v9, v14, v13
	v_sub_f32_e32 v9, v10, v9
	v_add_f32_e32 v10, v35, v37
	v_sub_f32_e32 v13, v10, v35
	v_ldexp_f32 v35, v14, 1
	v_mul_f32_e32 v14, v14, v15
	v_mul_f32_e32 v14, v14, v36
	v_add_f32_e32 v15, v35, v14
	v_sub_f32_e32 v35, v15, v35
	v_ldexp_f32 v9, v9, 1
	v_sub_f32_e32 v14, v14, v35
	v_add_f32_e32 v9, v9, v14
	v_add_f32_e32 v14, v15, v9
	v_sub_f32_e32 v15, v14, v15
	v_sub_f32_e32 v9, v9, v15
	v_add_f32_e32 v15, v10, v14
	v_sub_f32_e32 v35, v15, v10
	v_sub_f32_e32 v36, v15, v35
	;; [unrolled: 1-line block ×5, first 2 shown]
	v_add_f32_e32 v10, v14, v10
	v_add_f32_e32 v14, v13, v9
	v_sub_f32_e32 v35, v14, v13
	v_sub_f32_e32 v36, v14, v35
	;; [unrolled: 1-line block ×4, first 2 shown]
	v_add_f32_e32 v10, v14, v10
	v_add_f32_e32 v9, v9, v13
	;; [unrolled: 1-line block ×3, first 2 shown]
	v_sub_f32_e32 v14, v13, v15
	v_sub_f32_e32 v10, v10, v14
	v_add_f32_e32 v9, v9, v10
	v_add_f32_e32 v9, v13, v9
	v_cmp_neq_f32_e64 s[12:13], s16, v12
	v_cndmask_b32_e64 v9, v11, v9, s[12:13]
	s_mov_b32 s12, 0x33800000
	v_cmp_lt_f32_e64 s[12:13], |v12|, s12
	v_cndmask_b32_e64 v9, v9, v12, s[12:13]
	v_add_f32_e32 v36, v8, v9
.LBB92_226:
	s_or_b64 exec, exec, s[14:15]
	v_max_f32_e32 v8, v26, v26
	v_max_f32_e32 v9, v36, v36
	v_min_f32_e32 v10, v9, v8
	v_cmp_u_f32_e64 s[14:15], v36, v36
	v_max_f32_e32 v9, v9, v8
	v_cndmask_b32_e64 v10, v10, v36, s[14:15]
	v_cmp_u_f32_e64 s[12:13], v26, v26
	v_cndmask_b32_e64 v9, v9, v36, s[14:15]
	v_cndmask_b32_e64 v10, v10, v26, s[12:13]
	v_cndmask_b32_e64 v9, v9, v26, s[12:13]
	s_movk_i32 s18, 0x1f8
	v_cmp_neq_f32_e64 s[14:15], v10, v9
	v_cmp_class_f32_e64 s[16:17], v10, s18
	s_or_b64 s[14:15], s[14:15], s[16:17]
	s_and_saveexec_b64 s[16:17], s[14:15]
	s_cbranch_execz .LBB92_228
; %bb.227:
	v_sub_f32_e32 v10, v10, v9
	s_mov_b32 s14, 0x3fb8aa3b
	v_mul_f32_e32 v11, 0x3fb8aa3b, v10
	v_fma_f32 v12, v10, s14, -v11
	v_rndne_f32_e32 v13, v11
	v_fmac_f32_e32 v12, 0x32a5705f, v10
	v_sub_f32_e32 v11, v11, v13
	v_add_f32_e32 v11, v11, v12
	v_exp_f32_e32 v11, v11
	v_cvt_i32_f32_e32 v12, v13
	s_mov_b32 s14, 0xc2ce8ed0
	v_cmp_ngt_f32_e64 s[14:15], s14, v10
	s_mov_b32 s19, 0x7f800000
	v_ldexp_f32 v11, v11, v12
	v_cndmask_b32_e64 v11, 0, v11, s[14:15]
	s_mov_b32 s14, 0x42b17218
	v_mov_b32_e32 v12, 0x7f800000
	v_cmp_nlt_f32_e64 s[14:15], s14, v10
	v_cndmask_b32_e64 v13, v12, v11, s[14:15]
	v_add_f32_e32 v14, 1.0, v13
	v_cvt_f64_f32_e32 v[10:11], v14
	v_add_f32_e32 v15, -1.0, v14
	v_sub_f32_e32 v35, v15, v14
	v_sub_f32_e32 v15, v13, v15
	v_frexp_exp_i32_f64_e32 v10, v[10:11]
	v_add_f32_e32 v11, 1.0, v35
	v_add_f32_e32 v11, v15, v11
	v_frexp_mant_f32_e32 v15, v14
	s_mov_b32 s14, 0x3f2aaaab
	v_cmp_gt_f32_e64 s[14:15], s14, v15
	v_subbrev_co_u32_e64 v10, s[14:15], 0, v10, s[14:15]
	v_sub_u32_e32 v15, 0, v10
	v_ldexp_f32 v14, v14, v15
	v_ldexp_f32 v11, v11, v15
	v_add_f32_e32 v15, -1.0, v14
	v_add_f32_e32 v37, 1.0, v14
	v_add_f32_e32 v35, 1.0, v15
	v_add_f32_e32 v38, -1.0, v37
	v_sub_f32_e32 v35, v14, v35
	v_sub_f32_e32 v14, v14, v38
	v_add_f32_e32 v35, v11, v35
	v_add_f32_e32 v11, v11, v14
	;; [unrolled: 1-line block ×3, first 2 shown]
	v_rcp_f32_e32 v38, v14
	v_add_f32_e32 v36, v15, v35
	v_sub_f32_e32 v15, v15, v36
	v_add_f32_e32 v15, v35, v15
	v_sub_f32_e32 v35, v37, v14
	v_add_f32_e32 v11, v11, v35
	v_mul_f32_e32 v35, v36, v38
	v_mul_f32_e32 v37, v14, v35
	v_fma_f32 v39, v35, v14, -v37
	v_fmac_f32_e32 v39, v35, v11
	v_add_f32_e32 v40, v37, v39
	v_sub_f32_e32 v41, v36, v40
	v_sub_f32_e32 v36, v36, v41
	;; [unrolled: 1-line block ×4, first 2 shown]
	v_add_f32_e32 v15, v15, v36
	v_sub_f32_e32 v36, v37, v39
	v_add_f32_e32 v15, v36, v15
	v_add_f32_e32 v36, v41, v15
	v_mul_f32_e32 v37, v38, v36
	v_mul_f32_e32 v39, v14, v37
	v_fma_f32 v14, v37, v14, -v39
	v_fmac_f32_e32 v14, v37, v11
	v_sub_f32_e32 v11, v41, v36
	v_add_f32_e32 v11, v15, v11
	v_add_f32_e32 v15, v39, v14
	v_sub_f32_e32 v40, v36, v15
	v_sub_f32_e32 v36, v36, v40
	;; [unrolled: 1-line block ×4, first 2 shown]
	v_add_f32_e32 v11, v11, v15
	v_sub_f32_e32 v14, v39, v14
	v_add_f32_e32 v11, v14, v11
	v_add_f32_e32 v14, v35, v37
	;; [unrolled: 1-line block ×3, first 2 shown]
	v_sub_f32_e32 v15, v14, v35
	v_mul_f32_e32 v11, v38, v11
	v_sub_f32_e32 v15, v37, v15
	v_add_f32_e32 v11, v15, v11
	v_cvt_f32_i32_e32 v10, v10
	v_add_f32_e32 v15, v14, v11
	v_mul_f32_e32 v35, v15, v15
	v_mov_b32_e32 v36, 0x3ecc95a3
	v_fmac_f32_e32 v36, 0x3e9b6dac, v35
	v_mov_b32_e32 v37, 0x3f2aaada
	v_fmac_f32_e32 v37, v35, v36
	s_mov_b32 s14, 0x3f317218
	v_mul_f32_e32 v36, 0x3f317218, v10
	v_fma_f32 v38, v10, s14, -v36
	v_fmac_f32_e32 v38, 0xb102e308, v10
	v_sub_f32_e32 v10, v15, v14
	v_sub_f32_e32 v10, v11, v10
	v_add_f32_e32 v11, v36, v38
	v_sub_f32_e32 v14, v11, v36
	v_ldexp_f32 v36, v15, 1
	v_mul_f32_e32 v15, v15, v35
	v_mul_f32_e32 v15, v15, v37
	v_add_f32_e32 v35, v36, v15
	v_sub_f32_e32 v36, v35, v36
	v_ldexp_f32 v10, v10, 1
	v_sub_f32_e32 v15, v15, v36
	v_add_f32_e32 v10, v10, v15
	v_add_f32_e32 v15, v35, v10
	v_sub_f32_e32 v35, v15, v35
	v_sub_f32_e32 v10, v10, v35
	v_add_f32_e32 v35, v11, v15
	v_sub_f32_e32 v36, v35, v11
	v_sub_f32_e32 v37, v35, v36
	;; [unrolled: 1-line block ×5, first 2 shown]
	v_add_f32_e32 v11, v15, v11
	v_add_f32_e32 v15, v14, v10
	v_sub_f32_e32 v36, v15, v14
	v_sub_f32_e32 v37, v15, v36
	;; [unrolled: 1-line block ×4, first 2 shown]
	v_add_f32_e32 v11, v15, v11
	v_add_f32_e32 v10, v10, v14
	;; [unrolled: 1-line block ×3, first 2 shown]
	v_sub_f32_e32 v15, v14, v35
	v_sub_f32_e32 v11, v11, v15
	v_add_f32_e32 v10, v10, v11
	v_add_f32_e32 v10, v14, v10
	v_cmp_neq_f32_e64 s[14:15], s19, v13
	v_cndmask_b32_e64 v10, v12, v10, s[14:15]
	s_mov_b32 s14, 0x33800000
	v_cmp_lt_f32_e64 s[14:15], |v13|, s14
	v_cndmask_b32_e64 v10, v10, v13, s[14:15]
	v_add_f32_e32 v36, v9, v10
.LBB92_228:
	s_or_b64 exec, exec, s[16:17]
	v_max_f32_e32 v9, v23, v23
	v_max_f32_e32 v10, v36, v36
	v_min_f32_e32 v11, v10, v9
	v_cmp_u_f32_e64 s[16:17], v36, v36
	v_max_f32_e32 v10, v10, v9
	v_cndmask_b32_e64 v11, v11, v36, s[16:17]
	v_cmp_u_f32_e64 s[14:15], v23, v23
	v_cndmask_b32_e64 v10, v10, v36, s[16:17]
	v_cndmask_b32_e64 v11, v11, v23, s[14:15]
	;; [unrolled: 1-line block ×3, first 2 shown]
	v_cmp_neq_f32_e64 s[16:17], v11, v10
	v_cmp_class_f32_e64 s[18:19], v11, s18
	s_or_b64 s[16:17], s[16:17], s[18:19]
	s_and_saveexec_b64 s[18:19], s[16:17]
	s_cbranch_execz .LBB92_230
; %bb.229:
	v_sub_f32_e32 v11, v11, v10
	s_mov_b32 s16, 0x3fb8aa3b
	v_mul_f32_e32 v12, 0x3fb8aa3b, v11
	v_fma_f32 v13, v11, s16, -v12
	v_rndne_f32_e32 v14, v12
	v_fmac_f32_e32 v13, 0x32a5705f, v11
	v_sub_f32_e32 v12, v12, v14
	v_add_f32_e32 v12, v12, v13
	v_exp_f32_e32 v12, v12
	v_cvt_i32_f32_e32 v13, v14
	s_mov_b32 s16, 0xc2ce8ed0
	v_cmp_ngt_f32_e64 s[16:17], s16, v11
	s_mov_b32 s20, 0x7f800000
	v_ldexp_f32 v12, v12, v13
	v_cndmask_b32_e64 v12, 0, v12, s[16:17]
	s_mov_b32 s16, 0x42b17218
	v_mov_b32_e32 v13, 0x7f800000
	v_cmp_nlt_f32_e64 s[16:17], s16, v11
	v_cndmask_b32_e64 v14, v13, v12, s[16:17]
	v_add_f32_e32 v15, 1.0, v14
	v_cvt_f64_f32_e32 v[11:12], v15
	v_add_f32_e32 v35, -1.0, v15
	v_sub_f32_e32 v36, v35, v15
	v_sub_f32_e32 v35, v14, v35
	v_frexp_exp_i32_f64_e32 v11, v[11:12]
	v_add_f32_e32 v12, 1.0, v36
	v_add_f32_e32 v12, v35, v12
	v_frexp_mant_f32_e32 v35, v15
	s_mov_b32 s16, 0x3f2aaaab
	v_cmp_gt_f32_e64 s[16:17], s16, v35
	v_subbrev_co_u32_e64 v11, s[16:17], 0, v11, s[16:17]
	v_sub_u32_e32 v35, 0, v11
	v_ldexp_f32 v15, v15, v35
	v_ldexp_f32 v12, v12, v35
	v_add_f32_e32 v35, -1.0, v15
	v_add_f32_e32 v38, 1.0, v15
	v_add_f32_e32 v36, 1.0, v35
	v_add_f32_e32 v39, -1.0, v38
	v_sub_f32_e32 v36, v15, v36
	v_sub_f32_e32 v15, v15, v39
	v_add_f32_e32 v36, v12, v36
	v_add_f32_e32 v12, v12, v15
	v_add_f32_e32 v15, v38, v12
	v_rcp_f32_e32 v39, v15
	v_add_f32_e32 v37, v35, v36
	v_sub_f32_e32 v35, v35, v37
	v_add_f32_e32 v35, v36, v35
	v_sub_f32_e32 v36, v38, v15
	v_add_f32_e32 v12, v12, v36
	v_mul_f32_e32 v36, v37, v39
	v_mul_f32_e32 v38, v15, v36
	v_fma_f32 v40, v36, v15, -v38
	v_fmac_f32_e32 v40, v36, v12
	v_add_f32_e32 v41, v38, v40
	v_sub_f32_e32 v42, v37, v41
	v_sub_f32_e32 v37, v37, v42
	;; [unrolled: 1-line block ×4, first 2 shown]
	v_add_f32_e32 v35, v35, v37
	v_sub_f32_e32 v37, v38, v40
	v_add_f32_e32 v35, v37, v35
	v_add_f32_e32 v37, v42, v35
	v_mul_f32_e32 v38, v39, v37
	v_mul_f32_e32 v40, v15, v38
	v_fma_f32 v15, v38, v15, -v40
	v_fmac_f32_e32 v15, v38, v12
	v_sub_f32_e32 v12, v42, v37
	v_add_f32_e32 v12, v35, v12
	v_add_f32_e32 v35, v40, v15
	v_sub_f32_e32 v41, v37, v35
	v_sub_f32_e32 v37, v37, v41
	;; [unrolled: 1-line block ×4, first 2 shown]
	v_add_f32_e32 v12, v12, v35
	v_sub_f32_e32 v15, v40, v15
	v_add_f32_e32 v12, v15, v12
	v_add_f32_e32 v15, v36, v38
	;; [unrolled: 1-line block ×3, first 2 shown]
	v_sub_f32_e32 v35, v15, v36
	v_mul_f32_e32 v12, v39, v12
	v_sub_f32_e32 v35, v38, v35
	v_add_f32_e32 v12, v35, v12
	v_cvt_f32_i32_e32 v11, v11
	v_add_f32_e32 v35, v15, v12
	v_mul_f32_e32 v36, v35, v35
	v_mov_b32_e32 v37, 0x3ecc95a3
	v_fmac_f32_e32 v37, 0x3e9b6dac, v36
	v_mov_b32_e32 v38, 0x3f2aaada
	v_fmac_f32_e32 v38, v36, v37
	s_mov_b32 s16, 0x3f317218
	v_mul_f32_e32 v37, 0x3f317218, v11
	v_fma_f32 v39, v11, s16, -v37
	v_fmac_f32_e32 v39, 0xb102e308, v11
	v_sub_f32_e32 v11, v35, v15
	v_sub_f32_e32 v11, v12, v11
	v_add_f32_e32 v12, v37, v39
	v_sub_f32_e32 v15, v12, v37
	v_ldexp_f32 v37, v35, 1
	v_mul_f32_e32 v35, v35, v36
	v_mul_f32_e32 v35, v35, v38
	v_add_f32_e32 v36, v37, v35
	v_sub_f32_e32 v37, v36, v37
	v_ldexp_f32 v11, v11, 1
	v_sub_f32_e32 v35, v35, v37
	v_add_f32_e32 v11, v11, v35
	v_add_f32_e32 v35, v36, v11
	v_sub_f32_e32 v36, v35, v36
	v_sub_f32_e32 v11, v11, v36
	v_add_f32_e32 v36, v12, v35
	v_sub_f32_e32 v37, v36, v12
	v_sub_f32_e32 v38, v36, v37
	v_sub_f32_e32 v15, v39, v15
	v_sub_f32_e32 v12, v12, v38
	v_sub_f32_e32 v35, v35, v37
	v_add_f32_e32 v12, v35, v12
	v_add_f32_e32 v35, v15, v11
	v_sub_f32_e32 v37, v35, v15
	v_sub_f32_e32 v38, v35, v37
	;; [unrolled: 1-line block ×4, first 2 shown]
	v_add_f32_e32 v12, v35, v12
	v_add_f32_e32 v11, v11, v15
	;; [unrolled: 1-line block ×3, first 2 shown]
	v_sub_f32_e32 v35, v15, v36
	v_sub_f32_e32 v12, v12, v35
	v_add_f32_e32 v11, v11, v12
	v_add_f32_e32 v11, v15, v11
	v_cmp_neq_f32_e64 s[16:17], s20, v14
	v_cndmask_b32_e64 v11, v13, v11, s[16:17]
	s_mov_b32 s16, 0x33800000
	v_cmp_lt_f32_e64 s[16:17], |v14|, s16
	v_cndmask_b32_e64 v11, v11, v14, s[16:17]
	v_add_f32_e32 v36, v10, v11
.LBB92_230:
	s_or_b64 exec, exec, s[18:19]
	v_max_f32_e32 v10, v24, v24
	v_max_f32_e32 v11, v36, v36
	v_min_f32_e32 v12, v11, v10
	v_cmp_u_f32_e64 s[18:19], v36, v36
	v_max_f32_e32 v11, v11, v10
	v_cndmask_b32_e64 v12, v12, v36, s[18:19]
	v_cmp_u_f32_e64 s[16:17], v24, v24
	v_cndmask_b32_e64 v11, v11, v36, s[18:19]
	v_cndmask_b32_e64 v12, v12, v24, s[16:17]
	;; [unrolled: 1-line block ×3, first 2 shown]
	s_movk_i32 s22, 0x1f8
	v_cmp_neq_f32_e64 s[18:19], v12, v11
	v_cmp_class_f32_e64 s[20:21], v12, s22
	s_or_b64 s[18:19], s[18:19], s[20:21]
	s_and_saveexec_b64 s[20:21], s[18:19]
	s_cbranch_execz .LBB92_232
; %bb.231:
	v_sub_f32_e32 v12, v12, v11
	s_mov_b32 s18, 0x3fb8aa3b
	v_mul_f32_e32 v13, 0x3fb8aa3b, v12
	v_fma_f32 v14, v12, s18, -v13
	v_rndne_f32_e32 v15, v13
	v_fmac_f32_e32 v14, 0x32a5705f, v12
	v_sub_f32_e32 v13, v13, v15
	v_add_f32_e32 v13, v13, v14
	v_exp_f32_e32 v13, v13
	v_cvt_i32_f32_e32 v14, v15
	s_mov_b32 s18, 0xc2ce8ed0
	v_cmp_ngt_f32_e64 s[18:19], s18, v12
	s_mov_b32 s23, 0x7f800000
	v_ldexp_f32 v13, v13, v14
	v_cndmask_b32_e64 v13, 0, v13, s[18:19]
	s_mov_b32 s18, 0x42b17218
	v_mov_b32_e32 v14, 0x7f800000
	v_cmp_nlt_f32_e64 s[18:19], s18, v12
	v_cndmask_b32_e64 v15, v14, v13, s[18:19]
	v_add_f32_e32 v35, 1.0, v15
	v_cvt_f64_f32_e32 v[12:13], v35
	v_add_f32_e32 v36, -1.0, v35
	v_sub_f32_e32 v37, v36, v35
	v_sub_f32_e32 v36, v15, v36
	v_frexp_exp_i32_f64_e32 v12, v[12:13]
	v_add_f32_e32 v13, 1.0, v37
	v_add_f32_e32 v13, v36, v13
	v_frexp_mant_f32_e32 v36, v35
	s_mov_b32 s18, 0x3f2aaaab
	v_cmp_gt_f32_e64 s[18:19], s18, v36
	v_subbrev_co_u32_e64 v12, s[18:19], 0, v12, s[18:19]
	v_sub_u32_e32 v36, 0, v12
	v_ldexp_f32 v35, v35, v36
	v_ldexp_f32 v13, v13, v36
	v_add_f32_e32 v36, -1.0, v35
	v_add_f32_e32 v39, 1.0, v35
	v_add_f32_e32 v37, 1.0, v36
	v_add_f32_e32 v40, -1.0, v39
	v_sub_f32_e32 v37, v35, v37
	v_sub_f32_e32 v35, v35, v40
	v_add_f32_e32 v37, v13, v37
	v_add_f32_e32 v13, v13, v35
	;; [unrolled: 1-line block ×3, first 2 shown]
	v_rcp_f32_e32 v40, v35
	v_add_f32_e32 v38, v36, v37
	v_sub_f32_e32 v36, v36, v38
	v_add_f32_e32 v36, v37, v36
	v_sub_f32_e32 v37, v39, v35
	v_add_f32_e32 v13, v13, v37
	v_mul_f32_e32 v37, v38, v40
	v_mul_f32_e32 v39, v35, v37
	v_fma_f32 v41, v37, v35, -v39
	v_fmac_f32_e32 v41, v37, v13
	v_add_f32_e32 v42, v39, v41
	v_sub_f32_e32 v43, v38, v42
	v_sub_f32_e32 v38, v38, v43
	;; [unrolled: 1-line block ×4, first 2 shown]
	v_add_f32_e32 v36, v36, v38
	v_sub_f32_e32 v38, v39, v41
	v_add_f32_e32 v36, v38, v36
	v_add_f32_e32 v38, v43, v36
	v_mul_f32_e32 v39, v40, v38
	v_mul_f32_e32 v41, v35, v39
	v_fma_f32 v35, v39, v35, -v41
	v_fmac_f32_e32 v35, v39, v13
	v_sub_f32_e32 v13, v43, v38
	v_add_f32_e32 v13, v36, v13
	v_add_f32_e32 v36, v41, v35
	v_sub_f32_e32 v42, v38, v36
	v_sub_f32_e32 v38, v38, v42
	;; [unrolled: 1-line block ×4, first 2 shown]
	v_add_f32_e32 v13, v13, v36
	v_sub_f32_e32 v35, v41, v35
	v_add_f32_e32 v13, v35, v13
	v_add_f32_e32 v35, v37, v39
	;; [unrolled: 1-line block ×3, first 2 shown]
	v_sub_f32_e32 v36, v35, v37
	v_mul_f32_e32 v13, v40, v13
	v_sub_f32_e32 v36, v39, v36
	v_add_f32_e32 v13, v36, v13
	v_cvt_f32_i32_e32 v12, v12
	v_add_f32_e32 v36, v35, v13
	v_mul_f32_e32 v37, v36, v36
	v_mov_b32_e32 v38, 0x3ecc95a3
	v_fmac_f32_e32 v38, 0x3e9b6dac, v37
	v_mov_b32_e32 v39, 0x3f2aaada
	v_fmac_f32_e32 v39, v37, v38
	s_mov_b32 s18, 0x3f317218
	v_mul_f32_e32 v38, 0x3f317218, v12
	v_fma_f32 v40, v12, s18, -v38
	v_fmac_f32_e32 v40, 0xb102e308, v12
	v_sub_f32_e32 v12, v36, v35
	v_sub_f32_e32 v12, v13, v12
	v_add_f32_e32 v13, v38, v40
	v_sub_f32_e32 v35, v13, v38
	v_ldexp_f32 v38, v36, 1
	v_mul_f32_e32 v36, v36, v37
	v_mul_f32_e32 v36, v36, v39
	v_add_f32_e32 v37, v38, v36
	v_sub_f32_e32 v38, v37, v38
	v_ldexp_f32 v12, v12, 1
	v_sub_f32_e32 v36, v36, v38
	v_add_f32_e32 v12, v12, v36
	v_add_f32_e32 v36, v37, v12
	v_sub_f32_e32 v37, v36, v37
	v_sub_f32_e32 v12, v12, v37
	v_add_f32_e32 v37, v13, v36
	v_sub_f32_e32 v38, v37, v13
	v_sub_f32_e32 v39, v37, v38
	;; [unrolled: 1-line block ×5, first 2 shown]
	v_add_f32_e32 v13, v36, v13
	v_add_f32_e32 v36, v35, v12
	v_sub_f32_e32 v38, v36, v35
	v_sub_f32_e32 v39, v36, v38
	v_sub_f32_e32 v35, v35, v39
	v_sub_f32_e32 v12, v12, v38
	v_add_f32_e32 v13, v36, v13
	v_add_f32_e32 v12, v12, v35
	;; [unrolled: 1-line block ×3, first 2 shown]
	v_sub_f32_e32 v36, v35, v37
	v_sub_f32_e32 v13, v13, v36
	v_add_f32_e32 v12, v12, v13
	v_add_f32_e32 v12, v35, v12
	v_cmp_neq_f32_e64 s[18:19], s23, v15
	v_cndmask_b32_e64 v12, v14, v12, s[18:19]
	s_mov_b32 s18, 0x33800000
	v_cmp_lt_f32_e64 s[18:19], |v15|, s18
	v_cndmask_b32_e64 v12, v12, v15, s[18:19]
	v_add_f32_e32 v36, v11, v12
.LBB92_232:
	s_or_b64 exec, exec, s[20:21]
	v_max_f32_e32 v11, v21, v21
	v_max_f32_e32 v12, v36, v36
	v_min_f32_e32 v13, v12, v11
	v_cmp_u_f32_e64 s[20:21], v36, v36
	v_max_f32_e32 v12, v12, v11
	v_cndmask_b32_e64 v13, v13, v36, s[20:21]
	v_cmp_u_f32_e64 s[18:19], v21, v21
	v_cndmask_b32_e64 v12, v12, v36, s[20:21]
	v_cndmask_b32_e64 v13, v13, v21, s[18:19]
	;; [unrolled: 1-line block ×3, first 2 shown]
	v_cmp_neq_f32_e64 s[20:21], v13, v12
	v_cmp_class_f32_e64 s[22:23], v13, s22
	s_or_b64 s[20:21], s[20:21], s[22:23]
	s_and_saveexec_b64 s[22:23], s[20:21]
	s_cbranch_execz .LBB92_234
; %bb.233:
	v_sub_f32_e32 v13, v13, v12
	s_mov_b32 s20, 0x3fb8aa3b
	v_mul_f32_e32 v14, 0x3fb8aa3b, v13
	v_fma_f32 v15, v13, s20, -v14
	v_rndne_f32_e32 v35, v14
	v_fmac_f32_e32 v15, 0x32a5705f, v13
	v_sub_f32_e32 v14, v14, v35
	v_add_f32_e32 v14, v14, v15
	v_exp_f32_e32 v14, v14
	v_cvt_i32_f32_e32 v15, v35
	s_mov_b32 s20, 0xc2ce8ed0
	v_cmp_ngt_f32_e64 s[20:21], s20, v13
	s_mov_b32 s24, 0x7f800000
	v_ldexp_f32 v14, v14, v15
	v_cndmask_b32_e64 v14, 0, v14, s[20:21]
	s_mov_b32 s20, 0x42b17218
	v_mov_b32_e32 v15, 0x7f800000
	v_cmp_nlt_f32_e64 s[20:21], s20, v13
	v_cndmask_b32_e64 v35, v15, v14, s[20:21]
	v_add_f32_e32 v36, 1.0, v35
	v_cvt_f64_f32_e32 v[13:14], v36
	v_add_f32_e32 v37, -1.0, v36
	v_sub_f32_e32 v38, v37, v36
	v_sub_f32_e32 v37, v35, v37
	v_frexp_exp_i32_f64_e32 v13, v[13:14]
	v_add_f32_e32 v14, 1.0, v38
	v_add_f32_e32 v14, v37, v14
	v_frexp_mant_f32_e32 v37, v36
	s_mov_b32 s20, 0x3f2aaaab
	v_cmp_gt_f32_e64 s[20:21], s20, v37
	v_subbrev_co_u32_e64 v13, s[20:21], 0, v13, s[20:21]
	v_sub_u32_e32 v37, 0, v13
	v_ldexp_f32 v36, v36, v37
	v_ldexp_f32 v14, v14, v37
	v_add_f32_e32 v37, -1.0, v36
	v_add_f32_e32 v40, 1.0, v36
	v_add_f32_e32 v38, 1.0, v37
	v_add_f32_e32 v41, -1.0, v40
	v_sub_f32_e32 v38, v36, v38
	v_sub_f32_e32 v36, v36, v41
	v_add_f32_e32 v38, v14, v38
	v_add_f32_e32 v14, v14, v36
	;; [unrolled: 1-line block ×3, first 2 shown]
	v_rcp_f32_e32 v41, v36
	v_add_f32_e32 v39, v37, v38
	v_sub_f32_e32 v37, v37, v39
	v_add_f32_e32 v37, v38, v37
	v_sub_f32_e32 v38, v40, v36
	v_add_f32_e32 v14, v14, v38
	v_mul_f32_e32 v38, v39, v41
	v_mul_f32_e32 v40, v36, v38
	v_fma_f32 v42, v38, v36, -v40
	v_fmac_f32_e32 v42, v38, v14
	v_add_f32_e32 v43, v40, v42
	v_sub_f32_e32 v44, v39, v43
	v_sub_f32_e32 v39, v39, v44
	;; [unrolled: 1-line block ×4, first 2 shown]
	v_add_f32_e32 v37, v37, v39
	v_sub_f32_e32 v39, v40, v42
	v_add_f32_e32 v37, v39, v37
	v_add_f32_e32 v39, v44, v37
	v_mul_f32_e32 v40, v41, v39
	v_mul_f32_e32 v42, v36, v40
	v_fma_f32 v36, v40, v36, -v42
	v_fmac_f32_e32 v36, v40, v14
	v_sub_f32_e32 v14, v44, v39
	v_add_f32_e32 v14, v37, v14
	v_add_f32_e32 v37, v42, v36
	v_sub_f32_e32 v43, v39, v37
	v_sub_f32_e32 v39, v39, v43
	;; [unrolled: 1-line block ×4, first 2 shown]
	v_add_f32_e32 v14, v14, v37
	v_sub_f32_e32 v36, v42, v36
	v_add_f32_e32 v14, v36, v14
	v_add_f32_e32 v36, v38, v40
	;; [unrolled: 1-line block ×3, first 2 shown]
	v_sub_f32_e32 v37, v36, v38
	v_mul_f32_e32 v14, v41, v14
	v_sub_f32_e32 v37, v40, v37
	v_add_f32_e32 v14, v37, v14
	v_cvt_f32_i32_e32 v13, v13
	v_add_f32_e32 v37, v36, v14
	v_mul_f32_e32 v38, v37, v37
	v_mov_b32_e32 v39, 0x3ecc95a3
	v_fmac_f32_e32 v39, 0x3e9b6dac, v38
	v_mov_b32_e32 v40, 0x3f2aaada
	v_fmac_f32_e32 v40, v38, v39
	s_mov_b32 s20, 0x3f317218
	v_mul_f32_e32 v39, 0x3f317218, v13
	v_fma_f32 v41, v13, s20, -v39
	v_fmac_f32_e32 v41, 0xb102e308, v13
	v_sub_f32_e32 v13, v37, v36
	v_sub_f32_e32 v13, v14, v13
	v_add_f32_e32 v14, v39, v41
	v_sub_f32_e32 v36, v14, v39
	v_ldexp_f32 v39, v37, 1
	v_mul_f32_e32 v37, v37, v38
	v_mul_f32_e32 v37, v37, v40
	v_add_f32_e32 v38, v39, v37
	v_sub_f32_e32 v39, v38, v39
	v_ldexp_f32 v13, v13, 1
	v_sub_f32_e32 v37, v37, v39
	v_add_f32_e32 v13, v13, v37
	v_add_f32_e32 v37, v38, v13
	v_sub_f32_e32 v38, v37, v38
	v_sub_f32_e32 v13, v13, v38
	v_add_f32_e32 v38, v14, v37
	v_sub_f32_e32 v39, v38, v14
	v_sub_f32_e32 v40, v38, v39
	;; [unrolled: 1-line block ×5, first 2 shown]
	v_add_f32_e32 v14, v37, v14
	v_add_f32_e32 v37, v36, v13
	v_sub_f32_e32 v39, v37, v36
	v_sub_f32_e32 v40, v37, v39
	;; [unrolled: 1-line block ×4, first 2 shown]
	v_add_f32_e32 v14, v37, v14
	v_add_f32_e32 v13, v13, v36
	;; [unrolled: 1-line block ×3, first 2 shown]
	v_sub_f32_e32 v37, v36, v38
	v_sub_f32_e32 v14, v14, v37
	v_add_f32_e32 v13, v13, v14
	v_add_f32_e32 v13, v36, v13
	v_cmp_neq_f32_e64 s[20:21], s24, v35
	v_cndmask_b32_e64 v13, v15, v13, s[20:21]
	s_mov_b32 s20, 0x33800000
	v_cmp_lt_f32_e64 s[20:21], |v35|, s20
	v_cndmask_b32_e64 v13, v13, v35, s[20:21]
	v_add_f32_e32 v36, v12, v13
.LBB92_234:
	s_or_b64 exec, exec, s[22:23]
	v_max_f32_e32 v12, v22, v22
	v_max_f32_e32 v13, v36, v36
	v_min_f32_e32 v14, v13, v12
	v_cmp_u_f32_e64 s[22:23], v36, v36
	v_max_f32_e32 v13, v13, v12
	v_cndmask_b32_e64 v14, v14, v36, s[22:23]
	v_cmp_u_f32_e64 s[20:21], v22, v22
	v_cndmask_b32_e64 v13, v13, v36, s[22:23]
	v_cndmask_b32_e64 v14, v14, v22, s[20:21]
	;; [unrolled: 1-line block ×3, first 2 shown]
	s_movk_i32 s26, 0x1f8
	v_cmp_neq_f32_e64 s[22:23], v14, v13
	v_cmp_class_f32_e64 s[24:25], v14, s26
	s_or_b64 s[22:23], s[22:23], s[24:25]
	s_and_saveexec_b64 s[24:25], s[22:23]
	s_cbranch_execz .LBB92_236
; %bb.235:
	v_sub_f32_e32 v14, v14, v13
	s_mov_b32 s22, 0x3fb8aa3b
	v_mul_f32_e32 v15, 0x3fb8aa3b, v14
	v_fma_f32 v35, v14, s22, -v15
	v_rndne_f32_e32 v36, v15
	v_fmac_f32_e32 v35, 0x32a5705f, v14
	v_sub_f32_e32 v15, v15, v36
	v_add_f32_e32 v15, v15, v35
	v_exp_f32_e32 v15, v15
	v_cvt_i32_f32_e32 v35, v36
	s_mov_b32 s22, 0xc2ce8ed0
	v_cmp_ngt_f32_e64 s[22:23], s22, v14
	s_mov_b32 s27, 0x7f800000
	v_ldexp_f32 v15, v15, v35
	v_cndmask_b32_e64 v15, 0, v15, s[22:23]
	s_mov_b32 s22, 0x42b17218
	v_mov_b32_e32 v35, 0x7f800000
	v_cmp_nlt_f32_e64 s[22:23], s22, v14
	v_cndmask_b32_e64 v36, v35, v15, s[22:23]
	v_add_f32_e32 v37, 1.0, v36
	v_cvt_f64_f32_e32 v[14:15], v37
	v_add_f32_e32 v38, -1.0, v37
	v_sub_f32_e32 v39, v38, v37
	v_sub_f32_e32 v38, v36, v38
	v_frexp_exp_i32_f64_e32 v14, v[14:15]
	v_add_f32_e32 v15, 1.0, v39
	v_add_f32_e32 v15, v38, v15
	v_frexp_mant_f32_e32 v38, v37
	s_mov_b32 s22, 0x3f2aaaab
	v_cmp_gt_f32_e64 s[22:23], s22, v38
	v_subbrev_co_u32_e64 v14, s[22:23], 0, v14, s[22:23]
	v_sub_u32_e32 v38, 0, v14
	v_ldexp_f32 v37, v37, v38
	v_ldexp_f32 v15, v15, v38
	v_add_f32_e32 v38, -1.0, v37
	v_add_f32_e32 v41, 1.0, v37
	v_add_f32_e32 v39, 1.0, v38
	v_add_f32_e32 v42, -1.0, v41
	v_sub_f32_e32 v39, v37, v39
	v_sub_f32_e32 v37, v37, v42
	v_add_f32_e32 v39, v15, v39
	v_add_f32_e32 v15, v15, v37
	;; [unrolled: 1-line block ×3, first 2 shown]
	v_rcp_f32_e32 v42, v37
	v_add_f32_e32 v40, v38, v39
	v_sub_f32_e32 v38, v38, v40
	v_add_f32_e32 v38, v39, v38
	v_sub_f32_e32 v39, v41, v37
	v_add_f32_e32 v15, v15, v39
	v_mul_f32_e32 v39, v40, v42
	v_mul_f32_e32 v41, v37, v39
	v_fma_f32 v43, v39, v37, -v41
	v_fmac_f32_e32 v43, v39, v15
	v_add_f32_e32 v44, v41, v43
	v_sub_f32_e32 v45, v40, v44
	v_sub_f32_e32 v40, v40, v45
	;; [unrolled: 1-line block ×4, first 2 shown]
	v_add_f32_e32 v38, v38, v40
	v_sub_f32_e32 v40, v41, v43
	v_add_f32_e32 v38, v40, v38
	v_add_f32_e32 v40, v45, v38
	v_mul_f32_e32 v41, v42, v40
	v_mul_f32_e32 v43, v37, v41
	v_fma_f32 v37, v41, v37, -v43
	v_fmac_f32_e32 v37, v41, v15
	v_sub_f32_e32 v15, v45, v40
	v_add_f32_e32 v15, v38, v15
	v_add_f32_e32 v38, v43, v37
	v_sub_f32_e32 v44, v40, v38
	v_sub_f32_e32 v40, v40, v44
	;; [unrolled: 1-line block ×4, first 2 shown]
	v_add_f32_e32 v15, v15, v38
	v_sub_f32_e32 v37, v43, v37
	v_add_f32_e32 v15, v37, v15
	v_add_f32_e32 v37, v39, v41
	;; [unrolled: 1-line block ×3, first 2 shown]
	v_sub_f32_e32 v38, v37, v39
	v_mul_f32_e32 v15, v42, v15
	v_sub_f32_e32 v38, v41, v38
	v_add_f32_e32 v15, v38, v15
	v_cvt_f32_i32_e32 v14, v14
	v_add_f32_e32 v38, v37, v15
	v_mul_f32_e32 v39, v38, v38
	v_mov_b32_e32 v40, 0x3ecc95a3
	v_fmac_f32_e32 v40, 0x3e9b6dac, v39
	v_mov_b32_e32 v41, 0x3f2aaada
	v_fmac_f32_e32 v41, v39, v40
	s_mov_b32 s22, 0x3f317218
	v_mul_f32_e32 v40, 0x3f317218, v14
	v_fma_f32 v42, v14, s22, -v40
	v_fmac_f32_e32 v42, 0xb102e308, v14
	v_sub_f32_e32 v14, v38, v37
	v_sub_f32_e32 v14, v15, v14
	v_add_f32_e32 v15, v40, v42
	v_sub_f32_e32 v37, v15, v40
	v_ldexp_f32 v40, v38, 1
	v_mul_f32_e32 v38, v38, v39
	v_mul_f32_e32 v38, v38, v41
	v_add_f32_e32 v39, v40, v38
	v_sub_f32_e32 v40, v39, v40
	v_ldexp_f32 v14, v14, 1
	v_sub_f32_e32 v38, v38, v40
	v_add_f32_e32 v14, v14, v38
	v_add_f32_e32 v38, v39, v14
	v_sub_f32_e32 v39, v38, v39
	v_sub_f32_e32 v14, v14, v39
	v_add_f32_e32 v39, v15, v38
	v_sub_f32_e32 v40, v39, v15
	v_sub_f32_e32 v41, v39, v40
	;; [unrolled: 1-line block ×5, first 2 shown]
	v_add_f32_e32 v15, v38, v15
	v_add_f32_e32 v38, v37, v14
	v_sub_f32_e32 v40, v38, v37
	v_sub_f32_e32 v41, v38, v40
	;; [unrolled: 1-line block ×4, first 2 shown]
	v_add_f32_e32 v15, v38, v15
	v_add_f32_e32 v14, v14, v37
	;; [unrolled: 1-line block ×3, first 2 shown]
	v_sub_f32_e32 v38, v37, v39
	v_sub_f32_e32 v15, v15, v38
	v_add_f32_e32 v14, v14, v15
	v_add_f32_e32 v14, v37, v14
	v_cmp_neq_f32_e64 s[22:23], s27, v36
	v_cndmask_b32_e64 v14, v35, v14, s[22:23]
	s_mov_b32 s22, 0x33800000
	v_cmp_lt_f32_e64 s[22:23], |v36|, s22
	v_cndmask_b32_e64 v14, v14, v36, s[22:23]
	v_add_f32_e32 v36, v13, v14
.LBB92_236:
	s_or_b64 exec, exec, s[24:25]
	v_max_f32_e32 v13, v19, v19
	v_max_f32_e32 v14, v36, v36
	v_min_f32_e32 v15, v14, v13
	v_cmp_u_f32_e64 s[24:25], v36, v36
	v_max_f32_e32 v14, v14, v13
	v_cndmask_b32_e64 v15, v15, v36, s[24:25]
	v_cmp_u_f32_e64 s[22:23], v19, v19
	v_cndmask_b32_e64 v14, v14, v36, s[24:25]
	v_cndmask_b32_e64 v15, v15, v19, s[22:23]
	;; [unrolled: 1-line block ×3, first 2 shown]
	v_cmp_neq_f32_e64 s[24:25], v15, v14
	v_cmp_class_f32_e64 s[26:27], v15, s26
	s_or_b64 s[24:25], s[24:25], s[26:27]
	s_and_saveexec_b64 s[26:27], s[24:25]
	s_cbranch_execz .LBB92_238
; %bb.237:
	v_sub_f32_e32 v15, v15, v14
	s_mov_b32 s24, 0x3fb8aa3b
	v_mul_f32_e32 v35, 0x3fb8aa3b, v15
	v_fma_f32 v36, v15, s24, -v35
	v_rndne_f32_e32 v37, v35
	v_fmac_f32_e32 v36, 0x32a5705f, v15
	v_sub_f32_e32 v35, v35, v37
	v_add_f32_e32 v35, v35, v36
	v_exp_f32_e32 v35, v35
	v_cvt_i32_f32_e32 v36, v37
	s_mov_b32 s24, 0xc2ce8ed0
	v_cmp_ngt_f32_e64 s[24:25], s24, v15
	v_mov_b32_e32 v37, 0x7f800000
	v_ldexp_f32 v35, v35, v36
	v_cndmask_b32_e64 v35, 0, v35, s[24:25]
	s_mov_b32 s24, 0x42b17218
	v_cmp_nlt_f32_e64 s[24:25], s24, v15
	v_cndmask_b32_e64 v15, v37, v35, s[24:25]
	v_add_f32_e32 v38, 1.0, v15
	v_cvt_f64_f32_e32 v[35:36], v38
	v_add_f32_e32 v39, -1.0, v38
	v_sub_f32_e32 v40, v39, v38
	v_sub_f32_e32 v39, v15, v39
	v_frexp_exp_i32_f64_e32 v35, v[35:36]
	v_add_f32_e32 v36, 1.0, v40
	v_add_f32_e32 v36, v39, v36
	v_frexp_mant_f32_e32 v39, v38
	s_mov_b32 s24, 0x3f2aaaab
	v_cmp_gt_f32_e64 s[24:25], s24, v39
	s_mov_b32 s30, 0x7f800000
	v_subbrev_co_u32_e64 v35, s[24:25], 0, v35, s[24:25]
	v_sub_u32_e32 v39, 0, v35
	v_ldexp_f32 v38, v38, v39
	v_ldexp_f32 v36, v36, v39
	v_add_f32_e32 v39, -1.0, v38
	v_add_f32_e32 v42, 1.0, v38
	v_add_f32_e32 v40, 1.0, v39
	v_add_f32_e32 v43, -1.0, v42
	v_sub_f32_e32 v40, v38, v40
	v_sub_f32_e32 v38, v38, v43
	v_add_f32_e32 v40, v36, v40
	v_add_f32_e32 v36, v36, v38
	;; [unrolled: 1-line block ×3, first 2 shown]
	v_rcp_f32_e32 v43, v38
	v_add_f32_e32 v41, v39, v40
	v_sub_f32_e32 v39, v39, v41
	v_add_f32_e32 v39, v40, v39
	v_sub_f32_e32 v40, v42, v38
	v_add_f32_e32 v36, v36, v40
	v_mul_f32_e32 v40, v41, v43
	v_mul_f32_e32 v42, v38, v40
	v_fma_f32 v44, v40, v38, -v42
	v_fmac_f32_e32 v44, v40, v36
	v_add_f32_e32 v45, v42, v44
	v_sub_f32_e32 v46, v41, v45
	v_sub_f32_e32 v41, v41, v46
	;; [unrolled: 1-line block ×4, first 2 shown]
	v_add_f32_e32 v39, v39, v41
	v_sub_f32_e32 v41, v42, v44
	v_add_f32_e32 v39, v41, v39
	v_add_f32_e32 v41, v46, v39
	v_mul_f32_e32 v42, v43, v41
	v_mul_f32_e32 v44, v38, v42
	v_fma_f32 v38, v42, v38, -v44
	v_fmac_f32_e32 v38, v42, v36
	v_sub_f32_e32 v36, v46, v41
	v_add_f32_e32 v36, v39, v36
	v_add_f32_e32 v39, v44, v38
	v_sub_f32_e32 v45, v41, v39
	v_sub_f32_e32 v41, v41, v45
	;; [unrolled: 1-line block ×4, first 2 shown]
	v_add_f32_e32 v36, v36, v39
	v_sub_f32_e32 v38, v44, v38
	v_add_f32_e32 v36, v38, v36
	v_add_f32_e32 v38, v40, v42
	;; [unrolled: 1-line block ×3, first 2 shown]
	v_sub_f32_e32 v39, v38, v40
	v_mul_f32_e32 v36, v43, v36
	v_sub_f32_e32 v39, v42, v39
	v_add_f32_e32 v36, v39, v36
	v_cvt_f32_i32_e32 v35, v35
	v_add_f32_e32 v39, v38, v36
	v_mul_f32_e32 v40, v39, v39
	v_mov_b32_e32 v41, 0x3ecc95a3
	v_fmac_f32_e32 v41, 0x3e9b6dac, v40
	v_mov_b32_e32 v42, 0x3f2aaada
	v_fmac_f32_e32 v42, v40, v41
	s_mov_b32 s24, 0x3f317218
	v_mul_f32_e32 v41, 0x3f317218, v35
	v_fma_f32 v43, v35, s24, -v41
	v_fmac_f32_e32 v43, 0xb102e308, v35
	v_sub_f32_e32 v35, v39, v38
	v_sub_f32_e32 v35, v36, v35
	v_add_f32_e32 v36, v41, v43
	v_sub_f32_e32 v38, v36, v41
	v_ldexp_f32 v41, v39, 1
	v_mul_f32_e32 v39, v39, v40
	v_mul_f32_e32 v39, v39, v42
	v_add_f32_e32 v40, v41, v39
	v_sub_f32_e32 v41, v40, v41
	v_ldexp_f32 v35, v35, 1
	v_sub_f32_e32 v39, v39, v41
	v_add_f32_e32 v35, v35, v39
	v_add_f32_e32 v39, v40, v35
	v_sub_f32_e32 v40, v39, v40
	v_sub_f32_e32 v35, v35, v40
	v_add_f32_e32 v40, v36, v39
	v_sub_f32_e32 v41, v40, v36
	v_sub_f32_e32 v42, v40, v41
	;; [unrolled: 1-line block ×5, first 2 shown]
	v_add_f32_e32 v36, v39, v36
	v_add_f32_e32 v39, v38, v35
	v_sub_f32_e32 v41, v39, v38
	v_sub_f32_e32 v42, v39, v41
	v_sub_f32_e32 v38, v38, v42
	v_sub_f32_e32 v35, v35, v41
	v_add_f32_e32 v36, v39, v36
	v_add_f32_e32 v35, v35, v38
	;; [unrolled: 1-line block ×3, first 2 shown]
	v_sub_f32_e32 v39, v38, v40
	v_sub_f32_e32 v36, v36, v39
	v_add_f32_e32 v35, v35, v36
	v_add_f32_e32 v35, v38, v35
	v_cmp_neq_f32_e64 s[24:25], s30, v15
	v_cndmask_b32_e64 v35, v37, v35, s[24:25]
	s_mov_b32 s24, 0x33800000
	v_cmp_lt_f32_e64 s[24:25], |v15|, s24
	v_cndmask_b32_e64 v15, v35, v15, s[24:25]
	v_add_f32_e32 v36, v14, v15
.LBB92_238:
	s_or_b64 exec, exec, s[26:27]
	v_max_f32_e32 v14, v20, v20
	v_max_f32_e32 v15, v36, v36
	v_min_f32_e32 v35, v15, v14
	v_cmp_u_f32_e64 s[26:27], v36, v36
	v_max_f32_e32 v15, v15, v14
	v_cndmask_b32_e64 v35, v35, v36, s[26:27]
	v_cmp_u_f32_e64 s[24:25], v20, v20
	v_cndmask_b32_e64 v15, v15, v36, s[26:27]
	v_cndmask_b32_e64 v35, v35, v20, s[24:25]
	;; [unrolled: 1-line block ×3, first 2 shown]
	s_movk_i32 s34, 0x1f8
	v_cmp_neq_f32_e64 s[26:27], v35, v15
	v_cmp_class_f32_e64 s[30:31], v35, s34
	s_or_b64 s[26:27], s[26:27], s[30:31]
	s_and_saveexec_b64 s[30:31], s[26:27]
	s_cbranch_execz .LBB92_240
; %bb.239:
	v_sub_f32_e32 v35, v35, v15
	s_mov_b32 s26, 0x3fb8aa3b
	v_mul_f32_e32 v36, 0x3fb8aa3b, v35
	v_fma_f32 v37, v35, s26, -v36
	v_rndne_f32_e32 v38, v36
	v_fmac_f32_e32 v37, 0x32a5705f, v35
	v_sub_f32_e32 v36, v36, v38
	v_add_f32_e32 v36, v36, v37
	v_exp_f32_e32 v36, v36
	v_cvt_i32_f32_e32 v37, v38
	s_mov_b32 s26, 0xc2ce8ed0
	v_cmp_ngt_f32_e64 s[26:27], s26, v35
	s_mov_b32 s35, 0x7f800000
	v_ldexp_f32 v36, v36, v37
	v_cndmask_b32_e64 v36, 0, v36, s[26:27]
	s_mov_b32 s26, 0x42b17218
	v_mov_b32_e32 v37, 0x7f800000
	v_cmp_nlt_f32_e64 s[26:27], s26, v35
	v_cndmask_b32_e64 v38, v37, v36, s[26:27]
	v_add_f32_e32 v39, 1.0, v38
	v_cvt_f64_f32_e32 v[35:36], v39
	v_add_f32_e32 v40, -1.0, v39
	v_sub_f32_e32 v41, v40, v39
	v_sub_f32_e32 v40, v38, v40
	v_frexp_exp_i32_f64_e32 v35, v[35:36]
	v_add_f32_e32 v36, 1.0, v41
	v_add_f32_e32 v36, v40, v36
	v_frexp_mant_f32_e32 v40, v39
	s_mov_b32 s26, 0x3f2aaaab
	v_cmp_gt_f32_e64 s[26:27], s26, v40
	v_subbrev_co_u32_e64 v35, s[26:27], 0, v35, s[26:27]
	v_sub_u32_e32 v40, 0, v35
	v_ldexp_f32 v39, v39, v40
	v_ldexp_f32 v36, v36, v40
	v_add_f32_e32 v40, -1.0, v39
	v_add_f32_e32 v43, 1.0, v39
	v_add_f32_e32 v41, 1.0, v40
	v_add_f32_e32 v44, -1.0, v43
	v_sub_f32_e32 v41, v39, v41
	v_sub_f32_e32 v39, v39, v44
	v_add_f32_e32 v41, v36, v41
	v_add_f32_e32 v36, v36, v39
	;; [unrolled: 1-line block ×3, first 2 shown]
	v_rcp_f32_e32 v44, v39
	v_add_f32_e32 v42, v40, v41
	v_sub_f32_e32 v40, v40, v42
	v_add_f32_e32 v40, v41, v40
	v_sub_f32_e32 v41, v43, v39
	v_add_f32_e32 v36, v36, v41
	v_mul_f32_e32 v41, v42, v44
	v_mul_f32_e32 v43, v39, v41
	v_fma_f32 v45, v41, v39, -v43
	v_fmac_f32_e32 v45, v41, v36
	v_add_f32_e32 v46, v43, v45
	v_sub_f32_e32 v47, v42, v46
	v_sub_f32_e32 v42, v42, v47
	;; [unrolled: 1-line block ×4, first 2 shown]
	v_add_f32_e32 v40, v40, v42
	v_sub_f32_e32 v42, v43, v45
	v_add_f32_e32 v40, v42, v40
	v_add_f32_e32 v42, v47, v40
	v_mul_f32_e32 v43, v44, v42
	v_mul_f32_e32 v45, v39, v43
	v_fma_f32 v39, v43, v39, -v45
	v_fmac_f32_e32 v39, v43, v36
	v_sub_f32_e32 v36, v47, v42
	v_add_f32_e32 v36, v40, v36
	v_add_f32_e32 v40, v45, v39
	v_sub_f32_e32 v46, v42, v40
	v_sub_f32_e32 v42, v42, v46
	;; [unrolled: 1-line block ×4, first 2 shown]
	v_add_f32_e32 v36, v36, v40
	v_sub_f32_e32 v39, v45, v39
	v_add_f32_e32 v36, v39, v36
	v_add_f32_e32 v39, v41, v43
	;; [unrolled: 1-line block ×3, first 2 shown]
	v_sub_f32_e32 v40, v39, v41
	v_mul_f32_e32 v36, v44, v36
	v_sub_f32_e32 v40, v43, v40
	v_add_f32_e32 v36, v40, v36
	v_cvt_f32_i32_e32 v35, v35
	v_add_f32_e32 v40, v39, v36
	v_mul_f32_e32 v41, v40, v40
	v_mov_b32_e32 v42, 0x3ecc95a3
	v_fmac_f32_e32 v42, 0x3e9b6dac, v41
	v_mov_b32_e32 v43, 0x3f2aaada
	v_fmac_f32_e32 v43, v41, v42
	s_mov_b32 s26, 0x3f317218
	v_mul_f32_e32 v42, 0x3f317218, v35
	v_fma_f32 v44, v35, s26, -v42
	v_fmac_f32_e32 v44, 0xb102e308, v35
	v_sub_f32_e32 v35, v40, v39
	v_sub_f32_e32 v35, v36, v35
	v_add_f32_e32 v36, v42, v44
	v_sub_f32_e32 v39, v36, v42
	v_ldexp_f32 v42, v40, 1
	v_mul_f32_e32 v40, v40, v41
	v_mul_f32_e32 v40, v40, v43
	v_add_f32_e32 v41, v42, v40
	v_sub_f32_e32 v42, v41, v42
	v_ldexp_f32 v35, v35, 1
	v_sub_f32_e32 v40, v40, v42
	v_add_f32_e32 v35, v35, v40
	v_add_f32_e32 v40, v41, v35
	v_sub_f32_e32 v41, v40, v41
	v_sub_f32_e32 v35, v35, v41
	v_add_f32_e32 v41, v36, v40
	v_sub_f32_e32 v42, v41, v36
	v_sub_f32_e32 v43, v41, v42
	;; [unrolled: 1-line block ×5, first 2 shown]
	v_add_f32_e32 v36, v40, v36
	v_add_f32_e32 v40, v39, v35
	v_sub_f32_e32 v42, v40, v39
	v_sub_f32_e32 v43, v40, v42
	;; [unrolled: 1-line block ×4, first 2 shown]
	v_add_f32_e32 v36, v40, v36
	v_add_f32_e32 v35, v35, v39
	;; [unrolled: 1-line block ×3, first 2 shown]
	v_sub_f32_e32 v40, v39, v41
	v_sub_f32_e32 v36, v36, v40
	v_add_f32_e32 v35, v35, v36
	v_add_f32_e32 v35, v39, v35
	v_cmp_neq_f32_e64 s[26:27], s35, v38
	v_cndmask_b32_e64 v35, v37, v35, s[26:27]
	s_mov_b32 s26, 0x33800000
	v_cmp_lt_f32_e64 s[26:27], |v38|, s26
	v_cndmask_b32_e64 v35, v35, v38, s[26:27]
	v_add_f32_e32 v36, v15, v35
.LBB92_240:
	s_or_b64 exec, exec, s[30:31]
	v_max_f32_e32 v15, v33, v33
	v_max_f32_e32 v35, v36, v36
	v_min_f32_e32 v37, v35, v15
	v_cmp_u_f32_e64 s[30:31], v36, v36
	v_max_f32_e32 v35, v35, v15
	v_cndmask_b32_e64 v37, v37, v36, s[30:31]
	v_cmp_u_f32_e64 s[26:27], v33, v33
	v_cndmask_b32_e64 v35, v35, v36, s[30:31]
	v_cndmask_b32_e64 v37, v37, v33, s[26:27]
	;; [unrolled: 1-line block ×3, first 2 shown]
	v_cmp_neq_f32_e64 s[30:31], v37, v35
	v_cmp_class_f32_e64 s[34:35], v37, s34
	s_or_b64 s[30:31], s[30:31], s[34:35]
	s_and_saveexec_b64 s[34:35], s[30:31]
	s_cbranch_execz .LBB92_242
; %bb.241:
	v_sub_f32_e32 v36, v37, v35
	s_mov_b32 s30, 0x3fb8aa3b
	v_mul_f32_e32 v37, 0x3fb8aa3b, v36
	v_fma_f32 v38, v36, s30, -v37
	v_rndne_f32_e32 v39, v37
	v_fmac_f32_e32 v38, 0x32a5705f, v36
	v_sub_f32_e32 v37, v37, v39
	v_add_f32_e32 v37, v37, v38
	v_exp_f32_e32 v37, v37
	v_cvt_i32_f32_e32 v38, v39
	s_mov_b32 s30, 0xc2ce8ed0
	v_cmp_ngt_f32_e64 s[30:31], s30, v36
	s_mov_b32 s36, 0x7f800000
	v_ldexp_f32 v37, v37, v38
	v_cndmask_b32_e64 v37, 0, v37, s[30:31]
	s_mov_b32 s30, 0x42b17218
	v_mov_b32_e32 v38, 0x7f800000
	v_cmp_nlt_f32_e64 s[30:31], s30, v36
	v_cndmask_b32_e64 v39, v38, v37, s[30:31]
	v_add_f32_e32 v40, 1.0, v39
	v_cvt_f64_f32_e32 v[36:37], v40
	v_add_f32_e32 v41, -1.0, v40
	v_sub_f32_e32 v42, v41, v40
	v_sub_f32_e32 v41, v39, v41
	v_frexp_exp_i32_f64_e32 v36, v[36:37]
	v_add_f32_e32 v37, 1.0, v42
	v_add_f32_e32 v37, v41, v37
	v_frexp_mant_f32_e32 v41, v40
	s_mov_b32 s30, 0x3f2aaaab
	v_cmp_gt_f32_e64 s[30:31], s30, v41
	v_subbrev_co_u32_e64 v36, s[30:31], 0, v36, s[30:31]
	v_sub_u32_e32 v41, 0, v36
	v_ldexp_f32 v40, v40, v41
	v_ldexp_f32 v37, v37, v41
	v_add_f32_e32 v41, -1.0, v40
	v_add_f32_e32 v44, 1.0, v40
	v_add_f32_e32 v42, 1.0, v41
	v_add_f32_e32 v45, -1.0, v44
	v_sub_f32_e32 v42, v40, v42
	v_sub_f32_e32 v40, v40, v45
	v_add_f32_e32 v42, v37, v42
	v_add_f32_e32 v37, v37, v40
	;; [unrolled: 1-line block ×3, first 2 shown]
	v_rcp_f32_e32 v45, v40
	v_add_f32_e32 v43, v41, v42
	v_sub_f32_e32 v41, v41, v43
	v_add_f32_e32 v41, v42, v41
	v_sub_f32_e32 v42, v44, v40
	v_add_f32_e32 v37, v37, v42
	v_mul_f32_e32 v42, v43, v45
	v_mul_f32_e32 v44, v40, v42
	v_fma_f32 v46, v42, v40, -v44
	v_fmac_f32_e32 v46, v42, v37
	v_add_f32_e32 v47, v44, v46
	v_sub_f32_e32 v48, v43, v47
	v_sub_f32_e32 v43, v43, v48
	;; [unrolled: 1-line block ×4, first 2 shown]
	v_add_f32_e32 v41, v41, v43
	v_sub_f32_e32 v43, v44, v46
	v_add_f32_e32 v41, v43, v41
	v_add_f32_e32 v43, v48, v41
	v_mul_f32_e32 v44, v45, v43
	v_mul_f32_e32 v46, v40, v44
	v_fma_f32 v40, v44, v40, -v46
	v_fmac_f32_e32 v40, v44, v37
	v_sub_f32_e32 v37, v48, v43
	v_add_f32_e32 v37, v41, v37
	v_add_f32_e32 v41, v46, v40
	v_sub_f32_e32 v47, v43, v41
	v_sub_f32_e32 v43, v43, v47
	;; [unrolled: 1-line block ×4, first 2 shown]
	v_add_f32_e32 v37, v37, v41
	v_sub_f32_e32 v40, v46, v40
	v_add_f32_e32 v37, v40, v37
	v_add_f32_e32 v40, v42, v44
	v_add_f32_e32 v37, v47, v37
	v_sub_f32_e32 v41, v40, v42
	v_mul_f32_e32 v37, v45, v37
	v_sub_f32_e32 v41, v44, v41
	v_add_f32_e32 v37, v41, v37
	v_cvt_f32_i32_e32 v36, v36
	v_add_f32_e32 v41, v40, v37
	v_mul_f32_e32 v42, v41, v41
	v_mov_b32_e32 v43, 0x3ecc95a3
	v_fmac_f32_e32 v43, 0x3e9b6dac, v42
	v_mov_b32_e32 v44, 0x3f2aaada
	v_fmac_f32_e32 v44, v42, v43
	s_mov_b32 s30, 0x3f317218
	v_mul_f32_e32 v43, 0x3f317218, v36
	v_fma_f32 v45, v36, s30, -v43
	v_fmac_f32_e32 v45, 0xb102e308, v36
	v_sub_f32_e32 v36, v41, v40
	v_sub_f32_e32 v36, v37, v36
	v_add_f32_e32 v37, v43, v45
	v_sub_f32_e32 v40, v37, v43
	v_ldexp_f32 v43, v41, 1
	v_mul_f32_e32 v41, v41, v42
	v_mul_f32_e32 v41, v41, v44
	v_add_f32_e32 v42, v43, v41
	v_sub_f32_e32 v43, v42, v43
	v_ldexp_f32 v36, v36, 1
	v_sub_f32_e32 v41, v41, v43
	v_add_f32_e32 v36, v36, v41
	v_add_f32_e32 v41, v42, v36
	v_sub_f32_e32 v42, v41, v42
	v_sub_f32_e32 v36, v36, v42
	v_add_f32_e32 v42, v37, v41
	v_sub_f32_e32 v43, v42, v37
	v_sub_f32_e32 v44, v42, v43
	v_sub_f32_e32 v40, v45, v40
	v_sub_f32_e32 v37, v37, v44
	v_sub_f32_e32 v41, v41, v43
	v_add_f32_e32 v37, v41, v37
	v_add_f32_e32 v41, v40, v36
	v_sub_f32_e32 v43, v41, v40
	v_sub_f32_e32 v44, v41, v43
	;; [unrolled: 1-line block ×4, first 2 shown]
	v_add_f32_e32 v37, v41, v37
	v_add_f32_e32 v36, v36, v40
	;; [unrolled: 1-line block ×3, first 2 shown]
	v_sub_f32_e32 v41, v40, v42
	v_sub_f32_e32 v37, v37, v41
	v_add_f32_e32 v36, v36, v37
	v_add_f32_e32 v36, v40, v36
	v_cmp_neq_f32_e64 s[30:31], s36, v39
	v_cndmask_b32_e64 v36, v38, v36, s[30:31]
	s_mov_b32 s30, 0x33800000
	v_cmp_lt_f32_e64 s[30:31], |v39|, s30
	v_cndmask_b32_e64 v36, v36, v39, s[30:31]
	v_add_f32_e32 v36, v35, v36
.LBB92_242:
	s_or_b64 exec, exec, s[34:35]
	v_mbcnt_lo_u32_b32 v35, -1, 0
	v_mbcnt_hi_u32_b32 v35, -1, v35
	v_and_b32_e32 v37, 15, v35
	v_mov_b32_dpp v38, v36 row_shr:1 row_mask:0xf bank_mask:0xf
	v_cmp_ne_u32_e64 s[30:31], 0, v37
	s_and_saveexec_b64 s[36:37], s[30:31]
	s_cbranch_execz .LBB92_246
; %bb.243:
	v_max_f32_e32 v40, v36, v36
	v_max_f32_e32 v41, v38, v38
	v_min_f32_e32 v39, v41, v40
	v_cmp_u_f32_e64 s[30:31], v38, v38
	v_max_f32_e32 v40, v41, v40
	v_cndmask_b32_e64 v39, v39, v38, s[30:31]
	v_cmp_u_f32_e64 s[34:35], v36, v36
	v_cndmask_b32_e64 v40, v40, v38, s[30:31]
	v_cndmask_b32_e64 v39, v39, v36, s[34:35]
	;; [unrolled: 1-line block ×3, first 2 shown]
	s_movk_i32 s34, 0x1f8
	v_cmp_neq_f32_e64 s[30:31], v39, v36
	v_cmp_class_f32_e64 s[34:35], v39, s34
	s_or_b64 s[30:31], s[30:31], s[34:35]
	s_and_saveexec_b64 s[34:35], s[30:31]
	s_cbranch_execz .LBB92_245
; %bb.244:
	v_sub_f32_e32 v38, v39, v36
	s_mov_b32 s30, 0x3fb8aa3b
	v_mul_f32_e32 v39, 0x3fb8aa3b, v38
	v_fma_f32 v40, v38, s30, -v39
	v_rndne_f32_e32 v41, v39
	v_fmac_f32_e32 v40, 0x32a5705f, v38
	v_sub_f32_e32 v39, v39, v41
	v_add_f32_e32 v39, v39, v40
	v_exp_f32_e32 v39, v39
	v_cvt_i32_f32_e32 v40, v41
	s_mov_b32 s30, 0xc2ce8ed0
	v_cmp_ngt_f32_e64 s[30:31], s30, v38
	s_mov_b32 s40, 0x7f800000
	v_ldexp_f32 v39, v39, v40
	v_cndmask_b32_e64 v39, 0, v39, s[30:31]
	s_mov_b32 s30, 0x42b17218
	v_mov_b32_e32 v40, 0x7f800000
	v_cmp_nlt_f32_e64 s[30:31], s30, v38
	v_cndmask_b32_e64 v41, v40, v39, s[30:31]
	v_add_f32_e32 v42, 1.0, v41
	v_cvt_f64_f32_e32 v[38:39], v42
	v_add_f32_e32 v43, -1.0, v42
	v_sub_f32_e32 v44, v43, v42
	v_sub_f32_e32 v43, v41, v43
	v_frexp_exp_i32_f64_e32 v38, v[38:39]
	v_add_f32_e32 v39, 1.0, v44
	v_add_f32_e32 v39, v43, v39
	v_frexp_mant_f32_e32 v43, v42
	s_mov_b32 s30, 0x3f2aaaab
	v_cmp_gt_f32_e64 s[30:31], s30, v43
	v_subbrev_co_u32_e64 v38, s[30:31], 0, v38, s[30:31]
	v_sub_u32_e32 v43, 0, v38
	v_ldexp_f32 v42, v42, v43
	v_ldexp_f32 v39, v39, v43
	v_add_f32_e32 v43, -1.0, v42
	v_add_f32_e32 v46, 1.0, v42
	v_add_f32_e32 v44, 1.0, v43
	v_add_f32_e32 v47, -1.0, v46
	v_sub_f32_e32 v44, v42, v44
	v_sub_f32_e32 v42, v42, v47
	v_add_f32_e32 v44, v39, v44
	v_add_f32_e32 v39, v39, v42
	;; [unrolled: 1-line block ×3, first 2 shown]
	v_rcp_f32_e32 v47, v42
	v_add_f32_e32 v45, v43, v44
	v_sub_f32_e32 v43, v43, v45
	v_add_f32_e32 v43, v44, v43
	v_sub_f32_e32 v44, v46, v42
	v_add_f32_e32 v39, v39, v44
	v_mul_f32_e32 v44, v45, v47
	v_mul_f32_e32 v46, v42, v44
	v_fma_f32 v48, v44, v42, -v46
	v_fmac_f32_e32 v48, v44, v39
	v_add_f32_e32 v49, v46, v48
	v_sub_f32_e32 v50, v45, v49
	v_sub_f32_e32 v45, v45, v50
	v_sub_f32_e32 v46, v49, v46
	v_sub_f32_e32 v45, v45, v49
	v_add_f32_e32 v43, v43, v45
	v_sub_f32_e32 v45, v46, v48
	v_add_f32_e32 v43, v45, v43
	v_add_f32_e32 v45, v50, v43
	v_mul_f32_e32 v46, v47, v45
	v_mul_f32_e32 v48, v42, v46
	v_fma_f32 v42, v46, v42, -v48
	v_fmac_f32_e32 v42, v46, v39
	v_sub_f32_e32 v39, v50, v45
	v_add_f32_e32 v39, v43, v39
	v_add_f32_e32 v43, v48, v42
	v_sub_f32_e32 v49, v45, v43
	v_sub_f32_e32 v45, v45, v49
	;; [unrolled: 1-line block ×4, first 2 shown]
	v_add_f32_e32 v39, v39, v43
	v_sub_f32_e32 v42, v48, v42
	v_add_f32_e32 v39, v42, v39
	v_add_f32_e32 v42, v44, v46
	;; [unrolled: 1-line block ×3, first 2 shown]
	v_sub_f32_e32 v43, v42, v44
	v_mul_f32_e32 v39, v47, v39
	v_sub_f32_e32 v43, v46, v43
	v_add_f32_e32 v39, v43, v39
	v_cvt_f32_i32_e32 v38, v38
	v_add_f32_e32 v43, v42, v39
	v_mul_f32_e32 v44, v43, v43
	v_mov_b32_e32 v45, 0x3ecc95a3
	v_fmac_f32_e32 v45, 0x3e9b6dac, v44
	v_mov_b32_e32 v46, 0x3f2aaada
	v_fmac_f32_e32 v46, v44, v45
	s_mov_b32 s30, 0x3f317218
	v_mul_f32_e32 v45, 0x3f317218, v38
	v_fma_f32 v47, v38, s30, -v45
	v_fmac_f32_e32 v47, 0xb102e308, v38
	v_sub_f32_e32 v38, v43, v42
	v_sub_f32_e32 v38, v39, v38
	v_add_f32_e32 v39, v45, v47
	v_sub_f32_e32 v42, v39, v45
	v_ldexp_f32 v45, v43, 1
	v_mul_f32_e32 v43, v43, v44
	v_mul_f32_e32 v43, v43, v46
	v_add_f32_e32 v44, v45, v43
	v_sub_f32_e32 v45, v44, v45
	v_ldexp_f32 v38, v38, 1
	v_sub_f32_e32 v43, v43, v45
	v_add_f32_e32 v38, v38, v43
	v_add_f32_e32 v43, v44, v38
	v_sub_f32_e32 v44, v43, v44
	v_sub_f32_e32 v38, v38, v44
	v_add_f32_e32 v44, v39, v43
	v_sub_f32_e32 v45, v44, v39
	v_sub_f32_e32 v46, v44, v45
	;; [unrolled: 1-line block ×5, first 2 shown]
	v_add_f32_e32 v39, v43, v39
	v_add_f32_e32 v43, v42, v38
	v_sub_f32_e32 v45, v43, v42
	v_sub_f32_e32 v46, v43, v45
	;; [unrolled: 1-line block ×4, first 2 shown]
	v_add_f32_e32 v39, v43, v39
	v_add_f32_e32 v38, v38, v42
	v_add_f32_e32 v42, v44, v39
	v_sub_f32_e32 v43, v42, v44
	v_sub_f32_e32 v39, v39, v43
	v_add_f32_e32 v38, v38, v39
	v_add_f32_e32 v38, v42, v38
	v_cmp_neq_f32_e64 s[30:31], s40, v41
	v_cndmask_b32_e64 v38, v40, v38, s[30:31]
	s_mov_b32 s30, 0x33800000
	v_cmp_lt_f32_e64 s[30:31], |v41|, s30
	v_cndmask_b32_e64 v38, v38, v41, s[30:31]
	v_add_f32_e32 v38, v36, v38
.LBB92_245:
	s_or_b64 exec, exec, s[34:35]
	v_mov_b32_e32 v36, v38
.LBB92_246:
	s_or_b64 exec, exec, s[36:37]
	s_nop 0
	v_mov_b32_dpp v38, v36 row_shr:2 row_mask:0xf bank_mask:0xf
	v_cmp_lt_u32_e64 s[30:31], 1, v37
	s_and_saveexec_b64 s[36:37], s[30:31]
	s_cbranch_execz .LBB92_250
; %bb.247:
	v_max_f32_e32 v40, v36, v36
	v_max_f32_e32 v41, v38, v38
	v_min_f32_e32 v39, v41, v40
	v_cmp_u_f32_e64 s[30:31], v38, v38
	v_max_f32_e32 v40, v41, v40
	v_cndmask_b32_e64 v39, v39, v38, s[30:31]
	v_cmp_u_f32_e64 s[34:35], v36, v36
	v_cndmask_b32_e64 v40, v40, v38, s[30:31]
	v_cndmask_b32_e64 v39, v39, v36, s[34:35]
	;; [unrolled: 1-line block ×3, first 2 shown]
	s_movk_i32 s34, 0x1f8
	v_cmp_neq_f32_e64 s[30:31], v39, v36
	v_cmp_class_f32_e64 s[34:35], v39, s34
	s_or_b64 s[30:31], s[30:31], s[34:35]
	s_and_saveexec_b64 s[34:35], s[30:31]
	s_cbranch_execz .LBB92_249
; %bb.248:
	v_sub_f32_e32 v38, v39, v36
	s_mov_b32 s30, 0x3fb8aa3b
	v_mul_f32_e32 v39, 0x3fb8aa3b, v38
	v_fma_f32 v40, v38, s30, -v39
	v_rndne_f32_e32 v41, v39
	v_fmac_f32_e32 v40, 0x32a5705f, v38
	v_sub_f32_e32 v39, v39, v41
	v_add_f32_e32 v39, v39, v40
	v_exp_f32_e32 v39, v39
	v_cvt_i32_f32_e32 v40, v41
	s_mov_b32 s30, 0xc2ce8ed0
	v_cmp_ngt_f32_e64 s[30:31], s30, v38
	s_mov_b32 s40, 0x7f800000
	v_ldexp_f32 v39, v39, v40
	v_cndmask_b32_e64 v39, 0, v39, s[30:31]
	s_mov_b32 s30, 0x42b17218
	v_mov_b32_e32 v40, 0x7f800000
	v_cmp_nlt_f32_e64 s[30:31], s30, v38
	v_cndmask_b32_e64 v41, v40, v39, s[30:31]
	v_add_f32_e32 v42, 1.0, v41
	v_cvt_f64_f32_e32 v[38:39], v42
	v_add_f32_e32 v43, -1.0, v42
	v_sub_f32_e32 v44, v43, v42
	v_sub_f32_e32 v43, v41, v43
	v_frexp_exp_i32_f64_e32 v38, v[38:39]
	v_add_f32_e32 v39, 1.0, v44
	v_add_f32_e32 v39, v43, v39
	v_frexp_mant_f32_e32 v43, v42
	s_mov_b32 s30, 0x3f2aaaab
	v_cmp_gt_f32_e64 s[30:31], s30, v43
	v_subbrev_co_u32_e64 v38, s[30:31], 0, v38, s[30:31]
	v_sub_u32_e32 v43, 0, v38
	v_ldexp_f32 v42, v42, v43
	v_ldexp_f32 v39, v39, v43
	v_add_f32_e32 v43, -1.0, v42
	v_add_f32_e32 v46, 1.0, v42
	v_add_f32_e32 v44, 1.0, v43
	v_add_f32_e32 v47, -1.0, v46
	v_sub_f32_e32 v44, v42, v44
	v_sub_f32_e32 v42, v42, v47
	v_add_f32_e32 v44, v39, v44
	v_add_f32_e32 v39, v39, v42
	;; [unrolled: 1-line block ×3, first 2 shown]
	v_rcp_f32_e32 v47, v42
	v_add_f32_e32 v45, v43, v44
	v_sub_f32_e32 v43, v43, v45
	v_add_f32_e32 v43, v44, v43
	v_sub_f32_e32 v44, v46, v42
	v_add_f32_e32 v39, v39, v44
	v_mul_f32_e32 v44, v45, v47
	v_mul_f32_e32 v46, v42, v44
	v_fma_f32 v48, v44, v42, -v46
	v_fmac_f32_e32 v48, v44, v39
	v_add_f32_e32 v49, v46, v48
	v_sub_f32_e32 v50, v45, v49
	v_sub_f32_e32 v45, v45, v50
	;; [unrolled: 1-line block ×4, first 2 shown]
	v_add_f32_e32 v43, v43, v45
	v_sub_f32_e32 v45, v46, v48
	v_add_f32_e32 v43, v45, v43
	v_add_f32_e32 v45, v50, v43
	v_mul_f32_e32 v46, v47, v45
	v_mul_f32_e32 v48, v42, v46
	v_fma_f32 v42, v46, v42, -v48
	v_fmac_f32_e32 v42, v46, v39
	v_sub_f32_e32 v39, v50, v45
	v_add_f32_e32 v39, v43, v39
	v_add_f32_e32 v43, v48, v42
	v_sub_f32_e32 v49, v45, v43
	v_sub_f32_e32 v45, v45, v49
	;; [unrolled: 1-line block ×4, first 2 shown]
	v_add_f32_e32 v39, v39, v43
	v_sub_f32_e32 v42, v48, v42
	v_add_f32_e32 v39, v42, v39
	v_add_f32_e32 v42, v44, v46
	v_add_f32_e32 v39, v49, v39
	v_sub_f32_e32 v43, v42, v44
	v_mul_f32_e32 v39, v47, v39
	v_sub_f32_e32 v43, v46, v43
	v_add_f32_e32 v39, v43, v39
	v_cvt_f32_i32_e32 v38, v38
	v_add_f32_e32 v43, v42, v39
	v_mul_f32_e32 v44, v43, v43
	v_mov_b32_e32 v45, 0x3ecc95a3
	v_fmac_f32_e32 v45, 0x3e9b6dac, v44
	v_mov_b32_e32 v46, 0x3f2aaada
	v_fmac_f32_e32 v46, v44, v45
	s_mov_b32 s30, 0x3f317218
	v_mul_f32_e32 v45, 0x3f317218, v38
	v_fma_f32 v47, v38, s30, -v45
	v_fmac_f32_e32 v47, 0xb102e308, v38
	v_sub_f32_e32 v38, v43, v42
	v_sub_f32_e32 v38, v39, v38
	v_add_f32_e32 v39, v45, v47
	v_sub_f32_e32 v42, v39, v45
	v_ldexp_f32 v45, v43, 1
	v_mul_f32_e32 v43, v43, v44
	v_mul_f32_e32 v43, v43, v46
	v_add_f32_e32 v44, v45, v43
	v_sub_f32_e32 v45, v44, v45
	v_ldexp_f32 v38, v38, 1
	v_sub_f32_e32 v43, v43, v45
	v_add_f32_e32 v38, v38, v43
	v_add_f32_e32 v43, v44, v38
	v_sub_f32_e32 v44, v43, v44
	v_sub_f32_e32 v38, v38, v44
	v_add_f32_e32 v44, v39, v43
	v_sub_f32_e32 v45, v44, v39
	v_sub_f32_e32 v46, v44, v45
	;; [unrolled: 1-line block ×5, first 2 shown]
	v_add_f32_e32 v39, v43, v39
	v_add_f32_e32 v43, v42, v38
	v_sub_f32_e32 v45, v43, v42
	v_sub_f32_e32 v46, v43, v45
	;; [unrolled: 1-line block ×4, first 2 shown]
	v_add_f32_e32 v39, v43, v39
	v_add_f32_e32 v38, v38, v42
	;; [unrolled: 1-line block ×3, first 2 shown]
	v_sub_f32_e32 v43, v42, v44
	v_sub_f32_e32 v39, v39, v43
	v_add_f32_e32 v38, v38, v39
	v_add_f32_e32 v38, v42, v38
	v_cmp_neq_f32_e64 s[30:31], s40, v41
	v_cndmask_b32_e64 v38, v40, v38, s[30:31]
	s_mov_b32 s30, 0x33800000
	v_cmp_lt_f32_e64 s[30:31], |v41|, s30
	v_cndmask_b32_e64 v38, v38, v41, s[30:31]
	v_add_f32_e32 v38, v36, v38
.LBB92_249:
	s_or_b64 exec, exec, s[34:35]
	v_mov_b32_e32 v36, v38
.LBB92_250:
	s_or_b64 exec, exec, s[36:37]
	s_nop 0
	v_mov_b32_dpp v38, v36 row_shr:4 row_mask:0xf bank_mask:0xf
	v_cmp_lt_u32_e64 s[30:31], 3, v37
	s_and_saveexec_b64 s[36:37], s[30:31]
	s_cbranch_execz .LBB92_254
; %bb.251:
	v_max_f32_e32 v40, v36, v36
	v_max_f32_e32 v41, v38, v38
	v_min_f32_e32 v39, v41, v40
	v_cmp_u_f32_e64 s[30:31], v38, v38
	v_max_f32_e32 v40, v41, v40
	v_cndmask_b32_e64 v39, v39, v38, s[30:31]
	v_cmp_u_f32_e64 s[34:35], v36, v36
	v_cndmask_b32_e64 v40, v40, v38, s[30:31]
	v_cndmask_b32_e64 v39, v39, v36, s[34:35]
	;; [unrolled: 1-line block ×3, first 2 shown]
	s_movk_i32 s34, 0x1f8
	v_cmp_neq_f32_e64 s[30:31], v39, v36
	v_cmp_class_f32_e64 s[34:35], v39, s34
	s_or_b64 s[30:31], s[30:31], s[34:35]
	s_and_saveexec_b64 s[34:35], s[30:31]
	s_cbranch_execz .LBB92_253
; %bb.252:
	v_sub_f32_e32 v38, v39, v36
	s_mov_b32 s30, 0x3fb8aa3b
	v_mul_f32_e32 v39, 0x3fb8aa3b, v38
	v_fma_f32 v40, v38, s30, -v39
	v_rndne_f32_e32 v41, v39
	v_fmac_f32_e32 v40, 0x32a5705f, v38
	v_sub_f32_e32 v39, v39, v41
	v_add_f32_e32 v39, v39, v40
	v_exp_f32_e32 v39, v39
	v_cvt_i32_f32_e32 v40, v41
	s_mov_b32 s30, 0xc2ce8ed0
	v_cmp_ngt_f32_e64 s[30:31], s30, v38
	s_mov_b32 s40, 0x7f800000
	v_ldexp_f32 v39, v39, v40
	v_cndmask_b32_e64 v39, 0, v39, s[30:31]
	s_mov_b32 s30, 0x42b17218
	v_mov_b32_e32 v40, 0x7f800000
	v_cmp_nlt_f32_e64 s[30:31], s30, v38
	v_cndmask_b32_e64 v41, v40, v39, s[30:31]
	v_add_f32_e32 v42, 1.0, v41
	v_cvt_f64_f32_e32 v[38:39], v42
	v_add_f32_e32 v43, -1.0, v42
	v_sub_f32_e32 v44, v43, v42
	v_sub_f32_e32 v43, v41, v43
	v_frexp_exp_i32_f64_e32 v38, v[38:39]
	v_add_f32_e32 v39, 1.0, v44
	v_add_f32_e32 v39, v43, v39
	v_frexp_mant_f32_e32 v43, v42
	s_mov_b32 s30, 0x3f2aaaab
	v_cmp_gt_f32_e64 s[30:31], s30, v43
	v_subbrev_co_u32_e64 v38, s[30:31], 0, v38, s[30:31]
	v_sub_u32_e32 v43, 0, v38
	v_ldexp_f32 v42, v42, v43
	v_ldexp_f32 v39, v39, v43
	v_add_f32_e32 v43, -1.0, v42
	v_add_f32_e32 v46, 1.0, v42
	v_add_f32_e32 v44, 1.0, v43
	v_add_f32_e32 v47, -1.0, v46
	v_sub_f32_e32 v44, v42, v44
	v_sub_f32_e32 v42, v42, v47
	v_add_f32_e32 v44, v39, v44
	v_add_f32_e32 v39, v39, v42
	;; [unrolled: 1-line block ×3, first 2 shown]
	v_rcp_f32_e32 v47, v42
	v_add_f32_e32 v45, v43, v44
	v_sub_f32_e32 v43, v43, v45
	v_add_f32_e32 v43, v44, v43
	v_sub_f32_e32 v44, v46, v42
	v_add_f32_e32 v39, v39, v44
	v_mul_f32_e32 v44, v45, v47
	v_mul_f32_e32 v46, v42, v44
	v_fma_f32 v48, v44, v42, -v46
	v_fmac_f32_e32 v48, v44, v39
	v_add_f32_e32 v49, v46, v48
	v_sub_f32_e32 v50, v45, v49
	v_sub_f32_e32 v45, v45, v50
	;; [unrolled: 1-line block ×4, first 2 shown]
	v_add_f32_e32 v43, v43, v45
	v_sub_f32_e32 v45, v46, v48
	v_add_f32_e32 v43, v45, v43
	v_add_f32_e32 v45, v50, v43
	v_mul_f32_e32 v46, v47, v45
	v_mul_f32_e32 v48, v42, v46
	v_fma_f32 v42, v46, v42, -v48
	v_fmac_f32_e32 v42, v46, v39
	v_sub_f32_e32 v39, v50, v45
	v_add_f32_e32 v39, v43, v39
	v_add_f32_e32 v43, v48, v42
	v_sub_f32_e32 v49, v45, v43
	v_sub_f32_e32 v45, v45, v49
	;; [unrolled: 1-line block ×4, first 2 shown]
	v_add_f32_e32 v39, v39, v43
	v_sub_f32_e32 v42, v48, v42
	v_add_f32_e32 v39, v42, v39
	v_add_f32_e32 v42, v44, v46
	;; [unrolled: 1-line block ×3, first 2 shown]
	v_sub_f32_e32 v43, v42, v44
	v_mul_f32_e32 v39, v47, v39
	v_sub_f32_e32 v43, v46, v43
	v_add_f32_e32 v39, v43, v39
	v_cvt_f32_i32_e32 v38, v38
	v_add_f32_e32 v43, v42, v39
	v_mul_f32_e32 v44, v43, v43
	v_mov_b32_e32 v45, 0x3ecc95a3
	v_fmac_f32_e32 v45, 0x3e9b6dac, v44
	v_mov_b32_e32 v46, 0x3f2aaada
	v_fmac_f32_e32 v46, v44, v45
	s_mov_b32 s30, 0x3f317218
	v_mul_f32_e32 v45, 0x3f317218, v38
	v_fma_f32 v47, v38, s30, -v45
	v_fmac_f32_e32 v47, 0xb102e308, v38
	v_sub_f32_e32 v38, v43, v42
	v_sub_f32_e32 v38, v39, v38
	v_add_f32_e32 v39, v45, v47
	v_sub_f32_e32 v42, v39, v45
	v_ldexp_f32 v45, v43, 1
	v_mul_f32_e32 v43, v43, v44
	v_mul_f32_e32 v43, v43, v46
	v_add_f32_e32 v44, v45, v43
	v_sub_f32_e32 v45, v44, v45
	v_ldexp_f32 v38, v38, 1
	v_sub_f32_e32 v43, v43, v45
	v_add_f32_e32 v38, v38, v43
	v_add_f32_e32 v43, v44, v38
	v_sub_f32_e32 v44, v43, v44
	v_sub_f32_e32 v38, v38, v44
	v_add_f32_e32 v44, v39, v43
	v_sub_f32_e32 v45, v44, v39
	v_sub_f32_e32 v46, v44, v45
	;; [unrolled: 1-line block ×5, first 2 shown]
	v_add_f32_e32 v39, v43, v39
	v_add_f32_e32 v43, v42, v38
	v_sub_f32_e32 v45, v43, v42
	v_sub_f32_e32 v46, v43, v45
	;; [unrolled: 1-line block ×4, first 2 shown]
	v_add_f32_e32 v39, v43, v39
	v_add_f32_e32 v38, v38, v42
	;; [unrolled: 1-line block ×3, first 2 shown]
	v_sub_f32_e32 v43, v42, v44
	v_sub_f32_e32 v39, v39, v43
	v_add_f32_e32 v38, v38, v39
	v_add_f32_e32 v38, v42, v38
	v_cmp_neq_f32_e64 s[30:31], s40, v41
	v_cndmask_b32_e64 v38, v40, v38, s[30:31]
	s_mov_b32 s30, 0x33800000
	v_cmp_lt_f32_e64 s[30:31], |v41|, s30
	v_cndmask_b32_e64 v38, v38, v41, s[30:31]
	v_add_f32_e32 v38, v36, v38
.LBB92_253:
	s_or_b64 exec, exec, s[34:35]
	v_mov_b32_e32 v36, v38
.LBB92_254:
	s_or_b64 exec, exec, s[36:37]
	s_nop 0
	v_mov_b32_dpp v38, v36 row_shr:8 row_mask:0xf bank_mask:0xf
	v_cmp_lt_u32_e64 s[30:31], 7, v37
	s_and_saveexec_b64 s[36:37], s[30:31]
	s_cbranch_execz .LBB92_258
; %bb.255:
	v_max_f32_e32 v39, v36, v36
	v_max_f32_e32 v40, v38, v38
	v_min_f32_e32 v37, v40, v39
	v_cmp_u_f32_e64 s[30:31], v38, v38
	v_max_f32_e32 v39, v40, v39
	v_cndmask_b32_e64 v37, v37, v38, s[30:31]
	v_cmp_u_f32_e64 s[34:35], v36, v36
	v_cndmask_b32_e64 v39, v39, v38, s[30:31]
	v_cndmask_b32_e64 v37, v37, v36, s[34:35]
	;; [unrolled: 1-line block ×3, first 2 shown]
	s_movk_i32 s34, 0x1f8
	v_cmp_neq_f32_e64 s[30:31], v37, v36
	v_cmp_class_f32_e64 s[34:35], v37, s34
	s_or_b64 s[30:31], s[30:31], s[34:35]
	s_and_saveexec_b64 s[34:35], s[30:31]
	s_cbranch_execz .LBB92_257
; %bb.256:
	v_sub_f32_e32 v37, v37, v36
	s_mov_b32 s30, 0x3fb8aa3b
	v_mul_f32_e32 v38, 0x3fb8aa3b, v37
	v_fma_f32 v39, v37, s30, -v38
	v_rndne_f32_e32 v40, v38
	v_fmac_f32_e32 v39, 0x32a5705f, v37
	v_sub_f32_e32 v38, v38, v40
	v_add_f32_e32 v38, v38, v39
	v_exp_f32_e32 v38, v38
	v_cvt_i32_f32_e32 v39, v40
	s_mov_b32 s30, 0xc2ce8ed0
	v_cmp_ngt_f32_e64 s[30:31], s30, v37
	s_mov_b32 s40, 0x7f800000
	v_ldexp_f32 v38, v38, v39
	v_cndmask_b32_e64 v38, 0, v38, s[30:31]
	s_mov_b32 s30, 0x42b17218
	v_mov_b32_e32 v39, 0x7f800000
	v_cmp_nlt_f32_e64 s[30:31], s30, v37
	v_cndmask_b32_e64 v40, v39, v38, s[30:31]
	v_add_f32_e32 v41, 1.0, v40
	v_cvt_f64_f32_e32 v[37:38], v41
	v_add_f32_e32 v42, -1.0, v41
	v_sub_f32_e32 v43, v42, v41
	v_sub_f32_e32 v42, v40, v42
	v_frexp_exp_i32_f64_e32 v37, v[37:38]
	v_add_f32_e32 v38, 1.0, v43
	v_add_f32_e32 v38, v42, v38
	v_frexp_mant_f32_e32 v42, v41
	s_mov_b32 s30, 0x3f2aaaab
	v_cmp_gt_f32_e64 s[30:31], s30, v42
	v_subbrev_co_u32_e64 v37, s[30:31], 0, v37, s[30:31]
	v_sub_u32_e32 v42, 0, v37
	v_ldexp_f32 v41, v41, v42
	v_ldexp_f32 v38, v38, v42
	v_add_f32_e32 v42, -1.0, v41
	v_add_f32_e32 v45, 1.0, v41
	v_add_f32_e32 v43, 1.0, v42
	v_add_f32_e32 v46, -1.0, v45
	v_sub_f32_e32 v43, v41, v43
	v_sub_f32_e32 v41, v41, v46
	v_add_f32_e32 v43, v38, v43
	v_add_f32_e32 v38, v38, v41
	;; [unrolled: 1-line block ×3, first 2 shown]
	v_rcp_f32_e32 v46, v41
	v_add_f32_e32 v44, v42, v43
	v_sub_f32_e32 v42, v42, v44
	v_add_f32_e32 v42, v43, v42
	v_sub_f32_e32 v43, v45, v41
	v_add_f32_e32 v38, v38, v43
	v_mul_f32_e32 v43, v44, v46
	v_mul_f32_e32 v45, v41, v43
	v_fma_f32 v47, v43, v41, -v45
	v_fmac_f32_e32 v47, v43, v38
	v_add_f32_e32 v48, v45, v47
	v_sub_f32_e32 v49, v44, v48
	v_sub_f32_e32 v44, v44, v49
	v_sub_f32_e32 v45, v48, v45
	v_sub_f32_e32 v44, v44, v48
	v_add_f32_e32 v42, v42, v44
	v_sub_f32_e32 v44, v45, v47
	v_add_f32_e32 v42, v44, v42
	v_add_f32_e32 v44, v49, v42
	v_mul_f32_e32 v45, v46, v44
	v_mul_f32_e32 v47, v41, v45
	v_fma_f32 v41, v45, v41, -v47
	v_fmac_f32_e32 v41, v45, v38
	v_sub_f32_e32 v38, v49, v44
	v_add_f32_e32 v38, v42, v38
	v_add_f32_e32 v42, v47, v41
	v_sub_f32_e32 v48, v44, v42
	v_sub_f32_e32 v44, v44, v48
	;; [unrolled: 1-line block ×4, first 2 shown]
	v_add_f32_e32 v38, v38, v42
	v_sub_f32_e32 v41, v47, v41
	v_add_f32_e32 v38, v41, v38
	v_add_f32_e32 v41, v43, v45
	;; [unrolled: 1-line block ×3, first 2 shown]
	v_sub_f32_e32 v42, v41, v43
	v_mul_f32_e32 v38, v46, v38
	v_sub_f32_e32 v42, v45, v42
	v_add_f32_e32 v38, v42, v38
	v_cvt_f32_i32_e32 v37, v37
	v_add_f32_e32 v42, v41, v38
	v_mul_f32_e32 v43, v42, v42
	v_mov_b32_e32 v44, 0x3ecc95a3
	v_fmac_f32_e32 v44, 0x3e9b6dac, v43
	v_mov_b32_e32 v45, 0x3f2aaada
	v_fmac_f32_e32 v45, v43, v44
	s_mov_b32 s30, 0x3f317218
	v_mul_f32_e32 v44, 0x3f317218, v37
	v_fma_f32 v46, v37, s30, -v44
	v_fmac_f32_e32 v46, 0xb102e308, v37
	v_sub_f32_e32 v37, v42, v41
	v_sub_f32_e32 v37, v38, v37
	v_add_f32_e32 v38, v44, v46
	v_sub_f32_e32 v41, v38, v44
	v_ldexp_f32 v44, v42, 1
	v_mul_f32_e32 v42, v42, v43
	v_mul_f32_e32 v42, v42, v45
	v_add_f32_e32 v43, v44, v42
	v_sub_f32_e32 v44, v43, v44
	v_ldexp_f32 v37, v37, 1
	v_sub_f32_e32 v42, v42, v44
	v_add_f32_e32 v37, v37, v42
	v_add_f32_e32 v42, v43, v37
	v_sub_f32_e32 v43, v42, v43
	v_sub_f32_e32 v37, v37, v43
	v_add_f32_e32 v43, v38, v42
	v_sub_f32_e32 v44, v43, v38
	v_sub_f32_e32 v45, v43, v44
	;; [unrolled: 1-line block ×5, first 2 shown]
	v_add_f32_e32 v38, v42, v38
	v_add_f32_e32 v42, v41, v37
	v_sub_f32_e32 v44, v42, v41
	v_sub_f32_e32 v45, v42, v44
	;; [unrolled: 1-line block ×4, first 2 shown]
	v_add_f32_e32 v38, v42, v38
	v_add_f32_e32 v37, v37, v41
	;; [unrolled: 1-line block ×3, first 2 shown]
	v_sub_f32_e32 v42, v41, v43
	v_sub_f32_e32 v38, v38, v42
	v_add_f32_e32 v37, v37, v38
	v_add_f32_e32 v37, v41, v37
	v_cmp_neq_f32_e64 s[30:31], s40, v40
	v_cndmask_b32_e64 v37, v39, v37, s[30:31]
	s_mov_b32 s30, 0x33800000
	v_cmp_lt_f32_e64 s[30:31], |v40|, s30
	v_cndmask_b32_e64 v37, v37, v40, s[30:31]
	v_add_f32_e32 v38, v36, v37
.LBB92_257:
	s_or_b64 exec, exec, s[34:35]
	v_mov_b32_e32 v36, v38
.LBB92_258:
	s_or_b64 exec, exec, s[36:37]
	v_and_b32_e32 v38, 16, v35
	v_mov_b32_dpp v37, v36 row_bcast:15 row_mask:0xf bank_mask:0xf
	v_cmp_ne_u32_e64 s[30:31], 0, v38
	s_and_saveexec_b64 s[36:37], s[30:31]
	s_cbranch_execz .LBB92_262
; %bb.259:
	v_max_f32_e32 v39, v36, v36
	v_max_f32_e32 v40, v37, v37
	v_min_f32_e32 v38, v40, v39
	v_cmp_u_f32_e64 s[30:31], v37, v37
	v_max_f32_e32 v39, v40, v39
	v_cndmask_b32_e64 v38, v38, v37, s[30:31]
	v_cmp_u_f32_e64 s[34:35], v36, v36
	v_cndmask_b32_e64 v39, v39, v37, s[30:31]
	v_cndmask_b32_e64 v38, v38, v36, s[34:35]
	;; [unrolled: 1-line block ×3, first 2 shown]
	s_movk_i32 s34, 0x1f8
	v_cmp_neq_f32_e64 s[30:31], v38, v36
	v_cmp_class_f32_e64 s[34:35], v38, s34
	s_or_b64 s[30:31], s[30:31], s[34:35]
	s_and_saveexec_b64 s[34:35], s[30:31]
	s_cbranch_execz .LBB92_261
; %bb.260:
	v_sub_f32_e32 v37, v38, v36
	s_mov_b32 s30, 0x3fb8aa3b
	v_mul_f32_e32 v38, 0x3fb8aa3b, v37
	v_fma_f32 v39, v37, s30, -v38
	v_rndne_f32_e32 v40, v38
	v_fmac_f32_e32 v39, 0x32a5705f, v37
	v_sub_f32_e32 v38, v38, v40
	v_add_f32_e32 v38, v38, v39
	v_exp_f32_e32 v38, v38
	v_cvt_i32_f32_e32 v39, v40
	s_mov_b32 s30, 0xc2ce8ed0
	v_cmp_ngt_f32_e64 s[30:31], s30, v37
	s_mov_b32 s40, 0x7f800000
	v_ldexp_f32 v38, v38, v39
	v_cndmask_b32_e64 v38, 0, v38, s[30:31]
	s_mov_b32 s30, 0x42b17218
	v_mov_b32_e32 v39, 0x7f800000
	v_cmp_nlt_f32_e64 s[30:31], s30, v37
	v_cndmask_b32_e64 v40, v39, v38, s[30:31]
	v_add_f32_e32 v41, 1.0, v40
	v_cvt_f64_f32_e32 v[37:38], v41
	v_add_f32_e32 v42, -1.0, v41
	v_sub_f32_e32 v43, v42, v41
	v_sub_f32_e32 v42, v40, v42
	v_frexp_exp_i32_f64_e32 v37, v[37:38]
	v_add_f32_e32 v38, 1.0, v43
	v_add_f32_e32 v38, v42, v38
	v_frexp_mant_f32_e32 v42, v41
	s_mov_b32 s30, 0x3f2aaaab
	v_cmp_gt_f32_e64 s[30:31], s30, v42
	v_subbrev_co_u32_e64 v37, s[30:31], 0, v37, s[30:31]
	v_sub_u32_e32 v42, 0, v37
	v_ldexp_f32 v41, v41, v42
	v_ldexp_f32 v38, v38, v42
	v_add_f32_e32 v42, -1.0, v41
	v_add_f32_e32 v45, 1.0, v41
	v_add_f32_e32 v43, 1.0, v42
	v_add_f32_e32 v46, -1.0, v45
	v_sub_f32_e32 v43, v41, v43
	v_sub_f32_e32 v41, v41, v46
	v_add_f32_e32 v43, v38, v43
	v_add_f32_e32 v38, v38, v41
	;; [unrolled: 1-line block ×3, first 2 shown]
	v_rcp_f32_e32 v46, v41
	v_add_f32_e32 v44, v42, v43
	v_sub_f32_e32 v42, v42, v44
	v_add_f32_e32 v42, v43, v42
	v_sub_f32_e32 v43, v45, v41
	v_add_f32_e32 v38, v38, v43
	v_mul_f32_e32 v43, v44, v46
	v_mul_f32_e32 v45, v41, v43
	v_fma_f32 v47, v43, v41, -v45
	v_fmac_f32_e32 v47, v43, v38
	v_add_f32_e32 v48, v45, v47
	v_sub_f32_e32 v49, v44, v48
	v_sub_f32_e32 v44, v44, v49
	;; [unrolled: 1-line block ×4, first 2 shown]
	v_add_f32_e32 v42, v42, v44
	v_sub_f32_e32 v44, v45, v47
	v_add_f32_e32 v42, v44, v42
	v_add_f32_e32 v44, v49, v42
	v_mul_f32_e32 v45, v46, v44
	v_mul_f32_e32 v47, v41, v45
	v_fma_f32 v41, v45, v41, -v47
	v_fmac_f32_e32 v41, v45, v38
	v_sub_f32_e32 v38, v49, v44
	v_add_f32_e32 v38, v42, v38
	v_add_f32_e32 v42, v47, v41
	v_sub_f32_e32 v48, v44, v42
	v_sub_f32_e32 v44, v44, v48
	;; [unrolled: 1-line block ×4, first 2 shown]
	v_add_f32_e32 v38, v38, v42
	v_sub_f32_e32 v41, v47, v41
	v_add_f32_e32 v38, v41, v38
	v_add_f32_e32 v41, v43, v45
	;; [unrolled: 1-line block ×3, first 2 shown]
	v_sub_f32_e32 v42, v41, v43
	v_mul_f32_e32 v38, v46, v38
	v_sub_f32_e32 v42, v45, v42
	v_add_f32_e32 v38, v42, v38
	v_cvt_f32_i32_e32 v37, v37
	v_add_f32_e32 v42, v41, v38
	v_mul_f32_e32 v43, v42, v42
	v_mov_b32_e32 v44, 0x3ecc95a3
	v_fmac_f32_e32 v44, 0x3e9b6dac, v43
	v_mov_b32_e32 v45, 0x3f2aaada
	v_fmac_f32_e32 v45, v43, v44
	s_mov_b32 s30, 0x3f317218
	v_mul_f32_e32 v44, 0x3f317218, v37
	v_fma_f32 v46, v37, s30, -v44
	v_fmac_f32_e32 v46, 0xb102e308, v37
	v_sub_f32_e32 v37, v42, v41
	v_sub_f32_e32 v37, v38, v37
	v_add_f32_e32 v38, v44, v46
	v_sub_f32_e32 v41, v38, v44
	v_ldexp_f32 v44, v42, 1
	v_mul_f32_e32 v42, v42, v43
	v_mul_f32_e32 v42, v42, v45
	v_add_f32_e32 v43, v44, v42
	v_sub_f32_e32 v44, v43, v44
	v_ldexp_f32 v37, v37, 1
	v_sub_f32_e32 v42, v42, v44
	v_add_f32_e32 v37, v37, v42
	v_add_f32_e32 v42, v43, v37
	v_sub_f32_e32 v43, v42, v43
	v_sub_f32_e32 v37, v37, v43
	v_add_f32_e32 v43, v38, v42
	v_sub_f32_e32 v44, v43, v38
	v_sub_f32_e32 v45, v43, v44
	;; [unrolled: 1-line block ×5, first 2 shown]
	v_add_f32_e32 v38, v42, v38
	v_add_f32_e32 v42, v41, v37
	v_sub_f32_e32 v44, v42, v41
	v_sub_f32_e32 v45, v42, v44
	;; [unrolled: 1-line block ×4, first 2 shown]
	v_add_f32_e32 v38, v42, v38
	v_add_f32_e32 v37, v37, v41
	v_add_f32_e32 v41, v43, v38
	v_sub_f32_e32 v42, v41, v43
	v_sub_f32_e32 v38, v38, v42
	v_add_f32_e32 v37, v37, v38
	v_add_f32_e32 v37, v41, v37
	v_cmp_neq_f32_e64 s[30:31], s40, v40
	v_cndmask_b32_e64 v37, v39, v37, s[30:31]
	s_mov_b32 s30, 0x33800000
	v_cmp_lt_f32_e64 s[30:31], |v40|, s30
	v_cndmask_b32_e64 v37, v37, v40, s[30:31]
	v_add_f32_e32 v37, v36, v37
.LBB92_261:
	s_or_b64 exec, exec, s[34:35]
	v_mov_b32_e32 v36, v37
.LBB92_262:
	s_or_b64 exec, exec, s[36:37]
	s_nop 0
	v_mov_b32_dpp v37, v36 row_bcast:31 row_mask:0xf bank_mask:0xf
	v_cmp_lt_u32_e64 s[30:31], 31, v35
	s_and_saveexec_b64 s[36:37], s[30:31]
	s_cbranch_execz .LBB92_266
; %bb.263:
	v_max_f32_e32 v39, v36, v36
	v_max_f32_e32 v40, v37, v37
	v_min_f32_e32 v38, v40, v39
	v_cmp_u_f32_e64 s[30:31], v37, v37
	v_max_f32_e32 v39, v40, v39
	v_cndmask_b32_e64 v38, v38, v37, s[30:31]
	v_cmp_u_f32_e64 s[34:35], v36, v36
	v_cndmask_b32_e64 v39, v39, v37, s[30:31]
	v_cndmask_b32_e64 v38, v38, v36, s[34:35]
	;; [unrolled: 1-line block ×3, first 2 shown]
	s_movk_i32 s34, 0x1f8
	v_cmp_neq_f32_e64 s[30:31], v38, v36
	v_cmp_class_f32_e64 s[34:35], v38, s34
	s_or_b64 s[30:31], s[30:31], s[34:35]
	s_and_saveexec_b64 s[34:35], s[30:31]
	s_cbranch_execz .LBB92_265
; %bb.264:
	v_sub_f32_e32 v37, v38, v36
	s_mov_b32 s30, 0x3fb8aa3b
	v_mul_f32_e32 v38, 0x3fb8aa3b, v37
	v_fma_f32 v39, v37, s30, -v38
	v_rndne_f32_e32 v40, v38
	v_fmac_f32_e32 v39, 0x32a5705f, v37
	v_sub_f32_e32 v38, v38, v40
	v_add_f32_e32 v38, v38, v39
	v_exp_f32_e32 v38, v38
	v_cvt_i32_f32_e32 v39, v40
	s_mov_b32 s30, 0xc2ce8ed0
	v_cmp_ngt_f32_e64 s[30:31], s30, v37
	s_mov_b32 s40, 0x7f800000
	v_ldexp_f32 v38, v38, v39
	v_cndmask_b32_e64 v38, 0, v38, s[30:31]
	s_mov_b32 s30, 0x42b17218
	v_mov_b32_e32 v39, 0x7f800000
	v_cmp_nlt_f32_e64 s[30:31], s30, v37
	v_cndmask_b32_e64 v40, v39, v38, s[30:31]
	v_add_f32_e32 v41, 1.0, v40
	v_cvt_f64_f32_e32 v[37:38], v41
	v_add_f32_e32 v42, -1.0, v41
	v_sub_f32_e32 v43, v42, v41
	v_sub_f32_e32 v42, v40, v42
	v_frexp_exp_i32_f64_e32 v37, v[37:38]
	v_add_f32_e32 v38, 1.0, v43
	v_add_f32_e32 v38, v42, v38
	v_frexp_mant_f32_e32 v42, v41
	s_mov_b32 s30, 0x3f2aaaab
	v_cmp_gt_f32_e64 s[30:31], s30, v42
	v_subbrev_co_u32_e64 v37, s[30:31], 0, v37, s[30:31]
	v_sub_u32_e32 v42, 0, v37
	v_ldexp_f32 v41, v41, v42
	v_ldexp_f32 v38, v38, v42
	v_add_f32_e32 v42, -1.0, v41
	v_add_f32_e32 v45, 1.0, v41
	v_add_f32_e32 v43, 1.0, v42
	v_add_f32_e32 v46, -1.0, v45
	v_sub_f32_e32 v43, v41, v43
	v_sub_f32_e32 v41, v41, v46
	v_add_f32_e32 v43, v38, v43
	v_add_f32_e32 v38, v38, v41
	v_add_f32_e32 v41, v45, v38
	v_rcp_f32_e32 v46, v41
	v_add_f32_e32 v44, v42, v43
	v_sub_f32_e32 v42, v42, v44
	v_add_f32_e32 v42, v43, v42
	v_sub_f32_e32 v43, v45, v41
	v_add_f32_e32 v38, v38, v43
	v_mul_f32_e32 v43, v44, v46
	v_mul_f32_e32 v45, v41, v43
	v_fma_f32 v47, v43, v41, -v45
	v_fmac_f32_e32 v47, v43, v38
	v_add_f32_e32 v48, v45, v47
	v_sub_f32_e32 v49, v44, v48
	v_sub_f32_e32 v44, v44, v49
	;; [unrolled: 1-line block ×4, first 2 shown]
	v_add_f32_e32 v42, v42, v44
	v_sub_f32_e32 v44, v45, v47
	v_add_f32_e32 v42, v44, v42
	v_add_f32_e32 v44, v49, v42
	v_mul_f32_e32 v45, v46, v44
	v_mul_f32_e32 v47, v41, v45
	v_fma_f32 v41, v45, v41, -v47
	v_fmac_f32_e32 v41, v45, v38
	v_sub_f32_e32 v38, v49, v44
	v_add_f32_e32 v38, v42, v38
	v_add_f32_e32 v42, v47, v41
	v_sub_f32_e32 v48, v44, v42
	v_sub_f32_e32 v44, v44, v48
	;; [unrolled: 1-line block ×4, first 2 shown]
	v_add_f32_e32 v38, v38, v42
	v_sub_f32_e32 v41, v47, v41
	v_add_f32_e32 v38, v41, v38
	v_add_f32_e32 v41, v43, v45
	;; [unrolled: 1-line block ×3, first 2 shown]
	v_sub_f32_e32 v42, v41, v43
	v_mul_f32_e32 v38, v46, v38
	v_sub_f32_e32 v42, v45, v42
	v_add_f32_e32 v38, v42, v38
	v_cvt_f32_i32_e32 v37, v37
	v_add_f32_e32 v42, v41, v38
	v_mul_f32_e32 v43, v42, v42
	v_mov_b32_e32 v44, 0x3ecc95a3
	v_fmac_f32_e32 v44, 0x3e9b6dac, v43
	v_mov_b32_e32 v45, 0x3f2aaada
	v_fmac_f32_e32 v45, v43, v44
	s_mov_b32 s30, 0x3f317218
	v_mul_f32_e32 v44, 0x3f317218, v37
	v_fma_f32 v46, v37, s30, -v44
	v_fmac_f32_e32 v46, 0xb102e308, v37
	v_sub_f32_e32 v37, v42, v41
	v_sub_f32_e32 v37, v38, v37
	v_add_f32_e32 v38, v44, v46
	v_sub_f32_e32 v41, v38, v44
	v_ldexp_f32 v44, v42, 1
	v_mul_f32_e32 v42, v42, v43
	v_mul_f32_e32 v42, v42, v45
	v_add_f32_e32 v43, v44, v42
	v_sub_f32_e32 v44, v43, v44
	v_ldexp_f32 v37, v37, 1
	v_sub_f32_e32 v42, v42, v44
	v_add_f32_e32 v37, v37, v42
	v_add_f32_e32 v42, v43, v37
	v_sub_f32_e32 v43, v42, v43
	v_sub_f32_e32 v37, v37, v43
	v_add_f32_e32 v43, v38, v42
	v_sub_f32_e32 v44, v43, v38
	v_sub_f32_e32 v45, v43, v44
	;; [unrolled: 1-line block ×5, first 2 shown]
	v_add_f32_e32 v38, v42, v38
	v_add_f32_e32 v42, v41, v37
	v_sub_f32_e32 v44, v42, v41
	v_sub_f32_e32 v45, v42, v44
	;; [unrolled: 1-line block ×4, first 2 shown]
	v_add_f32_e32 v38, v42, v38
	v_add_f32_e32 v37, v37, v41
	;; [unrolled: 1-line block ×3, first 2 shown]
	v_sub_f32_e32 v42, v41, v43
	v_sub_f32_e32 v38, v38, v42
	v_add_f32_e32 v37, v37, v38
	v_add_f32_e32 v37, v41, v37
	v_cmp_neq_f32_e64 s[30:31], s40, v40
	v_cndmask_b32_e64 v37, v39, v37, s[30:31]
	s_mov_b32 s30, 0x33800000
	v_cmp_lt_f32_e64 s[30:31], |v40|, s30
	v_cndmask_b32_e64 v37, v37, v40, s[30:31]
	v_add_f32_e32 v37, v36, v37
.LBB92_265:
	s_or_b64 exec, exec, s[34:35]
	v_mov_b32_e32 v36, v37
.LBB92_266:
	s_or_b64 exec, exec, s[36:37]
	v_or_b32_e32 v38, 63, v0
	v_lshrrev_b32_e32 v37, 6, v0
	v_cmp_eq_u32_e64 s[30:31], v0, v38
	s_and_saveexec_b64 s[34:35], s[30:31]
; %bb.267:
	v_lshlrev_b32_e32 v38, 2, v37
	ds_write_b32 v38, v36
; %bb.268:
	s_or_b64 exec, exec, s[34:35]
	v_cmp_gt_u32_e64 s[30:31], 4, v0
	s_waitcnt lgkmcnt(0)
	s_barrier
	s_and_saveexec_b64 s[36:37], s[30:31]
	s_cbranch_execz .LBB92_278
; %bb.269:
	ds_read_b32 v39, v31
	v_and_b32_e32 v38, 3, v35
	v_cmp_ne_u32_e64 s[30:31], 0, v38
	s_waitcnt lgkmcnt(0)
	v_mov_b32_dpp v40, v39 row_shr:1 row_mask:0xf bank_mask:0xf
	s_and_saveexec_b64 s[40:41], s[30:31]
	s_cbranch_execz .LBB92_273
; %bb.270:
	v_max_f32_e32 v42, v39, v39
	v_max_f32_e32 v43, v40, v40
	v_min_f32_e32 v41, v43, v42
	v_cmp_u_f32_e64 s[30:31], v40, v40
	v_max_f32_e32 v42, v43, v42
	v_cndmask_b32_e64 v41, v41, v40, s[30:31]
	v_cmp_u_f32_e64 s[34:35], v39, v39
	v_cndmask_b32_e64 v42, v42, v40, s[30:31]
	v_cndmask_b32_e64 v41, v41, v39, s[34:35]
	;; [unrolled: 1-line block ×3, first 2 shown]
	s_movk_i32 s34, 0x1f8
	v_cmp_neq_f32_e64 s[30:31], v41, v39
	v_cmp_class_f32_e64 s[34:35], v41, s34
	s_or_b64 s[30:31], s[30:31], s[34:35]
	s_and_saveexec_b64 s[34:35], s[30:31]
	s_cbranch_execz .LBB92_272
; %bb.271:
	v_sub_f32_e32 v40, v41, v39
	s_mov_b32 s30, 0x3fb8aa3b
	v_mul_f32_e32 v41, 0x3fb8aa3b, v40
	v_fma_f32 v42, v40, s30, -v41
	v_rndne_f32_e32 v43, v41
	v_fmac_f32_e32 v42, 0x32a5705f, v40
	v_sub_f32_e32 v41, v41, v43
	v_add_f32_e32 v41, v41, v42
	v_exp_f32_e32 v41, v41
	v_cvt_i32_f32_e32 v42, v43
	s_mov_b32 s30, 0xc2ce8ed0
	v_cmp_ngt_f32_e64 s[30:31], s30, v40
	s_mov_b32 s44, 0x7f800000
	v_ldexp_f32 v41, v41, v42
	v_cndmask_b32_e64 v41, 0, v41, s[30:31]
	s_mov_b32 s30, 0x42b17218
	v_mov_b32_e32 v42, 0x7f800000
	v_cmp_nlt_f32_e64 s[30:31], s30, v40
	v_cndmask_b32_e64 v43, v42, v41, s[30:31]
	v_add_f32_e32 v44, 1.0, v43
	v_cvt_f64_f32_e32 v[40:41], v44
	v_add_f32_e32 v45, -1.0, v44
	v_sub_f32_e32 v46, v45, v44
	v_sub_f32_e32 v45, v43, v45
	v_frexp_exp_i32_f64_e32 v40, v[40:41]
	v_add_f32_e32 v41, 1.0, v46
	v_add_f32_e32 v41, v45, v41
	v_frexp_mant_f32_e32 v45, v44
	s_mov_b32 s30, 0x3f2aaaab
	v_cmp_gt_f32_e64 s[30:31], s30, v45
	v_subbrev_co_u32_e64 v40, s[30:31], 0, v40, s[30:31]
	v_sub_u32_e32 v45, 0, v40
	v_ldexp_f32 v44, v44, v45
	v_ldexp_f32 v41, v41, v45
	v_add_f32_e32 v45, -1.0, v44
	v_add_f32_e32 v48, 1.0, v44
	v_add_f32_e32 v46, 1.0, v45
	v_add_f32_e32 v49, -1.0, v48
	v_sub_f32_e32 v46, v44, v46
	v_sub_f32_e32 v44, v44, v49
	v_add_f32_e32 v46, v41, v46
	v_add_f32_e32 v41, v41, v44
	;; [unrolled: 1-line block ×3, first 2 shown]
	v_rcp_f32_e32 v49, v44
	v_add_f32_e32 v47, v45, v46
	v_sub_f32_e32 v45, v45, v47
	v_add_f32_e32 v45, v46, v45
	v_sub_f32_e32 v46, v48, v44
	v_add_f32_e32 v41, v41, v46
	v_mul_f32_e32 v46, v47, v49
	v_mul_f32_e32 v48, v44, v46
	v_fma_f32 v50, v46, v44, -v48
	v_fmac_f32_e32 v50, v46, v41
	v_add_f32_e32 v51, v48, v50
	v_sub_f32_e32 v52, v47, v51
	v_sub_f32_e32 v47, v47, v52
	;; [unrolled: 1-line block ×4, first 2 shown]
	v_add_f32_e32 v45, v45, v47
	v_sub_f32_e32 v47, v48, v50
	v_add_f32_e32 v45, v47, v45
	v_add_f32_e32 v47, v52, v45
	v_mul_f32_e32 v48, v49, v47
	v_mul_f32_e32 v50, v44, v48
	v_fma_f32 v44, v48, v44, -v50
	v_fmac_f32_e32 v44, v48, v41
	v_sub_f32_e32 v41, v52, v47
	v_add_f32_e32 v41, v45, v41
	v_add_f32_e32 v45, v50, v44
	v_sub_f32_e32 v51, v47, v45
	v_sub_f32_e32 v47, v47, v51
	;; [unrolled: 1-line block ×4, first 2 shown]
	v_add_f32_e32 v41, v41, v45
	v_sub_f32_e32 v44, v50, v44
	v_add_f32_e32 v41, v44, v41
	v_add_f32_e32 v44, v46, v48
	;; [unrolled: 1-line block ×3, first 2 shown]
	v_sub_f32_e32 v45, v44, v46
	v_mul_f32_e32 v41, v49, v41
	v_sub_f32_e32 v45, v48, v45
	v_add_f32_e32 v41, v45, v41
	v_cvt_f32_i32_e32 v40, v40
	v_add_f32_e32 v45, v44, v41
	v_mul_f32_e32 v46, v45, v45
	v_mov_b32_e32 v47, 0x3ecc95a3
	v_fmac_f32_e32 v47, 0x3e9b6dac, v46
	v_mov_b32_e32 v48, 0x3f2aaada
	v_fmac_f32_e32 v48, v46, v47
	s_mov_b32 s30, 0x3f317218
	v_mul_f32_e32 v47, 0x3f317218, v40
	v_fma_f32 v49, v40, s30, -v47
	v_fmac_f32_e32 v49, 0xb102e308, v40
	v_sub_f32_e32 v40, v45, v44
	v_sub_f32_e32 v40, v41, v40
	v_add_f32_e32 v41, v47, v49
	v_sub_f32_e32 v44, v41, v47
	v_ldexp_f32 v47, v45, 1
	v_mul_f32_e32 v45, v45, v46
	v_mul_f32_e32 v45, v45, v48
	v_add_f32_e32 v46, v47, v45
	v_sub_f32_e32 v47, v46, v47
	v_ldexp_f32 v40, v40, 1
	v_sub_f32_e32 v45, v45, v47
	v_add_f32_e32 v40, v40, v45
	v_add_f32_e32 v45, v46, v40
	v_sub_f32_e32 v46, v45, v46
	v_sub_f32_e32 v40, v40, v46
	v_add_f32_e32 v46, v41, v45
	v_sub_f32_e32 v47, v46, v41
	v_sub_f32_e32 v48, v46, v47
	;; [unrolled: 1-line block ×5, first 2 shown]
	v_add_f32_e32 v41, v45, v41
	v_add_f32_e32 v45, v44, v40
	v_sub_f32_e32 v47, v45, v44
	v_sub_f32_e32 v48, v45, v47
	;; [unrolled: 1-line block ×4, first 2 shown]
	v_add_f32_e32 v41, v45, v41
	v_add_f32_e32 v40, v40, v44
	;; [unrolled: 1-line block ×3, first 2 shown]
	v_sub_f32_e32 v45, v44, v46
	v_sub_f32_e32 v41, v41, v45
	v_add_f32_e32 v40, v40, v41
	v_add_f32_e32 v40, v44, v40
	v_cmp_neq_f32_e64 s[30:31], s44, v43
	v_cndmask_b32_e64 v40, v42, v40, s[30:31]
	s_mov_b32 s30, 0x33800000
	v_cmp_lt_f32_e64 s[30:31], |v43|, s30
	v_cndmask_b32_e64 v40, v40, v43, s[30:31]
	v_add_f32_e32 v40, v39, v40
.LBB92_272:
	s_or_b64 exec, exec, s[34:35]
	v_mov_b32_e32 v39, v40
.LBB92_273:
	s_or_b64 exec, exec, s[40:41]
	s_nop 0
	v_mov_b32_dpp v40, v39 row_shr:2 row_mask:0xf bank_mask:0xf
	v_cmp_lt_u32_e64 s[30:31], 1, v38
	s_and_saveexec_b64 s[40:41], s[30:31]
	s_cbranch_execz .LBB92_277
; %bb.274:
	v_max_f32_e32 v38, v39, v39
	v_max_f32_e32 v42, v40, v40
	v_min_f32_e32 v41, v42, v38
	v_cmp_u_f32_e64 s[30:31], v40, v40
	v_max_f32_e32 v38, v42, v38
	v_cndmask_b32_e64 v41, v41, v40, s[30:31]
	v_cmp_u_f32_e64 s[34:35], v39, v39
	v_cndmask_b32_e64 v38, v38, v40, s[30:31]
	v_cndmask_b32_e64 v41, v41, v39, s[34:35]
	;; [unrolled: 1-line block ×3, first 2 shown]
	s_movk_i32 s34, 0x1f8
	v_cmp_neq_f32_e64 s[30:31], v41, v38
	v_cmp_class_f32_e64 s[34:35], v41, s34
	s_or_b64 s[30:31], s[30:31], s[34:35]
	s_and_saveexec_b64 s[34:35], s[30:31]
	s_cbranch_execz .LBB92_276
; %bb.275:
	v_sub_f32_e32 v39, v41, v38
	s_mov_b32 s30, 0x3fb8aa3b
	v_mul_f32_e32 v40, 0x3fb8aa3b, v39
	v_fma_f32 v41, v39, s30, -v40
	v_rndne_f32_e32 v42, v40
	v_fmac_f32_e32 v41, 0x32a5705f, v39
	v_sub_f32_e32 v40, v40, v42
	v_add_f32_e32 v40, v40, v41
	v_exp_f32_e32 v40, v40
	v_cvt_i32_f32_e32 v41, v42
	s_mov_b32 s30, 0xc2ce8ed0
	v_cmp_ngt_f32_e64 s[30:31], s30, v39
	s_mov_b32 s44, 0x7f800000
	v_ldexp_f32 v40, v40, v41
	v_cndmask_b32_e64 v40, 0, v40, s[30:31]
	s_mov_b32 s30, 0x42b17218
	v_mov_b32_e32 v41, 0x7f800000
	v_cmp_nlt_f32_e64 s[30:31], s30, v39
	v_cndmask_b32_e64 v42, v41, v40, s[30:31]
	v_add_f32_e32 v43, 1.0, v42
	v_cvt_f64_f32_e32 v[39:40], v43
	v_add_f32_e32 v44, -1.0, v43
	v_sub_f32_e32 v45, v44, v43
	v_sub_f32_e32 v44, v42, v44
	v_frexp_exp_i32_f64_e32 v39, v[39:40]
	v_add_f32_e32 v40, 1.0, v45
	v_add_f32_e32 v40, v44, v40
	v_frexp_mant_f32_e32 v44, v43
	s_mov_b32 s30, 0x3f2aaaab
	v_cmp_gt_f32_e64 s[30:31], s30, v44
	v_subbrev_co_u32_e64 v39, s[30:31], 0, v39, s[30:31]
	v_sub_u32_e32 v44, 0, v39
	v_ldexp_f32 v43, v43, v44
	v_ldexp_f32 v40, v40, v44
	v_add_f32_e32 v44, -1.0, v43
	v_add_f32_e32 v47, 1.0, v43
	v_add_f32_e32 v45, 1.0, v44
	v_add_f32_e32 v48, -1.0, v47
	v_sub_f32_e32 v45, v43, v45
	v_sub_f32_e32 v43, v43, v48
	v_add_f32_e32 v45, v40, v45
	v_add_f32_e32 v40, v40, v43
	v_add_f32_e32 v43, v47, v40
	v_rcp_f32_e32 v48, v43
	v_add_f32_e32 v46, v44, v45
	v_sub_f32_e32 v44, v44, v46
	v_add_f32_e32 v44, v45, v44
	v_sub_f32_e32 v45, v47, v43
	v_add_f32_e32 v40, v40, v45
	v_mul_f32_e32 v45, v46, v48
	v_mul_f32_e32 v47, v43, v45
	v_fma_f32 v49, v45, v43, -v47
	v_fmac_f32_e32 v49, v45, v40
	v_add_f32_e32 v50, v47, v49
	v_sub_f32_e32 v51, v46, v50
	v_sub_f32_e32 v46, v46, v51
	;; [unrolled: 1-line block ×4, first 2 shown]
	v_add_f32_e32 v44, v44, v46
	v_sub_f32_e32 v46, v47, v49
	v_add_f32_e32 v44, v46, v44
	v_add_f32_e32 v46, v51, v44
	v_mul_f32_e32 v47, v48, v46
	v_mul_f32_e32 v49, v43, v47
	v_fma_f32 v43, v47, v43, -v49
	v_fmac_f32_e32 v43, v47, v40
	v_sub_f32_e32 v40, v51, v46
	v_add_f32_e32 v40, v44, v40
	v_add_f32_e32 v44, v49, v43
	v_sub_f32_e32 v50, v46, v44
	v_sub_f32_e32 v46, v46, v50
	;; [unrolled: 1-line block ×4, first 2 shown]
	v_add_f32_e32 v40, v40, v44
	v_sub_f32_e32 v43, v49, v43
	v_add_f32_e32 v40, v43, v40
	v_add_f32_e32 v43, v45, v47
	;; [unrolled: 1-line block ×3, first 2 shown]
	v_sub_f32_e32 v44, v43, v45
	v_mul_f32_e32 v40, v48, v40
	v_sub_f32_e32 v44, v47, v44
	v_add_f32_e32 v40, v44, v40
	v_cvt_f32_i32_e32 v39, v39
	v_add_f32_e32 v44, v43, v40
	v_mul_f32_e32 v45, v44, v44
	v_mov_b32_e32 v46, 0x3ecc95a3
	v_fmac_f32_e32 v46, 0x3e9b6dac, v45
	v_mov_b32_e32 v47, 0x3f2aaada
	v_fmac_f32_e32 v47, v45, v46
	s_mov_b32 s30, 0x3f317218
	v_mul_f32_e32 v46, 0x3f317218, v39
	v_fma_f32 v48, v39, s30, -v46
	v_fmac_f32_e32 v48, 0xb102e308, v39
	v_sub_f32_e32 v39, v44, v43
	v_sub_f32_e32 v39, v40, v39
	v_add_f32_e32 v40, v46, v48
	v_sub_f32_e32 v43, v40, v46
	v_ldexp_f32 v46, v44, 1
	v_mul_f32_e32 v44, v44, v45
	v_mul_f32_e32 v44, v44, v47
	v_add_f32_e32 v45, v46, v44
	v_sub_f32_e32 v46, v45, v46
	v_ldexp_f32 v39, v39, 1
	v_sub_f32_e32 v44, v44, v46
	v_add_f32_e32 v39, v39, v44
	v_add_f32_e32 v44, v45, v39
	v_sub_f32_e32 v45, v44, v45
	v_sub_f32_e32 v39, v39, v45
	v_add_f32_e32 v45, v40, v44
	v_sub_f32_e32 v46, v45, v40
	v_sub_f32_e32 v47, v45, v46
	;; [unrolled: 1-line block ×5, first 2 shown]
	v_add_f32_e32 v40, v44, v40
	v_add_f32_e32 v44, v43, v39
	v_sub_f32_e32 v46, v44, v43
	v_sub_f32_e32 v47, v44, v46
	;; [unrolled: 1-line block ×4, first 2 shown]
	v_add_f32_e32 v40, v44, v40
	v_add_f32_e32 v39, v39, v43
	;; [unrolled: 1-line block ×3, first 2 shown]
	v_sub_f32_e32 v44, v43, v45
	v_sub_f32_e32 v40, v40, v44
	v_add_f32_e32 v39, v39, v40
	v_add_f32_e32 v39, v43, v39
	v_cmp_neq_f32_e64 s[30:31], s44, v42
	v_cndmask_b32_e64 v39, v41, v39, s[30:31]
	s_mov_b32 s30, 0x33800000
	v_cmp_lt_f32_e64 s[30:31], |v42|, s30
	v_cndmask_b32_e64 v39, v39, v42, s[30:31]
	v_add_f32_e32 v40, v38, v39
.LBB92_276:
	s_or_b64 exec, exec, s[34:35]
	v_mov_b32_e32 v39, v40
.LBB92_277:
	s_or_b64 exec, exec, s[40:41]
	ds_write_b32 v31, v39
.LBB92_278:
	s_or_b64 exec, exec, s[36:37]
	v_cmp_lt_u32_e64 s[30:31], 63, v0
	s_waitcnt lgkmcnt(0)
	s_barrier
                                        ; implicit-def: $vgpr38
	s_and_saveexec_b64 s[36:37], s[30:31]
	s_cbranch_execz .LBB92_282
; %bb.279:
	v_lshl_add_u32 v37, v37, 2, -4
	ds_read_b32 v38, v37
	v_max_f32_e32 v37, v36, v36
	v_cmp_u_f32_e64 s[34:35], v36, v36
	s_waitcnt lgkmcnt(0)
	v_max_f32_e32 v39, v38, v38
	v_min_f32_e32 v40, v39, v37
	v_max_f32_e32 v37, v39, v37
	v_cmp_u_f32_e64 s[30:31], v38, v38
	v_cndmask_b32_e64 v39, v40, v38, s[30:31]
	v_cndmask_b32_e64 v37, v37, v38, s[30:31]
	;; [unrolled: 1-line block ×4, first 2 shown]
	s_movk_i32 s34, 0x1f8
	v_cmp_neq_f32_e64 s[30:31], v39, v37
	v_cmp_class_f32_e64 s[34:35], v39, s34
	s_or_b64 s[30:31], s[30:31], s[34:35]
	v_mov_b32_e32 v36, v38
	s_and_saveexec_b64 s[34:35], s[30:31]
	s_cbranch_execz .LBB92_281
; %bb.280:
	v_sub_f32_e32 v36, v39, v37
	s_mov_b32 s30, 0x3fb8aa3b
	v_mul_f32_e32 v39, 0x3fb8aa3b, v36
	v_fma_f32 v40, v36, s30, -v39
	v_rndne_f32_e32 v41, v39
	v_fmac_f32_e32 v40, 0x32a5705f, v36
	v_sub_f32_e32 v39, v39, v41
	v_add_f32_e32 v39, v39, v40
	v_exp_f32_e32 v39, v39
	v_cvt_i32_f32_e32 v40, v41
	s_mov_b32 s30, 0xc2ce8ed0
	v_cmp_ngt_f32_e64 s[30:31], s30, v36
	v_mov_b32_e32 v41, 0x7f800000
	v_ldexp_f32 v39, v39, v40
	v_cndmask_b32_e64 v39, 0, v39, s[30:31]
	s_mov_b32 s30, 0x42b17218
	v_cmp_nlt_f32_e64 s[30:31], s30, v36
	v_cndmask_b32_e64 v36, v41, v39, s[30:31]
	v_add_f32_e32 v42, 1.0, v36
	v_cvt_f64_f32_e32 v[39:40], v42
	v_add_f32_e32 v43, -1.0, v42
	v_sub_f32_e32 v44, v43, v42
	v_sub_f32_e32 v43, v36, v43
	v_frexp_exp_i32_f64_e32 v39, v[39:40]
	v_add_f32_e32 v40, 1.0, v44
	v_add_f32_e32 v40, v43, v40
	v_frexp_mant_f32_e32 v43, v42
	s_mov_b32 s30, 0x3f2aaaab
	v_cmp_gt_f32_e64 s[30:31], s30, v43
	s_mov_b32 s40, 0x7f800000
	v_subbrev_co_u32_e64 v39, s[30:31], 0, v39, s[30:31]
	v_sub_u32_e32 v43, 0, v39
	v_ldexp_f32 v42, v42, v43
	v_ldexp_f32 v40, v40, v43
	v_add_f32_e32 v43, -1.0, v42
	v_add_f32_e32 v46, 1.0, v42
	v_add_f32_e32 v44, 1.0, v43
	v_add_f32_e32 v47, -1.0, v46
	v_sub_f32_e32 v44, v42, v44
	v_sub_f32_e32 v42, v42, v47
	v_add_f32_e32 v44, v40, v44
	v_add_f32_e32 v40, v40, v42
	;; [unrolled: 1-line block ×3, first 2 shown]
	v_rcp_f32_e32 v47, v42
	v_add_f32_e32 v45, v43, v44
	v_sub_f32_e32 v43, v43, v45
	v_add_f32_e32 v43, v44, v43
	v_sub_f32_e32 v44, v46, v42
	v_add_f32_e32 v40, v40, v44
	v_mul_f32_e32 v44, v45, v47
	v_mul_f32_e32 v46, v42, v44
	v_fma_f32 v48, v44, v42, -v46
	v_fmac_f32_e32 v48, v44, v40
	v_add_f32_e32 v49, v46, v48
	v_sub_f32_e32 v50, v45, v49
	v_sub_f32_e32 v45, v45, v50
	;; [unrolled: 1-line block ×4, first 2 shown]
	v_add_f32_e32 v43, v43, v45
	v_sub_f32_e32 v45, v46, v48
	v_add_f32_e32 v43, v45, v43
	v_add_f32_e32 v45, v50, v43
	v_mul_f32_e32 v46, v47, v45
	v_mul_f32_e32 v48, v42, v46
	v_fma_f32 v42, v46, v42, -v48
	v_fmac_f32_e32 v42, v46, v40
	v_sub_f32_e32 v40, v50, v45
	v_add_f32_e32 v40, v43, v40
	v_add_f32_e32 v43, v48, v42
	v_sub_f32_e32 v49, v45, v43
	v_sub_f32_e32 v45, v45, v49
	;; [unrolled: 1-line block ×4, first 2 shown]
	v_add_f32_e32 v40, v40, v43
	v_sub_f32_e32 v42, v48, v42
	v_add_f32_e32 v40, v42, v40
	v_add_f32_e32 v42, v44, v46
	;; [unrolled: 1-line block ×3, first 2 shown]
	v_sub_f32_e32 v43, v42, v44
	v_mul_f32_e32 v40, v47, v40
	v_sub_f32_e32 v43, v46, v43
	v_add_f32_e32 v40, v43, v40
	v_cvt_f32_i32_e32 v39, v39
	v_add_f32_e32 v43, v42, v40
	v_mul_f32_e32 v44, v43, v43
	v_mov_b32_e32 v45, 0x3ecc95a3
	v_fmac_f32_e32 v45, 0x3e9b6dac, v44
	v_mov_b32_e32 v46, 0x3f2aaada
	v_fmac_f32_e32 v46, v44, v45
	s_mov_b32 s30, 0x3f317218
	v_mul_f32_e32 v45, 0x3f317218, v39
	v_fma_f32 v47, v39, s30, -v45
	v_fmac_f32_e32 v47, 0xb102e308, v39
	v_sub_f32_e32 v39, v43, v42
	v_sub_f32_e32 v39, v40, v39
	v_add_f32_e32 v40, v45, v47
	v_sub_f32_e32 v42, v40, v45
	v_ldexp_f32 v45, v43, 1
	v_mul_f32_e32 v43, v43, v44
	v_mul_f32_e32 v43, v43, v46
	v_add_f32_e32 v44, v45, v43
	v_sub_f32_e32 v45, v44, v45
	v_ldexp_f32 v39, v39, 1
	v_sub_f32_e32 v43, v43, v45
	v_add_f32_e32 v39, v39, v43
	v_add_f32_e32 v43, v44, v39
	v_sub_f32_e32 v44, v43, v44
	v_sub_f32_e32 v39, v39, v44
	v_add_f32_e32 v44, v40, v43
	v_sub_f32_e32 v45, v44, v40
	v_sub_f32_e32 v46, v44, v45
	;; [unrolled: 1-line block ×5, first 2 shown]
	v_add_f32_e32 v40, v43, v40
	v_add_f32_e32 v43, v42, v39
	v_sub_f32_e32 v45, v43, v42
	v_sub_f32_e32 v46, v43, v45
	;; [unrolled: 1-line block ×4, first 2 shown]
	v_add_f32_e32 v40, v43, v40
	v_add_f32_e32 v39, v39, v42
	v_add_f32_e32 v42, v44, v40
	v_sub_f32_e32 v43, v42, v44
	v_sub_f32_e32 v40, v40, v43
	v_add_f32_e32 v39, v39, v40
	v_add_f32_e32 v39, v42, v39
	v_cmp_neq_f32_e64 s[30:31], s40, v36
	v_cndmask_b32_e64 v39, v41, v39, s[30:31]
	s_mov_b32 s30, 0x33800000
	v_cmp_lt_f32_e64 s[30:31], |v36|, s30
	v_cndmask_b32_e64 v36, v39, v36, s[30:31]
	v_add_f32_e32 v36, v37, v36
.LBB92_281:
	s_or_b64 exec, exec, s[34:35]
.LBB92_282:
	s_or_b64 exec, exec, s[36:37]
	v_add_u32_e32 v37, -1, v35
	v_and_b32_e32 v39, 64, v35
	v_cmp_lt_i32_e64 s[30:31], v37, v39
	v_cndmask_b32_e64 v37, v37, v35, s[30:31]
	v_lshlrev_b32_e32 v37, 2, v37
	ds_bpermute_b32 v36, v37, v36
	s_and_saveexec_b64 s[30:31], vcc
	s_cbranch_execz .LBB92_286
; %bb.283:
	v_cmp_eq_u32_e32 vcc, 0, v35
	s_waitcnt lgkmcnt(0)
	v_cndmask_b32_e32 v35, v36, v38, vcc
	v_max_f32_e32 v18, v35, v35
	v_min_f32_e32 v17, v18, v16
	v_cmp_u_f32_e32 vcc, v35, v35
	v_max_f32_e32 v16, v18, v16
	v_cndmask_b32_e32 v17, v17, v35, vcc
	v_cndmask_b32_e32 v16, v16, v35, vcc
	v_cndmask_b32_e64 v17, v17, v1, s[28:29]
	v_cndmask_b32_e64 v1, v16, v1, s[28:29]
	s_movk_i32 s28, 0x1f8
	v_cmp_neq_f32_e32 vcc, v17, v1
	v_cmp_class_f32_e64 s[28:29], v17, s28
	s_or_b64 s[34:35], vcc, s[28:29]
	s_and_saveexec_b64 s[28:29], s[34:35]
	s_cbranch_execz .LBB92_285
; %bb.284:
	v_sub_f32_e32 v16, v17, v1
	s_mov_b32 s34, 0x3fb8aa3b
	v_mul_f32_e32 v17, 0x3fb8aa3b, v16
	v_fma_f32 v18, v16, s34, -v17
	v_rndne_f32_e32 v35, v17
	v_fmac_f32_e32 v18, 0x32a5705f, v16
	v_sub_f32_e32 v17, v17, v35
	v_add_f32_e32 v17, v17, v18
	v_exp_f32_e32 v17, v17
	v_cvt_i32_f32_e32 v18, v35
	s_mov_b32 s34, 0xc2ce8ed0
	v_cmp_ngt_f32_e32 vcc, s34, v16
	s_mov_b32 s34, 0x42b17218
	v_ldexp_f32 v17, v17, v18
	v_cndmask_b32_e32 v17, 0, v17, vcc
	v_mov_b32_e32 v18, 0x7f800000
	v_cmp_nlt_f32_e32 vcc, s34, v16
	v_cndmask_b32_e32 v35, v18, v17, vcc
	v_add_f32_e32 v36, 1.0, v35
	v_cvt_f64_f32_e32 v[16:17], v36
	v_add_f32_e32 v37, -1.0, v36
	v_sub_f32_e32 v38, v37, v36
	v_sub_f32_e32 v37, v35, v37
	v_frexp_exp_i32_f64_e32 v16, v[16:17]
	v_add_f32_e32 v17, 1.0, v38
	v_add_f32_e32 v17, v37, v17
	v_frexp_mant_f32_e32 v37, v36
	s_mov_b32 s35, 0x3f2aaaab
	v_cmp_gt_f32_e32 vcc, s35, v37
	s_mov_b32 s35, 0x3f317218
	s_mov_b32 s34, 0x7f800000
	v_subbrev_co_u32_e32 v16, vcc, 0, v16, vcc
	v_sub_u32_e32 v37, 0, v16
	v_ldexp_f32 v36, v36, v37
	v_ldexp_f32 v17, v17, v37
	v_add_f32_e32 v37, -1.0, v36
	v_add_f32_e32 v40, 1.0, v36
	v_add_f32_e32 v38, 1.0, v37
	v_add_f32_e32 v41, -1.0, v40
	v_sub_f32_e32 v38, v36, v38
	v_sub_f32_e32 v36, v36, v41
	v_add_f32_e32 v38, v17, v38
	v_add_f32_e32 v17, v17, v36
	;; [unrolled: 1-line block ×3, first 2 shown]
	v_rcp_f32_e32 v41, v36
	v_add_f32_e32 v39, v37, v38
	v_sub_f32_e32 v37, v37, v39
	v_add_f32_e32 v37, v38, v37
	v_sub_f32_e32 v38, v40, v36
	v_add_f32_e32 v17, v17, v38
	v_mul_f32_e32 v38, v39, v41
	v_mul_f32_e32 v40, v36, v38
	v_fma_f32 v42, v38, v36, -v40
	v_fmac_f32_e32 v42, v38, v17
	v_add_f32_e32 v43, v40, v42
	v_sub_f32_e32 v44, v39, v43
	v_sub_f32_e32 v39, v39, v44
	;; [unrolled: 1-line block ×4, first 2 shown]
	v_add_f32_e32 v37, v37, v39
	v_sub_f32_e32 v39, v40, v42
	v_add_f32_e32 v37, v39, v37
	v_add_f32_e32 v39, v44, v37
	v_mul_f32_e32 v40, v41, v39
	v_mul_f32_e32 v42, v36, v40
	v_fma_f32 v36, v40, v36, -v42
	v_fmac_f32_e32 v36, v40, v17
	v_sub_f32_e32 v17, v44, v39
	v_add_f32_e32 v17, v37, v17
	v_add_f32_e32 v37, v42, v36
	v_sub_f32_e32 v43, v39, v37
	v_sub_f32_e32 v39, v39, v43
	;; [unrolled: 1-line block ×4, first 2 shown]
	v_add_f32_e32 v17, v17, v37
	v_sub_f32_e32 v36, v42, v36
	v_add_f32_e32 v17, v36, v17
	v_add_f32_e32 v36, v38, v40
	v_add_f32_e32 v17, v43, v17
	v_sub_f32_e32 v37, v36, v38
	v_mul_f32_e32 v17, v41, v17
	v_sub_f32_e32 v37, v40, v37
	v_add_f32_e32 v17, v37, v17
	v_cvt_f32_i32_e32 v16, v16
	v_add_f32_e32 v37, v36, v17
	v_mul_f32_e32 v38, v37, v37
	v_mov_b32_e32 v39, 0x3ecc95a3
	v_fmac_f32_e32 v39, 0x3e9b6dac, v38
	v_mov_b32_e32 v40, 0x3f2aaada
	v_fmac_f32_e32 v40, v38, v39
	v_mul_f32_e32 v39, 0x3f317218, v16
	v_fma_f32 v41, v16, s35, -v39
	v_fmac_f32_e32 v41, 0xb102e308, v16
	v_sub_f32_e32 v16, v37, v36
	v_sub_f32_e32 v16, v17, v16
	v_add_f32_e32 v17, v39, v41
	v_sub_f32_e32 v36, v17, v39
	v_ldexp_f32 v39, v37, 1
	v_mul_f32_e32 v37, v37, v38
	v_mul_f32_e32 v37, v37, v40
	v_add_f32_e32 v38, v39, v37
	v_sub_f32_e32 v39, v38, v39
	v_ldexp_f32 v16, v16, 1
	v_sub_f32_e32 v37, v37, v39
	v_add_f32_e32 v16, v16, v37
	v_add_f32_e32 v37, v38, v16
	v_sub_f32_e32 v38, v37, v38
	v_sub_f32_e32 v16, v16, v38
	v_add_f32_e32 v38, v17, v37
	v_sub_f32_e32 v39, v38, v17
	v_sub_f32_e32 v40, v38, v39
	;; [unrolled: 1-line block ×5, first 2 shown]
	v_add_f32_e32 v17, v37, v17
	v_add_f32_e32 v37, v36, v16
	v_sub_f32_e32 v39, v37, v36
	v_sub_f32_e32 v40, v37, v39
	;; [unrolled: 1-line block ×4, first 2 shown]
	v_add_f32_e32 v17, v37, v17
	v_add_f32_e32 v16, v16, v36
	;; [unrolled: 1-line block ×3, first 2 shown]
	v_sub_f32_e32 v37, v36, v38
	v_sub_f32_e32 v17, v17, v37
	v_add_f32_e32 v16, v16, v17
	v_add_f32_e32 v16, v36, v16
	v_cmp_neq_f32_e32 vcc, s34, v35
	s_mov_b32 s34, 0x33800000
	v_cndmask_b32_e32 v16, v18, v16, vcc
	v_cmp_lt_f32_e64 vcc, |v35|, s34
	v_cndmask_b32_e32 v16, v16, v35, vcc
	v_add_f32_e32 v35, v1, v16
.LBB92_285:
	s_or_b64 exec, exec, s[28:29]
	v_max_f32_e32 v1, v35, v35
	v_min_f32_e32 v17, v1, v34
	v_max_f32_e32 v18, v1, v34
	v_mov_b32_e32 v1, v35
	;;#ASMSTART
	;;#ASMEND
.LBB92_286:
	s_or_b64 exec, exec, s[30:31]
	v_cmp_u_f32_e32 vcc, v1, v1
	v_cndmask_b32_e32 v16, v17, v1, vcc
	v_cndmask_b32_e64 v17, v16, v2, s[0:1]
	v_cndmask_b32_e32 v16, v18, v1, vcc
	v_cndmask_b32_e64 v16, v16, v2, s[0:1]
	s_movk_i32 s28, 0x1f8
	v_cmp_neq_f32_e32 vcc, v17, v16
	v_cmp_class_f32_e64 s[0:1], v17, s28
	s_or_b64 s[30:31], vcc, s[0:1]
	v_mov_b32_e32 v2, v1
	s_and_saveexec_b64 s[0:1], s[30:31]
	s_cbranch_execz .LBB92_288
; %bb.287:
	v_sub_f32_e32 v2, v17, v16
	s_mov_b32 s29, 0x3fb8aa3b
	v_mul_f32_e32 v17, 0x3fb8aa3b, v2
	v_fma_f32 v18, v2, s29, -v17
	v_rndne_f32_e32 v34, v17
	v_fmac_f32_e32 v18, 0x32a5705f, v2
	v_sub_f32_e32 v17, v17, v34
	v_add_f32_e32 v17, v17, v18
	v_exp_f32_e32 v17, v17
	v_cvt_i32_f32_e32 v18, v34
	s_mov_b32 s29, 0xc2ce8ed0
	v_cmp_ngt_f32_e32 vcc, s29, v2
	s_mov_b32 s29, 0x42b17218
	v_ldexp_f32 v17, v17, v18
	v_cndmask_b32_e32 v17, 0, v17, vcc
	v_mov_b32_e32 v34, 0x7f800000
	v_cmp_nlt_f32_e32 vcc, s29, v2
	v_cndmask_b32_e32 v2, v34, v17, vcc
	v_add_f32_e32 v35, 1.0, v2
	v_cvt_f64_f32_e32 v[17:18], v35
	s_waitcnt lgkmcnt(0)
	v_add_f32_e32 v36, -1.0, v35
	v_sub_f32_e32 v37, v36, v35
	v_sub_f32_e32 v36, v2, v36
	v_frexp_exp_i32_f64_e32 v17, v[17:18]
	v_add_f32_e32 v18, 1.0, v37
	v_add_f32_e32 v18, v36, v18
	v_frexp_mant_f32_e32 v36, v35
	s_mov_b32 s30, 0x3f2aaaab
	v_cmp_gt_f32_e32 vcc, s30, v36
	s_mov_b32 s30, 0x3f317218
	s_mov_b32 s29, 0x7f800000
	v_subbrev_co_u32_e32 v17, vcc, 0, v17, vcc
	v_sub_u32_e32 v36, 0, v17
	v_ldexp_f32 v35, v35, v36
	v_ldexp_f32 v18, v18, v36
	v_add_f32_e32 v36, -1.0, v35
	v_add_f32_e32 v39, 1.0, v35
	v_add_f32_e32 v37, 1.0, v36
	v_add_f32_e32 v40, -1.0, v39
	v_sub_f32_e32 v37, v35, v37
	v_sub_f32_e32 v35, v35, v40
	v_add_f32_e32 v37, v18, v37
	v_add_f32_e32 v18, v18, v35
	;; [unrolled: 1-line block ×3, first 2 shown]
	v_rcp_f32_e32 v40, v35
	v_add_f32_e32 v38, v36, v37
	v_sub_f32_e32 v36, v36, v38
	v_add_f32_e32 v36, v37, v36
	v_sub_f32_e32 v37, v39, v35
	v_add_f32_e32 v18, v18, v37
	v_mul_f32_e32 v37, v38, v40
	v_mul_f32_e32 v39, v35, v37
	v_fma_f32 v41, v37, v35, -v39
	v_fmac_f32_e32 v41, v37, v18
	v_add_f32_e32 v42, v39, v41
	v_sub_f32_e32 v43, v38, v42
	v_sub_f32_e32 v38, v38, v43
	;; [unrolled: 1-line block ×4, first 2 shown]
	v_add_f32_e32 v36, v36, v38
	v_sub_f32_e32 v38, v39, v41
	v_add_f32_e32 v36, v38, v36
	v_add_f32_e32 v38, v43, v36
	v_mul_f32_e32 v39, v40, v38
	v_mul_f32_e32 v41, v35, v39
	v_fma_f32 v35, v39, v35, -v41
	v_fmac_f32_e32 v35, v39, v18
	v_sub_f32_e32 v18, v43, v38
	v_add_f32_e32 v18, v36, v18
	v_add_f32_e32 v36, v41, v35
	v_sub_f32_e32 v42, v38, v36
	v_sub_f32_e32 v38, v38, v42
	;; [unrolled: 1-line block ×4, first 2 shown]
	v_add_f32_e32 v18, v18, v36
	v_sub_f32_e32 v35, v41, v35
	v_add_f32_e32 v18, v35, v18
	v_add_f32_e32 v35, v37, v39
	;; [unrolled: 1-line block ×3, first 2 shown]
	v_sub_f32_e32 v36, v35, v37
	v_mul_f32_e32 v18, v40, v18
	v_sub_f32_e32 v36, v39, v36
	v_add_f32_e32 v18, v36, v18
	v_cvt_f32_i32_e32 v17, v17
	v_add_f32_e32 v36, v35, v18
	v_mul_f32_e32 v37, v36, v36
	v_mov_b32_e32 v38, 0x3ecc95a3
	v_fmac_f32_e32 v38, 0x3e9b6dac, v37
	v_mov_b32_e32 v39, 0x3f2aaada
	v_fmac_f32_e32 v39, v37, v38
	v_mul_f32_e32 v38, 0x3f317218, v17
	v_fma_f32 v40, v17, s30, -v38
	v_fmac_f32_e32 v40, 0xb102e308, v17
	v_sub_f32_e32 v17, v36, v35
	v_sub_f32_e32 v17, v18, v17
	v_add_f32_e32 v18, v38, v40
	v_sub_f32_e32 v35, v18, v38
	v_ldexp_f32 v38, v36, 1
	v_mul_f32_e32 v36, v36, v37
	v_mul_f32_e32 v36, v36, v39
	v_add_f32_e32 v37, v38, v36
	v_sub_f32_e32 v38, v37, v38
	v_ldexp_f32 v17, v17, 1
	v_sub_f32_e32 v36, v36, v38
	v_add_f32_e32 v17, v17, v36
	v_add_f32_e32 v36, v37, v17
	v_sub_f32_e32 v37, v36, v37
	v_sub_f32_e32 v17, v17, v37
	v_add_f32_e32 v37, v18, v36
	v_sub_f32_e32 v38, v37, v18
	v_sub_f32_e32 v39, v37, v38
	;; [unrolled: 1-line block ×5, first 2 shown]
	v_add_f32_e32 v18, v36, v18
	v_add_f32_e32 v36, v35, v17
	v_sub_f32_e32 v38, v36, v35
	v_sub_f32_e32 v39, v36, v38
	;; [unrolled: 1-line block ×4, first 2 shown]
	v_add_f32_e32 v18, v36, v18
	v_add_f32_e32 v17, v17, v35
	;; [unrolled: 1-line block ×3, first 2 shown]
	v_sub_f32_e32 v36, v35, v37
	v_sub_f32_e32 v18, v18, v36
	v_add_f32_e32 v17, v17, v18
	v_add_f32_e32 v17, v35, v17
	v_cmp_neq_f32_e32 vcc, s29, v2
	s_mov_b32 s29, 0x33800000
	v_cndmask_b32_e32 v17, v34, v17, vcc
	v_cmp_lt_f32_e64 vcc, |v2|, s29
	v_cndmask_b32_e32 v2, v17, v2, vcc
	v_add_f32_e32 v2, v16, v2
.LBB92_288:
	s_or_b64 exec, exec, s[0:1]
	v_max_f32_e32 v16, v2, v2
	v_min_f32_e32 v17, v16, v3
	v_cmp_u_f32_e32 vcc, v2, v2
	v_max_f32_e32 v3, v16, v3
	v_cndmask_b32_e32 v17, v17, v2, vcc
	v_cndmask_b32_e32 v3, v3, v2, vcc
	v_cndmask_b32_e64 v17, v17, v29, s[2:3]
	v_cndmask_b32_e64 v16, v3, v29, s[2:3]
	v_cmp_neq_f32_e32 vcc, v17, v16
	v_cmp_class_f32_e64 s[0:1], v17, s28
	s_or_b64 s[2:3], vcc, s[0:1]
	v_mov_b32_e32 v3, v2
	s_and_saveexec_b64 s[0:1], s[2:3]
	s_cbranch_execz .LBB92_290
; %bb.289:
	v_sub_f32_e32 v3, v17, v16
	s_mov_b32 s2, 0x3fb8aa3b
	v_mul_f32_e32 v17, 0x3fb8aa3b, v3
	v_fma_f32 v18, v3, s2, -v17
	v_rndne_f32_e32 v29, v17
	v_fmac_f32_e32 v18, 0x32a5705f, v3
	v_sub_f32_e32 v17, v17, v29
	v_add_f32_e32 v17, v17, v18
	v_exp_f32_e32 v17, v17
	v_cvt_i32_f32_e32 v18, v29
	s_mov_b32 s2, 0xc2ce8ed0
	v_cmp_ngt_f32_e32 vcc, s2, v3
	s_mov_b32 s2, 0x42b17218
	v_ldexp_f32 v17, v17, v18
	v_cndmask_b32_e32 v17, 0, v17, vcc
	v_mov_b32_e32 v29, 0x7f800000
	v_cmp_nlt_f32_e32 vcc, s2, v3
	v_cndmask_b32_e32 v3, v29, v17, vcc
	v_add_f32_e32 v34, 1.0, v3
	v_cvt_f64_f32_e32 v[17:18], v34
	v_add_f32_e32 v35, -1.0, v34
	s_waitcnt lgkmcnt(0)
	v_sub_f32_e32 v36, v35, v34
	v_sub_f32_e32 v35, v3, v35
	v_frexp_exp_i32_f64_e32 v17, v[17:18]
	v_add_f32_e32 v18, 1.0, v36
	v_add_f32_e32 v18, v35, v18
	v_frexp_mant_f32_e32 v35, v34
	s_mov_b32 s3, 0x3f2aaaab
	v_cmp_gt_f32_e32 vcc, s3, v35
	s_mov_b32 s3, 0x3f317218
	s_mov_b32 s2, 0x7f800000
	v_subbrev_co_u32_e32 v17, vcc, 0, v17, vcc
	v_sub_u32_e32 v35, 0, v17
	v_ldexp_f32 v34, v34, v35
	v_ldexp_f32 v18, v18, v35
	v_add_f32_e32 v35, -1.0, v34
	v_add_f32_e32 v38, 1.0, v34
	v_add_f32_e32 v36, 1.0, v35
	v_add_f32_e32 v39, -1.0, v38
	v_sub_f32_e32 v36, v34, v36
	v_sub_f32_e32 v34, v34, v39
	v_add_f32_e32 v36, v18, v36
	v_add_f32_e32 v18, v18, v34
	v_add_f32_e32 v34, v38, v18
	v_rcp_f32_e32 v39, v34
	v_add_f32_e32 v37, v35, v36
	v_sub_f32_e32 v35, v35, v37
	v_add_f32_e32 v35, v36, v35
	v_sub_f32_e32 v36, v38, v34
	v_add_f32_e32 v18, v18, v36
	v_mul_f32_e32 v36, v37, v39
	v_mul_f32_e32 v38, v34, v36
	v_fma_f32 v40, v36, v34, -v38
	v_fmac_f32_e32 v40, v36, v18
	v_add_f32_e32 v41, v38, v40
	v_sub_f32_e32 v42, v37, v41
	v_sub_f32_e32 v37, v37, v42
	;; [unrolled: 1-line block ×4, first 2 shown]
	v_add_f32_e32 v35, v35, v37
	v_sub_f32_e32 v37, v38, v40
	v_add_f32_e32 v35, v37, v35
	v_add_f32_e32 v37, v42, v35
	v_mul_f32_e32 v38, v39, v37
	v_mul_f32_e32 v40, v34, v38
	v_fma_f32 v34, v38, v34, -v40
	v_fmac_f32_e32 v34, v38, v18
	v_sub_f32_e32 v18, v42, v37
	v_add_f32_e32 v18, v35, v18
	v_add_f32_e32 v35, v40, v34
	v_sub_f32_e32 v41, v37, v35
	v_sub_f32_e32 v37, v37, v41
	;; [unrolled: 1-line block ×4, first 2 shown]
	v_add_f32_e32 v18, v18, v35
	v_sub_f32_e32 v34, v40, v34
	v_add_f32_e32 v18, v34, v18
	v_add_f32_e32 v34, v36, v38
	;; [unrolled: 1-line block ×3, first 2 shown]
	v_sub_f32_e32 v35, v34, v36
	v_mul_f32_e32 v18, v39, v18
	v_sub_f32_e32 v35, v38, v35
	v_add_f32_e32 v18, v35, v18
	v_cvt_f32_i32_e32 v17, v17
	v_add_f32_e32 v35, v34, v18
	v_mul_f32_e32 v36, v35, v35
	v_mov_b32_e32 v37, 0x3ecc95a3
	v_fmac_f32_e32 v37, 0x3e9b6dac, v36
	v_mov_b32_e32 v38, 0x3f2aaada
	v_fmac_f32_e32 v38, v36, v37
	v_mul_f32_e32 v37, 0x3f317218, v17
	v_fma_f32 v39, v17, s3, -v37
	v_fmac_f32_e32 v39, 0xb102e308, v17
	v_sub_f32_e32 v17, v35, v34
	v_sub_f32_e32 v17, v18, v17
	v_add_f32_e32 v18, v37, v39
	v_sub_f32_e32 v34, v18, v37
	v_ldexp_f32 v37, v35, 1
	v_mul_f32_e32 v35, v35, v36
	v_mul_f32_e32 v35, v35, v38
	v_add_f32_e32 v36, v37, v35
	v_sub_f32_e32 v37, v36, v37
	v_ldexp_f32 v17, v17, 1
	v_sub_f32_e32 v35, v35, v37
	v_add_f32_e32 v17, v17, v35
	v_add_f32_e32 v35, v36, v17
	v_sub_f32_e32 v36, v35, v36
	v_sub_f32_e32 v17, v17, v36
	v_add_f32_e32 v36, v18, v35
	v_sub_f32_e32 v37, v36, v18
	v_sub_f32_e32 v38, v36, v37
	;; [unrolled: 1-line block ×5, first 2 shown]
	v_add_f32_e32 v18, v35, v18
	v_add_f32_e32 v35, v34, v17
	v_sub_f32_e32 v37, v35, v34
	v_sub_f32_e32 v38, v35, v37
	;; [unrolled: 1-line block ×4, first 2 shown]
	v_add_f32_e32 v18, v35, v18
	v_add_f32_e32 v17, v17, v34
	;; [unrolled: 1-line block ×3, first 2 shown]
	v_sub_f32_e32 v35, v34, v36
	v_sub_f32_e32 v18, v18, v35
	v_add_f32_e32 v17, v17, v18
	v_add_f32_e32 v17, v34, v17
	v_cmp_neq_f32_e32 vcc, s2, v3
	s_mov_b32 s2, 0x33800000
	v_cndmask_b32_e32 v17, v29, v17, vcc
	v_cmp_lt_f32_e64 vcc, |v3|, s2
	v_cndmask_b32_e32 v3, v17, v3, vcc
	v_add_f32_e32 v3, v16, v3
.LBB92_290:
	s_or_b64 exec, exec, s[0:1]
	v_max_f32_e32 v16, v3, v3
	v_min_f32_e32 v17, v16, v4
	v_cmp_u_f32_e32 vcc, v3, v3
	v_max_f32_e32 v4, v16, v4
	v_cndmask_b32_e32 v17, v17, v3, vcc
	v_cndmask_b32_e32 v4, v4, v3, vcc
	v_cndmask_b32_e64 v17, v17, v30, s[4:5]
	v_cndmask_b32_e64 v16, v4, v30, s[4:5]
	s_movk_i32 s2, 0x1f8
	v_cmp_neq_f32_e32 vcc, v17, v16
	v_cmp_class_f32_e64 s[0:1], v17, s2
	s_or_b64 s[4:5], vcc, s[0:1]
	v_mov_b32_e32 v4, v3
	s_and_saveexec_b64 s[0:1], s[4:5]
	s_cbranch_execz .LBB92_292
; %bb.291:
	v_sub_f32_e32 v4, v17, v16
	s_mov_b32 s3, 0x3fb8aa3b
	v_mul_f32_e32 v17, 0x3fb8aa3b, v4
	v_fma_f32 v18, v4, s3, -v17
	v_rndne_f32_e32 v29, v17
	v_fmac_f32_e32 v18, 0x32a5705f, v4
	v_sub_f32_e32 v17, v17, v29
	v_add_f32_e32 v17, v17, v18
	v_exp_f32_e32 v17, v17
	v_cvt_i32_f32_e32 v18, v29
	s_mov_b32 s3, 0xc2ce8ed0
	v_cmp_ngt_f32_e32 vcc, s3, v4
	s_mov_b32 s3, 0x42b17218
	v_ldexp_f32 v17, v17, v18
	v_cndmask_b32_e32 v17, 0, v17, vcc
	v_mov_b32_e32 v29, 0x7f800000
	v_cmp_nlt_f32_e32 vcc, s3, v4
	v_cndmask_b32_e32 v4, v29, v17, vcc
	v_add_f32_e32 v30, 1.0, v4
	v_cvt_f64_f32_e32 v[17:18], v30
	v_add_f32_e32 v34, -1.0, v30
	v_sub_f32_e32 v35, v34, v30
	v_sub_f32_e32 v34, v4, v34
	v_frexp_exp_i32_f64_e32 v17, v[17:18]
	v_add_f32_e32 v18, 1.0, v35
	v_add_f32_e32 v18, v34, v18
	v_frexp_mant_f32_e32 v34, v30
	s_mov_b32 s4, 0x3f2aaaab
	v_cmp_gt_f32_e32 vcc, s4, v34
	s_mov_b32 s4, 0x3f317218
	s_mov_b32 s3, 0x7f800000
	v_subbrev_co_u32_e32 v17, vcc, 0, v17, vcc
	v_sub_u32_e32 v34, 0, v17
	v_ldexp_f32 v30, v30, v34
	v_ldexp_f32 v18, v18, v34
	v_add_f32_e32 v34, -1.0, v30
	v_add_f32_e32 v37, 1.0, v30
	v_add_f32_e32 v35, 1.0, v34
	v_add_f32_e32 v38, -1.0, v37
	v_sub_f32_e32 v35, v30, v35
	v_sub_f32_e32 v30, v30, v38
	v_add_f32_e32 v35, v18, v35
	v_add_f32_e32 v18, v18, v30
	;; [unrolled: 1-line block ×3, first 2 shown]
	v_rcp_f32_e32 v38, v30
	s_waitcnt lgkmcnt(0)
	v_add_f32_e32 v36, v34, v35
	v_sub_f32_e32 v34, v34, v36
	v_add_f32_e32 v34, v35, v34
	v_sub_f32_e32 v35, v37, v30
	v_add_f32_e32 v18, v18, v35
	v_mul_f32_e32 v35, v36, v38
	v_mul_f32_e32 v37, v30, v35
	v_fma_f32 v39, v35, v30, -v37
	v_fmac_f32_e32 v39, v35, v18
	v_add_f32_e32 v40, v37, v39
	v_sub_f32_e32 v41, v36, v40
	v_sub_f32_e32 v36, v36, v41
	;; [unrolled: 1-line block ×4, first 2 shown]
	v_add_f32_e32 v34, v34, v36
	v_sub_f32_e32 v36, v37, v39
	v_add_f32_e32 v34, v36, v34
	v_add_f32_e32 v36, v41, v34
	v_mul_f32_e32 v37, v38, v36
	v_mul_f32_e32 v39, v30, v37
	v_fma_f32 v30, v37, v30, -v39
	v_fmac_f32_e32 v30, v37, v18
	v_sub_f32_e32 v18, v41, v36
	v_add_f32_e32 v18, v34, v18
	v_add_f32_e32 v34, v39, v30
	v_sub_f32_e32 v40, v36, v34
	v_sub_f32_e32 v36, v36, v40
	;; [unrolled: 1-line block ×4, first 2 shown]
	v_add_f32_e32 v18, v18, v34
	v_sub_f32_e32 v30, v39, v30
	v_add_f32_e32 v18, v30, v18
	v_add_f32_e32 v30, v35, v37
	;; [unrolled: 1-line block ×3, first 2 shown]
	v_sub_f32_e32 v34, v30, v35
	v_mul_f32_e32 v18, v38, v18
	v_sub_f32_e32 v34, v37, v34
	v_add_f32_e32 v18, v34, v18
	v_cvt_f32_i32_e32 v17, v17
	v_add_f32_e32 v34, v30, v18
	v_mul_f32_e32 v35, v34, v34
	v_mov_b32_e32 v36, 0x3ecc95a3
	v_fmac_f32_e32 v36, 0x3e9b6dac, v35
	v_mov_b32_e32 v37, 0x3f2aaada
	v_fmac_f32_e32 v37, v35, v36
	v_mul_f32_e32 v36, 0x3f317218, v17
	v_fma_f32 v38, v17, s4, -v36
	v_fmac_f32_e32 v38, 0xb102e308, v17
	v_sub_f32_e32 v17, v34, v30
	v_sub_f32_e32 v17, v18, v17
	v_add_f32_e32 v18, v36, v38
	v_sub_f32_e32 v30, v18, v36
	v_ldexp_f32 v36, v34, 1
	v_mul_f32_e32 v34, v34, v35
	v_mul_f32_e32 v34, v34, v37
	v_add_f32_e32 v35, v36, v34
	v_sub_f32_e32 v36, v35, v36
	v_ldexp_f32 v17, v17, 1
	v_sub_f32_e32 v34, v34, v36
	v_add_f32_e32 v17, v17, v34
	v_add_f32_e32 v34, v35, v17
	v_sub_f32_e32 v35, v34, v35
	v_sub_f32_e32 v17, v17, v35
	v_add_f32_e32 v35, v18, v34
	v_sub_f32_e32 v36, v35, v18
	v_sub_f32_e32 v37, v35, v36
	;; [unrolled: 1-line block ×5, first 2 shown]
	v_add_f32_e32 v18, v34, v18
	v_add_f32_e32 v34, v30, v17
	v_sub_f32_e32 v36, v34, v30
	v_sub_f32_e32 v37, v34, v36
	;; [unrolled: 1-line block ×4, first 2 shown]
	v_add_f32_e32 v18, v34, v18
	v_add_f32_e32 v17, v17, v30
	v_add_f32_e32 v30, v35, v18
	v_sub_f32_e32 v34, v30, v35
	v_sub_f32_e32 v18, v18, v34
	v_add_f32_e32 v17, v17, v18
	v_add_f32_e32 v17, v30, v17
	v_cmp_neq_f32_e32 vcc, s3, v4
	s_mov_b32 s3, 0x33800000
	v_cndmask_b32_e32 v17, v29, v17, vcc
	v_cmp_lt_f32_e64 vcc, |v4|, s3
	v_cndmask_b32_e32 v4, v17, v4, vcc
	v_add_f32_e32 v4, v16, v4
.LBB92_292:
	s_or_b64 exec, exec, s[0:1]
	v_max_f32_e32 v16, v4, v4
	v_min_f32_e32 v17, v16, v5
	v_cmp_u_f32_e32 vcc, v4, v4
	v_max_f32_e32 v5, v16, v5
	v_cndmask_b32_e32 v17, v17, v4, vcc
	v_cndmask_b32_e32 v5, v5, v4, vcc
	v_cndmask_b32_e64 v17, v17, v27, s[6:7]
	v_cndmask_b32_e64 v16, v5, v27, s[6:7]
	v_cmp_neq_f32_e32 vcc, v17, v16
	v_cmp_class_f32_e64 s[0:1], v17, s2
	s_or_b64 s[2:3], vcc, s[0:1]
	v_mov_b32_e32 v5, v4
	s_and_saveexec_b64 s[0:1], s[2:3]
	s_cbranch_execz .LBB92_294
; %bb.293:
	v_sub_f32_e32 v5, v17, v16
	s_mov_b32 s2, 0x3fb8aa3b
	v_mul_f32_e32 v17, 0x3fb8aa3b, v5
	v_fma_f32 v18, v5, s2, -v17
	v_rndne_f32_e32 v27, v17
	v_fmac_f32_e32 v18, 0x32a5705f, v5
	v_sub_f32_e32 v17, v17, v27
	v_add_f32_e32 v17, v17, v18
	v_exp_f32_e32 v17, v17
	v_cvt_i32_f32_e32 v18, v27
	s_mov_b32 s2, 0xc2ce8ed0
	v_cmp_ngt_f32_e32 vcc, s2, v5
	s_mov_b32 s2, 0x42b17218
	v_ldexp_f32 v17, v17, v18
	v_cndmask_b32_e32 v17, 0, v17, vcc
	v_mov_b32_e32 v27, 0x7f800000
	v_cmp_nlt_f32_e32 vcc, s2, v5
	v_cndmask_b32_e32 v5, v27, v17, vcc
	v_add_f32_e32 v29, 1.0, v5
	v_cvt_f64_f32_e32 v[17:18], v29
	v_add_f32_e32 v30, -1.0, v29
	v_sub_f32_e32 v34, v30, v29
	v_sub_f32_e32 v30, v5, v30
	v_frexp_exp_i32_f64_e32 v17, v[17:18]
	v_add_f32_e32 v18, 1.0, v34
	v_add_f32_e32 v18, v30, v18
	v_frexp_mant_f32_e32 v30, v29
	s_mov_b32 s3, 0x3f2aaaab
	v_cmp_gt_f32_e32 vcc, s3, v30
	s_mov_b32 s3, 0x3f317218
	s_mov_b32 s2, 0x7f800000
	v_subbrev_co_u32_e32 v17, vcc, 0, v17, vcc
	v_sub_u32_e32 v30, 0, v17
	v_ldexp_f32 v29, v29, v30
	v_ldexp_f32 v18, v18, v30
	v_add_f32_e32 v30, -1.0, v29
	s_waitcnt lgkmcnt(0)
	v_add_f32_e32 v36, 1.0, v29
	v_add_f32_e32 v34, 1.0, v30
	v_add_f32_e32 v37, -1.0, v36
	v_sub_f32_e32 v34, v29, v34
	v_sub_f32_e32 v29, v29, v37
	v_add_f32_e32 v34, v18, v34
	v_add_f32_e32 v18, v18, v29
	;; [unrolled: 1-line block ×3, first 2 shown]
	v_rcp_f32_e32 v37, v29
	v_add_f32_e32 v35, v30, v34
	v_sub_f32_e32 v30, v30, v35
	v_add_f32_e32 v30, v34, v30
	v_sub_f32_e32 v34, v36, v29
	v_add_f32_e32 v18, v18, v34
	v_mul_f32_e32 v34, v35, v37
	v_mul_f32_e32 v36, v29, v34
	v_fma_f32 v38, v34, v29, -v36
	v_fmac_f32_e32 v38, v34, v18
	v_add_f32_e32 v39, v36, v38
	v_sub_f32_e32 v40, v35, v39
	v_sub_f32_e32 v35, v35, v40
	;; [unrolled: 1-line block ×4, first 2 shown]
	v_add_f32_e32 v30, v30, v35
	v_sub_f32_e32 v35, v36, v38
	v_add_f32_e32 v30, v35, v30
	v_add_f32_e32 v35, v40, v30
	v_mul_f32_e32 v36, v37, v35
	v_mul_f32_e32 v38, v29, v36
	v_fma_f32 v29, v36, v29, -v38
	v_fmac_f32_e32 v29, v36, v18
	v_sub_f32_e32 v18, v40, v35
	v_add_f32_e32 v18, v30, v18
	v_add_f32_e32 v30, v38, v29
	v_sub_f32_e32 v39, v35, v30
	v_sub_f32_e32 v35, v35, v39
	v_sub_f32_e32 v38, v30, v38
	v_sub_f32_e32 v30, v35, v30
	v_add_f32_e32 v18, v18, v30
	v_sub_f32_e32 v29, v38, v29
	v_add_f32_e32 v18, v29, v18
	v_add_f32_e32 v29, v34, v36
	;; [unrolled: 1-line block ×3, first 2 shown]
	v_sub_f32_e32 v30, v29, v34
	v_mul_f32_e32 v18, v37, v18
	v_sub_f32_e32 v30, v36, v30
	v_add_f32_e32 v18, v30, v18
	v_cvt_f32_i32_e32 v17, v17
	v_add_f32_e32 v30, v29, v18
	v_mul_f32_e32 v34, v30, v30
	v_mov_b32_e32 v35, 0x3ecc95a3
	v_fmac_f32_e32 v35, 0x3e9b6dac, v34
	v_mov_b32_e32 v36, 0x3f2aaada
	v_fmac_f32_e32 v36, v34, v35
	v_mul_f32_e32 v35, 0x3f317218, v17
	v_fma_f32 v37, v17, s3, -v35
	v_fmac_f32_e32 v37, 0xb102e308, v17
	v_sub_f32_e32 v17, v30, v29
	v_sub_f32_e32 v17, v18, v17
	v_add_f32_e32 v18, v35, v37
	v_sub_f32_e32 v29, v18, v35
	v_ldexp_f32 v35, v30, 1
	v_mul_f32_e32 v30, v30, v34
	v_mul_f32_e32 v30, v30, v36
	v_add_f32_e32 v34, v35, v30
	v_sub_f32_e32 v35, v34, v35
	v_ldexp_f32 v17, v17, 1
	v_sub_f32_e32 v30, v30, v35
	v_add_f32_e32 v17, v17, v30
	v_add_f32_e32 v30, v34, v17
	v_sub_f32_e32 v34, v30, v34
	v_sub_f32_e32 v17, v17, v34
	v_add_f32_e32 v34, v18, v30
	v_sub_f32_e32 v35, v34, v18
	v_sub_f32_e32 v36, v34, v35
	;; [unrolled: 1-line block ×5, first 2 shown]
	v_add_f32_e32 v18, v30, v18
	v_add_f32_e32 v30, v29, v17
	v_sub_f32_e32 v35, v30, v29
	v_sub_f32_e32 v36, v30, v35
	;; [unrolled: 1-line block ×4, first 2 shown]
	v_add_f32_e32 v18, v30, v18
	v_add_f32_e32 v17, v17, v29
	;; [unrolled: 1-line block ×3, first 2 shown]
	v_sub_f32_e32 v30, v29, v34
	v_sub_f32_e32 v18, v18, v30
	v_add_f32_e32 v17, v17, v18
	v_add_f32_e32 v17, v29, v17
	v_cmp_neq_f32_e32 vcc, s2, v5
	s_mov_b32 s2, 0x33800000
	v_cndmask_b32_e32 v17, v27, v17, vcc
	v_cmp_lt_f32_e64 vcc, |v5|, s2
	v_cndmask_b32_e32 v5, v17, v5, vcc
	v_add_f32_e32 v5, v16, v5
.LBB92_294:
	s_or_b64 exec, exec, s[0:1]
	v_max_f32_e32 v16, v5, v5
	v_min_f32_e32 v17, v16, v6
	v_cmp_u_f32_e32 vcc, v5, v5
	v_max_f32_e32 v6, v16, v6
	v_cndmask_b32_e32 v17, v17, v5, vcc
	v_cndmask_b32_e32 v6, v6, v5, vcc
	v_cndmask_b32_e64 v17, v17, v28, s[8:9]
	v_cndmask_b32_e64 v16, v6, v28, s[8:9]
	s_movk_i32 s2, 0x1f8
	v_cmp_neq_f32_e32 vcc, v17, v16
	v_cmp_class_f32_e64 s[0:1], v17, s2
	s_or_b64 s[4:5], vcc, s[0:1]
	v_mov_b32_e32 v6, v5
	s_and_saveexec_b64 s[0:1], s[4:5]
	s_cbranch_execz .LBB92_296
; %bb.295:
	v_sub_f32_e32 v6, v17, v16
	s_mov_b32 s3, 0x3fb8aa3b
	v_mul_f32_e32 v17, 0x3fb8aa3b, v6
	v_fma_f32 v18, v6, s3, -v17
	v_rndne_f32_e32 v27, v17
	v_fmac_f32_e32 v18, 0x32a5705f, v6
	v_sub_f32_e32 v17, v17, v27
	v_add_f32_e32 v17, v17, v18
	v_exp_f32_e32 v17, v17
	v_cvt_i32_f32_e32 v18, v27
	s_mov_b32 s3, 0xc2ce8ed0
	v_cmp_ngt_f32_e32 vcc, s3, v6
	s_mov_b32 s3, 0x42b17218
	v_ldexp_f32 v17, v17, v18
	v_cndmask_b32_e32 v17, 0, v17, vcc
	v_mov_b32_e32 v27, 0x7f800000
	v_cmp_nlt_f32_e32 vcc, s3, v6
	v_cndmask_b32_e32 v6, v27, v17, vcc
	v_add_f32_e32 v28, 1.0, v6
	v_cvt_f64_f32_e32 v[17:18], v28
	v_add_f32_e32 v29, -1.0, v28
	v_sub_f32_e32 v30, v29, v28
	v_sub_f32_e32 v29, v6, v29
	v_frexp_exp_i32_f64_e32 v17, v[17:18]
	v_add_f32_e32 v18, 1.0, v30
	v_add_f32_e32 v18, v29, v18
	v_frexp_mant_f32_e32 v29, v28
	s_mov_b32 s4, 0x3f2aaaab
	v_cmp_gt_f32_e32 vcc, s4, v29
	s_mov_b32 s4, 0x3f317218
	s_mov_b32 s3, 0x7f800000
	v_subbrev_co_u32_e32 v17, vcc, 0, v17, vcc
	v_sub_u32_e32 v29, 0, v17
	v_ldexp_f32 v28, v28, v29
	v_ldexp_f32 v18, v18, v29
	v_add_f32_e32 v29, -1.0, v28
	v_add_f32_e32 v35, 1.0, v28
	v_add_f32_e32 v30, 1.0, v29
	s_waitcnt lgkmcnt(0)
	v_add_f32_e32 v36, -1.0, v35
	v_sub_f32_e32 v30, v28, v30
	v_sub_f32_e32 v28, v28, v36
	v_add_f32_e32 v30, v18, v30
	v_add_f32_e32 v18, v18, v28
	;; [unrolled: 1-line block ×3, first 2 shown]
	v_rcp_f32_e32 v36, v28
	v_add_f32_e32 v34, v29, v30
	v_sub_f32_e32 v29, v29, v34
	v_add_f32_e32 v29, v30, v29
	v_sub_f32_e32 v30, v35, v28
	v_add_f32_e32 v18, v18, v30
	v_mul_f32_e32 v30, v34, v36
	v_mul_f32_e32 v35, v28, v30
	v_fma_f32 v37, v30, v28, -v35
	v_fmac_f32_e32 v37, v30, v18
	v_add_f32_e32 v38, v35, v37
	v_sub_f32_e32 v39, v34, v38
	v_sub_f32_e32 v34, v34, v39
	;; [unrolled: 1-line block ×4, first 2 shown]
	v_add_f32_e32 v29, v29, v34
	v_sub_f32_e32 v34, v35, v37
	v_add_f32_e32 v29, v34, v29
	v_add_f32_e32 v34, v39, v29
	v_mul_f32_e32 v35, v36, v34
	v_mul_f32_e32 v37, v28, v35
	v_fma_f32 v28, v35, v28, -v37
	v_fmac_f32_e32 v28, v35, v18
	v_sub_f32_e32 v18, v39, v34
	v_add_f32_e32 v18, v29, v18
	v_add_f32_e32 v29, v37, v28
	v_sub_f32_e32 v38, v34, v29
	v_sub_f32_e32 v34, v34, v38
	;; [unrolled: 1-line block ×4, first 2 shown]
	v_add_f32_e32 v18, v18, v29
	v_sub_f32_e32 v28, v37, v28
	v_add_f32_e32 v18, v28, v18
	v_add_f32_e32 v28, v30, v35
	;; [unrolled: 1-line block ×3, first 2 shown]
	v_sub_f32_e32 v29, v28, v30
	v_mul_f32_e32 v18, v36, v18
	v_sub_f32_e32 v29, v35, v29
	v_add_f32_e32 v18, v29, v18
	v_cvt_f32_i32_e32 v17, v17
	v_add_f32_e32 v29, v28, v18
	v_mul_f32_e32 v30, v29, v29
	v_mov_b32_e32 v34, 0x3ecc95a3
	v_fmac_f32_e32 v34, 0x3e9b6dac, v30
	v_mov_b32_e32 v35, 0x3f2aaada
	v_fmac_f32_e32 v35, v30, v34
	v_mul_f32_e32 v34, 0x3f317218, v17
	v_fma_f32 v36, v17, s4, -v34
	v_fmac_f32_e32 v36, 0xb102e308, v17
	v_sub_f32_e32 v17, v29, v28
	v_sub_f32_e32 v17, v18, v17
	v_add_f32_e32 v18, v34, v36
	v_sub_f32_e32 v28, v18, v34
	v_ldexp_f32 v34, v29, 1
	v_mul_f32_e32 v29, v29, v30
	v_mul_f32_e32 v29, v29, v35
	v_add_f32_e32 v30, v34, v29
	v_sub_f32_e32 v34, v30, v34
	v_ldexp_f32 v17, v17, 1
	v_sub_f32_e32 v29, v29, v34
	v_add_f32_e32 v17, v17, v29
	v_add_f32_e32 v29, v30, v17
	v_sub_f32_e32 v30, v29, v30
	v_sub_f32_e32 v17, v17, v30
	v_add_f32_e32 v30, v18, v29
	v_sub_f32_e32 v34, v30, v18
	v_sub_f32_e32 v35, v30, v34
	;; [unrolled: 1-line block ×5, first 2 shown]
	v_add_f32_e32 v18, v29, v18
	v_add_f32_e32 v29, v28, v17
	v_sub_f32_e32 v34, v29, v28
	v_sub_f32_e32 v35, v29, v34
	;; [unrolled: 1-line block ×4, first 2 shown]
	v_add_f32_e32 v18, v29, v18
	v_add_f32_e32 v17, v17, v28
	;; [unrolled: 1-line block ×3, first 2 shown]
	v_sub_f32_e32 v29, v28, v30
	v_sub_f32_e32 v18, v18, v29
	v_add_f32_e32 v17, v17, v18
	v_add_f32_e32 v17, v28, v17
	v_cmp_neq_f32_e32 vcc, s3, v6
	s_mov_b32 s3, 0x33800000
	v_cndmask_b32_e32 v17, v27, v17, vcc
	v_cmp_lt_f32_e64 vcc, |v6|, s3
	v_cndmask_b32_e32 v6, v17, v6, vcc
	v_add_f32_e32 v6, v16, v6
.LBB92_296:
	s_or_b64 exec, exec, s[0:1]
	v_max_f32_e32 v16, v6, v6
	v_min_f32_e32 v17, v16, v7
	v_cmp_u_f32_e32 vcc, v6, v6
	v_max_f32_e32 v7, v16, v7
	v_cndmask_b32_e32 v17, v17, v6, vcc
	v_cndmask_b32_e32 v7, v7, v6, vcc
	v_cndmask_b32_e64 v17, v17, v25, s[10:11]
	v_cndmask_b32_e64 v16, v7, v25, s[10:11]
	v_cmp_neq_f32_e32 vcc, v17, v16
	v_cmp_class_f32_e64 s[0:1], v17, s2
	s_or_b64 s[2:3], vcc, s[0:1]
	v_mov_b32_e32 v7, v6
	s_and_saveexec_b64 s[0:1], s[2:3]
	s_cbranch_execz .LBB92_298
; %bb.297:
	v_sub_f32_e32 v7, v17, v16
	s_mov_b32 s2, 0x3fb8aa3b
	v_mul_f32_e32 v17, 0x3fb8aa3b, v7
	v_fma_f32 v18, v7, s2, -v17
	v_rndne_f32_e32 v25, v17
	v_fmac_f32_e32 v18, 0x32a5705f, v7
	v_sub_f32_e32 v17, v17, v25
	v_add_f32_e32 v17, v17, v18
	v_exp_f32_e32 v17, v17
	v_cvt_i32_f32_e32 v18, v25
	s_mov_b32 s2, 0xc2ce8ed0
	v_cmp_ngt_f32_e32 vcc, s2, v7
	s_mov_b32 s2, 0x42b17218
	v_ldexp_f32 v17, v17, v18
	v_cndmask_b32_e32 v17, 0, v17, vcc
	v_mov_b32_e32 v25, 0x7f800000
	v_cmp_nlt_f32_e32 vcc, s2, v7
	v_cndmask_b32_e32 v7, v25, v17, vcc
	v_add_f32_e32 v27, 1.0, v7
	v_cvt_f64_f32_e32 v[17:18], v27
	v_add_f32_e32 v28, -1.0, v27
	v_sub_f32_e32 v29, v28, v27
	v_sub_f32_e32 v28, v7, v28
	v_frexp_exp_i32_f64_e32 v17, v[17:18]
	v_add_f32_e32 v18, 1.0, v29
	v_add_f32_e32 v18, v28, v18
	v_frexp_mant_f32_e32 v28, v27
	s_mov_b32 s3, 0x3f2aaaab
	v_cmp_gt_f32_e32 vcc, s3, v28
	s_mov_b32 s3, 0x3f317218
	s_mov_b32 s2, 0x7f800000
	v_subbrev_co_u32_e32 v17, vcc, 0, v17, vcc
	v_sub_u32_e32 v28, 0, v17
	v_ldexp_f32 v27, v27, v28
	v_ldexp_f32 v18, v18, v28
	v_add_f32_e32 v28, -1.0, v27
	v_add_f32_e32 v34, 1.0, v27
	v_add_f32_e32 v29, 1.0, v28
	v_add_f32_e32 v35, -1.0, v34
	v_sub_f32_e32 v29, v27, v29
	v_sub_f32_e32 v27, v27, v35
	v_add_f32_e32 v29, v18, v29
	v_add_f32_e32 v18, v18, v27
	;; [unrolled: 1-line block ×3, first 2 shown]
	v_rcp_f32_e32 v35, v27
	v_add_f32_e32 v30, v28, v29
	v_sub_f32_e32 v28, v28, v30
	v_add_f32_e32 v28, v29, v28
	v_sub_f32_e32 v29, v34, v27
	v_add_f32_e32 v18, v18, v29
	v_mul_f32_e32 v29, v30, v35
	v_mul_f32_e32 v34, v27, v29
	s_waitcnt lgkmcnt(0)
	v_fma_f32 v36, v29, v27, -v34
	v_fmac_f32_e32 v36, v29, v18
	v_add_f32_e32 v37, v34, v36
	v_sub_f32_e32 v38, v30, v37
	v_sub_f32_e32 v30, v30, v38
	;; [unrolled: 1-line block ×4, first 2 shown]
	v_add_f32_e32 v28, v28, v30
	v_sub_f32_e32 v30, v34, v36
	v_add_f32_e32 v28, v30, v28
	v_add_f32_e32 v30, v38, v28
	v_mul_f32_e32 v34, v35, v30
	v_mul_f32_e32 v36, v27, v34
	v_fma_f32 v27, v34, v27, -v36
	v_fmac_f32_e32 v27, v34, v18
	v_sub_f32_e32 v18, v38, v30
	v_add_f32_e32 v18, v28, v18
	v_add_f32_e32 v28, v36, v27
	v_sub_f32_e32 v37, v30, v28
	v_sub_f32_e32 v30, v30, v37
	;; [unrolled: 1-line block ×4, first 2 shown]
	v_add_f32_e32 v18, v18, v28
	v_sub_f32_e32 v27, v36, v27
	v_add_f32_e32 v18, v27, v18
	v_add_f32_e32 v27, v29, v34
	v_add_f32_e32 v18, v37, v18
	v_sub_f32_e32 v28, v27, v29
	v_mul_f32_e32 v18, v35, v18
	v_sub_f32_e32 v28, v34, v28
	v_add_f32_e32 v18, v28, v18
	v_cvt_f32_i32_e32 v17, v17
	v_add_f32_e32 v28, v27, v18
	v_mul_f32_e32 v29, v28, v28
	v_mov_b32_e32 v30, 0x3ecc95a3
	v_fmac_f32_e32 v30, 0x3e9b6dac, v29
	v_mov_b32_e32 v34, 0x3f2aaada
	v_fmac_f32_e32 v34, v29, v30
	v_mul_f32_e32 v30, 0x3f317218, v17
	v_fma_f32 v35, v17, s3, -v30
	v_fmac_f32_e32 v35, 0xb102e308, v17
	v_sub_f32_e32 v17, v28, v27
	v_sub_f32_e32 v17, v18, v17
	v_add_f32_e32 v18, v30, v35
	v_sub_f32_e32 v27, v18, v30
	v_ldexp_f32 v30, v28, 1
	v_mul_f32_e32 v28, v28, v29
	v_mul_f32_e32 v28, v28, v34
	v_add_f32_e32 v29, v30, v28
	v_sub_f32_e32 v30, v29, v30
	v_ldexp_f32 v17, v17, 1
	v_sub_f32_e32 v28, v28, v30
	v_add_f32_e32 v17, v17, v28
	v_add_f32_e32 v28, v29, v17
	v_sub_f32_e32 v29, v28, v29
	v_sub_f32_e32 v17, v17, v29
	v_add_f32_e32 v29, v18, v28
	v_sub_f32_e32 v30, v29, v18
	v_sub_f32_e32 v34, v29, v30
	;; [unrolled: 1-line block ×5, first 2 shown]
	v_add_f32_e32 v18, v28, v18
	v_add_f32_e32 v28, v27, v17
	v_sub_f32_e32 v30, v28, v27
	v_sub_f32_e32 v34, v28, v30
	;; [unrolled: 1-line block ×4, first 2 shown]
	v_add_f32_e32 v18, v28, v18
	v_add_f32_e32 v17, v17, v27
	;; [unrolled: 1-line block ×3, first 2 shown]
	v_sub_f32_e32 v28, v27, v29
	v_sub_f32_e32 v18, v18, v28
	v_add_f32_e32 v17, v17, v18
	v_add_f32_e32 v17, v27, v17
	v_cmp_neq_f32_e32 vcc, s2, v7
	s_mov_b32 s2, 0x33800000
	v_cndmask_b32_e32 v17, v25, v17, vcc
	v_cmp_lt_f32_e64 vcc, |v7|, s2
	v_cndmask_b32_e32 v7, v17, v7, vcc
	v_add_f32_e32 v7, v16, v7
.LBB92_298:
	s_or_b64 exec, exec, s[0:1]
	v_max_f32_e32 v16, v7, v7
	v_min_f32_e32 v17, v16, v8
	v_cmp_u_f32_e32 vcc, v7, v7
	v_max_f32_e32 v8, v16, v8
	v_cndmask_b32_e32 v17, v17, v7, vcc
	v_cndmask_b32_e32 v8, v8, v7, vcc
	v_cndmask_b32_e64 v17, v17, v26, s[12:13]
	v_cndmask_b32_e64 v16, v8, v26, s[12:13]
	s_movk_i32 s2, 0x1f8
	v_cmp_neq_f32_e32 vcc, v17, v16
	v_cmp_class_f32_e64 s[0:1], v17, s2
	s_or_b64 s[4:5], vcc, s[0:1]
	v_mov_b32_e32 v8, v7
	s_and_saveexec_b64 s[0:1], s[4:5]
	s_cbranch_execz .LBB92_300
; %bb.299:
	v_sub_f32_e32 v8, v17, v16
	s_mov_b32 s3, 0x3fb8aa3b
	v_mul_f32_e32 v17, 0x3fb8aa3b, v8
	v_fma_f32 v18, v8, s3, -v17
	v_rndne_f32_e32 v25, v17
	v_fmac_f32_e32 v18, 0x32a5705f, v8
	v_sub_f32_e32 v17, v17, v25
	v_add_f32_e32 v17, v17, v18
	v_exp_f32_e32 v17, v17
	v_cvt_i32_f32_e32 v18, v25
	s_mov_b32 s3, 0xc2ce8ed0
	v_cmp_ngt_f32_e32 vcc, s3, v8
	s_mov_b32 s3, 0x42b17218
	v_ldexp_f32 v17, v17, v18
	v_cndmask_b32_e32 v17, 0, v17, vcc
	v_mov_b32_e32 v25, 0x7f800000
	v_cmp_nlt_f32_e32 vcc, s3, v8
	v_cndmask_b32_e32 v8, v25, v17, vcc
	v_add_f32_e32 v26, 1.0, v8
	v_cvt_f64_f32_e32 v[17:18], v26
	v_add_f32_e32 v27, -1.0, v26
	v_sub_f32_e32 v28, v27, v26
	v_sub_f32_e32 v27, v8, v27
	v_frexp_exp_i32_f64_e32 v17, v[17:18]
	v_add_f32_e32 v18, 1.0, v28
	v_add_f32_e32 v18, v27, v18
	v_frexp_mant_f32_e32 v27, v26
	s_mov_b32 s4, 0x3f2aaaab
	v_cmp_gt_f32_e32 vcc, s4, v27
	s_mov_b32 s4, 0x3f317218
	s_mov_b32 s3, 0x7f800000
	v_subbrev_co_u32_e32 v17, vcc, 0, v17, vcc
	v_sub_u32_e32 v27, 0, v17
	v_ldexp_f32 v26, v26, v27
	v_ldexp_f32 v18, v18, v27
	v_add_f32_e32 v27, -1.0, v26
	v_add_f32_e32 v30, 1.0, v26
	v_add_f32_e32 v28, 1.0, v27
	v_add_f32_e32 v34, -1.0, v30
	v_sub_f32_e32 v28, v26, v28
	v_sub_f32_e32 v26, v26, v34
	v_add_f32_e32 v28, v18, v28
	v_add_f32_e32 v18, v18, v26
	;; [unrolled: 1-line block ×3, first 2 shown]
	v_rcp_f32_e32 v34, v26
	v_add_f32_e32 v29, v27, v28
	v_sub_f32_e32 v27, v27, v29
	v_add_f32_e32 v27, v28, v27
	v_sub_f32_e32 v28, v30, v26
	v_add_f32_e32 v18, v18, v28
	v_mul_f32_e32 v28, v29, v34
	v_mul_f32_e32 v30, v26, v28
	v_fma_f32 v35, v28, v26, -v30
	v_fmac_f32_e32 v35, v28, v18
	s_waitcnt lgkmcnt(0)
	v_add_f32_e32 v36, v30, v35
	v_sub_f32_e32 v37, v29, v36
	v_sub_f32_e32 v29, v29, v37
	;; [unrolled: 1-line block ×4, first 2 shown]
	v_add_f32_e32 v27, v27, v29
	v_sub_f32_e32 v29, v30, v35
	v_add_f32_e32 v27, v29, v27
	v_add_f32_e32 v29, v37, v27
	v_mul_f32_e32 v30, v34, v29
	v_mul_f32_e32 v35, v26, v30
	v_fma_f32 v26, v30, v26, -v35
	v_fmac_f32_e32 v26, v30, v18
	v_sub_f32_e32 v18, v37, v29
	v_add_f32_e32 v18, v27, v18
	v_add_f32_e32 v27, v35, v26
	v_sub_f32_e32 v36, v29, v27
	v_sub_f32_e32 v29, v29, v36
	;; [unrolled: 1-line block ×4, first 2 shown]
	v_add_f32_e32 v18, v18, v27
	v_sub_f32_e32 v26, v35, v26
	v_add_f32_e32 v18, v26, v18
	v_add_f32_e32 v26, v28, v30
	;; [unrolled: 1-line block ×3, first 2 shown]
	v_sub_f32_e32 v27, v26, v28
	v_mul_f32_e32 v18, v34, v18
	v_sub_f32_e32 v27, v30, v27
	v_add_f32_e32 v18, v27, v18
	v_cvt_f32_i32_e32 v17, v17
	v_add_f32_e32 v27, v26, v18
	v_mul_f32_e32 v28, v27, v27
	v_mov_b32_e32 v29, 0x3ecc95a3
	v_fmac_f32_e32 v29, 0x3e9b6dac, v28
	v_mov_b32_e32 v30, 0x3f2aaada
	v_fmac_f32_e32 v30, v28, v29
	v_mul_f32_e32 v29, 0x3f317218, v17
	v_fma_f32 v34, v17, s4, -v29
	v_fmac_f32_e32 v34, 0xb102e308, v17
	v_sub_f32_e32 v17, v27, v26
	v_sub_f32_e32 v17, v18, v17
	v_add_f32_e32 v18, v29, v34
	v_sub_f32_e32 v26, v18, v29
	v_ldexp_f32 v29, v27, 1
	v_mul_f32_e32 v27, v27, v28
	v_mul_f32_e32 v27, v27, v30
	v_add_f32_e32 v28, v29, v27
	v_sub_f32_e32 v29, v28, v29
	v_ldexp_f32 v17, v17, 1
	v_sub_f32_e32 v27, v27, v29
	v_add_f32_e32 v17, v17, v27
	v_add_f32_e32 v27, v28, v17
	v_sub_f32_e32 v28, v27, v28
	v_sub_f32_e32 v17, v17, v28
	v_add_f32_e32 v28, v18, v27
	v_sub_f32_e32 v29, v28, v18
	v_sub_f32_e32 v30, v28, v29
	;; [unrolled: 1-line block ×5, first 2 shown]
	v_add_f32_e32 v18, v27, v18
	v_add_f32_e32 v27, v26, v17
	v_sub_f32_e32 v29, v27, v26
	v_sub_f32_e32 v30, v27, v29
	;; [unrolled: 1-line block ×4, first 2 shown]
	v_add_f32_e32 v18, v27, v18
	v_add_f32_e32 v17, v17, v26
	v_add_f32_e32 v26, v28, v18
	v_sub_f32_e32 v27, v26, v28
	v_sub_f32_e32 v18, v18, v27
	v_add_f32_e32 v17, v17, v18
	v_add_f32_e32 v17, v26, v17
	v_cmp_neq_f32_e32 vcc, s3, v8
	s_mov_b32 s3, 0x33800000
	v_cndmask_b32_e32 v17, v25, v17, vcc
	v_cmp_lt_f32_e64 vcc, |v8|, s3
	v_cndmask_b32_e32 v8, v17, v8, vcc
	v_add_f32_e32 v8, v16, v8
.LBB92_300:
	s_or_b64 exec, exec, s[0:1]
	v_max_f32_e32 v16, v8, v8
	v_min_f32_e32 v17, v16, v9
	v_cmp_u_f32_e32 vcc, v8, v8
	v_max_f32_e32 v9, v16, v9
	v_cndmask_b32_e32 v17, v17, v8, vcc
	v_cndmask_b32_e32 v9, v9, v8, vcc
	v_cndmask_b32_e64 v17, v17, v23, s[14:15]
	v_cndmask_b32_e64 v16, v9, v23, s[14:15]
	v_cmp_neq_f32_e32 vcc, v17, v16
	v_cmp_class_f32_e64 s[0:1], v17, s2
	s_or_b64 s[2:3], vcc, s[0:1]
	v_mov_b32_e32 v9, v8
	s_and_saveexec_b64 s[0:1], s[2:3]
	s_cbranch_execz .LBB92_302
; %bb.301:
	v_sub_f32_e32 v9, v17, v16
	s_mov_b32 s2, 0x3fb8aa3b
	v_mul_f32_e32 v17, 0x3fb8aa3b, v9
	v_fma_f32 v18, v9, s2, -v17
	v_rndne_f32_e32 v23, v17
	v_fmac_f32_e32 v18, 0x32a5705f, v9
	v_sub_f32_e32 v17, v17, v23
	v_add_f32_e32 v17, v17, v18
	v_exp_f32_e32 v17, v17
	v_cvt_i32_f32_e32 v18, v23
	s_mov_b32 s2, 0xc2ce8ed0
	v_cmp_ngt_f32_e32 vcc, s2, v9
	s_mov_b32 s2, 0x42b17218
	v_ldexp_f32 v17, v17, v18
	v_cndmask_b32_e32 v17, 0, v17, vcc
	v_mov_b32_e32 v23, 0x7f800000
	v_cmp_nlt_f32_e32 vcc, s2, v9
	v_cndmask_b32_e32 v9, v23, v17, vcc
	v_add_f32_e32 v25, 1.0, v9
	v_cvt_f64_f32_e32 v[17:18], v25
	v_add_f32_e32 v26, -1.0, v25
	v_sub_f32_e32 v27, v26, v25
	v_sub_f32_e32 v26, v9, v26
	v_frexp_exp_i32_f64_e32 v17, v[17:18]
	v_add_f32_e32 v18, 1.0, v27
	v_add_f32_e32 v18, v26, v18
	v_frexp_mant_f32_e32 v26, v25
	s_mov_b32 s3, 0x3f2aaaab
	v_cmp_gt_f32_e32 vcc, s3, v26
	s_mov_b32 s3, 0x3f317218
	s_mov_b32 s2, 0x7f800000
	v_subbrev_co_u32_e32 v17, vcc, 0, v17, vcc
	v_sub_u32_e32 v26, 0, v17
	v_ldexp_f32 v25, v25, v26
	v_ldexp_f32 v18, v18, v26
	v_add_f32_e32 v26, -1.0, v25
	v_add_f32_e32 v29, 1.0, v25
	v_add_f32_e32 v27, 1.0, v26
	v_add_f32_e32 v30, -1.0, v29
	v_sub_f32_e32 v27, v25, v27
	v_sub_f32_e32 v25, v25, v30
	v_add_f32_e32 v27, v18, v27
	v_add_f32_e32 v18, v18, v25
	;; [unrolled: 1-line block ×3, first 2 shown]
	v_rcp_f32_e32 v30, v25
	v_add_f32_e32 v28, v26, v27
	v_sub_f32_e32 v26, v26, v28
	v_add_f32_e32 v26, v27, v26
	v_sub_f32_e32 v27, v29, v25
	v_add_f32_e32 v18, v18, v27
	v_mul_f32_e32 v27, v28, v30
	v_mul_f32_e32 v29, v25, v27
	v_fma_f32 v34, v27, v25, -v29
	v_fmac_f32_e32 v34, v27, v18
	v_add_f32_e32 v35, v29, v34
	s_waitcnt lgkmcnt(0)
	v_sub_f32_e32 v36, v28, v35
	v_sub_f32_e32 v28, v28, v36
	;; [unrolled: 1-line block ×4, first 2 shown]
	v_add_f32_e32 v26, v26, v28
	v_sub_f32_e32 v28, v29, v34
	v_add_f32_e32 v26, v28, v26
	v_add_f32_e32 v28, v36, v26
	v_mul_f32_e32 v29, v30, v28
	v_mul_f32_e32 v34, v25, v29
	v_fma_f32 v25, v29, v25, -v34
	v_fmac_f32_e32 v25, v29, v18
	v_sub_f32_e32 v18, v36, v28
	v_add_f32_e32 v18, v26, v18
	v_add_f32_e32 v26, v34, v25
	v_sub_f32_e32 v35, v28, v26
	v_sub_f32_e32 v28, v28, v35
	;; [unrolled: 1-line block ×4, first 2 shown]
	v_add_f32_e32 v18, v18, v26
	v_sub_f32_e32 v25, v34, v25
	v_add_f32_e32 v18, v25, v18
	v_add_f32_e32 v25, v27, v29
	;; [unrolled: 1-line block ×3, first 2 shown]
	v_sub_f32_e32 v26, v25, v27
	v_mul_f32_e32 v18, v30, v18
	v_sub_f32_e32 v26, v29, v26
	v_add_f32_e32 v18, v26, v18
	v_cvt_f32_i32_e32 v17, v17
	v_add_f32_e32 v26, v25, v18
	v_mul_f32_e32 v27, v26, v26
	v_mov_b32_e32 v28, 0x3ecc95a3
	v_fmac_f32_e32 v28, 0x3e9b6dac, v27
	v_mov_b32_e32 v29, 0x3f2aaada
	v_fmac_f32_e32 v29, v27, v28
	v_mul_f32_e32 v28, 0x3f317218, v17
	v_fma_f32 v30, v17, s3, -v28
	v_fmac_f32_e32 v30, 0xb102e308, v17
	v_sub_f32_e32 v17, v26, v25
	v_sub_f32_e32 v17, v18, v17
	v_add_f32_e32 v18, v28, v30
	v_sub_f32_e32 v25, v18, v28
	v_ldexp_f32 v28, v26, 1
	v_mul_f32_e32 v26, v26, v27
	v_mul_f32_e32 v26, v26, v29
	v_add_f32_e32 v27, v28, v26
	v_sub_f32_e32 v28, v27, v28
	v_ldexp_f32 v17, v17, 1
	v_sub_f32_e32 v26, v26, v28
	v_add_f32_e32 v17, v17, v26
	v_add_f32_e32 v26, v27, v17
	v_sub_f32_e32 v27, v26, v27
	v_sub_f32_e32 v17, v17, v27
	v_add_f32_e32 v27, v18, v26
	v_sub_f32_e32 v28, v27, v18
	v_sub_f32_e32 v29, v27, v28
	;; [unrolled: 1-line block ×5, first 2 shown]
	v_add_f32_e32 v18, v26, v18
	v_add_f32_e32 v26, v25, v17
	v_sub_f32_e32 v28, v26, v25
	v_sub_f32_e32 v29, v26, v28
	;; [unrolled: 1-line block ×4, first 2 shown]
	v_add_f32_e32 v18, v26, v18
	v_add_f32_e32 v17, v17, v25
	v_add_f32_e32 v25, v27, v18
	v_sub_f32_e32 v26, v25, v27
	v_sub_f32_e32 v18, v18, v26
	v_add_f32_e32 v17, v17, v18
	v_add_f32_e32 v17, v25, v17
	v_cmp_neq_f32_e32 vcc, s2, v9
	s_mov_b32 s2, 0x33800000
	v_cndmask_b32_e32 v17, v23, v17, vcc
	v_cmp_lt_f32_e64 vcc, |v9|, s2
	v_cndmask_b32_e32 v9, v17, v9, vcc
	v_add_f32_e32 v9, v16, v9
.LBB92_302:
	s_or_b64 exec, exec, s[0:1]
	v_max_f32_e32 v16, v9, v9
	v_min_f32_e32 v17, v16, v10
	v_cmp_u_f32_e32 vcc, v9, v9
	v_max_f32_e32 v10, v16, v10
	v_cndmask_b32_e32 v17, v17, v9, vcc
	v_cndmask_b32_e32 v10, v10, v9, vcc
	v_cndmask_b32_e64 v17, v17, v24, s[16:17]
	v_cndmask_b32_e64 v16, v10, v24, s[16:17]
	s_movk_i32 s2, 0x1f8
	v_cmp_neq_f32_e32 vcc, v17, v16
	v_cmp_class_f32_e64 s[0:1], v17, s2
	s_or_b64 s[4:5], vcc, s[0:1]
	v_mov_b32_e32 v10, v9
	s_and_saveexec_b64 s[0:1], s[4:5]
	s_cbranch_execz .LBB92_304
; %bb.303:
	v_sub_f32_e32 v10, v17, v16
	s_mov_b32 s3, 0x3fb8aa3b
	v_mul_f32_e32 v17, 0x3fb8aa3b, v10
	v_fma_f32 v18, v10, s3, -v17
	v_rndne_f32_e32 v23, v17
	v_fmac_f32_e32 v18, 0x32a5705f, v10
	v_sub_f32_e32 v17, v17, v23
	v_add_f32_e32 v17, v17, v18
	v_exp_f32_e32 v17, v17
	v_cvt_i32_f32_e32 v18, v23
	s_mov_b32 s3, 0xc2ce8ed0
	v_cmp_ngt_f32_e32 vcc, s3, v10
	s_mov_b32 s3, 0x42b17218
	v_ldexp_f32 v17, v17, v18
	v_cndmask_b32_e32 v17, 0, v17, vcc
	v_mov_b32_e32 v23, 0x7f800000
	v_cmp_nlt_f32_e32 vcc, s3, v10
	v_cndmask_b32_e32 v10, v23, v17, vcc
	v_add_f32_e32 v24, 1.0, v10
	v_cvt_f64_f32_e32 v[17:18], v24
	v_add_f32_e32 v25, -1.0, v24
	v_sub_f32_e32 v26, v25, v24
	v_sub_f32_e32 v25, v10, v25
	v_frexp_exp_i32_f64_e32 v17, v[17:18]
	v_add_f32_e32 v18, 1.0, v26
	v_add_f32_e32 v18, v25, v18
	v_frexp_mant_f32_e32 v25, v24
	s_mov_b32 s4, 0x3f2aaaab
	v_cmp_gt_f32_e32 vcc, s4, v25
	s_mov_b32 s4, 0x3f317218
	s_mov_b32 s3, 0x7f800000
	v_subbrev_co_u32_e32 v17, vcc, 0, v17, vcc
	v_sub_u32_e32 v25, 0, v17
	v_ldexp_f32 v24, v24, v25
	v_ldexp_f32 v18, v18, v25
	v_add_f32_e32 v25, -1.0, v24
	v_add_f32_e32 v28, 1.0, v24
	v_add_f32_e32 v26, 1.0, v25
	v_add_f32_e32 v29, -1.0, v28
	v_sub_f32_e32 v26, v24, v26
	v_sub_f32_e32 v24, v24, v29
	v_add_f32_e32 v26, v18, v26
	v_add_f32_e32 v18, v18, v24
	;; [unrolled: 1-line block ×3, first 2 shown]
	v_rcp_f32_e32 v29, v24
	v_add_f32_e32 v27, v25, v26
	v_sub_f32_e32 v25, v25, v27
	v_add_f32_e32 v25, v26, v25
	v_sub_f32_e32 v26, v28, v24
	v_add_f32_e32 v18, v18, v26
	v_mul_f32_e32 v26, v27, v29
	v_mul_f32_e32 v28, v24, v26
	v_fma_f32 v30, v26, v24, -v28
	v_fmac_f32_e32 v30, v26, v18
	v_add_f32_e32 v34, v28, v30
	v_sub_f32_e32 v35, v27, v34
	v_sub_f32_e32 v27, v27, v35
	;; [unrolled: 1-line block ×4, first 2 shown]
	v_add_f32_e32 v25, v25, v27
	v_sub_f32_e32 v27, v28, v30
	v_add_f32_e32 v25, v27, v25
	v_add_f32_e32 v27, v35, v25
	v_mul_f32_e32 v28, v29, v27
	v_mul_f32_e32 v30, v24, v28
	v_fma_f32 v24, v28, v24, -v30
	v_fmac_f32_e32 v24, v28, v18
	v_sub_f32_e32 v18, v35, v27
	v_add_f32_e32 v18, v25, v18
	v_add_f32_e32 v25, v30, v24
	v_sub_f32_e32 v34, v27, v25
	v_sub_f32_e32 v27, v27, v34
	;; [unrolled: 1-line block ×4, first 2 shown]
	v_add_f32_e32 v18, v18, v25
	v_sub_f32_e32 v24, v30, v24
	v_add_f32_e32 v18, v24, v18
	v_add_f32_e32 v24, v26, v28
	;; [unrolled: 1-line block ×3, first 2 shown]
	v_sub_f32_e32 v25, v24, v26
	v_mul_f32_e32 v18, v29, v18
	v_sub_f32_e32 v25, v28, v25
	v_add_f32_e32 v18, v25, v18
	v_cvt_f32_i32_e32 v17, v17
	v_add_f32_e32 v25, v24, v18
	v_mul_f32_e32 v26, v25, v25
	v_mov_b32_e32 v27, 0x3ecc95a3
	v_fmac_f32_e32 v27, 0x3e9b6dac, v26
	v_mov_b32_e32 v28, 0x3f2aaada
	v_fmac_f32_e32 v28, v26, v27
	v_mul_f32_e32 v27, 0x3f317218, v17
	v_fma_f32 v29, v17, s4, -v27
	v_fmac_f32_e32 v29, 0xb102e308, v17
	v_sub_f32_e32 v17, v25, v24
	v_sub_f32_e32 v17, v18, v17
	v_add_f32_e32 v18, v27, v29
	v_sub_f32_e32 v24, v18, v27
	v_ldexp_f32 v27, v25, 1
	v_mul_f32_e32 v25, v25, v26
	v_mul_f32_e32 v25, v25, v28
	v_add_f32_e32 v26, v27, v25
	v_sub_f32_e32 v27, v26, v27
	v_ldexp_f32 v17, v17, 1
	v_sub_f32_e32 v25, v25, v27
	v_add_f32_e32 v17, v17, v25
	v_add_f32_e32 v25, v26, v17
	v_sub_f32_e32 v26, v25, v26
	v_sub_f32_e32 v17, v17, v26
	v_add_f32_e32 v26, v18, v25
	v_sub_f32_e32 v27, v26, v18
	v_sub_f32_e32 v28, v26, v27
	;; [unrolled: 1-line block ×5, first 2 shown]
	v_add_f32_e32 v18, v25, v18
	v_add_f32_e32 v25, v24, v17
	v_sub_f32_e32 v27, v25, v24
	v_sub_f32_e32 v28, v25, v27
	;; [unrolled: 1-line block ×4, first 2 shown]
	v_add_f32_e32 v18, v25, v18
	v_add_f32_e32 v17, v17, v24
	;; [unrolled: 1-line block ×3, first 2 shown]
	v_sub_f32_e32 v25, v24, v26
	v_sub_f32_e32 v18, v18, v25
	v_add_f32_e32 v17, v17, v18
	v_add_f32_e32 v17, v24, v17
	v_cmp_neq_f32_e32 vcc, s3, v10
	s_mov_b32 s3, 0x33800000
	v_cndmask_b32_e32 v17, v23, v17, vcc
	v_cmp_lt_f32_e64 vcc, |v10|, s3
	v_cndmask_b32_e32 v10, v17, v10, vcc
	v_add_f32_e32 v10, v16, v10
.LBB92_304:
	s_or_b64 exec, exec, s[0:1]
	v_max_f32_e32 v16, v10, v10
	v_min_f32_e32 v17, v16, v11
	v_cmp_u_f32_e32 vcc, v10, v10
	v_max_f32_e32 v11, v16, v11
	v_cndmask_b32_e32 v17, v17, v10, vcc
	v_cndmask_b32_e32 v11, v11, v10, vcc
	v_cndmask_b32_e64 v17, v17, v21, s[18:19]
	v_cndmask_b32_e64 v16, v11, v21, s[18:19]
	v_cmp_neq_f32_e32 vcc, v17, v16
	v_cmp_class_f32_e64 s[0:1], v17, s2
	s_or_b64 s[2:3], vcc, s[0:1]
	v_mov_b32_e32 v11, v10
	s_and_saveexec_b64 s[0:1], s[2:3]
	s_cbranch_execz .LBB92_306
; %bb.305:
	v_sub_f32_e32 v11, v17, v16
	s_mov_b32 s2, 0x3fb8aa3b
	v_mul_f32_e32 v17, 0x3fb8aa3b, v11
	v_fma_f32 v18, v11, s2, -v17
	v_rndne_f32_e32 v21, v17
	v_fmac_f32_e32 v18, 0x32a5705f, v11
	v_sub_f32_e32 v17, v17, v21
	v_add_f32_e32 v17, v17, v18
	v_exp_f32_e32 v17, v17
	v_cvt_i32_f32_e32 v18, v21
	s_mov_b32 s2, 0xc2ce8ed0
	v_cmp_ngt_f32_e32 vcc, s2, v11
	s_mov_b32 s2, 0x42b17218
	v_ldexp_f32 v17, v17, v18
	v_cndmask_b32_e32 v17, 0, v17, vcc
	v_mov_b32_e32 v21, 0x7f800000
	v_cmp_nlt_f32_e32 vcc, s2, v11
	v_cndmask_b32_e32 v11, v21, v17, vcc
	v_add_f32_e32 v23, 1.0, v11
	v_cvt_f64_f32_e32 v[17:18], v23
	v_add_f32_e32 v24, -1.0, v23
	v_sub_f32_e32 v25, v24, v23
	v_sub_f32_e32 v24, v11, v24
	v_frexp_exp_i32_f64_e32 v17, v[17:18]
	v_add_f32_e32 v18, 1.0, v25
	v_add_f32_e32 v18, v24, v18
	v_frexp_mant_f32_e32 v24, v23
	s_mov_b32 s3, 0x3f2aaaab
	v_cmp_gt_f32_e32 vcc, s3, v24
	s_mov_b32 s3, 0x3f317218
	s_mov_b32 s2, 0x7f800000
	v_subbrev_co_u32_e32 v17, vcc, 0, v17, vcc
	v_sub_u32_e32 v24, 0, v17
	v_ldexp_f32 v23, v23, v24
	v_ldexp_f32 v18, v18, v24
	v_add_f32_e32 v24, -1.0, v23
	v_add_f32_e32 v27, 1.0, v23
	v_add_f32_e32 v25, 1.0, v24
	v_add_f32_e32 v28, -1.0, v27
	v_sub_f32_e32 v25, v23, v25
	v_sub_f32_e32 v23, v23, v28
	v_add_f32_e32 v25, v18, v25
	v_add_f32_e32 v18, v18, v23
	;; [unrolled: 1-line block ×3, first 2 shown]
	v_rcp_f32_e32 v28, v23
	v_add_f32_e32 v26, v24, v25
	v_sub_f32_e32 v24, v24, v26
	v_add_f32_e32 v24, v25, v24
	v_sub_f32_e32 v25, v27, v23
	v_add_f32_e32 v18, v18, v25
	v_mul_f32_e32 v25, v26, v28
	v_mul_f32_e32 v27, v23, v25
	v_fma_f32 v29, v25, v23, -v27
	v_fmac_f32_e32 v29, v25, v18
	v_add_f32_e32 v30, v27, v29
	v_sub_f32_e32 v34, v26, v30
	v_sub_f32_e32 v26, v26, v34
	;; [unrolled: 1-line block ×4, first 2 shown]
	v_add_f32_e32 v24, v24, v26
	v_sub_f32_e32 v26, v27, v29
	v_add_f32_e32 v24, v26, v24
	v_add_f32_e32 v26, v34, v24
	v_mul_f32_e32 v27, v28, v26
	v_mul_f32_e32 v29, v23, v27
	v_fma_f32 v23, v27, v23, -v29
	v_fmac_f32_e32 v23, v27, v18
	v_sub_f32_e32 v18, v34, v26
	v_add_f32_e32 v18, v24, v18
	v_add_f32_e32 v24, v29, v23
	v_sub_f32_e32 v30, v26, v24
	v_sub_f32_e32 v26, v26, v30
	;; [unrolled: 1-line block ×4, first 2 shown]
	v_add_f32_e32 v18, v18, v24
	v_sub_f32_e32 v23, v29, v23
	v_add_f32_e32 v18, v23, v18
	v_add_f32_e32 v23, v25, v27
	;; [unrolled: 1-line block ×3, first 2 shown]
	v_sub_f32_e32 v24, v23, v25
	v_mul_f32_e32 v18, v28, v18
	v_sub_f32_e32 v24, v27, v24
	v_add_f32_e32 v18, v24, v18
	v_cvt_f32_i32_e32 v17, v17
	v_add_f32_e32 v24, v23, v18
	v_mul_f32_e32 v25, v24, v24
	v_mov_b32_e32 v26, 0x3ecc95a3
	v_fmac_f32_e32 v26, 0x3e9b6dac, v25
	v_mov_b32_e32 v27, 0x3f2aaada
	v_fmac_f32_e32 v27, v25, v26
	v_mul_f32_e32 v26, 0x3f317218, v17
	v_fma_f32 v28, v17, s3, -v26
	v_fmac_f32_e32 v28, 0xb102e308, v17
	v_sub_f32_e32 v17, v24, v23
	v_sub_f32_e32 v17, v18, v17
	v_add_f32_e32 v18, v26, v28
	v_sub_f32_e32 v23, v18, v26
	v_ldexp_f32 v26, v24, 1
	v_mul_f32_e32 v24, v24, v25
	v_mul_f32_e32 v24, v24, v27
	v_add_f32_e32 v25, v26, v24
	v_sub_f32_e32 v26, v25, v26
	v_ldexp_f32 v17, v17, 1
	v_sub_f32_e32 v24, v24, v26
	v_add_f32_e32 v17, v17, v24
	v_add_f32_e32 v24, v25, v17
	v_sub_f32_e32 v25, v24, v25
	v_sub_f32_e32 v17, v17, v25
	v_add_f32_e32 v25, v18, v24
	v_sub_f32_e32 v26, v25, v18
	v_sub_f32_e32 v27, v25, v26
	;; [unrolled: 1-line block ×5, first 2 shown]
	v_add_f32_e32 v18, v24, v18
	v_add_f32_e32 v24, v23, v17
	v_sub_f32_e32 v26, v24, v23
	v_sub_f32_e32 v27, v24, v26
	;; [unrolled: 1-line block ×4, first 2 shown]
	v_add_f32_e32 v18, v24, v18
	v_add_f32_e32 v17, v17, v23
	;; [unrolled: 1-line block ×3, first 2 shown]
	v_sub_f32_e32 v24, v23, v25
	v_sub_f32_e32 v18, v18, v24
	v_add_f32_e32 v17, v17, v18
	v_add_f32_e32 v17, v23, v17
	v_cmp_neq_f32_e32 vcc, s2, v11
	s_mov_b32 s2, 0x33800000
	v_cndmask_b32_e32 v17, v21, v17, vcc
	v_cmp_lt_f32_e64 vcc, |v11|, s2
	v_cndmask_b32_e32 v11, v17, v11, vcc
	v_add_f32_e32 v11, v16, v11
.LBB92_306:
	s_or_b64 exec, exec, s[0:1]
	v_max_f32_e32 v16, v11, v11
	v_min_f32_e32 v17, v16, v12
	v_cmp_u_f32_e32 vcc, v11, v11
	v_max_f32_e32 v12, v16, v12
	v_cndmask_b32_e32 v17, v17, v11, vcc
	v_cndmask_b32_e32 v12, v12, v11, vcc
	v_cndmask_b32_e64 v17, v17, v22, s[20:21]
	v_cndmask_b32_e64 v16, v12, v22, s[20:21]
	s_movk_i32 s2, 0x1f8
	v_cmp_neq_f32_e32 vcc, v17, v16
	v_cmp_class_f32_e64 s[0:1], v17, s2
	s_or_b64 s[4:5], vcc, s[0:1]
	v_mov_b32_e32 v12, v11
	s_and_saveexec_b64 s[0:1], s[4:5]
	s_cbranch_execz .LBB92_308
; %bb.307:
	v_sub_f32_e32 v12, v17, v16
	s_mov_b32 s3, 0x3fb8aa3b
	v_mul_f32_e32 v17, 0x3fb8aa3b, v12
	v_fma_f32 v18, v12, s3, -v17
	v_rndne_f32_e32 v21, v17
	v_fmac_f32_e32 v18, 0x32a5705f, v12
	v_sub_f32_e32 v17, v17, v21
	v_add_f32_e32 v17, v17, v18
	v_exp_f32_e32 v17, v17
	v_cvt_i32_f32_e32 v18, v21
	s_mov_b32 s3, 0xc2ce8ed0
	v_cmp_ngt_f32_e32 vcc, s3, v12
	s_mov_b32 s3, 0x42b17218
	v_ldexp_f32 v17, v17, v18
	v_cndmask_b32_e32 v17, 0, v17, vcc
	v_mov_b32_e32 v21, 0x7f800000
	v_cmp_nlt_f32_e32 vcc, s3, v12
	v_cndmask_b32_e32 v12, v21, v17, vcc
	v_add_f32_e32 v22, 1.0, v12
	v_cvt_f64_f32_e32 v[17:18], v22
	v_add_f32_e32 v23, -1.0, v22
	v_sub_f32_e32 v24, v23, v22
	v_sub_f32_e32 v23, v12, v23
	v_frexp_exp_i32_f64_e32 v17, v[17:18]
	v_add_f32_e32 v18, 1.0, v24
	v_add_f32_e32 v18, v23, v18
	v_frexp_mant_f32_e32 v23, v22
	s_mov_b32 s4, 0x3f2aaaab
	v_cmp_gt_f32_e32 vcc, s4, v23
	s_mov_b32 s4, 0x3f317218
	s_mov_b32 s3, 0x7f800000
	v_subbrev_co_u32_e32 v17, vcc, 0, v17, vcc
	v_sub_u32_e32 v23, 0, v17
	v_ldexp_f32 v22, v22, v23
	v_ldexp_f32 v18, v18, v23
	v_add_f32_e32 v23, -1.0, v22
	v_add_f32_e32 v26, 1.0, v22
	v_add_f32_e32 v24, 1.0, v23
	v_add_f32_e32 v27, -1.0, v26
	v_sub_f32_e32 v24, v22, v24
	v_sub_f32_e32 v22, v22, v27
	v_add_f32_e32 v24, v18, v24
	v_add_f32_e32 v18, v18, v22
	;; [unrolled: 1-line block ×3, first 2 shown]
	v_rcp_f32_e32 v27, v22
	v_add_f32_e32 v25, v23, v24
	v_sub_f32_e32 v23, v23, v25
	v_add_f32_e32 v23, v24, v23
	v_sub_f32_e32 v24, v26, v22
	v_add_f32_e32 v18, v18, v24
	v_mul_f32_e32 v24, v25, v27
	v_mul_f32_e32 v26, v22, v24
	v_fma_f32 v28, v24, v22, -v26
	v_fmac_f32_e32 v28, v24, v18
	v_add_f32_e32 v29, v26, v28
	v_sub_f32_e32 v30, v25, v29
	v_sub_f32_e32 v25, v25, v30
	;; [unrolled: 1-line block ×4, first 2 shown]
	v_add_f32_e32 v23, v23, v25
	v_sub_f32_e32 v25, v26, v28
	v_add_f32_e32 v23, v25, v23
	v_add_f32_e32 v25, v30, v23
	v_mul_f32_e32 v26, v27, v25
	v_mul_f32_e32 v28, v22, v26
	v_fma_f32 v22, v26, v22, -v28
	v_fmac_f32_e32 v22, v26, v18
	v_sub_f32_e32 v18, v30, v25
	v_add_f32_e32 v18, v23, v18
	v_add_f32_e32 v23, v28, v22
	v_sub_f32_e32 v29, v25, v23
	v_sub_f32_e32 v25, v25, v29
	;; [unrolled: 1-line block ×4, first 2 shown]
	v_add_f32_e32 v18, v18, v23
	v_sub_f32_e32 v22, v28, v22
	v_add_f32_e32 v18, v22, v18
	v_add_f32_e32 v22, v24, v26
	;; [unrolled: 1-line block ×3, first 2 shown]
	v_sub_f32_e32 v23, v22, v24
	v_mul_f32_e32 v18, v27, v18
	v_sub_f32_e32 v23, v26, v23
	v_add_f32_e32 v18, v23, v18
	v_cvt_f32_i32_e32 v17, v17
	v_add_f32_e32 v23, v22, v18
	v_mul_f32_e32 v24, v23, v23
	v_mov_b32_e32 v25, 0x3ecc95a3
	v_fmac_f32_e32 v25, 0x3e9b6dac, v24
	v_mov_b32_e32 v26, 0x3f2aaada
	v_fmac_f32_e32 v26, v24, v25
	v_mul_f32_e32 v25, 0x3f317218, v17
	v_fma_f32 v27, v17, s4, -v25
	v_fmac_f32_e32 v27, 0xb102e308, v17
	v_sub_f32_e32 v17, v23, v22
	v_sub_f32_e32 v17, v18, v17
	v_add_f32_e32 v18, v25, v27
	v_sub_f32_e32 v22, v18, v25
	v_ldexp_f32 v25, v23, 1
	v_mul_f32_e32 v23, v23, v24
	v_mul_f32_e32 v23, v23, v26
	v_add_f32_e32 v24, v25, v23
	v_sub_f32_e32 v25, v24, v25
	v_ldexp_f32 v17, v17, 1
	v_sub_f32_e32 v23, v23, v25
	v_add_f32_e32 v17, v17, v23
	v_add_f32_e32 v23, v24, v17
	v_sub_f32_e32 v24, v23, v24
	v_sub_f32_e32 v17, v17, v24
	v_add_f32_e32 v24, v18, v23
	v_sub_f32_e32 v25, v24, v18
	v_sub_f32_e32 v26, v24, v25
	;; [unrolled: 1-line block ×5, first 2 shown]
	v_add_f32_e32 v18, v23, v18
	v_add_f32_e32 v23, v22, v17
	v_sub_f32_e32 v25, v23, v22
	v_sub_f32_e32 v26, v23, v25
	v_sub_f32_e32 v22, v22, v26
	v_sub_f32_e32 v17, v17, v25
	v_add_f32_e32 v18, v23, v18
	v_add_f32_e32 v17, v17, v22
	v_add_f32_e32 v22, v24, v18
	v_sub_f32_e32 v23, v22, v24
	v_sub_f32_e32 v18, v18, v23
	v_add_f32_e32 v17, v17, v18
	v_add_f32_e32 v17, v22, v17
	v_cmp_neq_f32_e32 vcc, s3, v12
	s_mov_b32 s3, 0x33800000
	v_cndmask_b32_e32 v17, v21, v17, vcc
	v_cmp_lt_f32_e64 vcc, |v12|, s3
	v_cndmask_b32_e32 v12, v17, v12, vcc
	v_add_f32_e32 v12, v16, v12
.LBB92_308:
	s_or_b64 exec, exec, s[0:1]
	v_max_f32_e32 v16, v12, v12
	v_min_f32_e32 v17, v16, v13
	v_cmp_u_f32_e32 vcc, v12, v12
	v_max_f32_e32 v13, v16, v13
	v_cndmask_b32_e32 v17, v17, v12, vcc
	v_cndmask_b32_e32 v13, v13, v12, vcc
	v_cndmask_b32_e64 v17, v17, v19, s[22:23]
	v_cndmask_b32_e64 v16, v13, v19, s[22:23]
	v_cmp_neq_f32_e32 vcc, v17, v16
	v_cmp_class_f32_e64 s[0:1], v17, s2
	s_or_b64 s[2:3], vcc, s[0:1]
	v_mov_b32_e32 v13, v12
	s_and_saveexec_b64 s[0:1], s[2:3]
	s_cbranch_execz .LBB92_310
; %bb.309:
	v_sub_f32_e32 v13, v17, v16
	s_mov_b32 s2, 0x3fb8aa3b
	v_mul_f32_e32 v17, 0x3fb8aa3b, v13
	v_fma_f32 v18, v13, s2, -v17
	v_rndne_f32_e32 v19, v17
	v_fmac_f32_e32 v18, 0x32a5705f, v13
	v_sub_f32_e32 v17, v17, v19
	v_add_f32_e32 v17, v17, v18
	v_exp_f32_e32 v17, v17
	v_cvt_i32_f32_e32 v18, v19
	s_mov_b32 s2, 0xc2ce8ed0
	v_cmp_ngt_f32_e32 vcc, s2, v13
	s_mov_b32 s2, 0x42b17218
	v_ldexp_f32 v17, v17, v18
	v_cndmask_b32_e32 v17, 0, v17, vcc
	v_mov_b32_e32 v19, 0x7f800000
	v_cmp_nlt_f32_e32 vcc, s2, v13
	v_cndmask_b32_e32 v13, v19, v17, vcc
	v_add_f32_e32 v21, 1.0, v13
	v_cvt_f64_f32_e32 v[17:18], v21
	v_add_f32_e32 v22, -1.0, v21
	v_sub_f32_e32 v23, v22, v21
	v_sub_f32_e32 v22, v13, v22
	v_frexp_exp_i32_f64_e32 v17, v[17:18]
	v_add_f32_e32 v18, 1.0, v23
	v_add_f32_e32 v18, v22, v18
	v_frexp_mant_f32_e32 v22, v21
	s_mov_b32 s3, 0x3f2aaaab
	v_cmp_gt_f32_e32 vcc, s3, v22
	s_mov_b32 s3, 0x3f317218
	s_mov_b32 s2, 0x7f800000
	v_subbrev_co_u32_e32 v17, vcc, 0, v17, vcc
	v_sub_u32_e32 v22, 0, v17
	v_ldexp_f32 v21, v21, v22
	v_ldexp_f32 v18, v18, v22
	v_add_f32_e32 v22, -1.0, v21
	v_add_f32_e32 v25, 1.0, v21
	v_add_f32_e32 v23, 1.0, v22
	v_add_f32_e32 v26, -1.0, v25
	v_sub_f32_e32 v23, v21, v23
	v_sub_f32_e32 v21, v21, v26
	v_add_f32_e32 v23, v18, v23
	v_add_f32_e32 v18, v18, v21
	;; [unrolled: 1-line block ×3, first 2 shown]
	v_rcp_f32_e32 v26, v21
	v_add_f32_e32 v24, v22, v23
	v_sub_f32_e32 v22, v22, v24
	v_add_f32_e32 v22, v23, v22
	v_sub_f32_e32 v23, v25, v21
	v_add_f32_e32 v18, v18, v23
	v_mul_f32_e32 v23, v24, v26
	v_mul_f32_e32 v25, v21, v23
	v_fma_f32 v27, v23, v21, -v25
	v_fmac_f32_e32 v27, v23, v18
	v_add_f32_e32 v28, v25, v27
	v_sub_f32_e32 v29, v24, v28
	v_sub_f32_e32 v24, v24, v29
	;; [unrolled: 1-line block ×4, first 2 shown]
	v_add_f32_e32 v22, v22, v24
	v_sub_f32_e32 v24, v25, v27
	v_add_f32_e32 v22, v24, v22
	v_add_f32_e32 v24, v29, v22
	v_mul_f32_e32 v25, v26, v24
	v_mul_f32_e32 v27, v21, v25
	v_fma_f32 v21, v25, v21, -v27
	v_fmac_f32_e32 v21, v25, v18
	v_sub_f32_e32 v18, v29, v24
	v_add_f32_e32 v18, v22, v18
	v_add_f32_e32 v22, v27, v21
	v_sub_f32_e32 v28, v24, v22
	v_sub_f32_e32 v24, v24, v28
	;; [unrolled: 1-line block ×4, first 2 shown]
	v_add_f32_e32 v18, v18, v22
	v_sub_f32_e32 v21, v27, v21
	v_add_f32_e32 v18, v21, v18
	v_add_f32_e32 v21, v23, v25
	;; [unrolled: 1-line block ×3, first 2 shown]
	v_sub_f32_e32 v22, v21, v23
	v_mul_f32_e32 v18, v26, v18
	v_sub_f32_e32 v22, v25, v22
	v_add_f32_e32 v18, v22, v18
	v_cvt_f32_i32_e32 v17, v17
	v_add_f32_e32 v22, v21, v18
	v_mul_f32_e32 v23, v22, v22
	v_mov_b32_e32 v24, 0x3ecc95a3
	v_fmac_f32_e32 v24, 0x3e9b6dac, v23
	v_mov_b32_e32 v25, 0x3f2aaada
	v_fmac_f32_e32 v25, v23, v24
	v_mul_f32_e32 v24, 0x3f317218, v17
	v_fma_f32 v26, v17, s3, -v24
	v_fmac_f32_e32 v26, 0xb102e308, v17
	v_sub_f32_e32 v17, v22, v21
	v_sub_f32_e32 v17, v18, v17
	v_add_f32_e32 v18, v24, v26
	v_sub_f32_e32 v21, v18, v24
	v_ldexp_f32 v24, v22, 1
	v_mul_f32_e32 v22, v22, v23
	v_mul_f32_e32 v22, v22, v25
	v_add_f32_e32 v23, v24, v22
	v_sub_f32_e32 v24, v23, v24
	v_ldexp_f32 v17, v17, 1
	v_sub_f32_e32 v22, v22, v24
	v_add_f32_e32 v17, v17, v22
	v_add_f32_e32 v22, v23, v17
	v_sub_f32_e32 v23, v22, v23
	v_sub_f32_e32 v17, v17, v23
	v_add_f32_e32 v23, v18, v22
	v_sub_f32_e32 v24, v23, v18
	v_sub_f32_e32 v25, v23, v24
	v_sub_f32_e32 v21, v26, v21
	v_sub_f32_e32 v18, v18, v25
	v_sub_f32_e32 v22, v22, v24
	v_add_f32_e32 v18, v22, v18
	v_add_f32_e32 v22, v21, v17
	v_sub_f32_e32 v24, v22, v21
	v_sub_f32_e32 v25, v22, v24
	;; [unrolled: 1-line block ×4, first 2 shown]
	v_add_f32_e32 v18, v22, v18
	v_add_f32_e32 v17, v17, v21
	;; [unrolled: 1-line block ×3, first 2 shown]
	v_sub_f32_e32 v22, v21, v23
	v_sub_f32_e32 v18, v18, v22
	v_add_f32_e32 v17, v17, v18
	v_add_f32_e32 v17, v21, v17
	v_cmp_neq_f32_e32 vcc, s2, v13
	s_mov_b32 s2, 0x33800000
	v_cndmask_b32_e32 v17, v19, v17, vcc
	v_cmp_lt_f32_e64 vcc, |v13|, s2
	v_cndmask_b32_e32 v13, v17, v13, vcc
	v_add_f32_e32 v13, v16, v13
.LBB92_310:
	s_or_b64 exec, exec, s[0:1]
	v_max_f32_e32 v16, v13, v13
	v_min_f32_e32 v17, v16, v14
	v_cmp_u_f32_e32 vcc, v13, v13
	v_max_f32_e32 v14, v16, v14
	v_cndmask_b32_e32 v17, v17, v13, vcc
	v_cndmask_b32_e32 v14, v14, v13, vcc
	v_cndmask_b32_e64 v17, v17, v20, s[24:25]
	v_cndmask_b32_e64 v16, v14, v20, s[24:25]
	s_movk_i32 s2, 0x1f8
	v_cmp_neq_f32_e32 vcc, v17, v16
	v_cmp_class_f32_e64 s[0:1], v17, s2
	s_or_b64 s[4:5], vcc, s[0:1]
	v_mov_b32_e32 v14, v13
	s_and_saveexec_b64 s[0:1], s[4:5]
	s_cbranch_execz .LBB92_312
; %bb.311:
	v_sub_f32_e32 v14, v17, v16
	s_mov_b32 s3, 0x3fb8aa3b
	v_mul_f32_e32 v17, 0x3fb8aa3b, v14
	v_fma_f32 v18, v14, s3, -v17
	v_rndne_f32_e32 v19, v17
	v_fmac_f32_e32 v18, 0x32a5705f, v14
	v_sub_f32_e32 v17, v17, v19
	v_add_f32_e32 v17, v17, v18
	v_exp_f32_e32 v17, v17
	v_cvt_i32_f32_e32 v18, v19
	s_mov_b32 s3, 0xc2ce8ed0
	v_cmp_ngt_f32_e32 vcc, s3, v14
	s_mov_b32 s3, 0x42b17218
	v_ldexp_f32 v17, v17, v18
	v_cndmask_b32_e32 v17, 0, v17, vcc
	v_mov_b32_e32 v19, 0x7f800000
	v_cmp_nlt_f32_e32 vcc, s3, v14
	v_cndmask_b32_e32 v14, v19, v17, vcc
	v_add_f32_e32 v20, 1.0, v14
	v_cvt_f64_f32_e32 v[17:18], v20
	v_add_f32_e32 v21, -1.0, v20
	v_sub_f32_e32 v22, v21, v20
	v_sub_f32_e32 v21, v14, v21
	v_frexp_exp_i32_f64_e32 v17, v[17:18]
	v_add_f32_e32 v18, 1.0, v22
	v_add_f32_e32 v18, v21, v18
	v_frexp_mant_f32_e32 v21, v20
	s_mov_b32 s4, 0x3f2aaaab
	v_cmp_gt_f32_e32 vcc, s4, v21
	s_mov_b32 s4, 0x3f317218
	s_mov_b32 s3, 0x7f800000
	v_subbrev_co_u32_e32 v17, vcc, 0, v17, vcc
	v_sub_u32_e32 v21, 0, v17
	v_ldexp_f32 v20, v20, v21
	v_ldexp_f32 v18, v18, v21
	v_add_f32_e32 v21, -1.0, v20
	v_add_f32_e32 v24, 1.0, v20
	v_add_f32_e32 v22, 1.0, v21
	v_add_f32_e32 v25, -1.0, v24
	v_sub_f32_e32 v22, v20, v22
	v_sub_f32_e32 v20, v20, v25
	v_add_f32_e32 v22, v18, v22
	v_add_f32_e32 v18, v18, v20
	;; [unrolled: 1-line block ×3, first 2 shown]
	v_rcp_f32_e32 v25, v20
	v_add_f32_e32 v23, v21, v22
	v_sub_f32_e32 v21, v21, v23
	v_add_f32_e32 v21, v22, v21
	v_sub_f32_e32 v22, v24, v20
	v_add_f32_e32 v18, v18, v22
	v_mul_f32_e32 v22, v23, v25
	v_mul_f32_e32 v24, v20, v22
	v_fma_f32 v26, v22, v20, -v24
	v_fmac_f32_e32 v26, v22, v18
	v_add_f32_e32 v27, v24, v26
	v_sub_f32_e32 v28, v23, v27
	v_sub_f32_e32 v23, v23, v28
	v_sub_f32_e32 v24, v27, v24
	v_sub_f32_e32 v23, v23, v27
	v_add_f32_e32 v21, v21, v23
	v_sub_f32_e32 v23, v24, v26
	v_add_f32_e32 v21, v23, v21
	v_add_f32_e32 v23, v28, v21
	v_mul_f32_e32 v24, v25, v23
	v_mul_f32_e32 v26, v20, v24
	v_fma_f32 v20, v24, v20, -v26
	v_fmac_f32_e32 v20, v24, v18
	v_sub_f32_e32 v18, v28, v23
	v_add_f32_e32 v18, v21, v18
	v_add_f32_e32 v21, v26, v20
	v_sub_f32_e32 v27, v23, v21
	v_sub_f32_e32 v23, v23, v27
	;; [unrolled: 1-line block ×4, first 2 shown]
	v_add_f32_e32 v18, v18, v21
	v_sub_f32_e32 v20, v26, v20
	v_add_f32_e32 v18, v20, v18
	v_add_f32_e32 v20, v22, v24
	;; [unrolled: 1-line block ×3, first 2 shown]
	v_sub_f32_e32 v21, v20, v22
	v_mul_f32_e32 v18, v25, v18
	v_sub_f32_e32 v21, v24, v21
	v_add_f32_e32 v18, v21, v18
	v_cvt_f32_i32_e32 v17, v17
	v_add_f32_e32 v21, v20, v18
	v_mul_f32_e32 v22, v21, v21
	v_mov_b32_e32 v23, 0x3ecc95a3
	v_fmac_f32_e32 v23, 0x3e9b6dac, v22
	v_mov_b32_e32 v24, 0x3f2aaada
	v_fmac_f32_e32 v24, v22, v23
	v_mul_f32_e32 v23, 0x3f317218, v17
	v_fma_f32 v25, v17, s4, -v23
	v_fmac_f32_e32 v25, 0xb102e308, v17
	v_sub_f32_e32 v17, v21, v20
	v_sub_f32_e32 v17, v18, v17
	v_add_f32_e32 v18, v23, v25
	v_sub_f32_e32 v20, v18, v23
	v_ldexp_f32 v23, v21, 1
	v_mul_f32_e32 v21, v21, v22
	v_mul_f32_e32 v21, v21, v24
	v_add_f32_e32 v22, v23, v21
	v_sub_f32_e32 v23, v22, v23
	v_ldexp_f32 v17, v17, 1
	v_sub_f32_e32 v21, v21, v23
	v_add_f32_e32 v17, v17, v21
	v_add_f32_e32 v21, v22, v17
	v_sub_f32_e32 v22, v21, v22
	v_sub_f32_e32 v17, v17, v22
	v_add_f32_e32 v22, v18, v21
	v_sub_f32_e32 v23, v22, v18
	v_sub_f32_e32 v24, v22, v23
	;; [unrolled: 1-line block ×5, first 2 shown]
	v_add_f32_e32 v18, v21, v18
	v_add_f32_e32 v21, v20, v17
	v_sub_f32_e32 v23, v21, v20
	v_sub_f32_e32 v24, v21, v23
	;; [unrolled: 1-line block ×4, first 2 shown]
	v_add_f32_e32 v18, v21, v18
	v_add_f32_e32 v17, v17, v20
	;; [unrolled: 1-line block ×3, first 2 shown]
	v_sub_f32_e32 v21, v20, v22
	v_sub_f32_e32 v18, v18, v21
	v_add_f32_e32 v17, v17, v18
	v_add_f32_e32 v17, v20, v17
	v_cmp_neq_f32_e32 vcc, s3, v14
	s_mov_b32 s3, 0x33800000
	v_cndmask_b32_e32 v17, v19, v17, vcc
	v_cmp_lt_f32_e64 vcc, |v14|, s3
	v_cndmask_b32_e32 v14, v17, v14, vcc
	v_add_f32_e32 v14, v16, v14
.LBB92_312:
	s_or_b64 exec, exec, s[0:1]
	v_max_f32_e32 v16, v14, v14
	v_min_f32_e32 v17, v16, v15
	v_cmp_u_f32_e32 vcc, v14, v14
	v_max_f32_e32 v15, v16, v15
	v_cndmask_b32_e32 v17, v17, v14, vcc
	v_cndmask_b32_e32 v15, v15, v14, vcc
	v_cndmask_b32_e64 v17, v17, v33, s[26:27]
	v_cndmask_b32_e64 v16, v15, v33, s[26:27]
	v_cmp_neq_f32_e32 vcc, v17, v16
	v_cmp_class_f32_e64 s[0:1], v17, s2
	s_or_b64 s[2:3], vcc, s[0:1]
	v_mov_b32_e32 v15, v14
	s_and_saveexec_b64 s[0:1], s[2:3]
	s_cbranch_execz .LBB92_314
; %bb.313:
	v_sub_f32_e32 v15, v17, v16
	s_mov_b32 s2, 0x3fb8aa3b
	v_mul_f32_e32 v17, 0x3fb8aa3b, v15
	v_fma_f32 v18, v15, s2, -v17
	v_rndne_f32_e32 v19, v17
	v_fmac_f32_e32 v18, 0x32a5705f, v15
	v_sub_f32_e32 v17, v17, v19
	v_add_f32_e32 v17, v17, v18
	v_exp_f32_e32 v17, v17
	v_cvt_i32_f32_e32 v18, v19
	s_mov_b32 s2, 0xc2ce8ed0
	v_cmp_ngt_f32_e32 vcc, s2, v15
	s_mov_b32 s2, 0x42b17218
	v_ldexp_f32 v17, v17, v18
	v_cndmask_b32_e32 v17, 0, v17, vcc
	v_mov_b32_e32 v19, 0x7f800000
	v_cmp_nlt_f32_e32 vcc, s2, v15
	v_cndmask_b32_e32 v15, v19, v17, vcc
	v_add_f32_e32 v20, 1.0, v15
	v_cvt_f64_f32_e32 v[17:18], v20
	v_add_f32_e32 v21, -1.0, v20
	v_sub_f32_e32 v22, v21, v20
	v_sub_f32_e32 v21, v15, v21
	v_frexp_exp_i32_f64_e32 v17, v[17:18]
	v_add_f32_e32 v18, 1.0, v22
	v_add_f32_e32 v18, v21, v18
	v_frexp_mant_f32_e32 v21, v20
	s_mov_b32 s3, 0x3f2aaaab
	v_cmp_gt_f32_e32 vcc, s3, v21
	s_mov_b32 s3, 0x3f317218
	s_mov_b32 s2, 0x7f800000
	v_subbrev_co_u32_e32 v17, vcc, 0, v17, vcc
	v_sub_u32_e32 v21, 0, v17
	v_ldexp_f32 v20, v20, v21
	v_ldexp_f32 v18, v18, v21
	v_add_f32_e32 v21, -1.0, v20
	v_add_f32_e32 v24, 1.0, v20
	v_add_f32_e32 v22, 1.0, v21
	v_add_f32_e32 v25, -1.0, v24
	v_sub_f32_e32 v22, v20, v22
	v_sub_f32_e32 v20, v20, v25
	v_add_f32_e32 v22, v18, v22
	v_add_f32_e32 v18, v18, v20
	;; [unrolled: 1-line block ×3, first 2 shown]
	v_rcp_f32_e32 v25, v20
	v_add_f32_e32 v23, v21, v22
	v_sub_f32_e32 v21, v21, v23
	v_add_f32_e32 v21, v22, v21
	v_sub_f32_e32 v22, v24, v20
	v_add_f32_e32 v18, v18, v22
	v_mul_f32_e32 v22, v23, v25
	v_mul_f32_e32 v24, v20, v22
	v_fma_f32 v26, v22, v20, -v24
	v_fmac_f32_e32 v26, v22, v18
	v_add_f32_e32 v27, v24, v26
	v_sub_f32_e32 v28, v23, v27
	v_sub_f32_e32 v23, v23, v28
	;; [unrolled: 1-line block ×4, first 2 shown]
	v_add_f32_e32 v21, v21, v23
	v_sub_f32_e32 v23, v24, v26
	v_add_f32_e32 v21, v23, v21
	v_add_f32_e32 v23, v28, v21
	v_mul_f32_e32 v24, v25, v23
	v_mul_f32_e32 v26, v20, v24
	v_fma_f32 v20, v24, v20, -v26
	v_fmac_f32_e32 v20, v24, v18
	v_sub_f32_e32 v18, v28, v23
	v_add_f32_e32 v18, v21, v18
	v_add_f32_e32 v21, v26, v20
	v_sub_f32_e32 v27, v23, v21
	v_sub_f32_e32 v23, v23, v27
	;; [unrolled: 1-line block ×4, first 2 shown]
	v_add_f32_e32 v18, v18, v21
	v_sub_f32_e32 v20, v26, v20
	v_add_f32_e32 v18, v20, v18
	v_add_f32_e32 v20, v22, v24
	;; [unrolled: 1-line block ×3, first 2 shown]
	v_sub_f32_e32 v21, v20, v22
	v_mul_f32_e32 v18, v25, v18
	v_sub_f32_e32 v21, v24, v21
	v_add_f32_e32 v18, v21, v18
	v_cvt_f32_i32_e32 v17, v17
	v_add_f32_e32 v21, v20, v18
	v_mul_f32_e32 v22, v21, v21
	v_mov_b32_e32 v23, 0x3ecc95a3
	v_fmac_f32_e32 v23, 0x3e9b6dac, v22
	v_mov_b32_e32 v24, 0x3f2aaada
	v_fmac_f32_e32 v24, v22, v23
	v_mul_f32_e32 v23, 0x3f317218, v17
	v_fma_f32 v25, v17, s3, -v23
	v_fmac_f32_e32 v25, 0xb102e308, v17
	v_sub_f32_e32 v17, v21, v20
	v_sub_f32_e32 v17, v18, v17
	v_add_f32_e32 v18, v23, v25
	v_sub_f32_e32 v20, v18, v23
	v_ldexp_f32 v23, v21, 1
	v_mul_f32_e32 v21, v21, v22
	v_mul_f32_e32 v21, v21, v24
	v_add_f32_e32 v22, v23, v21
	v_sub_f32_e32 v23, v22, v23
	v_ldexp_f32 v17, v17, 1
	v_sub_f32_e32 v21, v21, v23
	v_add_f32_e32 v17, v17, v21
	v_add_f32_e32 v21, v22, v17
	v_sub_f32_e32 v22, v21, v22
	v_sub_f32_e32 v17, v17, v22
	v_add_f32_e32 v22, v18, v21
	v_sub_f32_e32 v23, v22, v18
	v_sub_f32_e32 v24, v22, v23
	;; [unrolled: 1-line block ×5, first 2 shown]
	v_add_f32_e32 v18, v21, v18
	v_add_f32_e32 v21, v20, v17
	v_sub_f32_e32 v23, v21, v20
	v_sub_f32_e32 v24, v21, v23
	;; [unrolled: 1-line block ×4, first 2 shown]
	v_add_f32_e32 v18, v21, v18
	v_add_f32_e32 v17, v17, v20
	;; [unrolled: 1-line block ×3, first 2 shown]
	v_sub_f32_e32 v21, v20, v22
	v_sub_f32_e32 v18, v18, v21
	v_add_f32_e32 v17, v17, v18
	v_add_f32_e32 v17, v20, v17
	v_cmp_neq_f32_e32 vcc, s2, v15
	s_mov_b32 s2, 0x33800000
	v_cndmask_b32_e32 v17, v19, v17, vcc
	v_cmp_lt_f32_e64 vcc, |v15|, s2
	v_cndmask_b32_e32 v15, v17, v15, vcc
	v_add_f32_e32 v15, v16, v15
.LBB92_314:
	s_or_b64 exec, exec, s[0:1]
	s_movk_i32 s0, 0xff
	v_cmp_eq_u32_e32 vcc, s0, v0
	s_and_saveexec_b64 s[0:1], vcc
	s_cbranch_execz .LBB92_316
; %bb.315:
	v_mov_b32_e32 v17, 0
	v_mov_b32_e32 v16, 2
	global_store_dwordx2 v17, v[15:16], s[54:55] offset:512
.LBB92_316:
	s_or_b64 exec, exec, s[0:1]
	v_mov_b32_e32 v18, v16
	v_mov_b32_e32 v17, v15
	;; [unrolled: 1-line block ×16, first 2 shown]
.LBB92_317:
	s_add_u32 s0, s48, s38
	s_addc_u32 s1, s49, s39
	s_add_u32 s0, s0, s52
	s_addc_u32 s1, s1, s53
	s_mov_b64 s[2:3], -1
	s_and_b64 vcc, exec, s[50:51]
	s_waitcnt vmcnt(0) lgkmcnt(0)
	s_barrier
	s_cbranch_vccz .LBB92_319
; %bb.318:
	v_mov_b32_e32 v33, s1
	v_add_co_u32_e32 v34, vcc, s0, v31
	ds_write2_b32 v32, v3, v4 offset1:1
	ds_write2_b32 v32, v5, v6 offset0:2 offset1:3
	ds_write2_b32 v32, v7, v8 offset0:4 offset1:5
	ds_write2_b32 v32, v9, v10 offset0:6 offset1:7
	ds_write2_b32 v32, v11, v12 offset0:8 offset1:9
	ds_write2_b32 v32, v13, v14 offset0:10 offset1:11
	ds_write2_b32 v32, v15, v16 offset0:12 offset1:13
	ds_write_b32 v32, v17 offset:56
	s_waitcnt lgkmcnt(0)
	s_barrier
	ds_read2st64_b32 v[1:2], v31 offset1:4
	ds_read2st64_b32 v[18:19], v31 offset0:8 offset1:12
	ds_read2st64_b32 v[20:21], v31 offset0:16 offset1:20
	ds_read2st64_b32 v[22:23], v31 offset0:24 offset1:28
	ds_read2st64_b32 v[24:25], v31 offset0:32 offset1:36
	ds_read2st64_b32 v[26:27], v31 offset0:40 offset1:44
	ds_read2st64_b32 v[28:29], v31 offset0:48 offset1:52
	ds_read_b32 v30, v31 offset:14336
	v_addc_co_u32_e32 v33, vcc, 0, v33, vcc
	s_movk_i32 s2, 0x1000
	s_waitcnt lgkmcnt(7)
	global_store_dword v31, v1, s[0:1]
	global_store_dword v31, v2, s[0:1] offset:1024
	s_waitcnt lgkmcnt(6)
	global_store_dword v31, v18, s[0:1] offset:2048
	global_store_dword v31, v19, s[0:1] offset:3072
	v_add_co_u32_e32 v1, vcc, s2, v34
	v_addc_co_u32_e32 v2, vcc, 0, v33, vcc
	s_movk_i32 s2, 0x2000
	v_add_co_u32_e32 v18, vcc, s2, v34
	v_addc_co_u32_e32 v19, vcc, 0, v33, vcc
	s_waitcnt lgkmcnt(5)
	global_store_dword v[18:19], v20, off offset:-4096
	global_store_dword v[1:2], v21, off offset:1024
	s_waitcnt lgkmcnt(4)
	global_store_dword v[1:2], v22, off offset:2048
	global_store_dword v[1:2], v23, off offset:3072
	s_waitcnt lgkmcnt(3)
	global_store_dword v[18:19], v24, off
	global_store_dword v[18:19], v25, off offset:1024
	s_waitcnt lgkmcnt(2)
	global_store_dword v[18:19], v26, off offset:2048
	global_store_dword v[18:19], v27, off offset:3072
	v_add_co_u32_e32 v1, vcc, 0x3000, v34
	v_addc_co_u32_e32 v2, vcc, 0, v33, vcc
	s_waitcnt lgkmcnt(1)
	global_store_dword v[1:2], v28, off
	global_store_dword v[1:2], v29, off offset:1024
	s_waitcnt lgkmcnt(0)
	global_store_dword v[1:2], v30, off offset:2048
	s_mov_b64 s[2:3], 0
.LBB92_319:
	s_andn2_b64 vcc, exec, s[2:3]
	s_cbranch_vccnz .LBB92_405
; %bb.320:
	ds_write2_b32 v32, v3, v4 offset1:1
	ds_write2_b32 v32, v5, v6 offset0:2 offset1:3
	ds_write2_b32 v32, v7, v8 offset0:4 offset1:5
	;; [unrolled: 1-line block ×6, first 2 shown]
	ds_write_b32 v32, v17 offset:56
	s_waitcnt vmcnt(0) lgkmcnt(0)
	s_barrier
	ds_read2st64_b32 v[4:5], v31 offset1:4
	ds_read2st64_b32 v[8:9], v31 offset0:8 offset1:12
	ds_read2st64_b32 v[6:7], v31 offset0:16 offset1:20
	;; [unrolled: 1-line block ×6, first 2 shown]
	ds_read_b32 v18, v31 offset:14336
	v_mov_b32_e32 v17, s1
	v_add_co_u32_e32 v16, vcc, s0, v31
	v_addc_co_u32_e32 v17, vcc, 0, v17, vcc
	v_mov_b32_e32 v1, 0
	v_cmp_gt_u32_e32 vcc, s33, v0
	s_and_saveexec_b64 s[0:1], vcc
	s_cbranch_execz .LBB92_322
; %bb.321:
	s_waitcnt lgkmcnt(7)
	global_store_dword v[16:17], v4, off
.LBB92_322:
	s_or_b64 exec, exec, s[0:1]
	v_or_b32_e32 v19, 0x100, v0
	v_cmp_gt_u32_e32 vcc, s33, v19
	s_and_saveexec_b64 s[0:1], vcc
	s_cbranch_execz .LBB92_324
; %bb.323:
	s_waitcnt lgkmcnt(7)
	global_store_dword v[16:17], v5, off offset:1024
.LBB92_324:
	s_or_b64 exec, exec, s[0:1]
	v_or_b32_e32 v19, 0x200, v0
	v_cmp_gt_u32_e32 vcc, s33, v19
	s_and_saveexec_b64 s[0:1], vcc
	s_cbranch_execz .LBB92_326
; %bb.325:
	s_waitcnt lgkmcnt(6)
	global_store_dword v[16:17], v8, off offset:2048
.LBB92_326:
	;; [unrolled: 9-line block ×3, first 2 shown]
	s_or_b64 exec, exec, s[0:1]
	v_or_b32_e32 v19, 0x400, v0
	v_cmp_gt_u32_e32 vcc, s33, v19
	s_and_saveexec_b64 s[0:1], vcc
	s_cbranch_execz .LBB92_330
; %bb.329:
	v_add_co_u32_e32 v19, vcc, 0x1000, v16
	v_addc_co_u32_e32 v20, vcc, 0, v17, vcc
	s_waitcnt lgkmcnt(5)
	global_store_dword v[19:20], v6, off
.LBB92_330:
	s_or_b64 exec, exec, s[0:1]
	v_or_b32_e32 v19, 0x500, v0
	v_cmp_gt_u32_e32 vcc, s33, v19
	s_and_saveexec_b64 s[0:1], vcc
	s_cbranch_execz .LBB92_332
; %bb.331:
	v_add_co_u32_e32 v19, vcc, 0x1000, v16
	v_addc_co_u32_e32 v20, vcc, 0, v17, vcc
	s_waitcnt lgkmcnt(5)
	global_store_dword v[19:20], v7, off offset:1024
.LBB92_332:
	s_or_b64 exec, exec, s[0:1]
	v_or_b32_e32 v19, 0x600, v0
	v_cmp_gt_u32_e32 vcc, s33, v19
	s_and_saveexec_b64 s[0:1], vcc
	s_cbranch_execz .LBB92_334
; %bb.333:
	v_add_co_u32_e32 v19, vcc, 0x1000, v16
	v_addc_co_u32_e32 v20, vcc, 0, v17, vcc
	s_waitcnt lgkmcnt(4)
	global_store_dword v[19:20], v14, off offset:2048
.LBB92_334:
	;; [unrolled: 11-line block ×3, first 2 shown]
	s_or_b64 exec, exec, s[0:1]
	v_or_b32_e32 v19, 0x800, v0
	v_cmp_gt_u32_e32 vcc, s33, v19
	s_and_saveexec_b64 s[0:1], vcc
	s_cbranch_execz .LBB92_338
; %bb.337:
	v_add_co_u32_e32 v19, vcc, 0x2000, v16
	v_addc_co_u32_e32 v20, vcc, 0, v17, vcc
	s_waitcnt lgkmcnt(3)
	global_store_dword v[19:20], v10, off
.LBB92_338:
	s_or_b64 exec, exec, s[0:1]
	v_or_b32_e32 v19, 0x900, v0
	v_cmp_gt_u32_e32 vcc, s33, v19
	s_and_saveexec_b64 s[0:1], vcc
	s_cbranch_execz .LBB92_340
; %bb.339:
	v_add_co_u32_e32 v19, vcc, 0x2000, v16
	v_addc_co_u32_e32 v20, vcc, 0, v17, vcc
	s_waitcnt lgkmcnt(3)
	global_store_dword v[19:20], v11, off offset:1024
.LBB92_340:
	s_or_b64 exec, exec, s[0:1]
	v_or_b32_e32 v19, 0xa00, v0
	v_cmp_gt_u32_e32 vcc, s33, v19
	s_and_saveexec_b64 s[0:1], vcc
	s_cbranch_execz .LBB92_342
; %bb.341:
	v_add_co_u32_e32 v19, vcc, 0x2000, v16
	v_addc_co_u32_e32 v20, vcc, 0, v17, vcc
	s_waitcnt lgkmcnt(2)
	global_store_dword v[19:20], v2, off offset:2048
.LBB92_342:
	;; [unrolled: 11-line block ×3, first 2 shown]
	s_or_b64 exec, exec, s[0:1]
	v_or_b32_e32 v19, 0xc00, v0
	v_cmp_gt_u32_e32 vcc, s33, v19
	s_and_saveexec_b64 s[0:1], vcc
	s_cbranch_execz .LBB92_346
; %bb.345:
	v_add_co_u32_e32 v19, vcc, 0x3000, v16
	v_addc_co_u32_e32 v20, vcc, 0, v17, vcc
	s_waitcnt lgkmcnt(1)
	global_store_dword v[19:20], v12, off
.LBB92_346:
	s_or_b64 exec, exec, s[0:1]
	v_or_b32_e32 v19, 0xd00, v0
	v_cmp_gt_u32_e32 vcc, s33, v19
	s_and_saveexec_b64 s[0:1], vcc
	s_cbranch_execz .LBB92_348
; %bb.347:
	v_add_co_u32_e32 v19, vcc, 0x3000, v16
	v_addc_co_u32_e32 v20, vcc, 0, v17, vcc
	s_waitcnt lgkmcnt(1)
	global_store_dword v[19:20], v13, off offset:1024
.LBB92_348:
	s_or_b64 exec, exec, s[0:1]
	v_or_b32_e32 v19, 0xe00, v0
	v_cmp_gt_u32_e32 vcc, s33, v19
	s_and_saveexec_b64 s[0:1], vcc
	s_cbranch_execz .LBB92_350
; %bb.349:
	v_add_co_u32_e32 v16, vcc, 0x3000, v16
	v_addc_co_u32_e32 v17, vcc, 0, v17, vcc
	s_waitcnt lgkmcnt(0)
	global_store_dword v[16:17], v18, off offset:2048
.LBB92_350:
	s_or_b64 exec, exec, s[0:1]
	v_cmp_lt_u64_e64 s[0:1], s[46:47], 2
	s_and_b64 vcc, exec, s[0:1]
	s_cbranch_vccnz .LBB92_405
; %bb.351:
	s_add_u32 s0, s33, -1
	s_addc_u32 s1, s60, -1
	s_mul_i32 s5, s1, 0x88888889
	s_mul_hi_u32 s6, s0, 0x88888889
	s_mul_hi_u32 s4, s1, 0x88888889
	s_add_u32 s5, s5, s6
	s_mul_i32 s3, s0, 0x88888888
	s_addc_u32 s4, s4, 0
	s_mul_hi_u32 s2, s0, 0x88888888
	s_add_u32 s3, s3, s5
	s_addc_u32 s2, s2, 0
	s_add_u32 s2, s4, s2
	s_addc_u32 s3, 0, 0
	s_mul_i32 s5, s1, 0x88888888
	s_mul_hi_u32 s4, s1, 0x88888888
	s_add_u32 s2, s5, s2
	s_addc_u32 s3, s4, s3
	s_lshr_b64 s[2:3], s[2:3], 3
	v_cmp_eq_u64_e32 vcc, s[2:3], v[0:1]
	s_and_saveexec_b64 s[2:3], vcc
	s_cbranch_execz .LBB92_405
; %bb.352:
	v_mul_hi_u32_u24_e32 v1, 15, v0
	v_mul_u32_u24_e32 v0, 15, v0
	v_mov_b32_e32 v16, s1
	v_sub_co_u32_e32 v0, vcc, s0, v0
	v_subb_co_u32_e32 v1, vcc, v16, v1, vcc
	v_cmp_lt_i64_e32 vcc, 7, v[0:1]
	s_and_saveexec_b64 s[0:1], vcc
	s_xor_b64 s[0:1], exec, s[0:1]
	s_cbranch_execz .LBB92_378
; %bb.353:
	v_cmp_lt_i64_e32 vcc, 10, v[0:1]
	s_and_saveexec_b64 s[2:3], vcc
	s_xor_b64 s[2:3], exec, s[2:3]
	s_cbranch_execz .LBB92_367
; %bb.354:
	;; [unrolled: 5-line block ×4, first 2 shown]
	v_mov_b32_e32 v0, 0
	s_waitcnt lgkmcnt(0)
	global_store_dword v0, v18, s[42:43]
                                        ; implicit-def: $vgpr12_vgpr13
.LBB92_357:
	s_andn2_saveexec_b64 s[6:7], s[6:7]
	s_cbranch_execz .LBB92_359
; %bb.358:
	v_mov_b32_e32 v0, 0
	s_waitcnt lgkmcnt(1)
	global_store_dword v0, v13, s[42:43]
.LBB92_359:
	s_or_b64 exec, exec, s[6:7]
                                        ; implicit-def: $vgpr2_vgpr3
                                        ; implicit-def: $vgpr0_vgpr1
                                        ; implicit-def: $vgpr12_vgpr13
.LBB92_360:
	s_andn2_saveexec_b64 s[4:5], s[4:5]
	s_cbranch_execz .LBB92_366
; %bb.361:
	v_cmp_lt_i64_e32 vcc, 11, v[0:1]
	s_and_saveexec_b64 s[6:7], vcc
	s_xor_b64 s[6:7], exec, s[6:7]
	s_cbranch_execz .LBB92_363
; %bb.362:
	v_mov_b32_e32 v0, 0
	s_waitcnt lgkmcnt(1)
	global_store_dword v0, v12, s[42:43]
                                        ; implicit-def: $vgpr2_vgpr3
.LBB92_363:
	s_andn2_saveexec_b64 s[6:7], s[6:7]
	s_cbranch_execz .LBB92_365
; %bb.364:
	v_mov_b32_e32 v0, 0
	s_waitcnt lgkmcnt(2)
	global_store_dword v0, v3, s[42:43]
.LBB92_365:
	s_or_b64 exec, exec, s[6:7]
.LBB92_366:
	s_or_b64 exec, exec, s[4:5]
                                        ; implicit-def: $vgpr10_vgpr11
                                        ; implicit-def: $vgpr0_vgpr1
                                        ; implicit-def: $vgpr2_vgpr3
.LBB92_367:
	s_andn2_saveexec_b64 s[2:3], s[2:3]
	s_cbranch_execz .LBB92_377
; %bb.368:
	v_cmp_lt_i64_e32 vcc, 8, v[0:1]
	s_and_saveexec_b64 s[4:5], vcc
	s_xor_b64 s[4:5], exec, s[4:5]
	s_cbranch_execz .LBB92_374
; %bb.369:
	v_cmp_lt_i64_e32 vcc, 9, v[0:1]
	s_and_saveexec_b64 s[6:7], vcc
	s_xor_b64 s[6:7], exec, s[6:7]
	s_cbranch_execz .LBB92_371
; %bb.370:
	v_mov_b32_e32 v0, 0
	s_waitcnt lgkmcnt(2)
	global_store_dword v0, v2, s[42:43]
                                        ; implicit-def: $vgpr10_vgpr11
.LBB92_371:
	s_andn2_saveexec_b64 s[6:7], s[6:7]
	s_cbranch_execz .LBB92_373
; %bb.372:
	v_mov_b32_e32 v0, 0
	s_waitcnt lgkmcnt(3)
	global_store_dword v0, v11, s[42:43]
.LBB92_373:
	s_or_b64 exec, exec, s[6:7]
                                        ; implicit-def: $vgpr10_vgpr11
.LBB92_374:
	s_andn2_saveexec_b64 s[4:5], s[4:5]
	s_cbranch_execz .LBB92_376
; %bb.375:
	v_mov_b32_e32 v0, 0
	s_waitcnt lgkmcnt(3)
	global_store_dword v0, v10, s[42:43]
.LBB92_376:
	s_or_b64 exec, exec, s[4:5]
.LBB92_377:
	s_or_b64 exec, exec, s[2:3]
                                        ; implicit-def: $vgpr0_vgpr1
                                        ; implicit-def: $vgpr4_vgpr5
                                        ; implicit-def: $vgpr6_vgpr7
                                        ; implicit-def: $vgpr8_vgpr9
                                        ; implicit-def: $vgpr14_vgpr15
.LBB92_378:
	s_andn2_saveexec_b64 s[0:1], s[0:1]
	s_cbranch_execz .LBB92_405
; %bb.379:
	v_cmp_lt_i64_e32 vcc, 3, v[0:1]
	s_and_saveexec_b64 s[0:1], vcc
	s_xor_b64 s[0:1], exec, s[0:1]
	s_cbranch_execz .LBB92_393
; %bb.380:
	v_cmp_lt_i64_e32 vcc, 5, v[0:1]
	s_and_saveexec_b64 s[2:3], vcc
	s_xor_b64 s[2:3], exec, s[2:3]
	;; [unrolled: 5-line block ×3, first 2 shown]
	s_cbranch_execz .LBB92_383
; %bb.382:
	v_mov_b32_e32 v0, 0
	s_waitcnt lgkmcnt(4)
	global_store_dword v0, v15, s[42:43]
                                        ; implicit-def: $vgpr14_vgpr15
.LBB92_383:
	s_andn2_saveexec_b64 s[4:5], s[4:5]
	s_cbranch_execz .LBB92_385
; %bb.384:
	v_mov_b32_e32 v0, 0
	s_waitcnt lgkmcnt(4)
	global_store_dword v0, v14, s[42:43]
.LBB92_385:
	s_or_b64 exec, exec, s[4:5]
                                        ; implicit-def: $vgpr6_vgpr7
                                        ; implicit-def: $vgpr0_vgpr1
.LBB92_386:
	s_andn2_saveexec_b64 s[2:3], s[2:3]
	s_cbranch_execz .LBB92_392
; %bb.387:
	v_cmp_lt_i64_e32 vcc, 4, v[0:1]
	s_and_saveexec_b64 s[4:5], vcc
	s_xor_b64 s[4:5], exec, s[4:5]
	s_cbranch_execz .LBB92_389
; %bb.388:
	v_mov_b32_e32 v0, 0
	s_waitcnt lgkmcnt(5)
	global_store_dword v0, v7, s[42:43]
                                        ; implicit-def: $vgpr6_vgpr7
.LBB92_389:
	s_andn2_saveexec_b64 s[4:5], s[4:5]
	s_cbranch_execz .LBB92_391
; %bb.390:
	v_mov_b32_e32 v0, 0
	s_waitcnt lgkmcnt(5)
	global_store_dword v0, v6, s[42:43]
.LBB92_391:
	s_or_b64 exec, exec, s[4:5]
.LBB92_392:
	s_or_b64 exec, exec, s[2:3]
                                        ; implicit-def: $vgpr0_vgpr1
                                        ; implicit-def: $vgpr4_vgpr5
                                        ; implicit-def: $vgpr8_vgpr9
.LBB92_393:
	s_andn2_saveexec_b64 s[0:1], s[0:1]
	s_cbranch_execz .LBB92_405
; %bb.394:
	v_cmp_lt_i64_e32 vcc, 1, v[0:1]
	s_and_saveexec_b64 s[0:1], vcc
	s_xor_b64 s[0:1], exec, s[0:1]
	s_cbranch_execz .LBB92_400
; %bb.395:
	v_cmp_lt_i64_e32 vcc, 2, v[0:1]
	s_and_saveexec_b64 s[2:3], vcc
	s_xor_b64 s[2:3], exec, s[2:3]
	s_cbranch_execz .LBB92_397
; %bb.396:
	v_mov_b32_e32 v0, 0
	s_waitcnt lgkmcnt(6)
	global_store_dword v0, v9, s[42:43]
                                        ; implicit-def: $vgpr8_vgpr9
.LBB92_397:
	s_andn2_saveexec_b64 s[2:3], s[2:3]
	s_cbranch_execz .LBB92_399
; %bb.398:
	v_mov_b32_e32 v0, 0
	s_waitcnt lgkmcnt(6)
	global_store_dword v0, v8, s[42:43]
.LBB92_399:
	s_or_b64 exec, exec, s[2:3]
                                        ; implicit-def: $vgpr4_vgpr5
                                        ; implicit-def: $vgpr0_vgpr1
.LBB92_400:
	s_andn2_saveexec_b64 s[0:1], s[0:1]
	s_cbranch_execz .LBB92_405
; %bb.401:
	v_cmp_ne_u64_e32 vcc, 1, v[0:1]
	s_and_saveexec_b64 s[0:1], vcc
	s_xor_b64 s[0:1], exec, s[0:1]
	s_cbranch_execz .LBB92_403
; %bb.402:
	v_mov_b32_e32 v0, 0
	s_waitcnt lgkmcnt(7)
	global_store_dword v0, v4, s[42:43]
                                        ; implicit-def: $vgpr4_vgpr5
.LBB92_403:
	s_andn2_saveexec_b64 s[0:1], s[0:1]
	s_cbranch_execz .LBB92_405
; %bb.404:
	v_mov_b32_e32 v0, 0
	s_waitcnt lgkmcnt(7)
	global_store_dword v0, v5, s[42:43]
.LBB92_405:
	s_endpgm
	.section	.rodata,"a",@progbits
	.p2align	6, 0x0
	.amdhsa_kernel _ZN7rocprim17ROCPRIM_400000_NS6detail17trampoline_kernelINS0_14default_configENS1_20scan_config_selectorIfEEZZNS1_9scan_implILNS1_25lookback_scan_determinismE0ELb0ELb0ES3_PKfPffZZZN2at6native31launch_logcumsumexp_cuda_kernelERKNSB_10TensorBaseESF_lENKUlvE_clEvENKUlvE0_clEvEUlffE_fEEDaPvRmT3_T4_T5_mT6_P12ihipStream_tbENKUlT_T0_E_clISt17integral_constantIbLb0EESW_EEDaSR_SS_EUlSR_E_NS1_11comp_targetILNS1_3genE2ELNS1_11target_archE906ELNS1_3gpuE6ELNS1_3repE0EEENS1_30default_config_static_selectorELNS0_4arch9wavefront6targetE1EEEvT1_
		.amdhsa_group_segment_fixed_size 15360
		.amdhsa_private_segment_fixed_size 0
		.amdhsa_kernarg_size 96
		.amdhsa_user_sgpr_count 6
		.amdhsa_user_sgpr_private_segment_buffer 1
		.amdhsa_user_sgpr_dispatch_ptr 0
		.amdhsa_user_sgpr_queue_ptr 0
		.amdhsa_user_sgpr_kernarg_segment_ptr 1
		.amdhsa_user_sgpr_dispatch_id 0
		.amdhsa_user_sgpr_flat_scratch_init 0
		.amdhsa_user_sgpr_private_segment_size 0
		.amdhsa_uses_dynamic_stack 0
		.amdhsa_system_sgpr_private_segment_wavefront_offset 0
		.amdhsa_system_sgpr_workgroup_id_x 1
		.amdhsa_system_sgpr_workgroup_id_y 0
		.amdhsa_system_sgpr_workgroup_id_z 0
		.amdhsa_system_sgpr_workgroup_info 0
		.amdhsa_system_vgpr_workitem_id 0
		.amdhsa_next_free_vgpr 71
		.amdhsa_next_free_sgpr 98
		.amdhsa_reserve_vcc 1
		.amdhsa_reserve_flat_scratch 0
		.amdhsa_float_round_mode_32 0
		.amdhsa_float_round_mode_16_64 0
		.amdhsa_float_denorm_mode_32 3
		.amdhsa_float_denorm_mode_16_64 3
		.amdhsa_dx10_clamp 1
		.amdhsa_ieee_mode 1
		.amdhsa_fp16_overflow 0
		.amdhsa_exception_fp_ieee_invalid_op 0
		.amdhsa_exception_fp_denorm_src 0
		.amdhsa_exception_fp_ieee_div_zero 0
		.amdhsa_exception_fp_ieee_overflow 0
		.amdhsa_exception_fp_ieee_underflow 0
		.amdhsa_exception_fp_ieee_inexact 0
		.amdhsa_exception_int_div_zero 0
	.end_amdhsa_kernel
	.section	.text._ZN7rocprim17ROCPRIM_400000_NS6detail17trampoline_kernelINS0_14default_configENS1_20scan_config_selectorIfEEZZNS1_9scan_implILNS1_25lookback_scan_determinismE0ELb0ELb0ES3_PKfPffZZZN2at6native31launch_logcumsumexp_cuda_kernelERKNSB_10TensorBaseESF_lENKUlvE_clEvENKUlvE0_clEvEUlffE_fEEDaPvRmT3_T4_T5_mT6_P12ihipStream_tbENKUlT_T0_E_clISt17integral_constantIbLb0EESW_EEDaSR_SS_EUlSR_E_NS1_11comp_targetILNS1_3genE2ELNS1_11target_archE906ELNS1_3gpuE6ELNS1_3repE0EEENS1_30default_config_static_selectorELNS0_4arch9wavefront6targetE1EEEvT1_,"axG",@progbits,_ZN7rocprim17ROCPRIM_400000_NS6detail17trampoline_kernelINS0_14default_configENS1_20scan_config_selectorIfEEZZNS1_9scan_implILNS1_25lookback_scan_determinismE0ELb0ELb0ES3_PKfPffZZZN2at6native31launch_logcumsumexp_cuda_kernelERKNSB_10TensorBaseESF_lENKUlvE_clEvENKUlvE0_clEvEUlffE_fEEDaPvRmT3_T4_T5_mT6_P12ihipStream_tbENKUlT_T0_E_clISt17integral_constantIbLb0EESW_EEDaSR_SS_EUlSR_E_NS1_11comp_targetILNS1_3genE2ELNS1_11target_archE906ELNS1_3gpuE6ELNS1_3repE0EEENS1_30default_config_static_selectorELNS0_4arch9wavefront6targetE1EEEvT1_,comdat
.Lfunc_end92:
	.size	_ZN7rocprim17ROCPRIM_400000_NS6detail17trampoline_kernelINS0_14default_configENS1_20scan_config_selectorIfEEZZNS1_9scan_implILNS1_25lookback_scan_determinismE0ELb0ELb0ES3_PKfPffZZZN2at6native31launch_logcumsumexp_cuda_kernelERKNSB_10TensorBaseESF_lENKUlvE_clEvENKUlvE0_clEvEUlffE_fEEDaPvRmT3_T4_T5_mT6_P12ihipStream_tbENKUlT_T0_E_clISt17integral_constantIbLb0EESW_EEDaSR_SS_EUlSR_E_NS1_11comp_targetILNS1_3genE2ELNS1_11target_archE906ELNS1_3gpuE6ELNS1_3repE0EEENS1_30default_config_static_selectorELNS0_4arch9wavefront6targetE1EEEvT1_, .Lfunc_end92-_ZN7rocprim17ROCPRIM_400000_NS6detail17trampoline_kernelINS0_14default_configENS1_20scan_config_selectorIfEEZZNS1_9scan_implILNS1_25lookback_scan_determinismE0ELb0ELb0ES3_PKfPffZZZN2at6native31launch_logcumsumexp_cuda_kernelERKNSB_10TensorBaseESF_lENKUlvE_clEvENKUlvE0_clEvEUlffE_fEEDaPvRmT3_T4_T5_mT6_P12ihipStream_tbENKUlT_T0_E_clISt17integral_constantIbLb0EESW_EEDaSR_SS_EUlSR_E_NS1_11comp_targetILNS1_3genE2ELNS1_11target_archE906ELNS1_3gpuE6ELNS1_3repE0EEENS1_30default_config_static_selectorELNS0_4arch9wavefront6targetE1EEEvT1_
                                        ; -- End function
	.set _ZN7rocprim17ROCPRIM_400000_NS6detail17trampoline_kernelINS0_14default_configENS1_20scan_config_selectorIfEEZZNS1_9scan_implILNS1_25lookback_scan_determinismE0ELb0ELb0ES3_PKfPffZZZN2at6native31launch_logcumsumexp_cuda_kernelERKNSB_10TensorBaseESF_lENKUlvE_clEvENKUlvE0_clEvEUlffE_fEEDaPvRmT3_T4_T5_mT6_P12ihipStream_tbENKUlT_T0_E_clISt17integral_constantIbLb0EESW_EEDaSR_SS_EUlSR_E_NS1_11comp_targetILNS1_3genE2ELNS1_11target_archE906ELNS1_3gpuE6ELNS1_3repE0EEENS1_30default_config_static_selectorELNS0_4arch9wavefront6targetE1EEEvT1_.num_vgpr, 71
	.set _ZN7rocprim17ROCPRIM_400000_NS6detail17trampoline_kernelINS0_14default_configENS1_20scan_config_selectorIfEEZZNS1_9scan_implILNS1_25lookback_scan_determinismE0ELb0ELb0ES3_PKfPffZZZN2at6native31launch_logcumsumexp_cuda_kernelERKNSB_10TensorBaseESF_lENKUlvE_clEvENKUlvE0_clEvEUlffE_fEEDaPvRmT3_T4_T5_mT6_P12ihipStream_tbENKUlT_T0_E_clISt17integral_constantIbLb0EESW_EEDaSR_SS_EUlSR_E_NS1_11comp_targetILNS1_3genE2ELNS1_11target_archE906ELNS1_3gpuE6ELNS1_3repE0EEENS1_30default_config_static_selectorELNS0_4arch9wavefront6targetE1EEEvT1_.num_agpr, 0
	.set _ZN7rocprim17ROCPRIM_400000_NS6detail17trampoline_kernelINS0_14default_configENS1_20scan_config_selectorIfEEZZNS1_9scan_implILNS1_25lookback_scan_determinismE0ELb0ELb0ES3_PKfPffZZZN2at6native31launch_logcumsumexp_cuda_kernelERKNSB_10TensorBaseESF_lENKUlvE_clEvENKUlvE0_clEvEUlffE_fEEDaPvRmT3_T4_T5_mT6_P12ihipStream_tbENKUlT_T0_E_clISt17integral_constantIbLb0EESW_EEDaSR_SS_EUlSR_E_NS1_11comp_targetILNS1_3genE2ELNS1_11target_archE906ELNS1_3gpuE6ELNS1_3repE0EEENS1_30default_config_static_selectorELNS0_4arch9wavefront6targetE1EEEvT1_.numbered_sgpr, 70
	.set _ZN7rocprim17ROCPRIM_400000_NS6detail17trampoline_kernelINS0_14default_configENS1_20scan_config_selectorIfEEZZNS1_9scan_implILNS1_25lookback_scan_determinismE0ELb0ELb0ES3_PKfPffZZZN2at6native31launch_logcumsumexp_cuda_kernelERKNSB_10TensorBaseESF_lENKUlvE_clEvENKUlvE0_clEvEUlffE_fEEDaPvRmT3_T4_T5_mT6_P12ihipStream_tbENKUlT_T0_E_clISt17integral_constantIbLb0EESW_EEDaSR_SS_EUlSR_E_NS1_11comp_targetILNS1_3genE2ELNS1_11target_archE906ELNS1_3gpuE6ELNS1_3repE0EEENS1_30default_config_static_selectorELNS0_4arch9wavefront6targetE1EEEvT1_.num_named_barrier, 0
	.set _ZN7rocprim17ROCPRIM_400000_NS6detail17trampoline_kernelINS0_14default_configENS1_20scan_config_selectorIfEEZZNS1_9scan_implILNS1_25lookback_scan_determinismE0ELb0ELb0ES3_PKfPffZZZN2at6native31launch_logcumsumexp_cuda_kernelERKNSB_10TensorBaseESF_lENKUlvE_clEvENKUlvE0_clEvEUlffE_fEEDaPvRmT3_T4_T5_mT6_P12ihipStream_tbENKUlT_T0_E_clISt17integral_constantIbLb0EESW_EEDaSR_SS_EUlSR_E_NS1_11comp_targetILNS1_3genE2ELNS1_11target_archE906ELNS1_3gpuE6ELNS1_3repE0EEENS1_30default_config_static_selectorELNS0_4arch9wavefront6targetE1EEEvT1_.private_seg_size, 0
	.set _ZN7rocprim17ROCPRIM_400000_NS6detail17trampoline_kernelINS0_14default_configENS1_20scan_config_selectorIfEEZZNS1_9scan_implILNS1_25lookback_scan_determinismE0ELb0ELb0ES3_PKfPffZZZN2at6native31launch_logcumsumexp_cuda_kernelERKNSB_10TensorBaseESF_lENKUlvE_clEvENKUlvE0_clEvEUlffE_fEEDaPvRmT3_T4_T5_mT6_P12ihipStream_tbENKUlT_T0_E_clISt17integral_constantIbLb0EESW_EEDaSR_SS_EUlSR_E_NS1_11comp_targetILNS1_3genE2ELNS1_11target_archE906ELNS1_3gpuE6ELNS1_3repE0EEENS1_30default_config_static_selectorELNS0_4arch9wavefront6targetE1EEEvT1_.uses_vcc, 1
	.set _ZN7rocprim17ROCPRIM_400000_NS6detail17trampoline_kernelINS0_14default_configENS1_20scan_config_selectorIfEEZZNS1_9scan_implILNS1_25lookback_scan_determinismE0ELb0ELb0ES3_PKfPffZZZN2at6native31launch_logcumsumexp_cuda_kernelERKNSB_10TensorBaseESF_lENKUlvE_clEvENKUlvE0_clEvEUlffE_fEEDaPvRmT3_T4_T5_mT6_P12ihipStream_tbENKUlT_T0_E_clISt17integral_constantIbLb0EESW_EEDaSR_SS_EUlSR_E_NS1_11comp_targetILNS1_3genE2ELNS1_11target_archE906ELNS1_3gpuE6ELNS1_3repE0EEENS1_30default_config_static_selectorELNS0_4arch9wavefront6targetE1EEEvT1_.uses_flat_scratch, 0
	.set _ZN7rocprim17ROCPRIM_400000_NS6detail17trampoline_kernelINS0_14default_configENS1_20scan_config_selectorIfEEZZNS1_9scan_implILNS1_25lookback_scan_determinismE0ELb0ELb0ES3_PKfPffZZZN2at6native31launch_logcumsumexp_cuda_kernelERKNSB_10TensorBaseESF_lENKUlvE_clEvENKUlvE0_clEvEUlffE_fEEDaPvRmT3_T4_T5_mT6_P12ihipStream_tbENKUlT_T0_E_clISt17integral_constantIbLb0EESW_EEDaSR_SS_EUlSR_E_NS1_11comp_targetILNS1_3genE2ELNS1_11target_archE906ELNS1_3gpuE6ELNS1_3repE0EEENS1_30default_config_static_selectorELNS0_4arch9wavefront6targetE1EEEvT1_.has_dyn_sized_stack, 0
	.set _ZN7rocprim17ROCPRIM_400000_NS6detail17trampoline_kernelINS0_14default_configENS1_20scan_config_selectorIfEEZZNS1_9scan_implILNS1_25lookback_scan_determinismE0ELb0ELb0ES3_PKfPffZZZN2at6native31launch_logcumsumexp_cuda_kernelERKNSB_10TensorBaseESF_lENKUlvE_clEvENKUlvE0_clEvEUlffE_fEEDaPvRmT3_T4_T5_mT6_P12ihipStream_tbENKUlT_T0_E_clISt17integral_constantIbLb0EESW_EEDaSR_SS_EUlSR_E_NS1_11comp_targetILNS1_3genE2ELNS1_11target_archE906ELNS1_3gpuE6ELNS1_3repE0EEENS1_30default_config_static_selectorELNS0_4arch9wavefront6targetE1EEEvT1_.has_recursion, 0
	.set _ZN7rocprim17ROCPRIM_400000_NS6detail17trampoline_kernelINS0_14default_configENS1_20scan_config_selectorIfEEZZNS1_9scan_implILNS1_25lookback_scan_determinismE0ELb0ELb0ES3_PKfPffZZZN2at6native31launch_logcumsumexp_cuda_kernelERKNSB_10TensorBaseESF_lENKUlvE_clEvENKUlvE0_clEvEUlffE_fEEDaPvRmT3_T4_T5_mT6_P12ihipStream_tbENKUlT_T0_E_clISt17integral_constantIbLb0EESW_EEDaSR_SS_EUlSR_E_NS1_11comp_targetILNS1_3genE2ELNS1_11target_archE906ELNS1_3gpuE6ELNS1_3repE0EEENS1_30default_config_static_selectorELNS0_4arch9wavefront6targetE1EEEvT1_.has_indirect_call, 0
	.section	.AMDGPU.csdata,"",@progbits
; Kernel info:
; codeLenInByte = 71956
; TotalNumSgprs: 74
; NumVgprs: 71
; ScratchSize: 0
; MemoryBound: 0
; FloatMode: 240
; IeeeMode: 1
; LDSByteSize: 15360 bytes/workgroup (compile time only)
; SGPRBlocks: 12
; VGPRBlocks: 17
; NumSGPRsForWavesPerEU: 102
; NumVGPRsForWavesPerEU: 71
; Occupancy: 3
; WaveLimiterHint : 1
; COMPUTE_PGM_RSRC2:SCRATCH_EN: 0
; COMPUTE_PGM_RSRC2:USER_SGPR: 6
; COMPUTE_PGM_RSRC2:TRAP_HANDLER: 0
; COMPUTE_PGM_RSRC2:TGID_X_EN: 1
; COMPUTE_PGM_RSRC2:TGID_Y_EN: 0
; COMPUTE_PGM_RSRC2:TGID_Z_EN: 0
; COMPUTE_PGM_RSRC2:TIDIG_COMP_CNT: 0
	.section	.text._ZN7rocprim17ROCPRIM_400000_NS6detail17trampoline_kernelINS0_14default_configENS1_20scan_config_selectorIfEEZZNS1_9scan_implILNS1_25lookback_scan_determinismE0ELb0ELb0ES3_PKfPffZZZN2at6native31launch_logcumsumexp_cuda_kernelERKNSB_10TensorBaseESF_lENKUlvE_clEvENKUlvE0_clEvEUlffE_fEEDaPvRmT3_T4_T5_mT6_P12ihipStream_tbENKUlT_T0_E_clISt17integral_constantIbLb0EESW_EEDaSR_SS_EUlSR_E_NS1_11comp_targetILNS1_3genE10ELNS1_11target_archE1201ELNS1_3gpuE5ELNS1_3repE0EEENS1_30default_config_static_selectorELNS0_4arch9wavefront6targetE1EEEvT1_,"axG",@progbits,_ZN7rocprim17ROCPRIM_400000_NS6detail17trampoline_kernelINS0_14default_configENS1_20scan_config_selectorIfEEZZNS1_9scan_implILNS1_25lookback_scan_determinismE0ELb0ELb0ES3_PKfPffZZZN2at6native31launch_logcumsumexp_cuda_kernelERKNSB_10TensorBaseESF_lENKUlvE_clEvENKUlvE0_clEvEUlffE_fEEDaPvRmT3_T4_T5_mT6_P12ihipStream_tbENKUlT_T0_E_clISt17integral_constantIbLb0EESW_EEDaSR_SS_EUlSR_E_NS1_11comp_targetILNS1_3genE10ELNS1_11target_archE1201ELNS1_3gpuE5ELNS1_3repE0EEENS1_30default_config_static_selectorELNS0_4arch9wavefront6targetE1EEEvT1_,comdat
	.globl	_ZN7rocprim17ROCPRIM_400000_NS6detail17trampoline_kernelINS0_14default_configENS1_20scan_config_selectorIfEEZZNS1_9scan_implILNS1_25lookback_scan_determinismE0ELb0ELb0ES3_PKfPffZZZN2at6native31launch_logcumsumexp_cuda_kernelERKNSB_10TensorBaseESF_lENKUlvE_clEvENKUlvE0_clEvEUlffE_fEEDaPvRmT3_T4_T5_mT6_P12ihipStream_tbENKUlT_T0_E_clISt17integral_constantIbLb0EESW_EEDaSR_SS_EUlSR_E_NS1_11comp_targetILNS1_3genE10ELNS1_11target_archE1201ELNS1_3gpuE5ELNS1_3repE0EEENS1_30default_config_static_selectorELNS0_4arch9wavefront6targetE1EEEvT1_ ; -- Begin function _ZN7rocprim17ROCPRIM_400000_NS6detail17trampoline_kernelINS0_14default_configENS1_20scan_config_selectorIfEEZZNS1_9scan_implILNS1_25lookback_scan_determinismE0ELb0ELb0ES3_PKfPffZZZN2at6native31launch_logcumsumexp_cuda_kernelERKNSB_10TensorBaseESF_lENKUlvE_clEvENKUlvE0_clEvEUlffE_fEEDaPvRmT3_T4_T5_mT6_P12ihipStream_tbENKUlT_T0_E_clISt17integral_constantIbLb0EESW_EEDaSR_SS_EUlSR_E_NS1_11comp_targetILNS1_3genE10ELNS1_11target_archE1201ELNS1_3gpuE5ELNS1_3repE0EEENS1_30default_config_static_selectorELNS0_4arch9wavefront6targetE1EEEvT1_
	.p2align	8
	.type	_ZN7rocprim17ROCPRIM_400000_NS6detail17trampoline_kernelINS0_14default_configENS1_20scan_config_selectorIfEEZZNS1_9scan_implILNS1_25lookback_scan_determinismE0ELb0ELb0ES3_PKfPffZZZN2at6native31launch_logcumsumexp_cuda_kernelERKNSB_10TensorBaseESF_lENKUlvE_clEvENKUlvE0_clEvEUlffE_fEEDaPvRmT3_T4_T5_mT6_P12ihipStream_tbENKUlT_T0_E_clISt17integral_constantIbLb0EESW_EEDaSR_SS_EUlSR_E_NS1_11comp_targetILNS1_3genE10ELNS1_11target_archE1201ELNS1_3gpuE5ELNS1_3repE0EEENS1_30default_config_static_selectorELNS0_4arch9wavefront6targetE1EEEvT1_,@function
_ZN7rocprim17ROCPRIM_400000_NS6detail17trampoline_kernelINS0_14default_configENS1_20scan_config_selectorIfEEZZNS1_9scan_implILNS1_25lookback_scan_determinismE0ELb0ELb0ES3_PKfPffZZZN2at6native31launch_logcumsumexp_cuda_kernelERKNSB_10TensorBaseESF_lENKUlvE_clEvENKUlvE0_clEvEUlffE_fEEDaPvRmT3_T4_T5_mT6_P12ihipStream_tbENKUlT_T0_E_clISt17integral_constantIbLb0EESW_EEDaSR_SS_EUlSR_E_NS1_11comp_targetILNS1_3genE10ELNS1_11target_archE1201ELNS1_3gpuE5ELNS1_3repE0EEENS1_30default_config_static_selectorELNS0_4arch9wavefront6targetE1EEEvT1_: ; @_ZN7rocprim17ROCPRIM_400000_NS6detail17trampoline_kernelINS0_14default_configENS1_20scan_config_selectorIfEEZZNS1_9scan_implILNS1_25lookback_scan_determinismE0ELb0ELb0ES3_PKfPffZZZN2at6native31launch_logcumsumexp_cuda_kernelERKNSB_10TensorBaseESF_lENKUlvE_clEvENKUlvE0_clEvEUlffE_fEEDaPvRmT3_T4_T5_mT6_P12ihipStream_tbENKUlT_T0_E_clISt17integral_constantIbLb0EESW_EEDaSR_SS_EUlSR_E_NS1_11comp_targetILNS1_3genE10ELNS1_11target_archE1201ELNS1_3gpuE5ELNS1_3repE0EEENS1_30default_config_static_selectorELNS0_4arch9wavefront6targetE1EEEvT1_
; %bb.0:
	.section	.rodata,"a",@progbits
	.p2align	6, 0x0
	.amdhsa_kernel _ZN7rocprim17ROCPRIM_400000_NS6detail17trampoline_kernelINS0_14default_configENS1_20scan_config_selectorIfEEZZNS1_9scan_implILNS1_25lookback_scan_determinismE0ELb0ELb0ES3_PKfPffZZZN2at6native31launch_logcumsumexp_cuda_kernelERKNSB_10TensorBaseESF_lENKUlvE_clEvENKUlvE0_clEvEUlffE_fEEDaPvRmT3_T4_T5_mT6_P12ihipStream_tbENKUlT_T0_E_clISt17integral_constantIbLb0EESW_EEDaSR_SS_EUlSR_E_NS1_11comp_targetILNS1_3genE10ELNS1_11target_archE1201ELNS1_3gpuE5ELNS1_3repE0EEENS1_30default_config_static_selectorELNS0_4arch9wavefront6targetE1EEEvT1_
		.amdhsa_group_segment_fixed_size 0
		.amdhsa_private_segment_fixed_size 0
		.amdhsa_kernarg_size 96
		.amdhsa_user_sgpr_count 6
		.amdhsa_user_sgpr_private_segment_buffer 1
		.amdhsa_user_sgpr_dispatch_ptr 0
		.amdhsa_user_sgpr_queue_ptr 0
		.amdhsa_user_sgpr_kernarg_segment_ptr 1
		.amdhsa_user_sgpr_dispatch_id 0
		.amdhsa_user_sgpr_flat_scratch_init 0
		.amdhsa_user_sgpr_private_segment_size 0
		.amdhsa_uses_dynamic_stack 0
		.amdhsa_system_sgpr_private_segment_wavefront_offset 0
		.amdhsa_system_sgpr_workgroup_id_x 1
		.amdhsa_system_sgpr_workgroup_id_y 0
		.amdhsa_system_sgpr_workgroup_id_z 0
		.amdhsa_system_sgpr_workgroup_info 0
		.amdhsa_system_vgpr_workitem_id 0
		.amdhsa_next_free_vgpr 1
		.amdhsa_next_free_sgpr 0
		.amdhsa_reserve_vcc 0
		.amdhsa_reserve_flat_scratch 0
		.amdhsa_float_round_mode_32 0
		.amdhsa_float_round_mode_16_64 0
		.amdhsa_float_denorm_mode_32 3
		.amdhsa_float_denorm_mode_16_64 3
		.amdhsa_dx10_clamp 1
		.amdhsa_ieee_mode 1
		.amdhsa_fp16_overflow 0
		.amdhsa_exception_fp_ieee_invalid_op 0
		.amdhsa_exception_fp_denorm_src 0
		.amdhsa_exception_fp_ieee_div_zero 0
		.amdhsa_exception_fp_ieee_overflow 0
		.amdhsa_exception_fp_ieee_underflow 0
		.amdhsa_exception_fp_ieee_inexact 0
		.amdhsa_exception_int_div_zero 0
	.end_amdhsa_kernel
	.section	.text._ZN7rocprim17ROCPRIM_400000_NS6detail17trampoline_kernelINS0_14default_configENS1_20scan_config_selectorIfEEZZNS1_9scan_implILNS1_25lookback_scan_determinismE0ELb0ELb0ES3_PKfPffZZZN2at6native31launch_logcumsumexp_cuda_kernelERKNSB_10TensorBaseESF_lENKUlvE_clEvENKUlvE0_clEvEUlffE_fEEDaPvRmT3_T4_T5_mT6_P12ihipStream_tbENKUlT_T0_E_clISt17integral_constantIbLb0EESW_EEDaSR_SS_EUlSR_E_NS1_11comp_targetILNS1_3genE10ELNS1_11target_archE1201ELNS1_3gpuE5ELNS1_3repE0EEENS1_30default_config_static_selectorELNS0_4arch9wavefront6targetE1EEEvT1_,"axG",@progbits,_ZN7rocprim17ROCPRIM_400000_NS6detail17trampoline_kernelINS0_14default_configENS1_20scan_config_selectorIfEEZZNS1_9scan_implILNS1_25lookback_scan_determinismE0ELb0ELb0ES3_PKfPffZZZN2at6native31launch_logcumsumexp_cuda_kernelERKNSB_10TensorBaseESF_lENKUlvE_clEvENKUlvE0_clEvEUlffE_fEEDaPvRmT3_T4_T5_mT6_P12ihipStream_tbENKUlT_T0_E_clISt17integral_constantIbLb0EESW_EEDaSR_SS_EUlSR_E_NS1_11comp_targetILNS1_3genE10ELNS1_11target_archE1201ELNS1_3gpuE5ELNS1_3repE0EEENS1_30default_config_static_selectorELNS0_4arch9wavefront6targetE1EEEvT1_,comdat
.Lfunc_end93:
	.size	_ZN7rocprim17ROCPRIM_400000_NS6detail17trampoline_kernelINS0_14default_configENS1_20scan_config_selectorIfEEZZNS1_9scan_implILNS1_25lookback_scan_determinismE0ELb0ELb0ES3_PKfPffZZZN2at6native31launch_logcumsumexp_cuda_kernelERKNSB_10TensorBaseESF_lENKUlvE_clEvENKUlvE0_clEvEUlffE_fEEDaPvRmT3_T4_T5_mT6_P12ihipStream_tbENKUlT_T0_E_clISt17integral_constantIbLb0EESW_EEDaSR_SS_EUlSR_E_NS1_11comp_targetILNS1_3genE10ELNS1_11target_archE1201ELNS1_3gpuE5ELNS1_3repE0EEENS1_30default_config_static_selectorELNS0_4arch9wavefront6targetE1EEEvT1_, .Lfunc_end93-_ZN7rocprim17ROCPRIM_400000_NS6detail17trampoline_kernelINS0_14default_configENS1_20scan_config_selectorIfEEZZNS1_9scan_implILNS1_25lookback_scan_determinismE0ELb0ELb0ES3_PKfPffZZZN2at6native31launch_logcumsumexp_cuda_kernelERKNSB_10TensorBaseESF_lENKUlvE_clEvENKUlvE0_clEvEUlffE_fEEDaPvRmT3_T4_T5_mT6_P12ihipStream_tbENKUlT_T0_E_clISt17integral_constantIbLb0EESW_EEDaSR_SS_EUlSR_E_NS1_11comp_targetILNS1_3genE10ELNS1_11target_archE1201ELNS1_3gpuE5ELNS1_3repE0EEENS1_30default_config_static_selectorELNS0_4arch9wavefront6targetE1EEEvT1_
                                        ; -- End function
	.set _ZN7rocprim17ROCPRIM_400000_NS6detail17trampoline_kernelINS0_14default_configENS1_20scan_config_selectorIfEEZZNS1_9scan_implILNS1_25lookback_scan_determinismE0ELb0ELb0ES3_PKfPffZZZN2at6native31launch_logcumsumexp_cuda_kernelERKNSB_10TensorBaseESF_lENKUlvE_clEvENKUlvE0_clEvEUlffE_fEEDaPvRmT3_T4_T5_mT6_P12ihipStream_tbENKUlT_T0_E_clISt17integral_constantIbLb0EESW_EEDaSR_SS_EUlSR_E_NS1_11comp_targetILNS1_3genE10ELNS1_11target_archE1201ELNS1_3gpuE5ELNS1_3repE0EEENS1_30default_config_static_selectorELNS0_4arch9wavefront6targetE1EEEvT1_.num_vgpr, 0
	.set _ZN7rocprim17ROCPRIM_400000_NS6detail17trampoline_kernelINS0_14default_configENS1_20scan_config_selectorIfEEZZNS1_9scan_implILNS1_25lookback_scan_determinismE0ELb0ELb0ES3_PKfPffZZZN2at6native31launch_logcumsumexp_cuda_kernelERKNSB_10TensorBaseESF_lENKUlvE_clEvENKUlvE0_clEvEUlffE_fEEDaPvRmT3_T4_T5_mT6_P12ihipStream_tbENKUlT_T0_E_clISt17integral_constantIbLb0EESW_EEDaSR_SS_EUlSR_E_NS1_11comp_targetILNS1_3genE10ELNS1_11target_archE1201ELNS1_3gpuE5ELNS1_3repE0EEENS1_30default_config_static_selectorELNS0_4arch9wavefront6targetE1EEEvT1_.num_agpr, 0
	.set _ZN7rocprim17ROCPRIM_400000_NS6detail17trampoline_kernelINS0_14default_configENS1_20scan_config_selectorIfEEZZNS1_9scan_implILNS1_25lookback_scan_determinismE0ELb0ELb0ES3_PKfPffZZZN2at6native31launch_logcumsumexp_cuda_kernelERKNSB_10TensorBaseESF_lENKUlvE_clEvENKUlvE0_clEvEUlffE_fEEDaPvRmT3_T4_T5_mT6_P12ihipStream_tbENKUlT_T0_E_clISt17integral_constantIbLb0EESW_EEDaSR_SS_EUlSR_E_NS1_11comp_targetILNS1_3genE10ELNS1_11target_archE1201ELNS1_3gpuE5ELNS1_3repE0EEENS1_30default_config_static_selectorELNS0_4arch9wavefront6targetE1EEEvT1_.numbered_sgpr, 0
	.set _ZN7rocprim17ROCPRIM_400000_NS6detail17trampoline_kernelINS0_14default_configENS1_20scan_config_selectorIfEEZZNS1_9scan_implILNS1_25lookback_scan_determinismE0ELb0ELb0ES3_PKfPffZZZN2at6native31launch_logcumsumexp_cuda_kernelERKNSB_10TensorBaseESF_lENKUlvE_clEvENKUlvE0_clEvEUlffE_fEEDaPvRmT3_T4_T5_mT6_P12ihipStream_tbENKUlT_T0_E_clISt17integral_constantIbLb0EESW_EEDaSR_SS_EUlSR_E_NS1_11comp_targetILNS1_3genE10ELNS1_11target_archE1201ELNS1_3gpuE5ELNS1_3repE0EEENS1_30default_config_static_selectorELNS0_4arch9wavefront6targetE1EEEvT1_.num_named_barrier, 0
	.set _ZN7rocprim17ROCPRIM_400000_NS6detail17trampoline_kernelINS0_14default_configENS1_20scan_config_selectorIfEEZZNS1_9scan_implILNS1_25lookback_scan_determinismE0ELb0ELb0ES3_PKfPffZZZN2at6native31launch_logcumsumexp_cuda_kernelERKNSB_10TensorBaseESF_lENKUlvE_clEvENKUlvE0_clEvEUlffE_fEEDaPvRmT3_T4_T5_mT6_P12ihipStream_tbENKUlT_T0_E_clISt17integral_constantIbLb0EESW_EEDaSR_SS_EUlSR_E_NS1_11comp_targetILNS1_3genE10ELNS1_11target_archE1201ELNS1_3gpuE5ELNS1_3repE0EEENS1_30default_config_static_selectorELNS0_4arch9wavefront6targetE1EEEvT1_.private_seg_size, 0
	.set _ZN7rocprim17ROCPRIM_400000_NS6detail17trampoline_kernelINS0_14default_configENS1_20scan_config_selectorIfEEZZNS1_9scan_implILNS1_25lookback_scan_determinismE0ELb0ELb0ES3_PKfPffZZZN2at6native31launch_logcumsumexp_cuda_kernelERKNSB_10TensorBaseESF_lENKUlvE_clEvENKUlvE0_clEvEUlffE_fEEDaPvRmT3_T4_T5_mT6_P12ihipStream_tbENKUlT_T0_E_clISt17integral_constantIbLb0EESW_EEDaSR_SS_EUlSR_E_NS1_11comp_targetILNS1_3genE10ELNS1_11target_archE1201ELNS1_3gpuE5ELNS1_3repE0EEENS1_30default_config_static_selectorELNS0_4arch9wavefront6targetE1EEEvT1_.uses_vcc, 0
	.set _ZN7rocprim17ROCPRIM_400000_NS6detail17trampoline_kernelINS0_14default_configENS1_20scan_config_selectorIfEEZZNS1_9scan_implILNS1_25lookback_scan_determinismE0ELb0ELb0ES3_PKfPffZZZN2at6native31launch_logcumsumexp_cuda_kernelERKNSB_10TensorBaseESF_lENKUlvE_clEvENKUlvE0_clEvEUlffE_fEEDaPvRmT3_T4_T5_mT6_P12ihipStream_tbENKUlT_T0_E_clISt17integral_constantIbLb0EESW_EEDaSR_SS_EUlSR_E_NS1_11comp_targetILNS1_3genE10ELNS1_11target_archE1201ELNS1_3gpuE5ELNS1_3repE0EEENS1_30default_config_static_selectorELNS0_4arch9wavefront6targetE1EEEvT1_.uses_flat_scratch, 0
	.set _ZN7rocprim17ROCPRIM_400000_NS6detail17trampoline_kernelINS0_14default_configENS1_20scan_config_selectorIfEEZZNS1_9scan_implILNS1_25lookback_scan_determinismE0ELb0ELb0ES3_PKfPffZZZN2at6native31launch_logcumsumexp_cuda_kernelERKNSB_10TensorBaseESF_lENKUlvE_clEvENKUlvE0_clEvEUlffE_fEEDaPvRmT3_T4_T5_mT6_P12ihipStream_tbENKUlT_T0_E_clISt17integral_constantIbLb0EESW_EEDaSR_SS_EUlSR_E_NS1_11comp_targetILNS1_3genE10ELNS1_11target_archE1201ELNS1_3gpuE5ELNS1_3repE0EEENS1_30default_config_static_selectorELNS0_4arch9wavefront6targetE1EEEvT1_.has_dyn_sized_stack, 0
	.set _ZN7rocprim17ROCPRIM_400000_NS6detail17trampoline_kernelINS0_14default_configENS1_20scan_config_selectorIfEEZZNS1_9scan_implILNS1_25lookback_scan_determinismE0ELb0ELb0ES3_PKfPffZZZN2at6native31launch_logcumsumexp_cuda_kernelERKNSB_10TensorBaseESF_lENKUlvE_clEvENKUlvE0_clEvEUlffE_fEEDaPvRmT3_T4_T5_mT6_P12ihipStream_tbENKUlT_T0_E_clISt17integral_constantIbLb0EESW_EEDaSR_SS_EUlSR_E_NS1_11comp_targetILNS1_3genE10ELNS1_11target_archE1201ELNS1_3gpuE5ELNS1_3repE0EEENS1_30default_config_static_selectorELNS0_4arch9wavefront6targetE1EEEvT1_.has_recursion, 0
	.set _ZN7rocprim17ROCPRIM_400000_NS6detail17trampoline_kernelINS0_14default_configENS1_20scan_config_selectorIfEEZZNS1_9scan_implILNS1_25lookback_scan_determinismE0ELb0ELb0ES3_PKfPffZZZN2at6native31launch_logcumsumexp_cuda_kernelERKNSB_10TensorBaseESF_lENKUlvE_clEvENKUlvE0_clEvEUlffE_fEEDaPvRmT3_T4_T5_mT6_P12ihipStream_tbENKUlT_T0_E_clISt17integral_constantIbLb0EESW_EEDaSR_SS_EUlSR_E_NS1_11comp_targetILNS1_3genE10ELNS1_11target_archE1201ELNS1_3gpuE5ELNS1_3repE0EEENS1_30default_config_static_selectorELNS0_4arch9wavefront6targetE1EEEvT1_.has_indirect_call, 0
	.section	.AMDGPU.csdata,"",@progbits
; Kernel info:
; codeLenInByte = 0
; TotalNumSgprs: 4
; NumVgprs: 0
; ScratchSize: 0
; MemoryBound: 0
; FloatMode: 240
; IeeeMode: 1
; LDSByteSize: 0 bytes/workgroup (compile time only)
; SGPRBlocks: 0
; VGPRBlocks: 0
; NumSGPRsForWavesPerEU: 4
; NumVGPRsForWavesPerEU: 1
; Occupancy: 10
; WaveLimiterHint : 0
; COMPUTE_PGM_RSRC2:SCRATCH_EN: 0
; COMPUTE_PGM_RSRC2:USER_SGPR: 6
; COMPUTE_PGM_RSRC2:TRAP_HANDLER: 0
; COMPUTE_PGM_RSRC2:TGID_X_EN: 1
; COMPUTE_PGM_RSRC2:TGID_Y_EN: 0
; COMPUTE_PGM_RSRC2:TGID_Z_EN: 0
; COMPUTE_PGM_RSRC2:TIDIG_COMP_CNT: 0
	.section	.text._ZN7rocprim17ROCPRIM_400000_NS6detail17trampoline_kernelINS0_14default_configENS1_20scan_config_selectorIfEEZZNS1_9scan_implILNS1_25lookback_scan_determinismE0ELb0ELb0ES3_PKfPffZZZN2at6native31launch_logcumsumexp_cuda_kernelERKNSB_10TensorBaseESF_lENKUlvE_clEvENKUlvE0_clEvEUlffE_fEEDaPvRmT3_T4_T5_mT6_P12ihipStream_tbENKUlT_T0_E_clISt17integral_constantIbLb0EESW_EEDaSR_SS_EUlSR_E_NS1_11comp_targetILNS1_3genE10ELNS1_11target_archE1200ELNS1_3gpuE4ELNS1_3repE0EEENS1_30default_config_static_selectorELNS0_4arch9wavefront6targetE1EEEvT1_,"axG",@progbits,_ZN7rocprim17ROCPRIM_400000_NS6detail17trampoline_kernelINS0_14default_configENS1_20scan_config_selectorIfEEZZNS1_9scan_implILNS1_25lookback_scan_determinismE0ELb0ELb0ES3_PKfPffZZZN2at6native31launch_logcumsumexp_cuda_kernelERKNSB_10TensorBaseESF_lENKUlvE_clEvENKUlvE0_clEvEUlffE_fEEDaPvRmT3_T4_T5_mT6_P12ihipStream_tbENKUlT_T0_E_clISt17integral_constantIbLb0EESW_EEDaSR_SS_EUlSR_E_NS1_11comp_targetILNS1_3genE10ELNS1_11target_archE1200ELNS1_3gpuE4ELNS1_3repE0EEENS1_30default_config_static_selectorELNS0_4arch9wavefront6targetE1EEEvT1_,comdat
	.globl	_ZN7rocprim17ROCPRIM_400000_NS6detail17trampoline_kernelINS0_14default_configENS1_20scan_config_selectorIfEEZZNS1_9scan_implILNS1_25lookback_scan_determinismE0ELb0ELb0ES3_PKfPffZZZN2at6native31launch_logcumsumexp_cuda_kernelERKNSB_10TensorBaseESF_lENKUlvE_clEvENKUlvE0_clEvEUlffE_fEEDaPvRmT3_T4_T5_mT6_P12ihipStream_tbENKUlT_T0_E_clISt17integral_constantIbLb0EESW_EEDaSR_SS_EUlSR_E_NS1_11comp_targetILNS1_3genE10ELNS1_11target_archE1200ELNS1_3gpuE4ELNS1_3repE0EEENS1_30default_config_static_selectorELNS0_4arch9wavefront6targetE1EEEvT1_ ; -- Begin function _ZN7rocprim17ROCPRIM_400000_NS6detail17trampoline_kernelINS0_14default_configENS1_20scan_config_selectorIfEEZZNS1_9scan_implILNS1_25lookback_scan_determinismE0ELb0ELb0ES3_PKfPffZZZN2at6native31launch_logcumsumexp_cuda_kernelERKNSB_10TensorBaseESF_lENKUlvE_clEvENKUlvE0_clEvEUlffE_fEEDaPvRmT3_T4_T5_mT6_P12ihipStream_tbENKUlT_T0_E_clISt17integral_constantIbLb0EESW_EEDaSR_SS_EUlSR_E_NS1_11comp_targetILNS1_3genE10ELNS1_11target_archE1200ELNS1_3gpuE4ELNS1_3repE0EEENS1_30default_config_static_selectorELNS0_4arch9wavefront6targetE1EEEvT1_
	.p2align	8
	.type	_ZN7rocprim17ROCPRIM_400000_NS6detail17trampoline_kernelINS0_14default_configENS1_20scan_config_selectorIfEEZZNS1_9scan_implILNS1_25lookback_scan_determinismE0ELb0ELb0ES3_PKfPffZZZN2at6native31launch_logcumsumexp_cuda_kernelERKNSB_10TensorBaseESF_lENKUlvE_clEvENKUlvE0_clEvEUlffE_fEEDaPvRmT3_T4_T5_mT6_P12ihipStream_tbENKUlT_T0_E_clISt17integral_constantIbLb0EESW_EEDaSR_SS_EUlSR_E_NS1_11comp_targetILNS1_3genE10ELNS1_11target_archE1200ELNS1_3gpuE4ELNS1_3repE0EEENS1_30default_config_static_selectorELNS0_4arch9wavefront6targetE1EEEvT1_,@function
_ZN7rocprim17ROCPRIM_400000_NS6detail17trampoline_kernelINS0_14default_configENS1_20scan_config_selectorIfEEZZNS1_9scan_implILNS1_25lookback_scan_determinismE0ELb0ELb0ES3_PKfPffZZZN2at6native31launch_logcumsumexp_cuda_kernelERKNSB_10TensorBaseESF_lENKUlvE_clEvENKUlvE0_clEvEUlffE_fEEDaPvRmT3_T4_T5_mT6_P12ihipStream_tbENKUlT_T0_E_clISt17integral_constantIbLb0EESW_EEDaSR_SS_EUlSR_E_NS1_11comp_targetILNS1_3genE10ELNS1_11target_archE1200ELNS1_3gpuE4ELNS1_3repE0EEENS1_30default_config_static_selectorELNS0_4arch9wavefront6targetE1EEEvT1_: ; @_ZN7rocprim17ROCPRIM_400000_NS6detail17trampoline_kernelINS0_14default_configENS1_20scan_config_selectorIfEEZZNS1_9scan_implILNS1_25lookback_scan_determinismE0ELb0ELb0ES3_PKfPffZZZN2at6native31launch_logcumsumexp_cuda_kernelERKNSB_10TensorBaseESF_lENKUlvE_clEvENKUlvE0_clEvEUlffE_fEEDaPvRmT3_T4_T5_mT6_P12ihipStream_tbENKUlT_T0_E_clISt17integral_constantIbLb0EESW_EEDaSR_SS_EUlSR_E_NS1_11comp_targetILNS1_3genE10ELNS1_11target_archE1200ELNS1_3gpuE4ELNS1_3repE0EEENS1_30default_config_static_selectorELNS0_4arch9wavefront6targetE1EEEvT1_
; %bb.0:
	.section	.rodata,"a",@progbits
	.p2align	6, 0x0
	.amdhsa_kernel _ZN7rocprim17ROCPRIM_400000_NS6detail17trampoline_kernelINS0_14default_configENS1_20scan_config_selectorIfEEZZNS1_9scan_implILNS1_25lookback_scan_determinismE0ELb0ELb0ES3_PKfPffZZZN2at6native31launch_logcumsumexp_cuda_kernelERKNSB_10TensorBaseESF_lENKUlvE_clEvENKUlvE0_clEvEUlffE_fEEDaPvRmT3_T4_T5_mT6_P12ihipStream_tbENKUlT_T0_E_clISt17integral_constantIbLb0EESW_EEDaSR_SS_EUlSR_E_NS1_11comp_targetILNS1_3genE10ELNS1_11target_archE1200ELNS1_3gpuE4ELNS1_3repE0EEENS1_30default_config_static_selectorELNS0_4arch9wavefront6targetE1EEEvT1_
		.amdhsa_group_segment_fixed_size 0
		.amdhsa_private_segment_fixed_size 0
		.amdhsa_kernarg_size 96
		.amdhsa_user_sgpr_count 6
		.amdhsa_user_sgpr_private_segment_buffer 1
		.amdhsa_user_sgpr_dispatch_ptr 0
		.amdhsa_user_sgpr_queue_ptr 0
		.amdhsa_user_sgpr_kernarg_segment_ptr 1
		.amdhsa_user_sgpr_dispatch_id 0
		.amdhsa_user_sgpr_flat_scratch_init 0
		.amdhsa_user_sgpr_private_segment_size 0
		.amdhsa_uses_dynamic_stack 0
		.amdhsa_system_sgpr_private_segment_wavefront_offset 0
		.amdhsa_system_sgpr_workgroup_id_x 1
		.amdhsa_system_sgpr_workgroup_id_y 0
		.amdhsa_system_sgpr_workgroup_id_z 0
		.amdhsa_system_sgpr_workgroup_info 0
		.amdhsa_system_vgpr_workitem_id 0
		.amdhsa_next_free_vgpr 1
		.amdhsa_next_free_sgpr 0
		.amdhsa_reserve_vcc 0
		.amdhsa_reserve_flat_scratch 0
		.amdhsa_float_round_mode_32 0
		.amdhsa_float_round_mode_16_64 0
		.amdhsa_float_denorm_mode_32 3
		.amdhsa_float_denorm_mode_16_64 3
		.amdhsa_dx10_clamp 1
		.amdhsa_ieee_mode 1
		.amdhsa_fp16_overflow 0
		.amdhsa_exception_fp_ieee_invalid_op 0
		.amdhsa_exception_fp_denorm_src 0
		.amdhsa_exception_fp_ieee_div_zero 0
		.amdhsa_exception_fp_ieee_overflow 0
		.amdhsa_exception_fp_ieee_underflow 0
		.amdhsa_exception_fp_ieee_inexact 0
		.amdhsa_exception_int_div_zero 0
	.end_amdhsa_kernel
	.section	.text._ZN7rocprim17ROCPRIM_400000_NS6detail17trampoline_kernelINS0_14default_configENS1_20scan_config_selectorIfEEZZNS1_9scan_implILNS1_25lookback_scan_determinismE0ELb0ELb0ES3_PKfPffZZZN2at6native31launch_logcumsumexp_cuda_kernelERKNSB_10TensorBaseESF_lENKUlvE_clEvENKUlvE0_clEvEUlffE_fEEDaPvRmT3_T4_T5_mT6_P12ihipStream_tbENKUlT_T0_E_clISt17integral_constantIbLb0EESW_EEDaSR_SS_EUlSR_E_NS1_11comp_targetILNS1_3genE10ELNS1_11target_archE1200ELNS1_3gpuE4ELNS1_3repE0EEENS1_30default_config_static_selectorELNS0_4arch9wavefront6targetE1EEEvT1_,"axG",@progbits,_ZN7rocprim17ROCPRIM_400000_NS6detail17trampoline_kernelINS0_14default_configENS1_20scan_config_selectorIfEEZZNS1_9scan_implILNS1_25lookback_scan_determinismE0ELb0ELb0ES3_PKfPffZZZN2at6native31launch_logcumsumexp_cuda_kernelERKNSB_10TensorBaseESF_lENKUlvE_clEvENKUlvE0_clEvEUlffE_fEEDaPvRmT3_T4_T5_mT6_P12ihipStream_tbENKUlT_T0_E_clISt17integral_constantIbLb0EESW_EEDaSR_SS_EUlSR_E_NS1_11comp_targetILNS1_3genE10ELNS1_11target_archE1200ELNS1_3gpuE4ELNS1_3repE0EEENS1_30default_config_static_selectorELNS0_4arch9wavefront6targetE1EEEvT1_,comdat
.Lfunc_end94:
	.size	_ZN7rocprim17ROCPRIM_400000_NS6detail17trampoline_kernelINS0_14default_configENS1_20scan_config_selectorIfEEZZNS1_9scan_implILNS1_25lookback_scan_determinismE0ELb0ELb0ES3_PKfPffZZZN2at6native31launch_logcumsumexp_cuda_kernelERKNSB_10TensorBaseESF_lENKUlvE_clEvENKUlvE0_clEvEUlffE_fEEDaPvRmT3_T4_T5_mT6_P12ihipStream_tbENKUlT_T0_E_clISt17integral_constantIbLb0EESW_EEDaSR_SS_EUlSR_E_NS1_11comp_targetILNS1_3genE10ELNS1_11target_archE1200ELNS1_3gpuE4ELNS1_3repE0EEENS1_30default_config_static_selectorELNS0_4arch9wavefront6targetE1EEEvT1_, .Lfunc_end94-_ZN7rocprim17ROCPRIM_400000_NS6detail17trampoline_kernelINS0_14default_configENS1_20scan_config_selectorIfEEZZNS1_9scan_implILNS1_25lookback_scan_determinismE0ELb0ELb0ES3_PKfPffZZZN2at6native31launch_logcumsumexp_cuda_kernelERKNSB_10TensorBaseESF_lENKUlvE_clEvENKUlvE0_clEvEUlffE_fEEDaPvRmT3_T4_T5_mT6_P12ihipStream_tbENKUlT_T0_E_clISt17integral_constantIbLb0EESW_EEDaSR_SS_EUlSR_E_NS1_11comp_targetILNS1_3genE10ELNS1_11target_archE1200ELNS1_3gpuE4ELNS1_3repE0EEENS1_30default_config_static_selectorELNS0_4arch9wavefront6targetE1EEEvT1_
                                        ; -- End function
	.set _ZN7rocprim17ROCPRIM_400000_NS6detail17trampoline_kernelINS0_14default_configENS1_20scan_config_selectorIfEEZZNS1_9scan_implILNS1_25lookback_scan_determinismE0ELb0ELb0ES3_PKfPffZZZN2at6native31launch_logcumsumexp_cuda_kernelERKNSB_10TensorBaseESF_lENKUlvE_clEvENKUlvE0_clEvEUlffE_fEEDaPvRmT3_T4_T5_mT6_P12ihipStream_tbENKUlT_T0_E_clISt17integral_constantIbLb0EESW_EEDaSR_SS_EUlSR_E_NS1_11comp_targetILNS1_3genE10ELNS1_11target_archE1200ELNS1_3gpuE4ELNS1_3repE0EEENS1_30default_config_static_selectorELNS0_4arch9wavefront6targetE1EEEvT1_.num_vgpr, 0
	.set _ZN7rocprim17ROCPRIM_400000_NS6detail17trampoline_kernelINS0_14default_configENS1_20scan_config_selectorIfEEZZNS1_9scan_implILNS1_25lookback_scan_determinismE0ELb0ELb0ES3_PKfPffZZZN2at6native31launch_logcumsumexp_cuda_kernelERKNSB_10TensorBaseESF_lENKUlvE_clEvENKUlvE0_clEvEUlffE_fEEDaPvRmT3_T4_T5_mT6_P12ihipStream_tbENKUlT_T0_E_clISt17integral_constantIbLb0EESW_EEDaSR_SS_EUlSR_E_NS1_11comp_targetILNS1_3genE10ELNS1_11target_archE1200ELNS1_3gpuE4ELNS1_3repE0EEENS1_30default_config_static_selectorELNS0_4arch9wavefront6targetE1EEEvT1_.num_agpr, 0
	.set _ZN7rocprim17ROCPRIM_400000_NS6detail17trampoline_kernelINS0_14default_configENS1_20scan_config_selectorIfEEZZNS1_9scan_implILNS1_25lookback_scan_determinismE0ELb0ELb0ES3_PKfPffZZZN2at6native31launch_logcumsumexp_cuda_kernelERKNSB_10TensorBaseESF_lENKUlvE_clEvENKUlvE0_clEvEUlffE_fEEDaPvRmT3_T4_T5_mT6_P12ihipStream_tbENKUlT_T0_E_clISt17integral_constantIbLb0EESW_EEDaSR_SS_EUlSR_E_NS1_11comp_targetILNS1_3genE10ELNS1_11target_archE1200ELNS1_3gpuE4ELNS1_3repE0EEENS1_30default_config_static_selectorELNS0_4arch9wavefront6targetE1EEEvT1_.numbered_sgpr, 0
	.set _ZN7rocprim17ROCPRIM_400000_NS6detail17trampoline_kernelINS0_14default_configENS1_20scan_config_selectorIfEEZZNS1_9scan_implILNS1_25lookback_scan_determinismE0ELb0ELb0ES3_PKfPffZZZN2at6native31launch_logcumsumexp_cuda_kernelERKNSB_10TensorBaseESF_lENKUlvE_clEvENKUlvE0_clEvEUlffE_fEEDaPvRmT3_T4_T5_mT6_P12ihipStream_tbENKUlT_T0_E_clISt17integral_constantIbLb0EESW_EEDaSR_SS_EUlSR_E_NS1_11comp_targetILNS1_3genE10ELNS1_11target_archE1200ELNS1_3gpuE4ELNS1_3repE0EEENS1_30default_config_static_selectorELNS0_4arch9wavefront6targetE1EEEvT1_.num_named_barrier, 0
	.set _ZN7rocprim17ROCPRIM_400000_NS6detail17trampoline_kernelINS0_14default_configENS1_20scan_config_selectorIfEEZZNS1_9scan_implILNS1_25lookback_scan_determinismE0ELb0ELb0ES3_PKfPffZZZN2at6native31launch_logcumsumexp_cuda_kernelERKNSB_10TensorBaseESF_lENKUlvE_clEvENKUlvE0_clEvEUlffE_fEEDaPvRmT3_T4_T5_mT6_P12ihipStream_tbENKUlT_T0_E_clISt17integral_constantIbLb0EESW_EEDaSR_SS_EUlSR_E_NS1_11comp_targetILNS1_3genE10ELNS1_11target_archE1200ELNS1_3gpuE4ELNS1_3repE0EEENS1_30default_config_static_selectorELNS0_4arch9wavefront6targetE1EEEvT1_.private_seg_size, 0
	.set _ZN7rocprim17ROCPRIM_400000_NS6detail17trampoline_kernelINS0_14default_configENS1_20scan_config_selectorIfEEZZNS1_9scan_implILNS1_25lookback_scan_determinismE0ELb0ELb0ES3_PKfPffZZZN2at6native31launch_logcumsumexp_cuda_kernelERKNSB_10TensorBaseESF_lENKUlvE_clEvENKUlvE0_clEvEUlffE_fEEDaPvRmT3_T4_T5_mT6_P12ihipStream_tbENKUlT_T0_E_clISt17integral_constantIbLb0EESW_EEDaSR_SS_EUlSR_E_NS1_11comp_targetILNS1_3genE10ELNS1_11target_archE1200ELNS1_3gpuE4ELNS1_3repE0EEENS1_30default_config_static_selectorELNS0_4arch9wavefront6targetE1EEEvT1_.uses_vcc, 0
	.set _ZN7rocprim17ROCPRIM_400000_NS6detail17trampoline_kernelINS0_14default_configENS1_20scan_config_selectorIfEEZZNS1_9scan_implILNS1_25lookback_scan_determinismE0ELb0ELb0ES3_PKfPffZZZN2at6native31launch_logcumsumexp_cuda_kernelERKNSB_10TensorBaseESF_lENKUlvE_clEvENKUlvE0_clEvEUlffE_fEEDaPvRmT3_T4_T5_mT6_P12ihipStream_tbENKUlT_T0_E_clISt17integral_constantIbLb0EESW_EEDaSR_SS_EUlSR_E_NS1_11comp_targetILNS1_3genE10ELNS1_11target_archE1200ELNS1_3gpuE4ELNS1_3repE0EEENS1_30default_config_static_selectorELNS0_4arch9wavefront6targetE1EEEvT1_.uses_flat_scratch, 0
	.set _ZN7rocprim17ROCPRIM_400000_NS6detail17trampoline_kernelINS0_14default_configENS1_20scan_config_selectorIfEEZZNS1_9scan_implILNS1_25lookback_scan_determinismE0ELb0ELb0ES3_PKfPffZZZN2at6native31launch_logcumsumexp_cuda_kernelERKNSB_10TensorBaseESF_lENKUlvE_clEvENKUlvE0_clEvEUlffE_fEEDaPvRmT3_T4_T5_mT6_P12ihipStream_tbENKUlT_T0_E_clISt17integral_constantIbLb0EESW_EEDaSR_SS_EUlSR_E_NS1_11comp_targetILNS1_3genE10ELNS1_11target_archE1200ELNS1_3gpuE4ELNS1_3repE0EEENS1_30default_config_static_selectorELNS0_4arch9wavefront6targetE1EEEvT1_.has_dyn_sized_stack, 0
	.set _ZN7rocprim17ROCPRIM_400000_NS6detail17trampoline_kernelINS0_14default_configENS1_20scan_config_selectorIfEEZZNS1_9scan_implILNS1_25lookback_scan_determinismE0ELb0ELb0ES3_PKfPffZZZN2at6native31launch_logcumsumexp_cuda_kernelERKNSB_10TensorBaseESF_lENKUlvE_clEvENKUlvE0_clEvEUlffE_fEEDaPvRmT3_T4_T5_mT6_P12ihipStream_tbENKUlT_T0_E_clISt17integral_constantIbLb0EESW_EEDaSR_SS_EUlSR_E_NS1_11comp_targetILNS1_3genE10ELNS1_11target_archE1200ELNS1_3gpuE4ELNS1_3repE0EEENS1_30default_config_static_selectorELNS0_4arch9wavefront6targetE1EEEvT1_.has_recursion, 0
	.set _ZN7rocprim17ROCPRIM_400000_NS6detail17trampoline_kernelINS0_14default_configENS1_20scan_config_selectorIfEEZZNS1_9scan_implILNS1_25lookback_scan_determinismE0ELb0ELb0ES3_PKfPffZZZN2at6native31launch_logcumsumexp_cuda_kernelERKNSB_10TensorBaseESF_lENKUlvE_clEvENKUlvE0_clEvEUlffE_fEEDaPvRmT3_T4_T5_mT6_P12ihipStream_tbENKUlT_T0_E_clISt17integral_constantIbLb0EESW_EEDaSR_SS_EUlSR_E_NS1_11comp_targetILNS1_3genE10ELNS1_11target_archE1200ELNS1_3gpuE4ELNS1_3repE0EEENS1_30default_config_static_selectorELNS0_4arch9wavefront6targetE1EEEvT1_.has_indirect_call, 0
	.section	.AMDGPU.csdata,"",@progbits
; Kernel info:
; codeLenInByte = 0
; TotalNumSgprs: 4
; NumVgprs: 0
; ScratchSize: 0
; MemoryBound: 0
; FloatMode: 240
; IeeeMode: 1
; LDSByteSize: 0 bytes/workgroup (compile time only)
; SGPRBlocks: 0
; VGPRBlocks: 0
; NumSGPRsForWavesPerEU: 4
; NumVGPRsForWavesPerEU: 1
; Occupancy: 10
; WaveLimiterHint : 0
; COMPUTE_PGM_RSRC2:SCRATCH_EN: 0
; COMPUTE_PGM_RSRC2:USER_SGPR: 6
; COMPUTE_PGM_RSRC2:TRAP_HANDLER: 0
; COMPUTE_PGM_RSRC2:TGID_X_EN: 1
; COMPUTE_PGM_RSRC2:TGID_Y_EN: 0
; COMPUTE_PGM_RSRC2:TGID_Z_EN: 0
; COMPUTE_PGM_RSRC2:TIDIG_COMP_CNT: 0
	.section	.text._ZN7rocprim17ROCPRIM_400000_NS6detail17trampoline_kernelINS0_14default_configENS1_20scan_config_selectorIfEEZZNS1_9scan_implILNS1_25lookback_scan_determinismE0ELb0ELb0ES3_PKfPffZZZN2at6native31launch_logcumsumexp_cuda_kernelERKNSB_10TensorBaseESF_lENKUlvE_clEvENKUlvE0_clEvEUlffE_fEEDaPvRmT3_T4_T5_mT6_P12ihipStream_tbENKUlT_T0_E_clISt17integral_constantIbLb0EESW_EEDaSR_SS_EUlSR_E_NS1_11comp_targetILNS1_3genE9ELNS1_11target_archE1100ELNS1_3gpuE3ELNS1_3repE0EEENS1_30default_config_static_selectorELNS0_4arch9wavefront6targetE1EEEvT1_,"axG",@progbits,_ZN7rocprim17ROCPRIM_400000_NS6detail17trampoline_kernelINS0_14default_configENS1_20scan_config_selectorIfEEZZNS1_9scan_implILNS1_25lookback_scan_determinismE0ELb0ELb0ES3_PKfPffZZZN2at6native31launch_logcumsumexp_cuda_kernelERKNSB_10TensorBaseESF_lENKUlvE_clEvENKUlvE0_clEvEUlffE_fEEDaPvRmT3_T4_T5_mT6_P12ihipStream_tbENKUlT_T0_E_clISt17integral_constantIbLb0EESW_EEDaSR_SS_EUlSR_E_NS1_11comp_targetILNS1_3genE9ELNS1_11target_archE1100ELNS1_3gpuE3ELNS1_3repE0EEENS1_30default_config_static_selectorELNS0_4arch9wavefront6targetE1EEEvT1_,comdat
	.globl	_ZN7rocprim17ROCPRIM_400000_NS6detail17trampoline_kernelINS0_14default_configENS1_20scan_config_selectorIfEEZZNS1_9scan_implILNS1_25lookback_scan_determinismE0ELb0ELb0ES3_PKfPffZZZN2at6native31launch_logcumsumexp_cuda_kernelERKNSB_10TensorBaseESF_lENKUlvE_clEvENKUlvE0_clEvEUlffE_fEEDaPvRmT3_T4_T5_mT6_P12ihipStream_tbENKUlT_T0_E_clISt17integral_constantIbLb0EESW_EEDaSR_SS_EUlSR_E_NS1_11comp_targetILNS1_3genE9ELNS1_11target_archE1100ELNS1_3gpuE3ELNS1_3repE0EEENS1_30default_config_static_selectorELNS0_4arch9wavefront6targetE1EEEvT1_ ; -- Begin function _ZN7rocprim17ROCPRIM_400000_NS6detail17trampoline_kernelINS0_14default_configENS1_20scan_config_selectorIfEEZZNS1_9scan_implILNS1_25lookback_scan_determinismE0ELb0ELb0ES3_PKfPffZZZN2at6native31launch_logcumsumexp_cuda_kernelERKNSB_10TensorBaseESF_lENKUlvE_clEvENKUlvE0_clEvEUlffE_fEEDaPvRmT3_T4_T5_mT6_P12ihipStream_tbENKUlT_T0_E_clISt17integral_constantIbLb0EESW_EEDaSR_SS_EUlSR_E_NS1_11comp_targetILNS1_3genE9ELNS1_11target_archE1100ELNS1_3gpuE3ELNS1_3repE0EEENS1_30default_config_static_selectorELNS0_4arch9wavefront6targetE1EEEvT1_
	.p2align	8
	.type	_ZN7rocprim17ROCPRIM_400000_NS6detail17trampoline_kernelINS0_14default_configENS1_20scan_config_selectorIfEEZZNS1_9scan_implILNS1_25lookback_scan_determinismE0ELb0ELb0ES3_PKfPffZZZN2at6native31launch_logcumsumexp_cuda_kernelERKNSB_10TensorBaseESF_lENKUlvE_clEvENKUlvE0_clEvEUlffE_fEEDaPvRmT3_T4_T5_mT6_P12ihipStream_tbENKUlT_T0_E_clISt17integral_constantIbLb0EESW_EEDaSR_SS_EUlSR_E_NS1_11comp_targetILNS1_3genE9ELNS1_11target_archE1100ELNS1_3gpuE3ELNS1_3repE0EEENS1_30default_config_static_selectorELNS0_4arch9wavefront6targetE1EEEvT1_,@function
_ZN7rocprim17ROCPRIM_400000_NS6detail17trampoline_kernelINS0_14default_configENS1_20scan_config_selectorIfEEZZNS1_9scan_implILNS1_25lookback_scan_determinismE0ELb0ELb0ES3_PKfPffZZZN2at6native31launch_logcumsumexp_cuda_kernelERKNSB_10TensorBaseESF_lENKUlvE_clEvENKUlvE0_clEvEUlffE_fEEDaPvRmT3_T4_T5_mT6_P12ihipStream_tbENKUlT_T0_E_clISt17integral_constantIbLb0EESW_EEDaSR_SS_EUlSR_E_NS1_11comp_targetILNS1_3genE9ELNS1_11target_archE1100ELNS1_3gpuE3ELNS1_3repE0EEENS1_30default_config_static_selectorELNS0_4arch9wavefront6targetE1EEEvT1_: ; @_ZN7rocprim17ROCPRIM_400000_NS6detail17trampoline_kernelINS0_14default_configENS1_20scan_config_selectorIfEEZZNS1_9scan_implILNS1_25lookback_scan_determinismE0ELb0ELb0ES3_PKfPffZZZN2at6native31launch_logcumsumexp_cuda_kernelERKNSB_10TensorBaseESF_lENKUlvE_clEvENKUlvE0_clEvEUlffE_fEEDaPvRmT3_T4_T5_mT6_P12ihipStream_tbENKUlT_T0_E_clISt17integral_constantIbLb0EESW_EEDaSR_SS_EUlSR_E_NS1_11comp_targetILNS1_3genE9ELNS1_11target_archE1100ELNS1_3gpuE3ELNS1_3repE0EEENS1_30default_config_static_selectorELNS0_4arch9wavefront6targetE1EEEvT1_
; %bb.0:
	.section	.rodata,"a",@progbits
	.p2align	6, 0x0
	.amdhsa_kernel _ZN7rocprim17ROCPRIM_400000_NS6detail17trampoline_kernelINS0_14default_configENS1_20scan_config_selectorIfEEZZNS1_9scan_implILNS1_25lookback_scan_determinismE0ELb0ELb0ES3_PKfPffZZZN2at6native31launch_logcumsumexp_cuda_kernelERKNSB_10TensorBaseESF_lENKUlvE_clEvENKUlvE0_clEvEUlffE_fEEDaPvRmT3_T4_T5_mT6_P12ihipStream_tbENKUlT_T0_E_clISt17integral_constantIbLb0EESW_EEDaSR_SS_EUlSR_E_NS1_11comp_targetILNS1_3genE9ELNS1_11target_archE1100ELNS1_3gpuE3ELNS1_3repE0EEENS1_30default_config_static_selectorELNS0_4arch9wavefront6targetE1EEEvT1_
		.amdhsa_group_segment_fixed_size 0
		.amdhsa_private_segment_fixed_size 0
		.amdhsa_kernarg_size 96
		.amdhsa_user_sgpr_count 6
		.amdhsa_user_sgpr_private_segment_buffer 1
		.amdhsa_user_sgpr_dispatch_ptr 0
		.amdhsa_user_sgpr_queue_ptr 0
		.amdhsa_user_sgpr_kernarg_segment_ptr 1
		.amdhsa_user_sgpr_dispatch_id 0
		.amdhsa_user_sgpr_flat_scratch_init 0
		.amdhsa_user_sgpr_private_segment_size 0
		.amdhsa_uses_dynamic_stack 0
		.amdhsa_system_sgpr_private_segment_wavefront_offset 0
		.amdhsa_system_sgpr_workgroup_id_x 1
		.amdhsa_system_sgpr_workgroup_id_y 0
		.amdhsa_system_sgpr_workgroup_id_z 0
		.amdhsa_system_sgpr_workgroup_info 0
		.amdhsa_system_vgpr_workitem_id 0
		.amdhsa_next_free_vgpr 1
		.amdhsa_next_free_sgpr 0
		.amdhsa_reserve_vcc 0
		.amdhsa_reserve_flat_scratch 0
		.amdhsa_float_round_mode_32 0
		.amdhsa_float_round_mode_16_64 0
		.amdhsa_float_denorm_mode_32 3
		.amdhsa_float_denorm_mode_16_64 3
		.amdhsa_dx10_clamp 1
		.amdhsa_ieee_mode 1
		.amdhsa_fp16_overflow 0
		.amdhsa_exception_fp_ieee_invalid_op 0
		.amdhsa_exception_fp_denorm_src 0
		.amdhsa_exception_fp_ieee_div_zero 0
		.amdhsa_exception_fp_ieee_overflow 0
		.amdhsa_exception_fp_ieee_underflow 0
		.amdhsa_exception_fp_ieee_inexact 0
		.amdhsa_exception_int_div_zero 0
	.end_amdhsa_kernel
	.section	.text._ZN7rocprim17ROCPRIM_400000_NS6detail17trampoline_kernelINS0_14default_configENS1_20scan_config_selectorIfEEZZNS1_9scan_implILNS1_25lookback_scan_determinismE0ELb0ELb0ES3_PKfPffZZZN2at6native31launch_logcumsumexp_cuda_kernelERKNSB_10TensorBaseESF_lENKUlvE_clEvENKUlvE0_clEvEUlffE_fEEDaPvRmT3_T4_T5_mT6_P12ihipStream_tbENKUlT_T0_E_clISt17integral_constantIbLb0EESW_EEDaSR_SS_EUlSR_E_NS1_11comp_targetILNS1_3genE9ELNS1_11target_archE1100ELNS1_3gpuE3ELNS1_3repE0EEENS1_30default_config_static_selectorELNS0_4arch9wavefront6targetE1EEEvT1_,"axG",@progbits,_ZN7rocprim17ROCPRIM_400000_NS6detail17trampoline_kernelINS0_14default_configENS1_20scan_config_selectorIfEEZZNS1_9scan_implILNS1_25lookback_scan_determinismE0ELb0ELb0ES3_PKfPffZZZN2at6native31launch_logcumsumexp_cuda_kernelERKNSB_10TensorBaseESF_lENKUlvE_clEvENKUlvE0_clEvEUlffE_fEEDaPvRmT3_T4_T5_mT6_P12ihipStream_tbENKUlT_T0_E_clISt17integral_constantIbLb0EESW_EEDaSR_SS_EUlSR_E_NS1_11comp_targetILNS1_3genE9ELNS1_11target_archE1100ELNS1_3gpuE3ELNS1_3repE0EEENS1_30default_config_static_selectorELNS0_4arch9wavefront6targetE1EEEvT1_,comdat
.Lfunc_end95:
	.size	_ZN7rocprim17ROCPRIM_400000_NS6detail17trampoline_kernelINS0_14default_configENS1_20scan_config_selectorIfEEZZNS1_9scan_implILNS1_25lookback_scan_determinismE0ELb0ELb0ES3_PKfPffZZZN2at6native31launch_logcumsumexp_cuda_kernelERKNSB_10TensorBaseESF_lENKUlvE_clEvENKUlvE0_clEvEUlffE_fEEDaPvRmT3_T4_T5_mT6_P12ihipStream_tbENKUlT_T0_E_clISt17integral_constantIbLb0EESW_EEDaSR_SS_EUlSR_E_NS1_11comp_targetILNS1_3genE9ELNS1_11target_archE1100ELNS1_3gpuE3ELNS1_3repE0EEENS1_30default_config_static_selectorELNS0_4arch9wavefront6targetE1EEEvT1_, .Lfunc_end95-_ZN7rocprim17ROCPRIM_400000_NS6detail17trampoline_kernelINS0_14default_configENS1_20scan_config_selectorIfEEZZNS1_9scan_implILNS1_25lookback_scan_determinismE0ELb0ELb0ES3_PKfPffZZZN2at6native31launch_logcumsumexp_cuda_kernelERKNSB_10TensorBaseESF_lENKUlvE_clEvENKUlvE0_clEvEUlffE_fEEDaPvRmT3_T4_T5_mT6_P12ihipStream_tbENKUlT_T0_E_clISt17integral_constantIbLb0EESW_EEDaSR_SS_EUlSR_E_NS1_11comp_targetILNS1_3genE9ELNS1_11target_archE1100ELNS1_3gpuE3ELNS1_3repE0EEENS1_30default_config_static_selectorELNS0_4arch9wavefront6targetE1EEEvT1_
                                        ; -- End function
	.set _ZN7rocprim17ROCPRIM_400000_NS6detail17trampoline_kernelINS0_14default_configENS1_20scan_config_selectorIfEEZZNS1_9scan_implILNS1_25lookback_scan_determinismE0ELb0ELb0ES3_PKfPffZZZN2at6native31launch_logcumsumexp_cuda_kernelERKNSB_10TensorBaseESF_lENKUlvE_clEvENKUlvE0_clEvEUlffE_fEEDaPvRmT3_T4_T5_mT6_P12ihipStream_tbENKUlT_T0_E_clISt17integral_constantIbLb0EESW_EEDaSR_SS_EUlSR_E_NS1_11comp_targetILNS1_3genE9ELNS1_11target_archE1100ELNS1_3gpuE3ELNS1_3repE0EEENS1_30default_config_static_selectorELNS0_4arch9wavefront6targetE1EEEvT1_.num_vgpr, 0
	.set _ZN7rocprim17ROCPRIM_400000_NS6detail17trampoline_kernelINS0_14default_configENS1_20scan_config_selectorIfEEZZNS1_9scan_implILNS1_25lookback_scan_determinismE0ELb0ELb0ES3_PKfPffZZZN2at6native31launch_logcumsumexp_cuda_kernelERKNSB_10TensorBaseESF_lENKUlvE_clEvENKUlvE0_clEvEUlffE_fEEDaPvRmT3_T4_T5_mT6_P12ihipStream_tbENKUlT_T0_E_clISt17integral_constantIbLb0EESW_EEDaSR_SS_EUlSR_E_NS1_11comp_targetILNS1_3genE9ELNS1_11target_archE1100ELNS1_3gpuE3ELNS1_3repE0EEENS1_30default_config_static_selectorELNS0_4arch9wavefront6targetE1EEEvT1_.num_agpr, 0
	.set _ZN7rocprim17ROCPRIM_400000_NS6detail17trampoline_kernelINS0_14default_configENS1_20scan_config_selectorIfEEZZNS1_9scan_implILNS1_25lookback_scan_determinismE0ELb0ELb0ES3_PKfPffZZZN2at6native31launch_logcumsumexp_cuda_kernelERKNSB_10TensorBaseESF_lENKUlvE_clEvENKUlvE0_clEvEUlffE_fEEDaPvRmT3_T4_T5_mT6_P12ihipStream_tbENKUlT_T0_E_clISt17integral_constantIbLb0EESW_EEDaSR_SS_EUlSR_E_NS1_11comp_targetILNS1_3genE9ELNS1_11target_archE1100ELNS1_3gpuE3ELNS1_3repE0EEENS1_30default_config_static_selectorELNS0_4arch9wavefront6targetE1EEEvT1_.numbered_sgpr, 0
	.set _ZN7rocprim17ROCPRIM_400000_NS6detail17trampoline_kernelINS0_14default_configENS1_20scan_config_selectorIfEEZZNS1_9scan_implILNS1_25lookback_scan_determinismE0ELb0ELb0ES3_PKfPffZZZN2at6native31launch_logcumsumexp_cuda_kernelERKNSB_10TensorBaseESF_lENKUlvE_clEvENKUlvE0_clEvEUlffE_fEEDaPvRmT3_T4_T5_mT6_P12ihipStream_tbENKUlT_T0_E_clISt17integral_constantIbLb0EESW_EEDaSR_SS_EUlSR_E_NS1_11comp_targetILNS1_3genE9ELNS1_11target_archE1100ELNS1_3gpuE3ELNS1_3repE0EEENS1_30default_config_static_selectorELNS0_4arch9wavefront6targetE1EEEvT1_.num_named_barrier, 0
	.set _ZN7rocprim17ROCPRIM_400000_NS6detail17trampoline_kernelINS0_14default_configENS1_20scan_config_selectorIfEEZZNS1_9scan_implILNS1_25lookback_scan_determinismE0ELb0ELb0ES3_PKfPffZZZN2at6native31launch_logcumsumexp_cuda_kernelERKNSB_10TensorBaseESF_lENKUlvE_clEvENKUlvE0_clEvEUlffE_fEEDaPvRmT3_T4_T5_mT6_P12ihipStream_tbENKUlT_T0_E_clISt17integral_constantIbLb0EESW_EEDaSR_SS_EUlSR_E_NS1_11comp_targetILNS1_3genE9ELNS1_11target_archE1100ELNS1_3gpuE3ELNS1_3repE0EEENS1_30default_config_static_selectorELNS0_4arch9wavefront6targetE1EEEvT1_.private_seg_size, 0
	.set _ZN7rocprim17ROCPRIM_400000_NS6detail17trampoline_kernelINS0_14default_configENS1_20scan_config_selectorIfEEZZNS1_9scan_implILNS1_25lookback_scan_determinismE0ELb0ELb0ES3_PKfPffZZZN2at6native31launch_logcumsumexp_cuda_kernelERKNSB_10TensorBaseESF_lENKUlvE_clEvENKUlvE0_clEvEUlffE_fEEDaPvRmT3_T4_T5_mT6_P12ihipStream_tbENKUlT_T0_E_clISt17integral_constantIbLb0EESW_EEDaSR_SS_EUlSR_E_NS1_11comp_targetILNS1_3genE9ELNS1_11target_archE1100ELNS1_3gpuE3ELNS1_3repE0EEENS1_30default_config_static_selectorELNS0_4arch9wavefront6targetE1EEEvT1_.uses_vcc, 0
	.set _ZN7rocprim17ROCPRIM_400000_NS6detail17trampoline_kernelINS0_14default_configENS1_20scan_config_selectorIfEEZZNS1_9scan_implILNS1_25lookback_scan_determinismE0ELb0ELb0ES3_PKfPffZZZN2at6native31launch_logcumsumexp_cuda_kernelERKNSB_10TensorBaseESF_lENKUlvE_clEvENKUlvE0_clEvEUlffE_fEEDaPvRmT3_T4_T5_mT6_P12ihipStream_tbENKUlT_T0_E_clISt17integral_constantIbLb0EESW_EEDaSR_SS_EUlSR_E_NS1_11comp_targetILNS1_3genE9ELNS1_11target_archE1100ELNS1_3gpuE3ELNS1_3repE0EEENS1_30default_config_static_selectorELNS0_4arch9wavefront6targetE1EEEvT1_.uses_flat_scratch, 0
	.set _ZN7rocprim17ROCPRIM_400000_NS6detail17trampoline_kernelINS0_14default_configENS1_20scan_config_selectorIfEEZZNS1_9scan_implILNS1_25lookback_scan_determinismE0ELb0ELb0ES3_PKfPffZZZN2at6native31launch_logcumsumexp_cuda_kernelERKNSB_10TensorBaseESF_lENKUlvE_clEvENKUlvE0_clEvEUlffE_fEEDaPvRmT3_T4_T5_mT6_P12ihipStream_tbENKUlT_T0_E_clISt17integral_constantIbLb0EESW_EEDaSR_SS_EUlSR_E_NS1_11comp_targetILNS1_3genE9ELNS1_11target_archE1100ELNS1_3gpuE3ELNS1_3repE0EEENS1_30default_config_static_selectorELNS0_4arch9wavefront6targetE1EEEvT1_.has_dyn_sized_stack, 0
	.set _ZN7rocprim17ROCPRIM_400000_NS6detail17trampoline_kernelINS0_14default_configENS1_20scan_config_selectorIfEEZZNS1_9scan_implILNS1_25lookback_scan_determinismE0ELb0ELb0ES3_PKfPffZZZN2at6native31launch_logcumsumexp_cuda_kernelERKNSB_10TensorBaseESF_lENKUlvE_clEvENKUlvE0_clEvEUlffE_fEEDaPvRmT3_T4_T5_mT6_P12ihipStream_tbENKUlT_T0_E_clISt17integral_constantIbLb0EESW_EEDaSR_SS_EUlSR_E_NS1_11comp_targetILNS1_3genE9ELNS1_11target_archE1100ELNS1_3gpuE3ELNS1_3repE0EEENS1_30default_config_static_selectorELNS0_4arch9wavefront6targetE1EEEvT1_.has_recursion, 0
	.set _ZN7rocprim17ROCPRIM_400000_NS6detail17trampoline_kernelINS0_14default_configENS1_20scan_config_selectorIfEEZZNS1_9scan_implILNS1_25lookback_scan_determinismE0ELb0ELb0ES3_PKfPffZZZN2at6native31launch_logcumsumexp_cuda_kernelERKNSB_10TensorBaseESF_lENKUlvE_clEvENKUlvE0_clEvEUlffE_fEEDaPvRmT3_T4_T5_mT6_P12ihipStream_tbENKUlT_T0_E_clISt17integral_constantIbLb0EESW_EEDaSR_SS_EUlSR_E_NS1_11comp_targetILNS1_3genE9ELNS1_11target_archE1100ELNS1_3gpuE3ELNS1_3repE0EEENS1_30default_config_static_selectorELNS0_4arch9wavefront6targetE1EEEvT1_.has_indirect_call, 0
	.section	.AMDGPU.csdata,"",@progbits
; Kernel info:
; codeLenInByte = 0
; TotalNumSgprs: 4
; NumVgprs: 0
; ScratchSize: 0
; MemoryBound: 0
; FloatMode: 240
; IeeeMode: 1
; LDSByteSize: 0 bytes/workgroup (compile time only)
; SGPRBlocks: 0
; VGPRBlocks: 0
; NumSGPRsForWavesPerEU: 4
; NumVGPRsForWavesPerEU: 1
; Occupancy: 10
; WaveLimiterHint : 0
; COMPUTE_PGM_RSRC2:SCRATCH_EN: 0
; COMPUTE_PGM_RSRC2:USER_SGPR: 6
; COMPUTE_PGM_RSRC2:TRAP_HANDLER: 0
; COMPUTE_PGM_RSRC2:TGID_X_EN: 1
; COMPUTE_PGM_RSRC2:TGID_Y_EN: 0
; COMPUTE_PGM_RSRC2:TGID_Z_EN: 0
; COMPUTE_PGM_RSRC2:TIDIG_COMP_CNT: 0
	.section	.text._ZN7rocprim17ROCPRIM_400000_NS6detail17trampoline_kernelINS0_14default_configENS1_20scan_config_selectorIfEEZZNS1_9scan_implILNS1_25lookback_scan_determinismE0ELb0ELb0ES3_PKfPffZZZN2at6native31launch_logcumsumexp_cuda_kernelERKNSB_10TensorBaseESF_lENKUlvE_clEvENKUlvE0_clEvEUlffE_fEEDaPvRmT3_T4_T5_mT6_P12ihipStream_tbENKUlT_T0_E_clISt17integral_constantIbLb0EESW_EEDaSR_SS_EUlSR_E_NS1_11comp_targetILNS1_3genE8ELNS1_11target_archE1030ELNS1_3gpuE2ELNS1_3repE0EEENS1_30default_config_static_selectorELNS0_4arch9wavefront6targetE1EEEvT1_,"axG",@progbits,_ZN7rocprim17ROCPRIM_400000_NS6detail17trampoline_kernelINS0_14default_configENS1_20scan_config_selectorIfEEZZNS1_9scan_implILNS1_25lookback_scan_determinismE0ELb0ELb0ES3_PKfPffZZZN2at6native31launch_logcumsumexp_cuda_kernelERKNSB_10TensorBaseESF_lENKUlvE_clEvENKUlvE0_clEvEUlffE_fEEDaPvRmT3_T4_T5_mT6_P12ihipStream_tbENKUlT_T0_E_clISt17integral_constantIbLb0EESW_EEDaSR_SS_EUlSR_E_NS1_11comp_targetILNS1_3genE8ELNS1_11target_archE1030ELNS1_3gpuE2ELNS1_3repE0EEENS1_30default_config_static_selectorELNS0_4arch9wavefront6targetE1EEEvT1_,comdat
	.globl	_ZN7rocprim17ROCPRIM_400000_NS6detail17trampoline_kernelINS0_14default_configENS1_20scan_config_selectorIfEEZZNS1_9scan_implILNS1_25lookback_scan_determinismE0ELb0ELb0ES3_PKfPffZZZN2at6native31launch_logcumsumexp_cuda_kernelERKNSB_10TensorBaseESF_lENKUlvE_clEvENKUlvE0_clEvEUlffE_fEEDaPvRmT3_T4_T5_mT6_P12ihipStream_tbENKUlT_T0_E_clISt17integral_constantIbLb0EESW_EEDaSR_SS_EUlSR_E_NS1_11comp_targetILNS1_3genE8ELNS1_11target_archE1030ELNS1_3gpuE2ELNS1_3repE0EEENS1_30default_config_static_selectorELNS0_4arch9wavefront6targetE1EEEvT1_ ; -- Begin function _ZN7rocprim17ROCPRIM_400000_NS6detail17trampoline_kernelINS0_14default_configENS1_20scan_config_selectorIfEEZZNS1_9scan_implILNS1_25lookback_scan_determinismE0ELb0ELb0ES3_PKfPffZZZN2at6native31launch_logcumsumexp_cuda_kernelERKNSB_10TensorBaseESF_lENKUlvE_clEvENKUlvE0_clEvEUlffE_fEEDaPvRmT3_T4_T5_mT6_P12ihipStream_tbENKUlT_T0_E_clISt17integral_constantIbLb0EESW_EEDaSR_SS_EUlSR_E_NS1_11comp_targetILNS1_3genE8ELNS1_11target_archE1030ELNS1_3gpuE2ELNS1_3repE0EEENS1_30default_config_static_selectorELNS0_4arch9wavefront6targetE1EEEvT1_
	.p2align	8
	.type	_ZN7rocprim17ROCPRIM_400000_NS6detail17trampoline_kernelINS0_14default_configENS1_20scan_config_selectorIfEEZZNS1_9scan_implILNS1_25lookback_scan_determinismE0ELb0ELb0ES3_PKfPffZZZN2at6native31launch_logcumsumexp_cuda_kernelERKNSB_10TensorBaseESF_lENKUlvE_clEvENKUlvE0_clEvEUlffE_fEEDaPvRmT3_T4_T5_mT6_P12ihipStream_tbENKUlT_T0_E_clISt17integral_constantIbLb0EESW_EEDaSR_SS_EUlSR_E_NS1_11comp_targetILNS1_3genE8ELNS1_11target_archE1030ELNS1_3gpuE2ELNS1_3repE0EEENS1_30default_config_static_selectorELNS0_4arch9wavefront6targetE1EEEvT1_,@function
_ZN7rocprim17ROCPRIM_400000_NS6detail17trampoline_kernelINS0_14default_configENS1_20scan_config_selectorIfEEZZNS1_9scan_implILNS1_25lookback_scan_determinismE0ELb0ELb0ES3_PKfPffZZZN2at6native31launch_logcumsumexp_cuda_kernelERKNSB_10TensorBaseESF_lENKUlvE_clEvENKUlvE0_clEvEUlffE_fEEDaPvRmT3_T4_T5_mT6_P12ihipStream_tbENKUlT_T0_E_clISt17integral_constantIbLb0EESW_EEDaSR_SS_EUlSR_E_NS1_11comp_targetILNS1_3genE8ELNS1_11target_archE1030ELNS1_3gpuE2ELNS1_3repE0EEENS1_30default_config_static_selectorELNS0_4arch9wavefront6targetE1EEEvT1_: ; @_ZN7rocprim17ROCPRIM_400000_NS6detail17trampoline_kernelINS0_14default_configENS1_20scan_config_selectorIfEEZZNS1_9scan_implILNS1_25lookback_scan_determinismE0ELb0ELb0ES3_PKfPffZZZN2at6native31launch_logcumsumexp_cuda_kernelERKNSB_10TensorBaseESF_lENKUlvE_clEvENKUlvE0_clEvEUlffE_fEEDaPvRmT3_T4_T5_mT6_P12ihipStream_tbENKUlT_T0_E_clISt17integral_constantIbLb0EESW_EEDaSR_SS_EUlSR_E_NS1_11comp_targetILNS1_3genE8ELNS1_11target_archE1030ELNS1_3gpuE2ELNS1_3repE0EEENS1_30default_config_static_selectorELNS0_4arch9wavefront6targetE1EEEvT1_
; %bb.0:
	.section	.rodata,"a",@progbits
	.p2align	6, 0x0
	.amdhsa_kernel _ZN7rocprim17ROCPRIM_400000_NS6detail17trampoline_kernelINS0_14default_configENS1_20scan_config_selectorIfEEZZNS1_9scan_implILNS1_25lookback_scan_determinismE0ELb0ELb0ES3_PKfPffZZZN2at6native31launch_logcumsumexp_cuda_kernelERKNSB_10TensorBaseESF_lENKUlvE_clEvENKUlvE0_clEvEUlffE_fEEDaPvRmT3_T4_T5_mT6_P12ihipStream_tbENKUlT_T0_E_clISt17integral_constantIbLb0EESW_EEDaSR_SS_EUlSR_E_NS1_11comp_targetILNS1_3genE8ELNS1_11target_archE1030ELNS1_3gpuE2ELNS1_3repE0EEENS1_30default_config_static_selectorELNS0_4arch9wavefront6targetE1EEEvT1_
		.amdhsa_group_segment_fixed_size 0
		.amdhsa_private_segment_fixed_size 0
		.amdhsa_kernarg_size 96
		.amdhsa_user_sgpr_count 6
		.amdhsa_user_sgpr_private_segment_buffer 1
		.amdhsa_user_sgpr_dispatch_ptr 0
		.amdhsa_user_sgpr_queue_ptr 0
		.amdhsa_user_sgpr_kernarg_segment_ptr 1
		.amdhsa_user_sgpr_dispatch_id 0
		.amdhsa_user_sgpr_flat_scratch_init 0
		.amdhsa_user_sgpr_private_segment_size 0
		.amdhsa_uses_dynamic_stack 0
		.amdhsa_system_sgpr_private_segment_wavefront_offset 0
		.amdhsa_system_sgpr_workgroup_id_x 1
		.amdhsa_system_sgpr_workgroup_id_y 0
		.amdhsa_system_sgpr_workgroup_id_z 0
		.amdhsa_system_sgpr_workgroup_info 0
		.amdhsa_system_vgpr_workitem_id 0
		.amdhsa_next_free_vgpr 1
		.amdhsa_next_free_sgpr 0
		.amdhsa_reserve_vcc 0
		.amdhsa_reserve_flat_scratch 0
		.amdhsa_float_round_mode_32 0
		.amdhsa_float_round_mode_16_64 0
		.amdhsa_float_denorm_mode_32 3
		.amdhsa_float_denorm_mode_16_64 3
		.amdhsa_dx10_clamp 1
		.amdhsa_ieee_mode 1
		.amdhsa_fp16_overflow 0
		.amdhsa_exception_fp_ieee_invalid_op 0
		.amdhsa_exception_fp_denorm_src 0
		.amdhsa_exception_fp_ieee_div_zero 0
		.amdhsa_exception_fp_ieee_overflow 0
		.amdhsa_exception_fp_ieee_underflow 0
		.amdhsa_exception_fp_ieee_inexact 0
		.amdhsa_exception_int_div_zero 0
	.end_amdhsa_kernel
	.section	.text._ZN7rocprim17ROCPRIM_400000_NS6detail17trampoline_kernelINS0_14default_configENS1_20scan_config_selectorIfEEZZNS1_9scan_implILNS1_25lookback_scan_determinismE0ELb0ELb0ES3_PKfPffZZZN2at6native31launch_logcumsumexp_cuda_kernelERKNSB_10TensorBaseESF_lENKUlvE_clEvENKUlvE0_clEvEUlffE_fEEDaPvRmT3_T4_T5_mT6_P12ihipStream_tbENKUlT_T0_E_clISt17integral_constantIbLb0EESW_EEDaSR_SS_EUlSR_E_NS1_11comp_targetILNS1_3genE8ELNS1_11target_archE1030ELNS1_3gpuE2ELNS1_3repE0EEENS1_30default_config_static_selectorELNS0_4arch9wavefront6targetE1EEEvT1_,"axG",@progbits,_ZN7rocprim17ROCPRIM_400000_NS6detail17trampoline_kernelINS0_14default_configENS1_20scan_config_selectorIfEEZZNS1_9scan_implILNS1_25lookback_scan_determinismE0ELb0ELb0ES3_PKfPffZZZN2at6native31launch_logcumsumexp_cuda_kernelERKNSB_10TensorBaseESF_lENKUlvE_clEvENKUlvE0_clEvEUlffE_fEEDaPvRmT3_T4_T5_mT6_P12ihipStream_tbENKUlT_T0_E_clISt17integral_constantIbLb0EESW_EEDaSR_SS_EUlSR_E_NS1_11comp_targetILNS1_3genE8ELNS1_11target_archE1030ELNS1_3gpuE2ELNS1_3repE0EEENS1_30default_config_static_selectorELNS0_4arch9wavefront6targetE1EEEvT1_,comdat
.Lfunc_end96:
	.size	_ZN7rocprim17ROCPRIM_400000_NS6detail17trampoline_kernelINS0_14default_configENS1_20scan_config_selectorIfEEZZNS1_9scan_implILNS1_25lookback_scan_determinismE0ELb0ELb0ES3_PKfPffZZZN2at6native31launch_logcumsumexp_cuda_kernelERKNSB_10TensorBaseESF_lENKUlvE_clEvENKUlvE0_clEvEUlffE_fEEDaPvRmT3_T4_T5_mT6_P12ihipStream_tbENKUlT_T0_E_clISt17integral_constantIbLb0EESW_EEDaSR_SS_EUlSR_E_NS1_11comp_targetILNS1_3genE8ELNS1_11target_archE1030ELNS1_3gpuE2ELNS1_3repE0EEENS1_30default_config_static_selectorELNS0_4arch9wavefront6targetE1EEEvT1_, .Lfunc_end96-_ZN7rocprim17ROCPRIM_400000_NS6detail17trampoline_kernelINS0_14default_configENS1_20scan_config_selectorIfEEZZNS1_9scan_implILNS1_25lookback_scan_determinismE0ELb0ELb0ES3_PKfPffZZZN2at6native31launch_logcumsumexp_cuda_kernelERKNSB_10TensorBaseESF_lENKUlvE_clEvENKUlvE0_clEvEUlffE_fEEDaPvRmT3_T4_T5_mT6_P12ihipStream_tbENKUlT_T0_E_clISt17integral_constantIbLb0EESW_EEDaSR_SS_EUlSR_E_NS1_11comp_targetILNS1_3genE8ELNS1_11target_archE1030ELNS1_3gpuE2ELNS1_3repE0EEENS1_30default_config_static_selectorELNS0_4arch9wavefront6targetE1EEEvT1_
                                        ; -- End function
	.set _ZN7rocprim17ROCPRIM_400000_NS6detail17trampoline_kernelINS0_14default_configENS1_20scan_config_selectorIfEEZZNS1_9scan_implILNS1_25lookback_scan_determinismE0ELb0ELb0ES3_PKfPffZZZN2at6native31launch_logcumsumexp_cuda_kernelERKNSB_10TensorBaseESF_lENKUlvE_clEvENKUlvE0_clEvEUlffE_fEEDaPvRmT3_T4_T5_mT6_P12ihipStream_tbENKUlT_T0_E_clISt17integral_constantIbLb0EESW_EEDaSR_SS_EUlSR_E_NS1_11comp_targetILNS1_3genE8ELNS1_11target_archE1030ELNS1_3gpuE2ELNS1_3repE0EEENS1_30default_config_static_selectorELNS0_4arch9wavefront6targetE1EEEvT1_.num_vgpr, 0
	.set _ZN7rocprim17ROCPRIM_400000_NS6detail17trampoline_kernelINS0_14default_configENS1_20scan_config_selectorIfEEZZNS1_9scan_implILNS1_25lookback_scan_determinismE0ELb0ELb0ES3_PKfPffZZZN2at6native31launch_logcumsumexp_cuda_kernelERKNSB_10TensorBaseESF_lENKUlvE_clEvENKUlvE0_clEvEUlffE_fEEDaPvRmT3_T4_T5_mT6_P12ihipStream_tbENKUlT_T0_E_clISt17integral_constantIbLb0EESW_EEDaSR_SS_EUlSR_E_NS1_11comp_targetILNS1_3genE8ELNS1_11target_archE1030ELNS1_3gpuE2ELNS1_3repE0EEENS1_30default_config_static_selectorELNS0_4arch9wavefront6targetE1EEEvT1_.num_agpr, 0
	.set _ZN7rocprim17ROCPRIM_400000_NS6detail17trampoline_kernelINS0_14default_configENS1_20scan_config_selectorIfEEZZNS1_9scan_implILNS1_25lookback_scan_determinismE0ELb0ELb0ES3_PKfPffZZZN2at6native31launch_logcumsumexp_cuda_kernelERKNSB_10TensorBaseESF_lENKUlvE_clEvENKUlvE0_clEvEUlffE_fEEDaPvRmT3_T4_T5_mT6_P12ihipStream_tbENKUlT_T0_E_clISt17integral_constantIbLb0EESW_EEDaSR_SS_EUlSR_E_NS1_11comp_targetILNS1_3genE8ELNS1_11target_archE1030ELNS1_3gpuE2ELNS1_3repE0EEENS1_30default_config_static_selectorELNS0_4arch9wavefront6targetE1EEEvT1_.numbered_sgpr, 0
	.set _ZN7rocprim17ROCPRIM_400000_NS6detail17trampoline_kernelINS0_14default_configENS1_20scan_config_selectorIfEEZZNS1_9scan_implILNS1_25lookback_scan_determinismE0ELb0ELb0ES3_PKfPffZZZN2at6native31launch_logcumsumexp_cuda_kernelERKNSB_10TensorBaseESF_lENKUlvE_clEvENKUlvE0_clEvEUlffE_fEEDaPvRmT3_T4_T5_mT6_P12ihipStream_tbENKUlT_T0_E_clISt17integral_constantIbLb0EESW_EEDaSR_SS_EUlSR_E_NS1_11comp_targetILNS1_3genE8ELNS1_11target_archE1030ELNS1_3gpuE2ELNS1_3repE0EEENS1_30default_config_static_selectorELNS0_4arch9wavefront6targetE1EEEvT1_.num_named_barrier, 0
	.set _ZN7rocprim17ROCPRIM_400000_NS6detail17trampoline_kernelINS0_14default_configENS1_20scan_config_selectorIfEEZZNS1_9scan_implILNS1_25lookback_scan_determinismE0ELb0ELb0ES3_PKfPffZZZN2at6native31launch_logcumsumexp_cuda_kernelERKNSB_10TensorBaseESF_lENKUlvE_clEvENKUlvE0_clEvEUlffE_fEEDaPvRmT3_T4_T5_mT6_P12ihipStream_tbENKUlT_T0_E_clISt17integral_constantIbLb0EESW_EEDaSR_SS_EUlSR_E_NS1_11comp_targetILNS1_3genE8ELNS1_11target_archE1030ELNS1_3gpuE2ELNS1_3repE0EEENS1_30default_config_static_selectorELNS0_4arch9wavefront6targetE1EEEvT1_.private_seg_size, 0
	.set _ZN7rocprim17ROCPRIM_400000_NS6detail17trampoline_kernelINS0_14default_configENS1_20scan_config_selectorIfEEZZNS1_9scan_implILNS1_25lookback_scan_determinismE0ELb0ELb0ES3_PKfPffZZZN2at6native31launch_logcumsumexp_cuda_kernelERKNSB_10TensorBaseESF_lENKUlvE_clEvENKUlvE0_clEvEUlffE_fEEDaPvRmT3_T4_T5_mT6_P12ihipStream_tbENKUlT_T0_E_clISt17integral_constantIbLb0EESW_EEDaSR_SS_EUlSR_E_NS1_11comp_targetILNS1_3genE8ELNS1_11target_archE1030ELNS1_3gpuE2ELNS1_3repE0EEENS1_30default_config_static_selectorELNS0_4arch9wavefront6targetE1EEEvT1_.uses_vcc, 0
	.set _ZN7rocprim17ROCPRIM_400000_NS6detail17trampoline_kernelINS0_14default_configENS1_20scan_config_selectorIfEEZZNS1_9scan_implILNS1_25lookback_scan_determinismE0ELb0ELb0ES3_PKfPffZZZN2at6native31launch_logcumsumexp_cuda_kernelERKNSB_10TensorBaseESF_lENKUlvE_clEvENKUlvE0_clEvEUlffE_fEEDaPvRmT3_T4_T5_mT6_P12ihipStream_tbENKUlT_T0_E_clISt17integral_constantIbLb0EESW_EEDaSR_SS_EUlSR_E_NS1_11comp_targetILNS1_3genE8ELNS1_11target_archE1030ELNS1_3gpuE2ELNS1_3repE0EEENS1_30default_config_static_selectorELNS0_4arch9wavefront6targetE1EEEvT1_.uses_flat_scratch, 0
	.set _ZN7rocprim17ROCPRIM_400000_NS6detail17trampoline_kernelINS0_14default_configENS1_20scan_config_selectorIfEEZZNS1_9scan_implILNS1_25lookback_scan_determinismE0ELb0ELb0ES3_PKfPffZZZN2at6native31launch_logcumsumexp_cuda_kernelERKNSB_10TensorBaseESF_lENKUlvE_clEvENKUlvE0_clEvEUlffE_fEEDaPvRmT3_T4_T5_mT6_P12ihipStream_tbENKUlT_T0_E_clISt17integral_constantIbLb0EESW_EEDaSR_SS_EUlSR_E_NS1_11comp_targetILNS1_3genE8ELNS1_11target_archE1030ELNS1_3gpuE2ELNS1_3repE0EEENS1_30default_config_static_selectorELNS0_4arch9wavefront6targetE1EEEvT1_.has_dyn_sized_stack, 0
	.set _ZN7rocprim17ROCPRIM_400000_NS6detail17trampoline_kernelINS0_14default_configENS1_20scan_config_selectorIfEEZZNS1_9scan_implILNS1_25lookback_scan_determinismE0ELb0ELb0ES3_PKfPffZZZN2at6native31launch_logcumsumexp_cuda_kernelERKNSB_10TensorBaseESF_lENKUlvE_clEvENKUlvE0_clEvEUlffE_fEEDaPvRmT3_T4_T5_mT6_P12ihipStream_tbENKUlT_T0_E_clISt17integral_constantIbLb0EESW_EEDaSR_SS_EUlSR_E_NS1_11comp_targetILNS1_3genE8ELNS1_11target_archE1030ELNS1_3gpuE2ELNS1_3repE0EEENS1_30default_config_static_selectorELNS0_4arch9wavefront6targetE1EEEvT1_.has_recursion, 0
	.set _ZN7rocprim17ROCPRIM_400000_NS6detail17trampoline_kernelINS0_14default_configENS1_20scan_config_selectorIfEEZZNS1_9scan_implILNS1_25lookback_scan_determinismE0ELb0ELb0ES3_PKfPffZZZN2at6native31launch_logcumsumexp_cuda_kernelERKNSB_10TensorBaseESF_lENKUlvE_clEvENKUlvE0_clEvEUlffE_fEEDaPvRmT3_T4_T5_mT6_P12ihipStream_tbENKUlT_T0_E_clISt17integral_constantIbLb0EESW_EEDaSR_SS_EUlSR_E_NS1_11comp_targetILNS1_3genE8ELNS1_11target_archE1030ELNS1_3gpuE2ELNS1_3repE0EEENS1_30default_config_static_selectorELNS0_4arch9wavefront6targetE1EEEvT1_.has_indirect_call, 0
	.section	.AMDGPU.csdata,"",@progbits
; Kernel info:
; codeLenInByte = 0
; TotalNumSgprs: 4
; NumVgprs: 0
; ScratchSize: 0
; MemoryBound: 0
; FloatMode: 240
; IeeeMode: 1
; LDSByteSize: 0 bytes/workgroup (compile time only)
; SGPRBlocks: 0
; VGPRBlocks: 0
; NumSGPRsForWavesPerEU: 4
; NumVGPRsForWavesPerEU: 1
; Occupancy: 10
; WaveLimiterHint : 0
; COMPUTE_PGM_RSRC2:SCRATCH_EN: 0
; COMPUTE_PGM_RSRC2:USER_SGPR: 6
; COMPUTE_PGM_RSRC2:TRAP_HANDLER: 0
; COMPUTE_PGM_RSRC2:TGID_X_EN: 1
; COMPUTE_PGM_RSRC2:TGID_Y_EN: 0
; COMPUTE_PGM_RSRC2:TGID_Z_EN: 0
; COMPUTE_PGM_RSRC2:TIDIG_COMP_CNT: 0
	.section	.text._ZN7rocprim17ROCPRIM_400000_NS6detail17trampoline_kernelINS0_14default_configENS1_25transform_config_selectorIfLb1EEEZNS1_14transform_implILb1ES3_S5_PfS7_NS0_8identityIfEEEE10hipError_tT2_T3_mT4_P12ihipStream_tbEUlT_E_NS1_11comp_targetILNS1_3genE0ELNS1_11target_archE4294967295ELNS1_3gpuE0ELNS1_3repE0EEENS1_30default_config_static_selectorELNS0_4arch9wavefront6targetE1EEEvT1_,"axG",@progbits,_ZN7rocprim17ROCPRIM_400000_NS6detail17trampoline_kernelINS0_14default_configENS1_25transform_config_selectorIfLb1EEEZNS1_14transform_implILb1ES3_S5_PfS7_NS0_8identityIfEEEE10hipError_tT2_T3_mT4_P12ihipStream_tbEUlT_E_NS1_11comp_targetILNS1_3genE0ELNS1_11target_archE4294967295ELNS1_3gpuE0ELNS1_3repE0EEENS1_30default_config_static_selectorELNS0_4arch9wavefront6targetE1EEEvT1_,comdat
	.protected	_ZN7rocprim17ROCPRIM_400000_NS6detail17trampoline_kernelINS0_14default_configENS1_25transform_config_selectorIfLb1EEEZNS1_14transform_implILb1ES3_S5_PfS7_NS0_8identityIfEEEE10hipError_tT2_T3_mT4_P12ihipStream_tbEUlT_E_NS1_11comp_targetILNS1_3genE0ELNS1_11target_archE4294967295ELNS1_3gpuE0ELNS1_3repE0EEENS1_30default_config_static_selectorELNS0_4arch9wavefront6targetE1EEEvT1_ ; -- Begin function _ZN7rocprim17ROCPRIM_400000_NS6detail17trampoline_kernelINS0_14default_configENS1_25transform_config_selectorIfLb1EEEZNS1_14transform_implILb1ES3_S5_PfS7_NS0_8identityIfEEEE10hipError_tT2_T3_mT4_P12ihipStream_tbEUlT_E_NS1_11comp_targetILNS1_3genE0ELNS1_11target_archE4294967295ELNS1_3gpuE0ELNS1_3repE0EEENS1_30default_config_static_selectorELNS0_4arch9wavefront6targetE1EEEvT1_
	.globl	_ZN7rocprim17ROCPRIM_400000_NS6detail17trampoline_kernelINS0_14default_configENS1_25transform_config_selectorIfLb1EEEZNS1_14transform_implILb1ES3_S5_PfS7_NS0_8identityIfEEEE10hipError_tT2_T3_mT4_P12ihipStream_tbEUlT_E_NS1_11comp_targetILNS1_3genE0ELNS1_11target_archE4294967295ELNS1_3gpuE0ELNS1_3repE0EEENS1_30default_config_static_selectorELNS0_4arch9wavefront6targetE1EEEvT1_
	.p2align	8
	.type	_ZN7rocprim17ROCPRIM_400000_NS6detail17trampoline_kernelINS0_14default_configENS1_25transform_config_selectorIfLb1EEEZNS1_14transform_implILb1ES3_S5_PfS7_NS0_8identityIfEEEE10hipError_tT2_T3_mT4_P12ihipStream_tbEUlT_E_NS1_11comp_targetILNS1_3genE0ELNS1_11target_archE4294967295ELNS1_3gpuE0ELNS1_3repE0EEENS1_30default_config_static_selectorELNS0_4arch9wavefront6targetE1EEEvT1_,@function
_ZN7rocprim17ROCPRIM_400000_NS6detail17trampoline_kernelINS0_14default_configENS1_25transform_config_selectorIfLb1EEEZNS1_14transform_implILb1ES3_S5_PfS7_NS0_8identityIfEEEE10hipError_tT2_T3_mT4_P12ihipStream_tbEUlT_E_NS1_11comp_targetILNS1_3genE0ELNS1_11target_archE4294967295ELNS1_3gpuE0ELNS1_3repE0EEENS1_30default_config_static_selectorELNS0_4arch9wavefront6targetE1EEEvT1_: ; @_ZN7rocprim17ROCPRIM_400000_NS6detail17trampoline_kernelINS0_14default_configENS1_25transform_config_selectorIfLb1EEEZNS1_14transform_implILb1ES3_S5_PfS7_NS0_8identityIfEEEE10hipError_tT2_T3_mT4_P12ihipStream_tbEUlT_E_NS1_11comp_targetILNS1_3genE0ELNS1_11target_archE4294967295ELNS1_3gpuE0ELNS1_3repE0EEENS1_30default_config_static_selectorELNS0_4arch9wavefront6targetE1EEEvT1_
; %bb.0:
	.section	.rodata,"a",@progbits
	.p2align	6, 0x0
	.amdhsa_kernel _ZN7rocprim17ROCPRIM_400000_NS6detail17trampoline_kernelINS0_14default_configENS1_25transform_config_selectorIfLb1EEEZNS1_14transform_implILb1ES3_S5_PfS7_NS0_8identityIfEEEE10hipError_tT2_T3_mT4_P12ihipStream_tbEUlT_E_NS1_11comp_targetILNS1_3genE0ELNS1_11target_archE4294967295ELNS1_3gpuE0ELNS1_3repE0EEENS1_30default_config_static_selectorELNS0_4arch9wavefront6targetE1EEEvT1_
		.amdhsa_group_segment_fixed_size 0
		.amdhsa_private_segment_fixed_size 0
		.amdhsa_kernarg_size 40
		.amdhsa_user_sgpr_count 6
		.amdhsa_user_sgpr_private_segment_buffer 1
		.amdhsa_user_sgpr_dispatch_ptr 0
		.amdhsa_user_sgpr_queue_ptr 0
		.amdhsa_user_sgpr_kernarg_segment_ptr 1
		.amdhsa_user_sgpr_dispatch_id 0
		.amdhsa_user_sgpr_flat_scratch_init 0
		.amdhsa_user_sgpr_private_segment_size 0
		.amdhsa_uses_dynamic_stack 0
		.amdhsa_system_sgpr_private_segment_wavefront_offset 0
		.amdhsa_system_sgpr_workgroup_id_x 1
		.amdhsa_system_sgpr_workgroup_id_y 0
		.amdhsa_system_sgpr_workgroup_id_z 0
		.amdhsa_system_sgpr_workgroup_info 0
		.amdhsa_system_vgpr_workitem_id 0
		.amdhsa_next_free_vgpr 1
		.amdhsa_next_free_sgpr 0
		.amdhsa_reserve_vcc 0
		.amdhsa_reserve_flat_scratch 0
		.amdhsa_float_round_mode_32 0
		.amdhsa_float_round_mode_16_64 0
		.amdhsa_float_denorm_mode_32 3
		.amdhsa_float_denorm_mode_16_64 3
		.amdhsa_dx10_clamp 1
		.amdhsa_ieee_mode 1
		.amdhsa_fp16_overflow 0
		.amdhsa_exception_fp_ieee_invalid_op 0
		.amdhsa_exception_fp_denorm_src 0
		.amdhsa_exception_fp_ieee_div_zero 0
		.amdhsa_exception_fp_ieee_overflow 0
		.amdhsa_exception_fp_ieee_underflow 0
		.amdhsa_exception_fp_ieee_inexact 0
		.amdhsa_exception_int_div_zero 0
	.end_amdhsa_kernel
	.section	.text._ZN7rocprim17ROCPRIM_400000_NS6detail17trampoline_kernelINS0_14default_configENS1_25transform_config_selectorIfLb1EEEZNS1_14transform_implILb1ES3_S5_PfS7_NS0_8identityIfEEEE10hipError_tT2_T3_mT4_P12ihipStream_tbEUlT_E_NS1_11comp_targetILNS1_3genE0ELNS1_11target_archE4294967295ELNS1_3gpuE0ELNS1_3repE0EEENS1_30default_config_static_selectorELNS0_4arch9wavefront6targetE1EEEvT1_,"axG",@progbits,_ZN7rocprim17ROCPRIM_400000_NS6detail17trampoline_kernelINS0_14default_configENS1_25transform_config_selectorIfLb1EEEZNS1_14transform_implILb1ES3_S5_PfS7_NS0_8identityIfEEEE10hipError_tT2_T3_mT4_P12ihipStream_tbEUlT_E_NS1_11comp_targetILNS1_3genE0ELNS1_11target_archE4294967295ELNS1_3gpuE0ELNS1_3repE0EEENS1_30default_config_static_selectorELNS0_4arch9wavefront6targetE1EEEvT1_,comdat
.Lfunc_end97:
	.size	_ZN7rocprim17ROCPRIM_400000_NS6detail17trampoline_kernelINS0_14default_configENS1_25transform_config_selectorIfLb1EEEZNS1_14transform_implILb1ES3_S5_PfS7_NS0_8identityIfEEEE10hipError_tT2_T3_mT4_P12ihipStream_tbEUlT_E_NS1_11comp_targetILNS1_3genE0ELNS1_11target_archE4294967295ELNS1_3gpuE0ELNS1_3repE0EEENS1_30default_config_static_selectorELNS0_4arch9wavefront6targetE1EEEvT1_, .Lfunc_end97-_ZN7rocprim17ROCPRIM_400000_NS6detail17trampoline_kernelINS0_14default_configENS1_25transform_config_selectorIfLb1EEEZNS1_14transform_implILb1ES3_S5_PfS7_NS0_8identityIfEEEE10hipError_tT2_T3_mT4_P12ihipStream_tbEUlT_E_NS1_11comp_targetILNS1_3genE0ELNS1_11target_archE4294967295ELNS1_3gpuE0ELNS1_3repE0EEENS1_30default_config_static_selectorELNS0_4arch9wavefront6targetE1EEEvT1_
                                        ; -- End function
	.set _ZN7rocprim17ROCPRIM_400000_NS6detail17trampoline_kernelINS0_14default_configENS1_25transform_config_selectorIfLb1EEEZNS1_14transform_implILb1ES3_S5_PfS7_NS0_8identityIfEEEE10hipError_tT2_T3_mT4_P12ihipStream_tbEUlT_E_NS1_11comp_targetILNS1_3genE0ELNS1_11target_archE4294967295ELNS1_3gpuE0ELNS1_3repE0EEENS1_30default_config_static_selectorELNS0_4arch9wavefront6targetE1EEEvT1_.num_vgpr, 0
	.set _ZN7rocprim17ROCPRIM_400000_NS6detail17trampoline_kernelINS0_14default_configENS1_25transform_config_selectorIfLb1EEEZNS1_14transform_implILb1ES3_S5_PfS7_NS0_8identityIfEEEE10hipError_tT2_T3_mT4_P12ihipStream_tbEUlT_E_NS1_11comp_targetILNS1_3genE0ELNS1_11target_archE4294967295ELNS1_3gpuE0ELNS1_3repE0EEENS1_30default_config_static_selectorELNS0_4arch9wavefront6targetE1EEEvT1_.num_agpr, 0
	.set _ZN7rocprim17ROCPRIM_400000_NS6detail17trampoline_kernelINS0_14default_configENS1_25transform_config_selectorIfLb1EEEZNS1_14transform_implILb1ES3_S5_PfS7_NS0_8identityIfEEEE10hipError_tT2_T3_mT4_P12ihipStream_tbEUlT_E_NS1_11comp_targetILNS1_3genE0ELNS1_11target_archE4294967295ELNS1_3gpuE0ELNS1_3repE0EEENS1_30default_config_static_selectorELNS0_4arch9wavefront6targetE1EEEvT1_.numbered_sgpr, 0
	.set _ZN7rocprim17ROCPRIM_400000_NS6detail17trampoline_kernelINS0_14default_configENS1_25transform_config_selectorIfLb1EEEZNS1_14transform_implILb1ES3_S5_PfS7_NS0_8identityIfEEEE10hipError_tT2_T3_mT4_P12ihipStream_tbEUlT_E_NS1_11comp_targetILNS1_3genE0ELNS1_11target_archE4294967295ELNS1_3gpuE0ELNS1_3repE0EEENS1_30default_config_static_selectorELNS0_4arch9wavefront6targetE1EEEvT1_.num_named_barrier, 0
	.set _ZN7rocprim17ROCPRIM_400000_NS6detail17trampoline_kernelINS0_14default_configENS1_25transform_config_selectorIfLb1EEEZNS1_14transform_implILb1ES3_S5_PfS7_NS0_8identityIfEEEE10hipError_tT2_T3_mT4_P12ihipStream_tbEUlT_E_NS1_11comp_targetILNS1_3genE0ELNS1_11target_archE4294967295ELNS1_3gpuE0ELNS1_3repE0EEENS1_30default_config_static_selectorELNS0_4arch9wavefront6targetE1EEEvT1_.private_seg_size, 0
	.set _ZN7rocprim17ROCPRIM_400000_NS6detail17trampoline_kernelINS0_14default_configENS1_25transform_config_selectorIfLb1EEEZNS1_14transform_implILb1ES3_S5_PfS7_NS0_8identityIfEEEE10hipError_tT2_T3_mT4_P12ihipStream_tbEUlT_E_NS1_11comp_targetILNS1_3genE0ELNS1_11target_archE4294967295ELNS1_3gpuE0ELNS1_3repE0EEENS1_30default_config_static_selectorELNS0_4arch9wavefront6targetE1EEEvT1_.uses_vcc, 0
	.set _ZN7rocprim17ROCPRIM_400000_NS6detail17trampoline_kernelINS0_14default_configENS1_25transform_config_selectorIfLb1EEEZNS1_14transform_implILb1ES3_S5_PfS7_NS0_8identityIfEEEE10hipError_tT2_T3_mT4_P12ihipStream_tbEUlT_E_NS1_11comp_targetILNS1_3genE0ELNS1_11target_archE4294967295ELNS1_3gpuE0ELNS1_3repE0EEENS1_30default_config_static_selectorELNS0_4arch9wavefront6targetE1EEEvT1_.uses_flat_scratch, 0
	.set _ZN7rocprim17ROCPRIM_400000_NS6detail17trampoline_kernelINS0_14default_configENS1_25transform_config_selectorIfLb1EEEZNS1_14transform_implILb1ES3_S5_PfS7_NS0_8identityIfEEEE10hipError_tT2_T3_mT4_P12ihipStream_tbEUlT_E_NS1_11comp_targetILNS1_3genE0ELNS1_11target_archE4294967295ELNS1_3gpuE0ELNS1_3repE0EEENS1_30default_config_static_selectorELNS0_4arch9wavefront6targetE1EEEvT1_.has_dyn_sized_stack, 0
	.set _ZN7rocprim17ROCPRIM_400000_NS6detail17trampoline_kernelINS0_14default_configENS1_25transform_config_selectorIfLb1EEEZNS1_14transform_implILb1ES3_S5_PfS7_NS0_8identityIfEEEE10hipError_tT2_T3_mT4_P12ihipStream_tbEUlT_E_NS1_11comp_targetILNS1_3genE0ELNS1_11target_archE4294967295ELNS1_3gpuE0ELNS1_3repE0EEENS1_30default_config_static_selectorELNS0_4arch9wavefront6targetE1EEEvT1_.has_recursion, 0
	.set _ZN7rocprim17ROCPRIM_400000_NS6detail17trampoline_kernelINS0_14default_configENS1_25transform_config_selectorIfLb1EEEZNS1_14transform_implILb1ES3_S5_PfS7_NS0_8identityIfEEEE10hipError_tT2_T3_mT4_P12ihipStream_tbEUlT_E_NS1_11comp_targetILNS1_3genE0ELNS1_11target_archE4294967295ELNS1_3gpuE0ELNS1_3repE0EEENS1_30default_config_static_selectorELNS0_4arch9wavefront6targetE1EEEvT1_.has_indirect_call, 0
	.section	.AMDGPU.csdata,"",@progbits
; Kernel info:
; codeLenInByte = 0
; TotalNumSgprs: 4
; NumVgprs: 0
; ScratchSize: 0
; MemoryBound: 0
; FloatMode: 240
; IeeeMode: 1
; LDSByteSize: 0 bytes/workgroup (compile time only)
; SGPRBlocks: 0
; VGPRBlocks: 0
; NumSGPRsForWavesPerEU: 4
; NumVGPRsForWavesPerEU: 1
; Occupancy: 10
; WaveLimiterHint : 0
; COMPUTE_PGM_RSRC2:SCRATCH_EN: 0
; COMPUTE_PGM_RSRC2:USER_SGPR: 6
; COMPUTE_PGM_RSRC2:TRAP_HANDLER: 0
; COMPUTE_PGM_RSRC2:TGID_X_EN: 1
; COMPUTE_PGM_RSRC2:TGID_Y_EN: 0
; COMPUTE_PGM_RSRC2:TGID_Z_EN: 0
; COMPUTE_PGM_RSRC2:TIDIG_COMP_CNT: 0
	.section	.text._ZN7rocprim17ROCPRIM_400000_NS6detail17trampoline_kernelINS0_14default_configENS1_25transform_config_selectorIfLb1EEEZNS1_14transform_implILb1ES3_S5_PfS7_NS0_8identityIfEEEE10hipError_tT2_T3_mT4_P12ihipStream_tbEUlT_E_NS1_11comp_targetILNS1_3genE10ELNS1_11target_archE1201ELNS1_3gpuE5ELNS1_3repE0EEENS1_30default_config_static_selectorELNS0_4arch9wavefront6targetE1EEEvT1_,"axG",@progbits,_ZN7rocprim17ROCPRIM_400000_NS6detail17trampoline_kernelINS0_14default_configENS1_25transform_config_selectorIfLb1EEEZNS1_14transform_implILb1ES3_S5_PfS7_NS0_8identityIfEEEE10hipError_tT2_T3_mT4_P12ihipStream_tbEUlT_E_NS1_11comp_targetILNS1_3genE10ELNS1_11target_archE1201ELNS1_3gpuE5ELNS1_3repE0EEENS1_30default_config_static_selectorELNS0_4arch9wavefront6targetE1EEEvT1_,comdat
	.protected	_ZN7rocprim17ROCPRIM_400000_NS6detail17trampoline_kernelINS0_14default_configENS1_25transform_config_selectorIfLb1EEEZNS1_14transform_implILb1ES3_S5_PfS7_NS0_8identityIfEEEE10hipError_tT2_T3_mT4_P12ihipStream_tbEUlT_E_NS1_11comp_targetILNS1_3genE10ELNS1_11target_archE1201ELNS1_3gpuE5ELNS1_3repE0EEENS1_30default_config_static_selectorELNS0_4arch9wavefront6targetE1EEEvT1_ ; -- Begin function _ZN7rocprim17ROCPRIM_400000_NS6detail17trampoline_kernelINS0_14default_configENS1_25transform_config_selectorIfLb1EEEZNS1_14transform_implILb1ES3_S5_PfS7_NS0_8identityIfEEEE10hipError_tT2_T3_mT4_P12ihipStream_tbEUlT_E_NS1_11comp_targetILNS1_3genE10ELNS1_11target_archE1201ELNS1_3gpuE5ELNS1_3repE0EEENS1_30default_config_static_selectorELNS0_4arch9wavefront6targetE1EEEvT1_
	.globl	_ZN7rocprim17ROCPRIM_400000_NS6detail17trampoline_kernelINS0_14default_configENS1_25transform_config_selectorIfLb1EEEZNS1_14transform_implILb1ES3_S5_PfS7_NS0_8identityIfEEEE10hipError_tT2_T3_mT4_P12ihipStream_tbEUlT_E_NS1_11comp_targetILNS1_3genE10ELNS1_11target_archE1201ELNS1_3gpuE5ELNS1_3repE0EEENS1_30default_config_static_selectorELNS0_4arch9wavefront6targetE1EEEvT1_
	.p2align	8
	.type	_ZN7rocprim17ROCPRIM_400000_NS6detail17trampoline_kernelINS0_14default_configENS1_25transform_config_selectorIfLb1EEEZNS1_14transform_implILb1ES3_S5_PfS7_NS0_8identityIfEEEE10hipError_tT2_T3_mT4_P12ihipStream_tbEUlT_E_NS1_11comp_targetILNS1_3genE10ELNS1_11target_archE1201ELNS1_3gpuE5ELNS1_3repE0EEENS1_30default_config_static_selectorELNS0_4arch9wavefront6targetE1EEEvT1_,@function
_ZN7rocprim17ROCPRIM_400000_NS6detail17trampoline_kernelINS0_14default_configENS1_25transform_config_selectorIfLb1EEEZNS1_14transform_implILb1ES3_S5_PfS7_NS0_8identityIfEEEE10hipError_tT2_T3_mT4_P12ihipStream_tbEUlT_E_NS1_11comp_targetILNS1_3genE10ELNS1_11target_archE1201ELNS1_3gpuE5ELNS1_3repE0EEENS1_30default_config_static_selectorELNS0_4arch9wavefront6targetE1EEEvT1_: ; @_ZN7rocprim17ROCPRIM_400000_NS6detail17trampoline_kernelINS0_14default_configENS1_25transform_config_selectorIfLb1EEEZNS1_14transform_implILb1ES3_S5_PfS7_NS0_8identityIfEEEE10hipError_tT2_T3_mT4_P12ihipStream_tbEUlT_E_NS1_11comp_targetILNS1_3genE10ELNS1_11target_archE1201ELNS1_3gpuE5ELNS1_3repE0EEENS1_30default_config_static_selectorELNS0_4arch9wavefront6targetE1EEEvT1_
; %bb.0:
	.section	.rodata,"a",@progbits
	.p2align	6, 0x0
	.amdhsa_kernel _ZN7rocprim17ROCPRIM_400000_NS6detail17trampoline_kernelINS0_14default_configENS1_25transform_config_selectorIfLb1EEEZNS1_14transform_implILb1ES3_S5_PfS7_NS0_8identityIfEEEE10hipError_tT2_T3_mT4_P12ihipStream_tbEUlT_E_NS1_11comp_targetILNS1_3genE10ELNS1_11target_archE1201ELNS1_3gpuE5ELNS1_3repE0EEENS1_30default_config_static_selectorELNS0_4arch9wavefront6targetE1EEEvT1_
		.amdhsa_group_segment_fixed_size 0
		.amdhsa_private_segment_fixed_size 0
		.amdhsa_kernarg_size 40
		.amdhsa_user_sgpr_count 6
		.amdhsa_user_sgpr_private_segment_buffer 1
		.amdhsa_user_sgpr_dispatch_ptr 0
		.amdhsa_user_sgpr_queue_ptr 0
		.amdhsa_user_sgpr_kernarg_segment_ptr 1
		.amdhsa_user_sgpr_dispatch_id 0
		.amdhsa_user_sgpr_flat_scratch_init 0
		.amdhsa_user_sgpr_private_segment_size 0
		.amdhsa_uses_dynamic_stack 0
		.amdhsa_system_sgpr_private_segment_wavefront_offset 0
		.amdhsa_system_sgpr_workgroup_id_x 1
		.amdhsa_system_sgpr_workgroup_id_y 0
		.amdhsa_system_sgpr_workgroup_id_z 0
		.amdhsa_system_sgpr_workgroup_info 0
		.amdhsa_system_vgpr_workitem_id 0
		.amdhsa_next_free_vgpr 1
		.amdhsa_next_free_sgpr 0
		.amdhsa_reserve_vcc 0
		.amdhsa_reserve_flat_scratch 0
		.amdhsa_float_round_mode_32 0
		.amdhsa_float_round_mode_16_64 0
		.amdhsa_float_denorm_mode_32 3
		.amdhsa_float_denorm_mode_16_64 3
		.amdhsa_dx10_clamp 1
		.amdhsa_ieee_mode 1
		.amdhsa_fp16_overflow 0
		.amdhsa_exception_fp_ieee_invalid_op 0
		.amdhsa_exception_fp_denorm_src 0
		.amdhsa_exception_fp_ieee_div_zero 0
		.amdhsa_exception_fp_ieee_overflow 0
		.amdhsa_exception_fp_ieee_underflow 0
		.amdhsa_exception_fp_ieee_inexact 0
		.amdhsa_exception_int_div_zero 0
	.end_amdhsa_kernel
	.section	.text._ZN7rocprim17ROCPRIM_400000_NS6detail17trampoline_kernelINS0_14default_configENS1_25transform_config_selectorIfLb1EEEZNS1_14transform_implILb1ES3_S5_PfS7_NS0_8identityIfEEEE10hipError_tT2_T3_mT4_P12ihipStream_tbEUlT_E_NS1_11comp_targetILNS1_3genE10ELNS1_11target_archE1201ELNS1_3gpuE5ELNS1_3repE0EEENS1_30default_config_static_selectorELNS0_4arch9wavefront6targetE1EEEvT1_,"axG",@progbits,_ZN7rocprim17ROCPRIM_400000_NS6detail17trampoline_kernelINS0_14default_configENS1_25transform_config_selectorIfLb1EEEZNS1_14transform_implILb1ES3_S5_PfS7_NS0_8identityIfEEEE10hipError_tT2_T3_mT4_P12ihipStream_tbEUlT_E_NS1_11comp_targetILNS1_3genE10ELNS1_11target_archE1201ELNS1_3gpuE5ELNS1_3repE0EEENS1_30default_config_static_selectorELNS0_4arch9wavefront6targetE1EEEvT1_,comdat
.Lfunc_end98:
	.size	_ZN7rocprim17ROCPRIM_400000_NS6detail17trampoline_kernelINS0_14default_configENS1_25transform_config_selectorIfLb1EEEZNS1_14transform_implILb1ES3_S5_PfS7_NS0_8identityIfEEEE10hipError_tT2_T3_mT4_P12ihipStream_tbEUlT_E_NS1_11comp_targetILNS1_3genE10ELNS1_11target_archE1201ELNS1_3gpuE5ELNS1_3repE0EEENS1_30default_config_static_selectorELNS0_4arch9wavefront6targetE1EEEvT1_, .Lfunc_end98-_ZN7rocprim17ROCPRIM_400000_NS6detail17trampoline_kernelINS0_14default_configENS1_25transform_config_selectorIfLb1EEEZNS1_14transform_implILb1ES3_S5_PfS7_NS0_8identityIfEEEE10hipError_tT2_T3_mT4_P12ihipStream_tbEUlT_E_NS1_11comp_targetILNS1_3genE10ELNS1_11target_archE1201ELNS1_3gpuE5ELNS1_3repE0EEENS1_30default_config_static_selectorELNS0_4arch9wavefront6targetE1EEEvT1_
                                        ; -- End function
	.set _ZN7rocprim17ROCPRIM_400000_NS6detail17trampoline_kernelINS0_14default_configENS1_25transform_config_selectorIfLb1EEEZNS1_14transform_implILb1ES3_S5_PfS7_NS0_8identityIfEEEE10hipError_tT2_T3_mT4_P12ihipStream_tbEUlT_E_NS1_11comp_targetILNS1_3genE10ELNS1_11target_archE1201ELNS1_3gpuE5ELNS1_3repE0EEENS1_30default_config_static_selectorELNS0_4arch9wavefront6targetE1EEEvT1_.num_vgpr, 0
	.set _ZN7rocprim17ROCPRIM_400000_NS6detail17trampoline_kernelINS0_14default_configENS1_25transform_config_selectorIfLb1EEEZNS1_14transform_implILb1ES3_S5_PfS7_NS0_8identityIfEEEE10hipError_tT2_T3_mT4_P12ihipStream_tbEUlT_E_NS1_11comp_targetILNS1_3genE10ELNS1_11target_archE1201ELNS1_3gpuE5ELNS1_3repE0EEENS1_30default_config_static_selectorELNS0_4arch9wavefront6targetE1EEEvT1_.num_agpr, 0
	.set _ZN7rocprim17ROCPRIM_400000_NS6detail17trampoline_kernelINS0_14default_configENS1_25transform_config_selectorIfLb1EEEZNS1_14transform_implILb1ES3_S5_PfS7_NS0_8identityIfEEEE10hipError_tT2_T3_mT4_P12ihipStream_tbEUlT_E_NS1_11comp_targetILNS1_3genE10ELNS1_11target_archE1201ELNS1_3gpuE5ELNS1_3repE0EEENS1_30default_config_static_selectorELNS0_4arch9wavefront6targetE1EEEvT1_.numbered_sgpr, 0
	.set _ZN7rocprim17ROCPRIM_400000_NS6detail17trampoline_kernelINS0_14default_configENS1_25transform_config_selectorIfLb1EEEZNS1_14transform_implILb1ES3_S5_PfS7_NS0_8identityIfEEEE10hipError_tT2_T3_mT4_P12ihipStream_tbEUlT_E_NS1_11comp_targetILNS1_3genE10ELNS1_11target_archE1201ELNS1_3gpuE5ELNS1_3repE0EEENS1_30default_config_static_selectorELNS0_4arch9wavefront6targetE1EEEvT1_.num_named_barrier, 0
	.set _ZN7rocprim17ROCPRIM_400000_NS6detail17trampoline_kernelINS0_14default_configENS1_25transform_config_selectorIfLb1EEEZNS1_14transform_implILb1ES3_S5_PfS7_NS0_8identityIfEEEE10hipError_tT2_T3_mT4_P12ihipStream_tbEUlT_E_NS1_11comp_targetILNS1_3genE10ELNS1_11target_archE1201ELNS1_3gpuE5ELNS1_3repE0EEENS1_30default_config_static_selectorELNS0_4arch9wavefront6targetE1EEEvT1_.private_seg_size, 0
	.set _ZN7rocprim17ROCPRIM_400000_NS6detail17trampoline_kernelINS0_14default_configENS1_25transform_config_selectorIfLb1EEEZNS1_14transform_implILb1ES3_S5_PfS7_NS0_8identityIfEEEE10hipError_tT2_T3_mT4_P12ihipStream_tbEUlT_E_NS1_11comp_targetILNS1_3genE10ELNS1_11target_archE1201ELNS1_3gpuE5ELNS1_3repE0EEENS1_30default_config_static_selectorELNS0_4arch9wavefront6targetE1EEEvT1_.uses_vcc, 0
	.set _ZN7rocprim17ROCPRIM_400000_NS6detail17trampoline_kernelINS0_14default_configENS1_25transform_config_selectorIfLb1EEEZNS1_14transform_implILb1ES3_S5_PfS7_NS0_8identityIfEEEE10hipError_tT2_T3_mT4_P12ihipStream_tbEUlT_E_NS1_11comp_targetILNS1_3genE10ELNS1_11target_archE1201ELNS1_3gpuE5ELNS1_3repE0EEENS1_30default_config_static_selectorELNS0_4arch9wavefront6targetE1EEEvT1_.uses_flat_scratch, 0
	.set _ZN7rocprim17ROCPRIM_400000_NS6detail17trampoline_kernelINS0_14default_configENS1_25transform_config_selectorIfLb1EEEZNS1_14transform_implILb1ES3_S5_PfS7_NS0_8identityIfEEEE10hipError_tT2_T3_mT4_P12ihipStream_tbEUlT_E_NS1_11comp_targetILNS1_3genE10ELNS1_11target_archE1201ELNS1_3gpuE5ELNS1_3repE0EEENS1_30default_config_static_selectorELNS0_4arch9wavefront6targetE1EEEvT1_.has_dyn_sized_stack, 0
	.set _ZN7rocprim17ROCPRIM_400000_NS6detail17trampoline_kernelINS0_14default_configENS1_25transform_config_selectorIfLb1EEEZNS1_14transform_implILb1ES3_S5_PfS7_NS0_8identityIfEEEE10hipError_tT2_T3_mT4_P12ihipStream_tbEUlT_E_NS1_11comp_targetILNS1_3genE10ELNS1_11target_archE1201ELNS1_3gpuE5ELNS1_3repE0EEENS1_30default_config_static_selectorELNS0_4arch9wavefront6targetE1EEEvT1_.has_recursion, 0
	.set _ZN7rocprim17ROCPRIM_400000_NS6detail17trampoline_kernelINS0_14default_configENS1_25transform_config_selectorIfLb1EEEZNS1_14transform_implILb1ES3_S5_PfS7_NS0_8identityIfEEEE10hipError_tT2_T3_mT4_P12ihipStream_tbEUlT_E_NS1_11comp_targetILNS1_3genE10ELNS1_11target_archE1201ELNS1_3gpuE5ELNS1_3repE0EEENS1_30default_config_static_selectorELNS0_4arch9wavefront6targetE1EEEvT1_.has_indirect_call, 0
	.section	.AMDGPU.csdata,"",@progbits
; Kernel info:
; codeLenInByte = 0
; TotalNumSgprs: 4
; NumVgprs: 0
; ScratchSize: 0
; MemoryBound: 0
; FloatMode: 240
; IeeeMode: 1
; LDSByteSize: 0 bytes/workgroup (compile time only)
; SGPRBlocks: 0
; VGPRBlocks: 0
; NumSGPRsForWavesPerEU: 4
; NumVGPRsForWavesPerEU: 1
; Occupancy: 10
; WaveLimiterHint : 0
; COMPUTE_PGM_RSRC2:SCRATCH_EN: 0
; COMPUTE_PGM_RSRC2:USER_SGPR: 6
; COMPUTE_PGM_RSRC2:TRAP_HANDLER: 0
; COMPUTE_PGM_RSRC2:TGID_X_EN: 1
; COMPUTE_PGM_RSRC2:TGID_Y_EN: 0
; COMPUTE_PGM_RSRC2:TGID_Z_EN: 0
; COMPUTE_PGM_RSRC2:TIDIG_COMP_CNT: 0
	.section	.text._ZN7rocprim17ROCPRIM_400000_NS6detail17trampoline_kernelINS0_14default_configENS1_25transform_config_selectorIfLb1EEEZNS1_14transform_implILb1ES3_S5_PfS7_NS0_8identityIfEEEE10hipError_tT2_T3_mT4_P12ihipStream_tbEUlT_E_NS1_11comp_targetILNS1_3genE5ELNS1_11target_archE942ELNS1_3gpuE9ELNS1_3repE0EEENS1_30default_config_static_selectorELNS0_4arch9wavefront6targetE1EEEvT1_,"axG",@progbits,_ZN7rocprim17ROCPRIM_400000_NS6detail17trampoline_kernelINS0_14default_configENS1_25transform_config_selectorIfLb1EEEZNS1_14transform_implILb1ES3_S5_PfS7_NS0_8identityIfEEEE10hipError_tT2_T3_mT4_P12ihipStream_tbEUlT_E_NS1_11comp_targetILNS1_3genE5ELNS1_11target_archE942ELNS1_3gpuE9ELNS1_3repE0EEENS1_30default_config_static_selectorELNS0_4arch9wavefront6targetE1EEEvT1_,comdat
	.protected	_ZN7rocprim17ROCPRIM_400000_NS6detail17trampoline_kernelINS0_14default_configENS1_25transform_config_selectorIfLb1EEEZNS1_14transform_implILb1ES3_S5_PfS7_NS0_8identityIfEEEE10hipError_tT2_T3_mT4_P12ihipStream_tbEUlT_E_NS1_11comp_targetILNS1_3genE5ELNS1_11target_archE942ELNS1_3gpuE9ELNS1_3repE0EEENS1_30default_config_static_selectorELNS0_4arch9wavefront6targetE1EEEvT1_ ; -- Begin function _ZN7rocprim17ROCPRIM_400000_NS6detail17trampoline_kernelINS0_14default_configENS1_25transform_config_selectorIfLb1EEEZNS1_14transform_implILb1ES3_S5_PfS7_NS0_8identityIfEEEE10hipError_tT2_T3_mT4_P12ihipStream_tbEUlT_E_NS1_11comp_targetILNS1_3genE5ELNS1_11target_archE942ELNS1_3gpuE9ELNS1_3repE0EEENS1_30default_config_static_selectorELNS0_4arch9wavefront6targetE1EEEvT1_
	.globl	_ZN7rocprim17ROCPRIM_400000_NS6detail17trampoline_kernelINS0_14default_configENS1_25transform_config_selectorIfLb1EEEZNS1_14transform_implILb1ES3_S5_PfS7_NS0_8identityIfEEEE10hipError_tT2_T3_mT4_P12ihipStream_tbEUlT_E_NS1_11comp_targetILNS1_3genE5ELNS1_11target_archE942ELNS1_3gpuE9ELNS1_3repE0EEENS1_30default_config_static_selectorELNS0_4arch9wavefront6targetE1EEEvT1_
	.p2align	8
	.type	_ZN7rocprim17ROCPRIM_400000_NS6detail17trampoline_kernelINS0_14default_configENS1_25transform_config_selectorIfLb1EEEZNS1_14transform_implILb1ES3_S5_PfS7_NS0_8identityIfEEEE10hipError_tT2_T3_mT4_P12ihipStream_tbEUlT_E_NS1_11comp_targetILNS1_3genE5ELNS1_11target_archE942ELNS1_3gpuE9ELNS1_3repE0EEENS1_30default_config_static_selectorELNS0_4arch9wavefront6targetE1EEEvT1_,@function
_ZN7rocprim17ROCPRIM_400000_NS6detail17trampoline_kernelINS0_14default_configENS1_25transform_config_selectorIfLb1EEEZNS1_14transform_implILb1ES3_S5_PfS7_NS0_8identityIfEEEE10hipError_tT2_T3_mT4_P12ihipStream_tbEUlT_E_NS1_11comp_targetILNS1_3genE5ELNS1_11target_archE942ELNS1_3gpuE9ELNS1_3repE0EEENS1_30default_config_static_selectorELNS0_4arch9wavefront6targetE1EEEvT1_: ; @_ZN7rocprim17ROCPRIM_400000_NS6detail17trampoline_kernelINS0_14default_configENS1_25transform_config_selectorIfLb1EEEZNS1_14transform_implILb1ES3_S5_PfS7_NS0_8identityIfEEEE10hipError_tT2_T3_mT4_P12ihipStream_tbEUlT_E_NS1_11comp_targetILNS1_3genE5ELNS1_11target_archE942ELNS1_3gpuE9ELNS1_3repE0EEENS1_30default_config_static_selectorELNS0_4arch9wavefront6targetE1EEEvT1_
; %bb.0:
	.section	.rodata,"a",@progbits
	.p2align	6, 0x0
	.amdhsa_kernel _ZN7rocprim17ROCPRIM_400000_NS6detail17trampoline_kernelINS0_14default_configENS1_25transform_config_selectorIfLb1EEEZNS1_14transform_implILb1ES3_S5_PfS7_NS0_8identityIfEEEE10hipError_tT2_T3_mT4_P12ihipStream_tbEUlT_E_NS1_11comp_targetILNS1_3genE5ELNS1_11target_archE942ELNS1_3gpuE9ELNS1_3repE0EEENS1_30default_config_static_selectorELNS0_4arch9wavefront6targetE1EEEvT1_
		.amdhsa_group_segment_fixed_size 0
		.amdhsa_private_segment_fixed_size 0
		.amdhsa_kernarg_size 40
		.amdhsa_user_sgpr_count 6
		.amdhsa_user_sgpr_private_segment_buffer 1
		.amdhsa_user_sgpr_dispatch_ptr 0
		.amdhsa_user_sgpr_queue_ptr 0
		.amdhsa_user_sgpr_kernarg_segment_ptr 1
		.amdhsa_user_sgpr_dispatch_id 0
		.amdhsa_user_sgpr_flat_scratch_init 0
		.amdhsa_user_sgpr_private_segment_size 0
		.amdhsa_uses_dynamic_stack 0
		.amdhsa_system_sgpr_private_segment_wavefront_offset 0
		.amdhsa_system_sgpr_workgroup_id_x 1
		.amdhsa_system_sgpr_workgroup_id_y 0
		.amdhsa_system_sgpr_workgroup_id_z 0
		.amdhsa_system_sgpr_workgroup_info 0
		.amdhsa_system_vgpr_workitem_id 0
		.amdhsa_next_free_vgpr 1
		.amdhsa_next_free_sgpr 0
		.amdhsa_reserve_vcc 0
		.amdhsa_reserve_flat_scratch 0
		.amdhsa_float_round_mode_32 0
		.amdhsa_float_round_mode_16_64 0
		.amdhsa_float_denorm_mode_32 3
		.amdhsa_float_denorm_mode_16_64 3
		.amdhsa_dx10_clamp 1
		.amdhsa_ieee_mode 1
		.amdhsa_fp16_overflow 0
		.amdhsa_exception_fp_ieee_invalid_op 0
		.amdhsa_exception_fp_denorm_src 0
		.amdhsa_exception_fp_ieee_div_zero 0
		.amdhsa_exception_fp_ieee_overflow 0
		.amdhsa_exception_fp_ieee_underflow 0
		.amdhsa_exception_fp_ieee_inexact 0
		.amdhsa_exception_int_div_zero 0
	.end_amdhsa_kernel
	.section	.text._ZN7rocprim17ROCPRIM_400000_NS6detail17trampoline_kernelINS0_14default_configENS1_25transform_config_selectorIfLb1EEEZNS1_14transform_implILb1ES3_S5_PfS7_NS0_8identityIfEEEE10hipError_tT2_T3_mT4_P12ihipStream_tbEUlT_E_NS1_11comp_targetILNS1_3genE5ELNS1_11target_archE942ELNS1_3gpuE9ELNS1_3repE0EEENS1_30default_config_static_selectorELNS0_4arch9wavefront6targetE1EEEvT1_,"axG",@progbits,_ZN7rocprim17ROCPRIM_400000_NS6detail17trampoline_kernelINS0_14default_configENS1_25transform_config_selectorIfLb1EEEZNS1_14transform_implILb1ES3_S5_PfS7_NS0_8identityIfEEEE10hipError_tT2_T3_mT4_P12ihipStream_tbEUlT_E_NS1_11comp_targetILNS1_3genE5ELNS1_11target_archE942ELNS1_3gpuE9ELNS1_3repE0EEENS1_30default_config_static_selectorELNS0_4arch9wavefront6targetE1EEEvT1_,comdat
.Lfunc_end99:
	.size	_ZN7rocprim17ROCPRIM_400000_NS6detail17trampoline_kernelINS0_14default_configENS1_25transform_config_selectorIfLb1EEEZNS1_14transform_implILb1ES3_S5_PfS7_NS0_8identityIfEEEE10hipError_tT2_T3_mT4_P12ihipStream_tbEUlT_E_NS1_11comp_targetILNS1_3genE5ELNS1_11target_archE942ELNS1_3gpuE9ELNS1_3repE0EEENS1_30default_config_static_selectorELNS0_4arch9wavefront6targetE1EEEvT1_, .Lfunc_end99-_ZN7rocprim17ROCPRIM_400000_NS6detail17trampoline_kernelINS0_14default_configENS1_25transform_config_selectorIfLb1EEEZNS1_14transform_implILb1ES3_S5_PfS7_NS0_8identityIfEEEE10hipError_tT2_T3_mT4_P12ihipStream_tbEUlT_E_NS1_11comp_targetILNS1_3genE5ELNS1_11target_archE942ELNS1_3gpuE9ELNS1_3repE0EEENS1_30default_config_static_selectorELNS0_4arch9wavefront6targetE1EEEvT1_
                                        ; -- End function
	.set _ZN7rocprim17ROCPRIM_400000_NS6detail17trampoline_kernelINS0_14default_configENS1_25transform_config_selectorIfLb1EEEZNS1_14transform_implILb1ES3_S5_PfS7_NS0_8identityIfEEEE10hipError_tT2_T3_mT4_P12ihipStream_tbEUlT_E_NS1_11comp_targetILNS1_3genE5ELNS1_11target_archE942ELNS1_3gpuE9ELNS1_3repE0EEENS1_30default_config_static_selectorELNS0_4arch9wavefront6targetE1EEEvT1_.num_vgpr, 0
	.set _ZN7rocprim17ROCPRIM_400000_NS6detail17trampoline_kernelINS0_14default_configENS1_25transform_config_selectorIfLb1EEEZNS1_14transform_implILb1ES3_S5_PfS7_NS0_8identityIfEEEE10hipError_tT2_T3_mT4_P12ihipStream_tbEUlT_E_NS1_11comp_targetILNS1_3genE5ELNS1_11target_archE942ELNS1_3gpuE9ELNS1_3repE0EEENS1_30default_config_static_selectorELNS0_4arch9wavefront6targetE1EEEvT1_.num_agpr, 0
	.set _ZN7rocprim17ROCPRIM_400000_NS6detail17trampoline_kernelINS0_14default_configENS1_25transform_config_selectorIfLb1EEEZNS1_14transform_implILb1ES3_S5_PfS7_NS0_8identityIfEEEE10hipError_tT2_T3_mT4_P12ihipStream_tbEUlT_E_NS1_11comp_targetILNS1_3genE5ELNS1_11target_archE942ELNS1_3gpuE9ELNS1_3repE0EEENS1_30default_config_static_selectorELNS0_4arch9wavefront6targetE1EEEvT1_.numbered_sgpr, 0
	.set _ZN7rocprim17ROCPRIM_400000_NS6detail17trampoline_kernelINS0_14default_configENS1_25transform_config_selectorIfLb1EEEZNS1_14transform_implILb1ES3_S5_PfS7_NS0_8identityIfEEEE10hipError_tT2_T3_mT4_P12ihipStream_tbEUlT_E_NS1_11comp_targetILNS1_3genE5ELNS1_11target_archE942ELNS1_3gpuE9ELNS1_3repE0EEENS1_30default_config_static_selectorELNS0_4arch9wavefront6targetE1EEEvT1_.num_named_barrier, 0
	.set _ZN7rocprim17ROCPRIM_400000_NS6detail17trampoline_kernelINS0_14default_configENS1_25transform_config_selectorIfLb1EEEZNS1_14transform_implILb1ES3_S5_PfS7_NS0_8identityIfEEEE10hipError_tT2_T3_mT4_P12ihipStream_tbEUlT_E_NS1_11comp_targetILNS1_3genE5ELNS1_11target_archE942ELNS1_3gpuE9ELNS1_3repE0EEENS1_30default_config_static_selectorELNS0_4arch9wavefront6targetE1EEEvT1_.private_seg_size, 0
	.set _ZN7rocprim17ROCPRIM_400000_NS6detail17trampoline_kernelINS0_14default_configENS1_25transform_config_selectorIfLb1EEEZNS1_14transform_implILb1ES3_S5_PfS7_NS0_8identityIfEEEE10hipError_tT2_T3_mT4_P12ihipStream_tbEUlT_E_NS1_11comp_targetILNS1_3genE5ELNS1_11target_archE942ELNS1_3gpuE9ELNS1_3repE0EEENS1_30default_config_static_selectorELNS0_4arch9wavefront6targetE1EEEvT1_.uses_vcc, 0
	.set _ZN7rocprim17ROCPRIM_400000_NS6detail17trampoline_kernelINS0_14default_configENS1_25transform_config_selectorIfLb1EEEZNS1_14transform_implILb1ES3_S5_PfS7_NS0_8identityIfEEEE10hipError_tT2_T3_mT4_P12ihipStream_tbEUlT_E_NS1_11comp_targetILNS1_3genE5ELNS1_11target_archE942ELNS1_3gpuE9ELNS1_3repE0EEENS1_30default_config_static_selectorELNS0_4arch9wavefront6targetE1EEEvT1_.uses_flat_scratch, 0
	.set _ZN7rocprim17ROCPRIM_400000_NS6detail17trampoline_kernelINS0_14default_configENS1_25transform_config_selectorIfLb1EEEZNS1_14transform_implILb1ES3_S5_PfS7_NS0_8identityIfEEEE10hipError_tT2_T3_mT4_P12ihipStream_tbEUlT_E_NS1_11comp_targetILNS1_3genE5ELNS1_11target_archE942ELNS1_3gpuE9ELNS1_3repE0EEENS1_30default_config_static_selectorELNS0_4arch9wavefront6targetE1EEEvT1_.has_dyn_sized_stack, 0
	.set _ZN7rocprim17ROCPRIM_400000_NS6detail17trampoline_kernelINS0_14default_configENS1_25transform_config_selectorIfLb1EEEZNS1_14transform_implILb1ES3_S5_PfS7_NS0_8identityIfEEEE10hipError_tT2_T3_mT4_P12ihipStream_tbEUlT_E_NS1_11comp_targetILNS1_3genE5ELNS1_11target_archE942ELNS1_3gpuE9ELNS1_3repE0EEENS1_30default_config_static_selectorELNS0_4arch9wavefront6targetE1EEEvT1_.has_recursion, 0
	.set _ZN7rocprim17ROCPRIM_400000_NS6detail17trampoline_kernelINS0_14default_configENS1_25transform_config_selectorIfLb1EEEZNS1_14transform_implILb1ES3_S5_PfS7_NS0_8identityIfEEEE10hipError_tT2_T3_mT4_P12ihipStream_tbEUlT_E_NS1_11comp_targetILNS1_3genE5ELNS1_11target_archE942ELNS1_3gpuE9ELNS1_3repE0EEENS1_30default_config_static_selectorELNS0_4arch9wavefront6targetE1EEEvT1_.has_indirect_call, 0
	.section	.AMDGPU.csdata,"",@progbits
; Kernel info:
; codeLenInByte = 0
; TotalNumSgprs: 4
; NumVgprs: 0
; ScratchSize: 0
; MemoryBound: 0
; FloatMode: 240
; IeeeMode: 1
; LDSByteSize: 0 bytes/workgroup (compile time only)
; SGPRBlocks: 0
; VGPRBlocks: 0
; NumSGPRsForWavesPerEU: 4
; NumVGPRsForWavesPerEU: 1
; Occupancy: 10
; WaveLimiterHint : 0
; COMPUTE_PGM_RSRC2:SCRATCH_EN: 0
; COMPUTE_PGM_RSRC2:USER_SGPR: 6
; COMPUTE_PGM_RSRC2:TRAP_HANDLER: 0
; COMPUTE_PGM_RSRC2:TGID_X_EN: 1
; COMPUTE_PGM_RSRC2:TGID_Y_EN: 0
; COMPUTE_PGM_RSRC2:TGID_Z_EN: 0
; COMPUTE_PGM_RSRC2:TIDIG_COMP_CNT: 0
	.section	.text._ZN7rocprim17ROCPRIM_400000_NS6detail17trampoline_kernelINS0_14default_configENS1_25transform_config_selectorIfLb1EEEZNS1_14transform_implILb1ES3_S5_PfS7_NS0_8identityIfEEEE10hipError_tT2_T3_mT4_P12ihipStream_tbEUlT_E_NS1_11comp_targetILNS1_3genE4ELNS1_11target_archE910ELNS1_3gpuE8ELNS1_3repE0EEENS1_30default_config_static_selectorELNS0_4arch9wavefront6targetE1EEEvT1_,"axG",@progbits,_ZN7rocprim17ROCPRIM_400000_NS6detail17trampoline_kernelINS0_14default_configENS1_25transform_config_selectorIfLb1EEEZNS1_14transform_implILb1ES3_S5_PfS7_NS0_8identityIfEEEE10hipError_tT2_T3_mT4_P12ihipStream_tbEUlT_E_NS1_11comp_targetILNS1_3genE4ELNS1_11target_archE910ELNS1_3gpuE8ELNS1_3repE0EEENS1_30default_config_static_selectorELNS0_4arch9wavefront6targetE1EEEvT1_,comdat
	.protected	_ZN7rocprim17ROCPRIM_400000_NS6detail17trampoline_kernelINS0_14default_configENS1_25transform_config_selectorIfLb1EEEZNS1_14transform_implILb1ES3_S5_PfS7_NS0_8identityIfEEEE10hipError_tT2_T3_mT4_P12ihipStream_tbEUlT_E_NS1_11comp_targetILNS1_3genE4ELNS1_11target_archE910ELNS1_3gpuE8ELNS1_3repE0EEENS1_30default_config_static_selectorELNS0_4arch9wavefront6targetE1EEEvT1_ ; -- Begin function _ZN7rocprim17ROCPRIM_400000_NS6detail17trampoline_kernelINS0_14default_configENS1_25transform_config_selectorIfLb1EEEZNS1_14transform_implILb1ES3_S5_PfS7_NS0_8identityIfEEEE10hipError_tT2_T3_mT4_P12ihipStream_tbEUlT_E_NS1_11comp_targetILNS1_3genE4ELNS1_11target_archE910ELNS1_3gpuE8ELNS1_3repE0EEENS1_30default_config_static_selectorELNS0_4arch9wavefront6targetE1EEEvT1_
	.globl	_ZN7rocprim17ROCPRIM_400000_NS6detail17trampoline_kernelINS0_14default_configENS1_25transform_config_selectorIfLb1EEEZNS1_14transform_implILb1ES3_S5_PfS7_NS0_8identityIfEEEE10hipError_tT2_T3_mT4_P12ihipStream_tbEUlT_E_NS1_11comp_targetILNS1_3genE4ELNS1_11target_archE910ELNS1_3gpuE8ELNS1_3repE0EEENS1_30default_config_static_selectorELNS0_4arch9wavefront6targetE1EEEvT1_
	.p2align	8
	.type	_ZN7rocprim17ROCPRIM_400000_NS6detail17trampoline_kernelINS0_14default_configENS1_25transform_config_selectorIfLb1EEEZNS1_14transform_implILb1ES3_S5_PfS7_NS0_8identityIfEEEE10hipError_tT2_T3_mT4_P12ihipStream_tbEUlT_E_NS1_11comp_targetILNS1_3genE4ELNS1_11target_archE910ELNS1_3gpuE8ELNS1_3repE0EEENS1_30default_config_static_selectorELNS0_4arch9wavefront6targetE1EEEvT1_,@function
_ZN7rocprim17ROCPRIM_400000_NS6detail17trampoline_kernelINS0_14default_configENS1_25transform_config_selectorIfLb1EEEZNS1_14transform_implILb1ES3_S5_PfS7_NS0_8identityIfEEEE10hipError_tT2_T3_mT4_P12ihipStream_tbEUlT_E_NS1_11comp_targetILNS1_3genE4ELNS1_11target_archE910ELNS1_3gpuE8ELNS1_3repE0EEENS1_30default_config_static_selectorELNS0_4arch9wavefront6targetE1EEEvT1_: ; @_ZN7rocprim17ROCPRIM_400000_NS6detail17trampoline_kernelINS0_14default_configENS1_25transform_config_selectorIfLb1EEEZNS1_14transform_implILb1ES3_S5_PfS7_NS0_8identityIfEEEE10hipError_tT2_T3_mT4_P12ihipStream_tbEUlT_E_NS1_11comp_targetILNS1_3genE4ELNS1_11target_archE910ELNS1_3gpuE8ELNS1_3repE0EEENS1_30default_config_static_selectorELNS0_4arch9wavefront6targetE1EEEvT1_
; %bb.0:
	.section	.rodata,"a",@progbits
	.p2align	6, 0x0
	.amdhsa_kernel _ZN7rocprim17ROCPRIM_400000_NS6detail17trampoline_kernelINS0_14default_configENS1_25transform_config_selectorIfLb1EEEZNS1_14transform_implILb1ES3_S5_PfS7_NS0_8identityIfEEEE10hipError_tT2_T3_mT4_P12ihipStream_tbEUlT_E_NS1_11comp_targetILNS1_3genE4ELNS1_11target_archE910ELNS1_3gpuE8ELNS1_3repE0EEENS1_30default_config_static_selectorELNS0_4arch9wavefront6targetE1EEEvT1_
		.amdhsa_group_segment_fixed_size 0
		.amdhsa_private_segment_fixed_size 0
		.amdhsa_kernarg_size 40
		.amdhsa_user_sgpr_count 6
		.amdhsa_user_sgpr_private_segment_buffer 1
		.amdhsa_user_sgpr_dispatch_ptr 0
		.amdhsa_user_sgpr_queue_ptr 0
		.amdhsa_user_sgpr_kernarg_segment_ptr 1
		.amdhsa_user_sgpr_dispatch_id 0
		.amdhsa_user_sgpr_flat_scratch_init 0
		.amdhsa_user_sgpr_private_segment_size 0
		.amdhsa_uses_dynamic_stack 0
		.amdhsa_system_sgpr_private_segment_wavefront_offset 0
		.amdhsa_system_sgpr_workgroup_id_x 1
		.amdhsa_system_sgpr_workgroup_id_y 0
		.amdhsa_system_sgpr_workgroup_id_z 0
		.amdhsa_system_sgpr_workgroup_info 0
		.amdhsa_system_vgpr_workitem_id 0
		.amdhsa_next_free_vgpr 1
		.amdhsa_next_free_sgpr 0
		.amdhsa_reserve_vcc 0
		.amdhsa_reserve_flat_scratch 0
		.amdhsa_float_round_mode_32 0
		.amdhsa_float_round_mode_16_64 0
		.amdhsa_float_denorm_mode_32 3
		.amdhsa_float_denorm_mode_16_64 3
		.amdhsa_dx10_clamp 1
		.amdhsa_ieee_mode 1
		.amdhsa_fp16_overflow 0
		.amdhsa_exception_fp_ieee_invalid_op 0
		.amdhsa_exception_fp_denorm_src 0
		.amdhsa_exception_fp_ieee_div_zero 0
		.amdhsa_exception_fp_ieee_overflow 0
		.amdhsa_exception_fp_ieee_underflow 0
		.amdhsa_exception_fp_ieee_inexact 0
		.amdhsa_exception_int_div_zero 0
	.end_amdhsa_kernel
	.section	.text._ZN7rocprim17ROCPRIM_400000_NS6detail17trampoline_kernelINS0_14default_configENS1_25transform_config_selectorIfLb1EEEZNS1_14transform_implILb1ES3_S5_PfS7_NS0_8identityIfEEEE10hipError_tT2_T3_mT4_P12ihipStream_tbEUlT_E_NS1_11comp_targetILNS1_3genE4ELNS1_11target_archE910ELNS1_3gpuE8ELNS1_3repE0EEENS1_30default_config_static_selectorELNS0_4arch9wavefront6targetE1EEEvT1_,"axG",@progbits,_ZN7rocprim17ROCPRIM_400000_NS6detail17trampoline_kernelINS0_14default_configENS1_25transform_config_selectorIfLb1EEEZNS1_14transform_implILb1ES3_S5_PfS7_NS0_8identityIfEEEE10hipError_tT2_T3_mT4_P12ihipStream_tbEUlT_E_NS1_11comp_targetILNS1_3genE4ELNS1_11target_archE910ELNS1_3gpuE8ELNS1_3repE0EEENS1_30default_config_static_selectorELNS0_4arch9wavefront6targetE1EEEvT1_,comdat
.Lfunc_end100:
	.size	_ZN7rocprim17ROCPRIM_400000_NS6detail17trampoline_kernelINS0_14default_configENS1_25transform_config_selectorIfLb1EEEZNS1_14transform_implILb1ES3_S5_PfS7_NS0_8identityIfEEEE10hipError_tT2_T3_mT4_P12ihipStream_tbEUlT_E_NS1_11comp_targetILNS1_3genE4ELNS1_11target_archE910ELNS1_3gpuE8ELNS1_3repE0EEENS1_30default_config_static_selectorELNS0_4arch9wavefront6targetE1EEEvT1_, .Lfunc_end100-_ZN7rocprim17ROCPRIM_400000_NS6detail17trampoline_kernelINS0_14default_configENS1_25transform_config_selectorIfLb1EEEZNS1_14transform_implILb1ES3_S5_PfS7_NS0_8identityIfEEEE10hipError_tT2_T3_mT4_P12ihipStream_tbEUlT_E_NS1_11comp_targetILNS1_3genE4ELNS1_11target_archE910ELNS1_3gpuE8ELNS1_3repE0EEENS1_30default_config_static_selectorELNS0_4arch9wavefront6targetE1EEEvT1_
                                        ; -- End function
	.set _ZN7rocprim17ROCPRIM_400000_NS6detail17trampoline_kernelINS0_14default_configENS1_25transform_config_selectorIfLb1EEEZNS1_14transform_implILb1ES3_S5_PfS7_NS0_8identityIfEEEE10hipError_tT2_T3_mT4_P12ihipStream_tbEUlT_E_NS1_11comp_targetILNS1_3genE4ELNS1_11target_archE910ELNS1_3gpuE8ELNS1_3repE0EEENS1_30default_config_static_selectorELNS0_4arch9wavefront6targetE1EEEvT1_.num_vgpr, 0
	.set _ZN7rocprim17ROCPRIM_400000_NS6detail17trampoline_kernelINS0_14default_configENS1_25transform_config_selectorIfLb1EEEZNS1_14transform_implILb1ES3_S5_PfS7_NS0_8identityIfEEEE10hipError_tT2_T3_mT4_P12ihipStream_tbEUlT_E_NS1_11comp_targetILNS1_3genE4ELNS1_11target_archE910ELNS1_3gpuE8ELNS1_3repE0EEENS1_30default_config_static_selectorELNS0_4arch9wavefront6targetE1EEEvT1_.num_agpr, 0
	.set _ZN7rocprim17ROCPRIM_400000_NS6detail17trampoline_kernelINS0_14default_configENS1_25transform_config_selectorIfLb1EEEZNS1_14transform_implILb1ES3_S5_PfS7_NS0_8identityIfEEEE10hipError_tT2_T3_mT4_P12ihipStream_tbEUlT_E_NS1_11comp_targetILNS1_3genE4ELNS1_11target_archE910ELNS1_3gpuE8ELNS1_3repE0EEENS1_30default_config_static_selectorELNS0_4arch9wavefront6targetE1EEEvT1_.numbered_sgpr, 0
	.set _ZN7rocprim17ROCPRIM_400000_NS6detail17trampoline_kernelINS0_14default_configENS1_25transform_config_selectorIfLb1EEEZNS1_14transform_implILb1ES3_S5_PfS7_NS0_8identityIfEEEE10hipError_tT2_T3_mT4_P12ihipStream_tbEUlT_E_NS1_11comp_targetILNS1_3genE4ELNS1_11target_archE910ELNS1_3gpuE8ELNS1_3repE0EEENS1_30default_config_static_selectorELNS0_4arch9wavefront6targetE1EEEvT1_.num_named_barrier, 0
	.set _ZN7rocprim17ROCPRIM_400000_NS6detail17trampoline_kernelINS0_14default_configENS1_25transform_config_selectorIfLb1EEEZNS1_14transform_implILb1ES3_S5_PfS7_NS0_8identityIfEEEE10hipError_tT2_T3_mT4_P12ihipStream_tbEUlT_E_NS1_11comp_targetILNS1_3genE4ELNS1_11target_archE910ELNS1_3gpuE8ELNS1_3repE0EEENS1_30default_config_static_selectorELNS0_4arch9wavefront6targetE1EEEvT1_.private_seg_size, 0
	.set _ZN7rocprim17ROCPRIM_400000_NS6detail17trampoline_kernelINS0_14default_configENS1_25transform_config_selectorIfLb1EEEZNS1_14transform_implILb1ES3_S5_PfS7_NS0_8identityIfEEEE10hipError_tT2_T3_mT4_P12ihipStream_tbEUlT_E_NS1_11comp_targetILNS1_3genE4ELNS1_11target_archE910ELNS1_3gpuE8ELNS1_3repE0EEENS1_30default_config_static_selectorELNS0_4arch9wavefront6targetE1EEEvT1_.uses_vcc, 0
	.set _ZN7rocprim17ROCPRIM_400000_NS6detail17trampoline_kernelINS0_14default_configENS1_25transform_config_selectorIfLb1EEEZNS1_14transform_implILb1ES3_S5_PfS7_NS0_8identityIfEEEE10hipError_tT2_T3_mT4_P12ihipStream_tbEUlT_E_NS1_11comp_targetILNS1_3genE4ELNS1_11target_archE910ELNS1_3gpuE8ELNS1_3repE0EEENS1_30default_config_static_selectorELNS0_4arch9wavefront6targetE1EEEvT1_.uses_flat_scratch, 0
	.set _ZN7rocprim17ROCPRIM_400000_NS6detail17trampoline_kernelINS0_14default_configENS1_25transform_config_selectorIfLb1EEEZNS1_14transform_implILb1ES3_S5_PfS7_NS0_8identityIfEEEE10hipError_tT2_T3_mT4_P12ihipStream_tbEUlT_E_NS1_11comp_targetILNS1_3genE4ELNS1_11target_archE910ELNS1_3gpuE8ELNS1_3repE0EEENS1_30default_config_static_selectorELNS0_4arch9wavefront6targetE1EEEvT1_.has_dyn_sized_stack, 0
	.set _ZN7rocprim17ROCPRIM_400000_NS6detail17trampoline_kernelINS0_14default_configENS1_25transform_config_selectorIfLb1EEEZNS1_14transform_implILb1ES3_S5_PfS7_NS0_8identityIfEEEE10hipError_tT2_T3_mT4_P12ihipStream_tbEUlT_E_NS1_11comp_targetILNS1_3genE4ELNS1_11target_archE910ELNS1_3gpuE8ELNS1_3repE0EEENS1_30default_config_static_selectorELNS0_4arch9wavefront6targetE1EEEvT1_.has_recursion, 0
	.set _ZN7rocprim17ROCPRIM_400000_NS6detail17trampoline_kernelINS0_14default_configENS1_25transform_config_selectorIfLb1EEEZNS1_14transform_implILb1ES3_S5_PfS7_NS0_8identityIfEEEE10hipError_tT2_T3_mT4_P12ihipStream_tbEUlT_E_NS1_11comp_targetILNS1_3genE4ELNS1_11target_archE910ELNS1_3gpuE8ELNS1_3repE0EEENS1_30default_config_static_selectorELNS0_4arch9wavefront6targetE1EEEvT1_.has_indirect_call, 0
	.section	.AMDGPU.csdata,"",@progbits
; Kernel info:
; codeLenInByte = 0
; TotalNumSgprs: 4
; NumVgprs: 0
; ScratchSize: 0
; MemoryBound: 0
; FloatMode: 240
; IeeeMode: 1
; LDSByteSize: 0 bytes/workgroup (compile time only)
; SGPRBlocks: 0
; VGPRBlocks: 0
; NumSGPRsForWavesPerEU: 4
; NumVGPRsForWavesPerEU: 1
; Occupancy: 10
; WaveLimiterHint : 0
; COMPUTE_PGM_RSRC2:SCRATCH_EN: 0
; COMPUTE_PGM_RSRC2:USER_SGPR: 6
; COMPUTE_PGM_RSRC2:TRAP_HANDLER: 0
; COMPUTE_PGM_RSRC2:TGID_X_EN: 1
; COMPUTE_PGM_RSRC2:TGID_Y_EN: 0
; COMPUTE_PGM_RSRC2:TGID_Z_EN: 0
; COMPUTE_PGM_RSRC2:TIDIG_COMP_CNT: 0
	.section	.text._ZN7rocprim17ROCPRIM_400000_NS6detail17trampoline_kernelINS0_14default_configENS1_25transform_config_selectorIfLb1EEEZNS1_14transform_implILb1ES3_S5_PfS7_NS0_8identityIfEEEE10hipError_tT2_T3_mT4_P12ihipStream_tbEUlT_E_NS1_11comp_targetILNS1_3genE3ELNS1_11target_archE908ELNS1_3gpuE7ELNS1_3repE0EEENS1_30default_config_static_selectorELNS0_4arch9wavefront6targetE1EEEvT1_,"axG",@progbits,_ZN7rocprim17ROCPRIM_400000_NS6detail17trampoline_kernelINS0_14default_configENS1_25transform_config_selectorIfLb1EEEZNS1_14transform_implILb1ES3_S5_PfS7_NS0_8identityIfEEEE10hipError_tT2_T3_mT4_P12ihipStream_tbEUlT_E_NS1_11comp_targetILNS1_3genE3ELNS1_11target_archE908ELNS1_3gpuE7ELNS1_3repE0EEENS1_30default_config_static_selectorELNS0_4arch9wavefront6targetE1EEEvT1_,comdat
	.protected	_ZN7rocprim17ROCPRIM_400000_NS6detail17trampoline_kernelINS0_14default_configENS1_25transform_config_selectorIfLb1EEEZNS1_14transform_implILb1ES3_S5_PfS7_NS0_8identityIfEEEE10hipError_tT2_T3_mT4_P12ihipStream_tbEUlT_E_NS1_11comp_targetILNS1_3genE3ELNS1_11target_archE908ELNS1_3gpuE7ELNS1_3repE0EEENS1_30default_config_static_selectorELNS0_4arch9wavefront6targetE1EEEvT1_ ; -- Begin function _ZN7rocprim17ROCPRIM_400000_NS6detail17trampoline_kernelINS0_14default_configENS1_25transform_config_selectorIfLb1EEEZNS1_14transform_implILb1ES3_S5_PfS7_NS0_8identityIfEEEE10hipError_tT2_T3_mT4_P12ihipStream_tbEUlT_E_NS1_11comp_targetILNS1_3genE3ELNS1_11target_archE908ELNS1_3gpuE7ELNS1_3repE0EEENS1_30default_config_static_selectorELNS0_4arch9wavefront6targetE1EEEvT1_
	.globl	_ZN7rocprim17ROCPRIM_400000_NS6detail17trampoline_kernelINS0_14default_configENS1_25transform_config_selectorIfLb1EEEZNS1_14transform_implILb1ES3_S5_PfS7_NS0_8identityIfEEEE10hipError_tT2_T3_mT4_P12ihipStream_tbEUlT_E_NS1_11comp_targetILNS1_3genE3ELNS1_11target_archE908ELNS1_3gpuE7ELNS1_3repE0EEENS1_30default_config_static_selectorELNS0_4arch9wavefront6targetE1EEEvT1_
	.p2align	8
	.type	_ZN7rocprim17ROCPRIM_400000_NS6detail17trampoline_kernelINS0_14default_configENS1_25transform_config_selectorIfLb1EEEZNS1_14transform_implILb1ES3_S5_PfS7_NS0_8identityIfEEEE10hipError_tT2_T3_mT4_P12ihipStream_tbEUlT_E_NS1_11comp_targetILNS1_3genE3ELNS1_11target_archE908ELNS1_3gpuE7ELNS1_3repE0EEENS1_30default_config_static_selectorELNS0_4arch9wavefront6targetE1EEEvT1_,@function
_ZN7rocprim17ROCPRIM_400000_NS6detail17trampoline_kernelINS0_14default_configENS1_25transform_config_selectorIfLb1EEEZNS1_14transform_implILb1ES3_S5_PfS7_NS0_8identityIfEEEE10hipError_tT2_T3_mT4_P12ihipStream_tbEUlT_E_NS1_11comp_targetILNS1_3genE3ELNS1_11target_archE908ELNS1_3gpuE7ELNS1_3repE0EEENS1_30default_config_static_selectorELNS0_4arch9wavefront6targetE1EEEvT1_: ; @_ZN7rocprim17ROCPRIM_400000_NS6detail17trampoline_kernelINS0_14default_configENS1_25transform_config_selectorIfLb1EEEZNS1_14transform_implILb1ES3_S5_PfS7_NS0_8identityIfEEEE10hipError_tT2_T3_mT4_P12ihipStream_tbEUlT_E_NS1_11comp_targetILNS1_3genE3ELNS1_11target_archE908ELNS1_3gpuE7ELNS1_3repE0EEENS1_30default_config_static_selectorELNS0_4arch9wavefront6targetE1EEEvT1_
; %bb.0:
	.section	.rodata,"a",@progbits
	.p2align	6, 0x0
	.amdhsa_kernel _ZN7rocprim17ROCPRIM_400000_NS6detail17trampoline_kernelINS0_14default_configENS1_25transform_config_selectorIfLb1EEEZNS1_14transform_implILb1ES3_S5_PfS7_NS0_8identityIfEEEE10hipError_tT2_T3_mT4_P12ihipStream_tbEUlT_E_NS1_11comp_targetILNS1_3genE3ELNS1_11target_archE908ELNS1_3gpuE7ELNS1_3repE0EEENS1_30default_config_static_selectorELNS0_4arch9wavefront6targetE1EEEvT1_
		.amdhsa_group_segment_fixed_size 0
		.amdhsa_private_segment_fixed_size 0
		.amdhsa_kernarg_size 40
		.amdhsa_user_sgpr_count 6
		.amdhsa_user_sgpr_private_segment_buffer 1
		.amdhsa_user_sgpr_dispatch_ptr 0
		.amdhsa_user_sgpr_queue_ptr 0
		.amdhsa_user_sgpr_kernarg_segment_ptr 1
		.amdhsa_user_sgpr_dispatch_id 0
		.amdhsa_user_sgpr_flat_scratch_init 0
		.amdhsa_user_sgpr_private_segment_size 0
		.amdhsa_uses_dynamic_stack 0
		.amdhsa_system_sgpr_private_segment_wavefront_offset 0
		.amdhsa_system_sgpr_workgroup_id_x 1
		.amdhsa_system_sgpr_workgroup_id_y 0
		.amdhsa_system_sgpr_workgroup_id_z 0
		.amdhsa_system_sgpr_workgroup_info 0
		.amdhsa_system_vgpr_workitem_id 0
		.amdhsa_next_free_vgpr 1
		.amdhsa_next_free_sgpr 0
		.amdhsa_reserve_vcc 0
		.amdhsa_reserve_flat_scratch 0
		.amdhsa_float_round_mode_32 0
		.amdhsa_float_round_mode_16_64 0
		.amdhsa_float_denorm_mode_32 3
		.amdhsa_float_denorm_mode_16_64 3
		.amdhsa_dx10_clamp 1
		.amdhsa_ieee_mode 1
		.amdhsa_fp16_overflow 0
		.amdhsa_exception_fp_ieee_invalid_op 0
		.amdhsa_exception_fp_denorm_src 0
		.amdhsa_exception_fp_ieee_div_zero 0
		.amdhsa_exception_fp_ieee_overflow 0
		.amdhsa_exception_fp_ieee_underflow 0
		.amdhsa_exception_fp_ieee_inexact 0
		.amdhsa_exception_int_div_zero 0
	.end_amdhsa_kernel
	.section	.text._ZN7rocprim17ROCPRIM_400000_NS6detail17trampoline_kernelINS0_14default_configENS1_25transform_config_selectorIfLb1EEEZNS1_14transform_implILb1ES3_S5_PfS7_NS0_8identityIfEEEE10hipError_tT2_T3_mT4_P12ihipStream_tbEUlT_E_NS1_11comp_targetILNS1_3genE3ELNS1_11target_archE908ELNS1_3gpuE7ELNS1_3repE0EEENS1_30default_config_static_selectorELNS0_4arch9wavefront6targetE1EEEvT1_,"axG",@progbits,_ZN7rocprim17ROCPRIM_400000_NS6detail17trampoline_kernelINS0_14default_configENS1_25transform_config_selectorIfLb1EEEZNS1_14transform_implILb1ES3_S5_PfS7_NS0_8identityIfEEEE10hipError_tT2_T3_mT4_P12ihipStream_tbEUlT_E_NS1_11comp_targetILNS1_3genE3ELNS1_11target_archE908ELNS1_3gpuE7ELNS1_3repE0EEENS1_30default_config_static_selectorELNS0_4arch9wavefront6targetE1EEEvT1_,comdat
.Lfunc_end101:
	.size	_ZN7rocprim17ROCPRIM_400000_NS6detail17trampoline_kernelINS0_14default_configENS1_25transform_config_selectorIfLb1EEEZNS1_14transform_implILb1ES3_S5_PfS7_NS0_8identityIfEEEE10hipError_tT2_T3_mT4_P12ihipStream_tbEUlT_E_NS1_11comp_targetILNS1_3genE3ELNS1_11target_archE908ELNS1_3gpuE7ELNS1_3repE0EEENS1_30default_config_static_selectorELNS0_4arch9wavefront6targetE1EEEvT1_, .Lfunc_end101-_ZN7rocprim17ROCPRIM_400000_NS6detail17trampoline_kernelINS0_14default_configENS1_25transform_config_selectorIfLb1EEEZNS1_14transform_implILb1ES3_S5_PfS7_NS0_8identityIfEEEE10hipError_tT2_T3_mT4_P12ihipStream_tbEUlT_E_NS1_11comp_targetILNS1_3genE3ELNS1_11target_archE908ELNS1_3gpuE7ELNS1_3repE0EEENS1_30default_config_static_selectorELNS0_4arch9wavefront6targetE1EEEvT1_
                                        ; -- End function
	.set _ZN7rocprim17ROCPRIM_400000_NS6detail17trampoline_kernelINS0_14default_configENS1_25transform_config_selectorIfLb1EEEZNS1_14transform_implILb1ES3_S5_PfS7_NS0_8identityIfEEEE10hipError_tT2_T3_mT4_P12ihipStream_tbEUlT_E_NS1_11comp_targetILNS1_3genE3ELNS1_11target_archE908ELNS1_3gpuE7ELNS1_3repE0EEENS1_30default_config_static_selectorELNS0_4arch9wavefront6targetE1EEEvT1_.num_vgpr, 0
	.set _ZN7rocprim17ROCPRIM_400000_NS6detail17trampoline_kernelINS0_14default_configENS1_25transform_config_selectorIfLb1EEEZNS1_14transform_implILb1ES3_S5_PfS7_NS0_8identityIfEEEE10hipError_tT2_T3_mT4_P12ihipStream_tbEUlT_E_NS1_11comp_targetILNS1_3genE3ELNS1_11target_archE908ELNS1_3gpuE7ELNS1_3repE0EEENS1_30default_config_static_selectorELNS0_4arch9wavefront6targetE1EEEvT1_.num_agpr, 0
	.set _ZN7rocprim17ROCPRIM_400000_NS6detail17trampoline_kernelINS0_14default_configENS1_25transform_config_selectorIfLb1EEEZNS1_14transform_implILb1ES3_S5_PfS7_NS0_8identityIfEEEE10hipError_tT2_T3_mT4_P12ihipStream_tbEUlT_E_NS1_11comp_targetILNS1_3genE3ELNS1_11target_archE908ELNS1_3gpuE7ELNS1_3repE0EEENS1_30default_config_static_selectorELNS0_4arch9wavefront6targetE1EEEvT1_.numbered_sgpr, 0
	.set _ZN7rocprim17ROCPRIM_400000_NS6detail17trampoline_kernelINS0_14default_configENS1_25transform_config_selectorIfLb1EEEZNS1_14transform_implILb1ES3_S5_PfS7_NS0_8identityIfEEEE10hipError_tT2_T3_mT4_P12ihipStream_tbEUlT_E_NS1_11comp_targetILNS1_3genE3ELNS1_11target_archE908ELNS1_3gpuE7ELNS1_3repE0EEENS1_30default_config_static_selectorELNS0_4arch9wavefront6targetE1EEEvT1_.num_named_barrier, 0
	.set _ZN7rocprim17ROCPRIM_400000_NS6detail17trampoline_kernelINS0_14default_configENS1_25transform_config_selectorIfLb1EEEZNS1_14transform_implILb1ES3_S5_PfS7_NS0_8identityIfEEEE10hipError_tT2_T3_mT4_P12ihipStream_tbEUlT_E_NS1_11comp_targetILNS1_3genE3ELNS1_11target_archE908ELNS1_3gpuE7ELNS1_3repE0EEENS1_30default_config_static_selectorELNS0_4arch9wavefront6targetE1EEEvT1_.private_seg_size, 0
	.set _ZN7rocprim17ROCPRIM_400000_NS6detail17trampoline_kernelINS0_14default_configENS1_25transform_config_selectorIfLb1EEEZNS1_14transform_implILb1ES3_S5_PfS7_NS0_8identityIfEEEE10hipError_tT2_T3_mT4_P12ihipStream_tbEUlT_E_NS1_11comp_targetILNS1_3genE3ELNS1_11target_archE908ELNS1_3gpuE7ELNS1_3repE0EEENS1_30default_config_static_selectorELNS0_4arch9wavefront6targetE1EEEvT1_.uses_vcc, 0
	.set _ZN7rocprim17ROCPRIM_400000_NS6detail17trampoline_kernelINS0_14default_configENS1_25transform_config_selectorIfLb1EEEZNS1_14transform_implILb1ES3_S5_PfS7_NS0_8identityIfEEEE10hipError_tT2_T3_mT4_P12ihipStream_tbEUlT_E_NS1_11comp_targetILNS1_3genE3ELNS1_11target_archE908ELNS1_3gpuE7ELNS1_3repE0EEENS1_30default_config_static_selectorELNS0_4arch9wavefront6targetE1EEEvT1_.uses_flat_scratch, 0
	.set _ZN7rocprim17ROCPRIM_400000_NS6detail17trampoline_kernelINS0_14default_configENS1_25transform_config_selectorIfLb1EEEZNS1_14transform_implILb1ES3_S5_PfS7_NS0_8identityIfEEEE10hipError_tT2_T3_mT4_P12ihipStream_tbEUlT_E_NS1_11comp_targetILNS1_3genE3ELNS1_11target_archE908ELNS1_3gpuE7ELNS1_3repE0EEENS1_30default_config_static_selectorELNS0_4arch9wavefront6targetE1EEEvT1_.has_dyn_sized_stack, 0
	.set _ZN7rocprim17ROCPRIM_400000_NS6detail17trampoline_kernelINS0_14default_configENS1_25transform_config_selectorIfLb1EEEZNS1_14transform_implILb1ES3_S5_PfS7_NS0_8identityIfEEEE10hipError_tT2_T3_mT4_P12ihipStream_tbEUlT_E_NS1_11comp_targetILNS1_3genE3ELNS1_11target_archE908ELNS1_3gpuE7ELNS1_3repE0EEENS1_30default_config_static_selectorELNS0_4arch9wavefront6targetE1EEEvT1_.has_recursion, 0
	.set _ZN7rocprim17ROCPRIM_400000_NS6detail17trampoline_kernelINS0_14default_configENS1_25transform_config_selectorIfLb1EEEZNS1_14transform_implILb1ES3_S5_PfS7_NS0_8identityIfEEEE10hipError_tT2_T3_mT4_P12ihipStream_tbEUlT_E_NS1_11comp_targetILNS1_3genE3ELNS1_11target_archE908ELNS1_3gpuE7ELNS1_3repE0EEENS1_30default_config_static_selectorELNS0_4arch9wavefront6targetE1EEEvT1_.has_indirect_call, 0
	.section	.AMDGPU.csdata,"",@progbits
; Kernel info:
; codeLenInByte = 0
; TotalNumSgprs: 4
; NumVgprs: 0
; ScratchSize: 0
; MemoryBound: 0
; FloatMode: 240
; IeeeMode: 1
; LDSByteSize: 0 bytes/workgroup (compile time only)
; SGPRBlocks: 0
; VGPRBlocks: 0
; NumSGPRsForWavesPerEU: 4
; NumVGPRsForWavesPerEU: 1
; Occupancy: 10
; WaveLimiterHint : 0
; COMPUTE_PGM_RSRC2:SCRATCH_EN: 0
; COMPUTE_PGM_RSRC2:USER_SGPR: 6
; COMPUTE_PGM_RSRC2:TRAP_HANDLER: 0
; COMPUTE_PGM_RSRC2:TGID_X_EN: 1
; COMPUTE_PGM_RSRC2:TGID_Y_EN: 0
; COMPUTE_PGM_RSRC2:TGID_Z_EN: 0
; COMPUTE_PGM_RSRC2:TIDIG_COMP_CNT: 0
	.section	.text._ZN7rocprim17ROCPRIM_400000_NS6detail17trampoline_kernelINS0_14default_configENS1_25transform_config_selectorIfLb1EEEZNS1_14transform_implILb1ES3_S5_PfS7_NS0_8identityIfEEEE10hipError_tT2_T3_mT4_P12ihipStream_tbEUlT_E_NS1_11comp_targetILNS1_3genE2ELNS1_11target_archE906ELNS1_3gpuE6ELNS1_3repE0EEENS1_30default_config_static_selectorELNS0_4arch9wavefront6targetE1EEEvT1_,"axG",@progbits,_ZN7rocprim17ROCPRIM_400000_NS6detail17trampoline_kernelINS0_14default_configENS1_25transform_config_selectorIfLb1EEEZNS1_14transform_implILb1ES3_S5_PfS7_NS0_8identityIfEEEE10hipError_tT2_T3_mT4_P12ihipStream_tbEUlT_E_NS1_11comp_targetILNS1_3genE2ELNS1_11target_archE906ELNS1_3gpuE6ELNS1_3repE0EEENS1_30default_config_static_selectorELNS0_4arch9wavefront6targetE1EEEvT1_,comdat
	.protected	_ZN7rocprim17ROCPRIM_400000_NS6detail17trampoline_kernelINS0_14default_configENS1_25transform_config_selectorIfLb1EEEZNS1_14transform_implILb1ES3_S5_PfS7_NS0_8identityIfEEEE10hipError_tT2_T3_mT4_P12ihipStream_tbEUlT_E_NS1_11comp_targetILNS1_3genE2ELNS1_11target_archE906ELNS1_3gpuE6ELNS1_3repE0EEENS1_30default_config_static_selectorELNS0_4arch9wavefront6targetE1EEEvT1_ ; -- Begin function _ZN7rocprim17ROCPRIM_400000_NS6detail17trampoline_kernelINS0_14default_configENS1_25transform_config_selectorIfLb1EEEZNS1_14transform_implILb1ES3_S5_PfS7_NS0_8identityIfEEEE10hipError_tT2_T3_mT4_P12ihipStream_tbEUlT_E_NS1_11comp_targetILNS1_3genE2ELNS1_11target_archE906ELNS1_3gpuE6ELNS1_3repE0EEENS1_30default_config_static_selectorELNS0_4arch9wavefront6targetE1EEEvT1_
	.globl	_ZN7rocprim17ROCPRIM_400000_NS6detail17trampoline_kernelINS0_14default_configENS1_25transform_config_selectorIfLb1EEEZNS1_14transform_implILb1ES3_S5_PfS7_NS0_8identityIfEEEE10hipError_tT2_T3_mT4_P12ihipStream_tbEUlT_E_NS1_11comp_targetILNS1_3genE2ELNS1_11target_archE906ELNS1_3gpuE6ELNS1_3repE0EEENS1_30default_config_static_selectorELNS0_4arch9wavefront6targetE1EEEvT1_
	.p2align	8
	.type	_ZN7rocprim17ROCPRIM_400000_NS6detail17trampoline_kernelINS0_14default_configENS1_25transform_config_selectorIfLb1EEEZNS1_14transform_implILb1ES3_S5_PfS7_NS0_8identityIfEEEE10hipError_tT2_T3_mT4_P12ihipStream_tbEUlT_E_NS1_11comp_targetILNS1_3genE2ELNS1_11target_archE906ELNS1_3gpuE6ELNS1_3repE0EEENS1_30default_config_static_selectorELNS0_4arch9wavefront6targetE1EEEvT1_,@function
_ZN7rocprim17ROCPRIM_400000_NS6detail17trampoline_kernelINS0_14default_configENS1_25transform_config_selectorIfLb1EEEZNS1_14transform_implILb1ES3_S5_PfS7_NS0_8identityIfEEEE10hipError_tT2_T3_mT4_P12ihipStream_tbEUlT_E_NS1_11comp_targetILNS1_3genE2ELNS1_11target_archE906ELNS1_3gpuE6ELNS1_3repE0EEENS1_30default_config_static_selectorELNS0_4arch9wavefront6targetE1EEEvT1_: ; @_ZN7rocprim17ROCPRIM_400000_NS6detail17trampoline_kernelINS0_14default_configENS1_25transform_config_selectorIfLb1EEEZNS1_14transform_implILb1ES3_S5_PfS7_NS0_8identityIfEEEE10hipError_tT2_T3_mT4_P12ihipStream_tbEUlT_E_NS1_11comp_targetILNS1_3genE2ELNS1_11target_archE906ELNS1_3gpuE6ELNS1_3repE0EEENS1_30default_config_static_selectorELNS0_4arch9wavefront6targetE1EEEvT1_
; %bb.0:
	s_load_dwordx8 s[8:15], s[4:5], 0x0
	s_load_dword s2, s[4:5], 0x28
	s_waitcnt lgkmcnt(0)
	s_lshl_b64 s[0:1], s[10:11], 2
	s_add_u32 s3, s8, s0
	s_addc_u32 s4, s9, s1
	s_add_u32 s13, s14, s0
	s_addc_u32 s14, s15, s1
	s_lshl_b32 s0, s6, 12
	s_mov_b32 s1, 0
	s_add_i32 s2, s2, -1
	s_lshl_b64 s[8:9], s[0:1], 2
	s_add_u32 s10, s3, s8
	s_addc_u32 s11, s4, s9
	s_cmp_lg_u32 s6, s2
	s_mov_b64 s[2:3], -1
	s_cbranch_scc0 .LBB102_2
; %bb.1:
	v_lshlrev_b32_e32 v5, 4, v0
	global_load_dwordx4 v[1:4], v5, s[10:11]
	s_add_u32 s2, s13, s8
	s_addc_u32 s3, s14, s9
	s_waitcnt vmcnt(0)
	global_store_dwordx4 v5, v[1:4], s[2:3]
	s_mov_b64 s[2:3], 0
.LBB102_2:
	s_andn2_b64 vcc, exec, s[2:3]
	s_cbranch_vccnz .LBB102_16
; %bb.3:
	s_sub_i32 s6, s12, s0
	v_mov_b32_e32 v1, 0
	v_cmp_gt_u32_e32 vcc, s6, v0
	v_mov_b32_e32 v2, v1
	v_mov_b32_e32 v3, v1
	;; [unrolled: 1-line block ×3, first 2 shown]
	v_lshlrev_b32_e32 v5, 2, v0
	s_and_saveexec_b64 s[0:1], vcc
	s_cbranch_execz .LBB102_5
; %bb.4:
	global_load_dword v6, v5, s[10:11]
	v_mov_b32_e32 v7, v1
	v_mov_b32_e32 v8, v1
	;; [unrolled: 1-line block ×3, first 2 shown]
	s_waitcnt vmcnt(0)
	v_mov_b32_e32 v1, v6
	v_mov_b32_e32 v2, v7
	;; [unrolled: 1-line block ×4, first 2 shown]
.LBB102_5:
	s_or_b64 exec, exec, s[0:1]
	v_or_b32_e32 v6, 0x400, v0
	v_cmp_gt_u32_e64 s[4:5], s6, v6
	s_and_saveexec_b64 s[0:1], s[4:5]
	s_cbranch_execz .LBB102_7
; %bb.6:
	v_lshlrev_b32_e32 v2, 2, v6
	global_load_dword v2, v2, s[10:11]
.LBB102_7:
	s_or_b64 exec, exec, s[0:1]
	v_or_b32_e32 v6, 0x800, v0
	v_cmp_gt_u32_e64 s[0:1], s6, v6
	s_and_saveexec_b64 s[2:3], s[0:1]
	s_cbranch_execz .LBB102_9
; %bb.8:
	v_lshlrev_b32_e32 v3, 2, v6
	global_load_dword v3, v3, s[10:11]
.LBB102_9:
	;; [unrolled: 9-line block ×3, first 2 shown]
	s_or_b64 exec, exec, s[6:7]
	s_add_u32 s6, s13, s8
	s_addc_u32 s7, s14, s9
	v_cndmask_b32_e32 v6, 0, v1, vcc
	v_mov_b32_e32 v1, s7
	v_add_co_u32_e64 v0, s[6:7], s6, v5
	v_addc_co_u32_e64 v1, s[6:7], 0, v1, s[6:7]
	s_and_saveexec_b64 s[6:7], vcc
	s_cbranch_execnz .LBB102_17
; %bb.12:
	s_or_b64 exec, exec, s[6:7]
	s_waitcnt vmcnt(0)
	v_cndmask_b32_e64 v2, 0, v2, s[4:5]
	s_and_saveexec_b64 s[6:7], s[4:5]
	s_cbranch_execnz .LBB102_18
.LBB102_13:
	s_or_b64 exec, exec, s[6:7]
	s_and_saveexec_b64 s[4:5], s[0:1]
	s_cbranch_execnz .LBB102_19
.LBB102_14:
	s_or_b64 exec, exec, s[4:5]
	s_and_saveexec_b64 s[0:1], s[2:3]
	s_cbranch_execz .LBB102_16
.LBB102_15:
	v_add_co_u32_e32 v0, vcc, 0x3000, v0
	v_cndmask_b32_e64 v2, 0, v4, s[2:3]
	v_addc_co_u32_e32 v1, vcc, 0, v1, vcc
	global_store_dword v[0:1], v2, off
.LBB102_16:
	s_endpgm
.LBB102_17:
	global_store_dword v[0:1], v6, off
	s_or_b64 exec, exec, s[6:7]
	s_waitcnt vmcnt(1)
	v_cndmask_b32_e64 v2, 0, v2, s[4:5]
	s_and_saveexec_b64 s[6:7], s[4:5]
	s_cbranch_execz .LBB102_13
.LBB102_18:
	v_add_co_u32_e32 v5, vcc, 0x1000, v0
	v_addc_co_u32_e32 v6, vcc, 0, v1, vcc
	global_store_dword v[5:6], v2, off
	s_or_b64 exec, exec, s[6:7]
	s_and_saveexec_b64 s[4:5], s[0:1]
	s_cbranch_execz .LBB102_14
.LBB102_19:
	v_add_co_u32_e32 v2, vcc, 0x2000, v0
	v_cndmask_b32_e64 v5, 0, v3, s[0:1]
	v_addc_co_u32_e32 v3, vcc, 0, v1, vcc
	global_store_dword v[2:3], v5, off
	s_or_b64 exec, exec, s[4:5]
	s_and_saveexec_b64 s[0:1], s[2:3]
	s_cbranch_execnz .LBB102_15
	s_branch .LBB102_16
	.section	.rodata,"a",@progbits
	.p2align	6, 0x0
	.amdhsa_kernel _ZN7rocprim17ROCPRIM_400000_NS6detail17trampoline_kernelINS0_14default_configENS1_25transform_config_selectorIfLb1EEEZNS1_14transform_implILb1ES3_S5_PfS7_NS0_8identityIfEEEE10hipError_tT2_T3_mT4_P12ihipStream_tbEUlT_E_NS1_11comp_targetILNS1_3genE2ELNS1_11target_archE906ELNS1_3gpuE6ELNS1_3repE0EEENS1_30default_config_static_selectorELNS0_4arch9wavefront6targetE1EEEvT1_
		.amdhsa_group_segment_fixed_size 0
		.amdhsa_private_segment_fixed_size 0
		.amdhsa_kernarg_size 296
		.amdhsa_user_sgpr_count 6
		.amdhsa_user_sgpr_private_segment_buffer 1
		.amdhsa_user_sgpr_dispatch_ptr 0
		.amdhsa_user_sgpr_queue_ptr 0
		.amdhsa_user_sgpr_kernarg_segment_ptr 1
		.amdhsa_user_sgpr_dispatch_id 0
		.amdhsa_user_sgpr_flat_scratch_init 0
		.amdhsa_user_sgpr_private_segment_size 0
		.amdhsa_uses_dynamic_stack 0
		.amdhsa_system_sgpr_private_segment_wavefront_offset 0
		.amdhsa_system_sgpr_workgroup_id_x 1
		.amdhsa_system_sgpr_workgroup_id_y 0
		.amdhsa_system_sgpr_workgroup_id_z 0
		.amdhsa_system_sgpr_workgroup_info 0
		.amdhsa_system_vgpr_workitem_id 0
		.amdhsa_next_free_vgpr 10
		.amdhsa_next_free_sgpr 16
		.amdhsa_reserve_vcc 1
		.amdhsa_reserve_flat_scratch 0
		.amdhsa_float_round_mode_32 0
		.amdhsa_float_round_mode_16_64 0
		.amdhsa_float_denorm_mode_32 3
		.amdhsa_float_denorm_mode_16_64 3
		.amdhsa_dx10_clamp 1
		.amdhsa_ieee_mode 1
		.amdhsa_fp16_overflow 0
		.amdhsa_exception_fp_ieee_invalid_op 0
		.amdhsa_exception_fp_denorm_src 0
		.amdhsa_exception_fp_ieee_div_zero 0
		.amdhsa_exception_fp_ieee_overflow 0
		.amdhsa_exception_fp_ieee_underflow 0
		.amdhsa_exception_fp_ieee_inexact 0
		.amdhsa_exception_int_div_zero 0
	.end_amdhsa_kernel
	.section	.text._ZN7rocprim17ROCPRIM_400000_NS6detail17trampoline_kernelINS0_14default_configENS1_25transform_config_selectorIfLb1EEEZNS1_14transform_implILb1ES3_S5_PfS7_NS0_8identityIfEEEE10hipError_tT2_T3_mT4_P12ihipStream_tbEUlT_E_NS1_11comp_targetILNS1_3genE2ELNS1_11target_archE906ELNS1_3gpuE6ELNS1_3repE0EEENS1_30default_config_static_selectorELNS0_4arch9wavefront6targetE1EEEvT1_,"axG",@progbits,_ZN7rocprim17ROCPRIM_400000_NS6detail17trampoline_kernelINS0_14default_configENS1_25transform_config_selectorIfLb1EEEZNS1_14transform_implILb1ES3_S5_PfS7_NS0_8identityIfEEEE10hipError_tT2_T3_mT4_P12ihipStream_tbEUlT_E_NS1_11comp_targetILNS1_3genE2ELNS1_11target_archE906ELNS1_3gpuE6ELNS1_3repE0EEENS1_30default_config_static_selectorELNS0_4arch9wavefront6targetE1EEEvT1_,comdat
.Lfunc_end102:
	.size	_ZN7rocprim17ROCPRIM_400000_NS6detail17trampoline_kernelINS0_14default_configENS1_25transform_config_selectorIfLb1EEEZNS1_14transform_implILb1ES3_S5_PfS7_NS0_8identityIfEEEE10hipError_tT2_T3_mT4_P12ihipStream_tbEUlT_E_NS1_11comp_targetILNS1_3genE2ELNS1_11target_archE906ELNS1_3gpuE6ELNS1_3repE0EEENS1_30default_config_static_selectorELNS0_4arch9wavefront6targetE1EEEvT1_, .Lfunc_end102-_ZN7rocprim17ROCPRIM_400000_NS6detail17trampoline_kernelINS0_14default_configENS1_25transform_config_selectorIfLb1EEEZNS1_14transform_implILb1ES3_S5_PfS7_NS0_8identityIfEEEE10hipError_tT2_T3_mT4_P12ihipStream_tbEUlT_E_NS1_11comp_targetILNS1_3genE2ELNS1_11target_archE906ELNS1_3gpuE6ELNS1_3repE0EEENS1_30default_config_static_selectorELNS0_4arch9wavefront6targetE1EEEvT1_
                                        ; -- End function
	.set _ZN7rocprim17ROCPRIM_400000_NS6detail17trampoline_kernelINS0_14default_configENS1_25transform_config_selectorIfLb1EEEZNS1_14transform_implILb1ES3_S5_PfS7_NS0_8identityIfEEEE10hipError_tT2_T3_mT4_P12ihipStream_tbEUlT_E_NS1_11comp_targetILNS1_3genE2ELNS1_11target_archE906ELNS1_3gpuE6ELNS1_3repE0EEENS1_30default_config_static_selectorELNS0_4arch9wavefront6targetE1EEEvT1_.num_vgpr, 10
	.set _ZN7rocprim17ROCPRIM_400000_NS6detail17trampoline_kernelINS0_14default_configENS1_25transform_config_selectorIfLb1EEEZNS1_14transform_implILb1ES3_S5_PfS7_NS0_8identityIfEEEE10hipError_tT2_T3_mT4_P12ihipStream_tbEUlT_E_NS1_11comp_targetILNS1_3genE2ELNS1_11target_archE906ELNS1_3gpuE6ELNS1_3repE0EEENS1_30default_config_static_selectorELNS0_4arch9wavefront6targetE1EEEvT1_.num_agpr, 0
	.set _ZN7rocprim17ROCPRIM_400000_NS6detail17trampoline_kernelINS0_14default_configENS1_25transform_config_selectorIfLb1EEEZNS1_14transform_implILb1ES3_S5_PfS7_NS0_8identityIfEEEE10hipError_tT2_T3_mT4_P12ihipStream_tbEUlT_E_NS1_11comp_targetILNS1_3genE2ELNS1_11target_archE906ELNS1_3gpuE6ELNS1_3repE0EEENS1_30default_config_static_selectorELNS0_4arch9wavefront6targetE1EEEvT1_.numbered_sgpr, 16
	.set _ZN7rocprim17ROCPRIM_400000_NS6detail17trampoline_kernelINS0_14default_configENS1_25transform_config_selectorIfLb1EEEZNS1_14transform_implILb1ES3_S5_PfS7_NS0_8identityIfEEEE10hipError_tT2_T3_mT4_P12ihipStream_tbEUlT_E_NS1_11comp_targetILNS1_3genE2ELNS1_11target_archE906ELNS1_3gpuE6ELNS1_3repE0EEENS1_30default_config_static_selectorELNS0_4arch9wavefront6targetE1EEEvT1_.num_named_barrier, 0
	.set _ZN7rocprim17ROCPRIM_400000_NS6detail17trampoline_kernelINS0_14default_configENS1_25transform_config_selectorIfLb1EEEZNS1_14transform_implILb1ES3_S5_PfS7_NS0_8identityIfEEEE10hipError_tT2_T3_mT4_P12ihipStream_tbEUlT_E_NS1_11comp_targetILNS1_3genE2ELNS1_11target_archE906ELNS1_3gpuE6ELNS1_3repE0EEENS1_30default_config_static_selectorELNS0_4arch9wavefront6targetE1EEEvT1_.private_seg_size, 0
	.set _ZN7rocprim17ROCPRIM_400000_NS6detail17trampoline_kernelINS0_14default_configENS1_25transform_config_selectorIfLb1EEEZNS1_14transform_implILb1ES3_S5_PfS7_NS0_8identityIfEEEE10hipError_tT2_T3_mT4_P12ihipStream_tbEUlT_E_NS1_11comp_targetILNS1_3genE2ELNS1_11target_archE906ELNS1_3gpuE6ELNS1_3repE0EEENS1_30default_config_static_selectorELNS0_4arch9wavefront6targetE1EEEvT1_.uses_vcc, 1
	.set _ZN7rocprim17ROCPRIM_400000_NS6detail17trampoline_kernelINS0_14default_configENS1_25transform_config_selectorIfLb1EEEZNS1_14transform_implILb1ES3_S5_PfS7_NS0_8identityIfEEEE10hipError_tT2_T3_mT4_P12ihipStream_tbEUlT_E_NS1_11comp_targetILNS1_3genE2ELNS1_11target_archE906ELNS1_3gpuE6ELNS1_3repE0EEENS1_30default_config_static_selectorELNS0_4arch9wavefront6targetE1EEEvT1_.uses_flat_scratch, 0
	.set _ZN7rocprim17ROCPRIM_400000_NS6detail17trampoline_kernelINS0_14default_configENS1_25transform_config_selectorIfLb1EEEZNS1_14transform_implILb1ES3_S5_PfS7_NS0_8identityIfEEEE10hipError_tT2_T3_mT4_P12ihipStream_tbEUlT_E_NS1_11comp_targetILNS1_3genE2ELNS1_11target_archE906ELNS1_3gpuE6ELNS1_3repE0EEENS1_30default_config_static_selectorELNS0_4arch9wavefront6targetE1EEEvT1_.has_dyn_sized_stack, 0
	.set _ZN7rocprim17ROCPRIM_400000_NS6detail17trampoline_kernelINS0_14default_configENS1_25transform_config_selectorIfLb1EEEZNS1_14transform_implILb1ES3_S5_PfS7_NS0_8identityIfEEEE10hipError_tT2_T3_mT4_P12ihipStream_tbEUlT_E_NS1_11comp_targetILNS1_3genE2ELNS1_11target_archE906ELNS1_3gpuE6ELNS1_3repE0EEENS1_30default_config_static_selectorELNS0_4arch9wavefront6targetE1EEEvT1_.has_recursion, 0
	.set _ZN7rocprim17ROCPRIM_400000_NS6detail17trampoline_kernelINS0_14default_configENS1_25transform_config_selectorIfLb1EEEZNS1_14transform_implILb1ES3_S5_PfS7_NS0_8identityIfEEEE10hipError_tT2_T3_mT4_P12ihipStream_tbEUlT_E_NS1_11comp_targetILNS1_3genE2ELNS1_11target_archE906ELNS1_3gpuE6ELNS1_3repE0EEENS1_30default_config_static_selectorELNS0_4arch9wavefront6targetE1EEEvT1_.has_indirect_call, 0
	.section	.AMDGPU.csdata,"",@progbits
; Kernel info:
; codeLenInByte = 548
; TotalNumSgprs: 20
; NumVgprs: 10
; ScratchSize: 0
; MemoryBound: 1
; FloatMode: 240
; IeeeMode: 1
; LDSByteSize: 0 bytes/workgroup (compile time only)
; SGPRBlocks: 2
; VGPRBlocks: 2
; NumSGPRsForWavesPerEU: 20
; NumVGPRsForWavesPerEU: 10
; Occupancy: 10
; WaveLimiterHint : 0
; COMPUTE_PGM_RSRC2:SCRATCH_EN: 0
; COMPUTE_PGM_RSRC2:USER_SGPR: 6
; COMPUTE_PGM_RSRC2:TRAP_HANDLER: 0
; COMPUTE_PGM_RSRC2:TGID_X_EN: 1
; COMPUTE_PGM_RSRC2:TGID_Y_EN: 0
; COMPUTE_PGM_RSRC2:TGID_Z_EN: 0
; COMPUTE_PGM_RSRC2:TIDIG_COMP_CNT: 0
	.section	.text._ZN7rocprim17ROCPRIM_400000_NS6detail17trampoline_kernelINS0_14default_configENS1_25transform_config_selectorIfLb1EEEZNS1_14transform_implILb1ES3_S5_PfS7_NS0_8identityIfEEEE10hipError_tT2_T3_mT4_P12ihipStream_tbEUlT_E_NS1_11comp_targetILNS1_3genE9ELNS1_11target_archE1100ELNS1_3gpuE3ELNS1_3repE0EEENS1_30default_config_static_selectorELNS0_4arch9wavefront6targetE1EEEvT1_,"axG",@progbits,_ZN7rocprim17ROCPRIM_400000_NS6detail17trampoline_kernelINS0_14default_configENS1_25transform_config_selectorIfLb1EEEZNS1_14transform_implILb1ES3_S5_PfS7_NS0_8identityIfEEEE10hipError_tT2_T3_mT4_P12ihipStream_tbEUlT_E_NS1_11comp_targetILNS1_3genE9ELNS1_11target_archE1100ELNS1_3gpuE3ELNS1_3repE0EEENS1_30default_config_static_selectorELNS0_4arch9wavefront6targetE1EEEvT1_,comdat
	.protected	_ZN7rocprim17ROCPRIM_400000_NS6detail17trampoline_kernelINS0_14default_configENS1_25transform_config_selectorIfLb1EEEZNS1_14transform_implILb1ES3_S5_PfS7_NS0_8identityIfEEEE10hipError_tT2_T3_mT4_P12ihipStream_tbEUlT_E_NS1_11comp_targetILNS1_3genE9ELNS1_11target_archE1100ELNS1_3gpuE3ELNS1_3repE0EEENS1_30default_config_static_selectorELNS0_4arch9wavefront6targetE1EEEvT1_ ; -- Begin function _ZN7rocprim17ROCPRIM_400000_NS6detail17trampoline_kernelINS0_14default_configENS1_25transform_config_selectorIfLb1EEEZNS1_14transform_implILb1ES3_S5_PfS7_NS0_8identityIfEEEE10hipError_tT2_T3_mT4_P12ihipStream_tbEUlT_E_NS1_11comp_targetILNS1_3genE9ELNS1_11target_archE1100ELNS1_3gpuE3ELNS1_3repE0EEENS1_30default_config_static_selectorELNS0_4arch9wavefront6targetE1EEEvT1_
	.globl	_ZN7rocprim17ROCPRIM_400000_NS6detail17trampoline_kernelINS0_14default_configENS1_25transform_config_selectorIfLb1EEEZNS1_14transform_implILb1ES3_S5_PfS7_NS0_8identityIfEEEE10hipError_tT2_T3_mT4_P12ihipStream_tbEUlT_E_NS1_11comp_targetILNS1_3genE9ELNS1_11target_archE1100ELNS1_3gpuE3ELNS1_3repE0EEENS1_30default_config_static_selectorELNS0_4arch9wavefront6targetE1EEEvT1_
	.p2align	8
	.type	_ZN7rocprim17ROCPRIM_400000_NS6detail17trampoline_kernelINS0_14default_configENS1_25transform_config_selectorIfLb1EEEZNS1_14transform_implILb1ES3_S5_PfS7_NS0_8identityIfEEEE10hipError_tT2_T3_mT4_P12ihipStream_tbEUlT_E_NS1_11comp_targetILNS1_3genE9ELNS1_11target_archE1100ELNS1_3gpuE3ELNS1_3repE0EEENS1_30default_config_static_selectorELNS0_4arch9wavefront6targetE1EEEvT1_,@function
_ZN7rocprim17ROCPRIM_400000_NS6detail17trampoline_kernelINS0_14default_configENS1_25transform_config_selectorIfLb1EEEZNS1_14transform_implILb1ES3_S5_PfS7_NS0_8identityIfEEEE10hipError_tT2_T3_mT4_P12ihipStream_tbEUlT_E_NS1_11comp_targetILNS1_3genE9ELNS1_11target_archE1100ELNS1_3gpuE3ELNS1_3repE0EEENS1_30default_config_static_selectorELNS0_4arch9wavefront6targetE1EEEvT1_: ; @_ZN7rocprim17ROCPRIM_400000_NS6detail17trampoline_kernelINS0_14default_configENS1_25transform_config_selectorIfLb1EEEZNS1_14transform_implILb1ES3_S5_PfS7_NS0_8identityIfEEEE10hipError_tT2_T3_mT4_P12ihipStream_tbEUlT_E_NS1_11comp_targetILNS1_3genE9ELNS1_11target_archE1100ELNS1_3gpuE3ELNS1_3repE0EEENS1_30default_config_static_selectorELNS0_4arch9wavefront6targetE1EEEvT1_
; %bb.0:
	.section	.rodata,"a",@progbits
	.p2align	6, 0x0
	.amdhsa_kernel _ZN7rocprim17ROCPRIM_400000_NS6detail17trampoline_kernelINS0_14default_configENS1_25transform_config_selectorIfLb1EEEZNS1_14transform_implILb1ES3_S5_PfS7_NS0_8identityIfEEEE10hipError_tT2_T3_mT4_P12ihipStream_tbEUlT_E_NS1_11comp_targetILNS1_3genE9ELNS1_11target_archE1100ELNS1_3gpuE3ELNS1_3repE0EEENS1_30default_config_static_selectorELNS0_4arch9wavefront6targetE1EEEvT1_
		.amdhsa_group_segment_fixed_size 0
		.amdhsa_private_segment_fixed_size 0
		.amdhsa_kernarg_size 40
		.amdhsa_user_sgpr_count 6
		.amdhsa_user_sgpr_private_segment_buffer 1
		.amdhsa_user_sgpr_dispatch_ptr 0
		.amdhsa_user_sgpr_queue_ptr 0
		.amdhsa_user_sgpr_kernarg_segment_ptr 1
		.amdhsa_user_sgpr_dispatch_id 0
		.amdhsa_user_sgpr_flat_scratch_init 0
		.amdhsa_user_sgpr_private_segment_size 0
		.amdhsa_uses_dynamic_stack 0
		.amdhsa_system_sgpr_private_segment_wavefront_offset 0
		.amdhsa_system_sgpr_workgroup_id_x 1
		.amdhsa_system_sgpr_workgroup_id_y 0
		.amdhsa_system_sgpr_workgroup_id_z 0
		.amdhsa_system_sgpr_workgroup_info 0
		.amdhsa_system_vgpr_workitem_id 0
		.amdhsa_next_free_vgpr 1
		.amdhsa_next_free_sgpr 0
		.amdhsa_reserve_vcc 0
		.amdhsa_reserve_flat_scratch 0
		.amdhsa_float_round_mode_32 0
		.amdhsa_float_round_mode_16_64 0
		.amdhsa_float_denorm_mode_32 3
		.amdhsa_float_denorm_mode_16_64 3
		.amdhsa_dx10_clamp 1
		.amdhsa_ieee_mode 1
		.amdhsa_fp16_overflow 0
		.amdhsa_exception_fp_ieee_invalid_op 0
		.amdhsa_exception_fp_denorm_src 0
		.amdhsa_exception_fp_ieee_div_zero 0
		.amdhsa_exception_fp_ieee_overflow 0
		.amdhsa_exception_fp_ieee_underflow 0
		.amdhsa_exception_fp_ieee_inexact 0
		.amdhsa_exception_int_div_zero 0
	.end_amdhsa_kernel
	.section	.text._ZN7rocprim17ROCPRIM_400000_NS6detail17trampoline_kernelINS0_14default_configENS1_25transform_config_selectorIfLb1EEEZNS1_14transform_implILb1ES3_S5_PfS7_NS0_8identityIfEEEE10hipError_tT2_T3_mT4_P12ihipStream_tbEUlT_E_NS1_11comp_targetILNS1_3genE9ELNS1_11target_archE1100ELNS1_3gpuE3ELNS1_3repE0EEENS1_30default_config_static_selectorELNS0_4arch9wavefront6targetE1EEEvT1_,"axG",@progbits,_ZN7rocprim17ROCPRIM_400000_NS6detail17trampoline_kernelINS0_14default_configENS1_25transform_config_selectorIfLb1EEEZNS1_14transform_implILb1ES3_S5_PfS7_NS0_8identityIfEEEE10hipError_tT2_T3_mT4_P12ihipStream_tbEUlT_E_NS1_11comp_targetILNS1_3genE9ELNS1_11target_archE1100ELNS1_3gpuE3ELNS1_3repE0EEENS1_30default_config_static_selectorELNS0_4arch9wavefront6targetE1EEEvT1_,comdat
.Lfunc_end103:
	.size	_ZN7rocprim17ROCPRIM_400000_NS6detail17trampoline_kernelINS0_14default_configENS1_25transform_config_selectorIfLb1EEEZNS1_14transform_implILb1ES3_S5_PfS7_NS0_8identityIfEEEE10hipError_tT2_T3_mT4_P12ihipStream_tbEUlT_E_NS1_11comp_targetILNS1_3genE9ELNS1_11target_archE1100ELNS1_3gpuE3ELNS1_3repE0EEENS1_30default_config_static_selectorELNS0_4arch9wavefront6targetE1EEEvT1_, .Lfunc_end103-_ZN7rocprim17ROCPRIM_400000_NS6detail17trampoline_kernelINS0_14default_configENS1_25transform_config_selectorIfLb1EEEZNS1_14transform_implILb1ES3_S5_PfS7_NS0_8identityIfEEEE10hipError_tT2_T3_mT4_P12ihipStream_tbEUlT_E_NS1_11comp_targetILNS1_3genE9ELNS1_11target_archE1100ELNS1_3gpuE3ELNS1_3repE0EEENS1_30default_config_static_selectorELNS0_4arch9wavefront6targetE1EEEvT1_
                                        ; -- End function
	.set _ZN7rocprim17ROCPRIM_400000_NS6detail17trampoline_kernelINS0_14default_configENS1_25transform_config_selectorIfLb1EEEZNS1_14transform_implILb1ES3_S5_PfS7_NS0_8identityIfEEEE10hipError_tT2_T3_mT4_P12ihipStream_tbEUlT_E_NS1_11comp_targetILNS1_3genE9ELNS1_11target_archE1100ELNS1_3gpuE3ELNS1_3repE0EEENS1_30default_config_static_selectorELNS0_4arch9wavefront6targetE1EEEvT1_.num_vgpr, 0
	.set _ZN7rocprim17ROCPRIM_400000_NS6detail17trampoline_kernelINS0_14default_configENS1_25transform_config_selectorIfLb1EEEZNS1_14transform_implILb1ES3_S5_PfS7_NS0_8identityIfEEEE10hipError_tT2_T3_mT4_P12ihipStream_tbEUlT_E_NS1_11comp_targetILNS1_3genE9ELNS1_11target_archE1100ELNS1_3gpuE3ELNS1_3repE0EEENS1_30default_config_static_selectorELNS0_4arch9wavefront6targetE1EEEvT1_.num_agpr, 0
	.set _ZN7rocprim17ROCPRIM_400000_NS6detail17trampoline_kernelINS0_14default_configENS1_25transform_config_selectorIfLb1EEEZNS1_14transform_implILb1ES3_S5_PfS7_NS0_8identityIfEEEE10hipError_tT2_T3_mT4_P12ihipStream_tbEUlT_E_NS1_11comp_targetILNS1_3genE9ELNS1_11target_archE1100ELNS1_3gpuE3ELNS1_3repE0EEENS1_30default_config_static_selectorELNS0_4arch9wavefront6targetE1EEEvT1_.numbered_sgpr, 0
	.set _ZN7rocprim17ROCPRIM_400000_NS6detail17trampoline_kernelINS0_14default_configENS1_25transform_config_selectorIfLb1EEEZNS1_14transform_implILb1ES3_S5_PfS7_NS0_8identityIfEEEE10hipError_tT2_T3_mT4_P12ihipStream_tbEUlT_E_NS1_11comp_targetILNS1_3genE9ELNS1_11target_archE1100ELNS1_3gpuE3ELNS1_3repE0EEENS1_30default_config_static_selectorELNS0_4arch9wavefront6targetE1EEEvT1_.num_named_barrier, 0
	.set _ZN7rocprim17ROCPRIM_400000_NS6detail17trampoline_kernelINS0_14default_configENS1_25transform_config_selectorIfLb1EEEZNS1_14transform_implILb1ES3_S5_PfS7_NS0_8identityIfEEEE10hipError_tT2_T3_mT4_P12ihipStream_tbEUlT_E_NS1_11comp_targetILNS1_3genE9ELNS1_11target_archE1100ELNS1_3gpuE3ELNS1_3repE0EEENS1_30default_config_static_selectorELNS0_4arch9wavefront6targetE1EEEvT1_.private_seg_size, 0
	.set _ZN7rocprim17ROCPRIM_400000_NS6detail17trampoline_kernelINS0_14default_configENS1_25transform_config_selectorIfLb1EEEZNS1_14transform_implILb1ES3_S5_PfS7_NS0_8identityIfEEEE10hipError_tT2_T3_mT4_P12ihipStream_tbEUlT_E_NS1_11comp_targetILNS1_3genE9ELNS1_11target_archE1100ELNS1_3gpuE3ELNS1_3repE0EEENS1_30default_config_static_selectorELNS0_4arch9wavefront6targetE1EEEvT1_.uses_vcc, 0
	.set _ZN7rocprim17ROCPRIM_400000_NS6detail17trampoline_kernelINS0_14default_configENS1_25transform_config_selectorIfLb1EEEZNS1_14transform_implILb1ES3_S5_PfS7_NS0_8identityIfEEEE10hipError_tT2_T3_mT4_P12ihipStream_tbEUlT_E_NS1_11comp_targetILNS1_3genE9ELNS1_11target_archE1100ELNS1_3gpuE3ELNS1_3repE0EEENS1_30default_config_static_selectorELNS0_4arch9wavefront6targetE1EEEvT1_.uses_flat_scratch, 0
	.set _ZN7rocprim17ROCPRIM_400000_NS6detail17trampoline_kernelINS0_14default_configENS1_25transform_config_selectorIfLb1EEEZNS1_14transform_implILb1ES3_S5_PfS7_NS0_8identityIfEEEE10hipError_tT2_T3_mT4_P12ihipStream_tbEUlT_E_NS1_11comp_targetILNS1_3genE9ELNS1_11target_archE1100ELNS1_3gpuE3ELNS1_3repE0EEENS1_30default_config_static_selectorELNS0_4arch9wavefront6targetE1EEEvT1_.has_dyn_sized_stack, 0
	.set _ZN7rocprim17ROCPRIM_400000_NS6detail17trampoline_kernelINS0_14default_configENS1_25transform_config_selectorIfLb1EEEZNS1_14transform_implILb1ES3_S5_PfS7_NS0_8identityIfEEEE10hipError_tT2_T3_mT4_P12ihipStream_tbEUlT_E_NS1_11comp_targetILNS1_3genE9ELNS1_11target_archE1100ELNS1_3gpuE3ELNS1_3repE0EEENS1_30default_config_static_selectorELNS0_4arch9wavefront6targetE1EEEvT1_.has_recursion, 0
	.set _ZN7rocprim17ROCPRIM_400000_NS6detail17trampoline_kernelINS0_14default_configENS1_25transform_config_selectorIfLb1EEEZNS1_14transform_implILb1ES3_S5_PfS7_NS0_8identityIfEEEE10hipError_tT2_T3_mT4_P12ihipStream_tbEUlT_E_NS1_11comp_targetILNS1_3genE9ELNS1_11target_archE1100ELNS1_3gpuE3ELNS1_3repE0EEENS1_30default_config_static_selectorELNS0_4arch9wavefront6targetE1EEEvT1_.has_indirect_call, 0
	.section	.AMDGPU.csdata,"",@progbits
; Kernel info:
; codeLenInByte = 0
; TotalNumSgprs: 4
; NumVgprs: 0
; ScratchSize: 0
; MemoryBound: 0
; FloatMode: 240
; IeeeMode: 1
; LDSByteSize: 0 bytes/workgroup (compile time only)
; SGPRBlocks: 0
; VGPRBlocks: 0
; NumSGPRsForWavesPerEU: 4
; NumVGPRsForWavesPerEU: 1
; Occupancy: 10
; WaveLimiterHint : 0
; COMPUTE_PGM_RSRC2:SCRATCH_EN: 0
; COMPUTE_PGM_RSRC2:USER_SGPR: 6
; COMPUTE_PGM_RSRC2:TRAP_HANDLER: 0
; COMPUTE_PGM_RSRC2:TGID_X_EN: 1
; COMPUTE_PGM_RSRC2:TGID_Y_EN: 0
; COMPUTE_PGM_RSRC2:TGID_Z_EN: 0
; COMPUTE_PGM_RSRC2:TIDIG_COMP_CNT: 0
	.section	.text._ZN7rocprim17ROCPRIM_400000_NS6detail17trampoline_kernelINS0_14default_configENS1_25transform_config_selectorIfLb1EEEZNS1_14transform_implILb1ES3_S5_PfS7_NS0_8identityIfEEEE10hipError_tT2_T3_mT4_P12ihipStream_tbEUlT_E_NS1_11comp_targetILNS1_3genE8ELNS1_11target_archE1030ELNS1_3gpuE2ELNS1_3repE0EEENS1_30default_config_static_selectorELNS0_4arch9wavefront6targetE1EEEvT1_,"axG",@progbits,_ZN7rocprim17ROCPRIM_400000_NS6detail17trampoline_kernelINS0_14default_configENS1_25transform_config_selectorIfLb1EEEZNS1_14transform_implILb1ES3_S5_PfS7_NS0_8identityIfEEEE10hipError_tT2_T3_mT4_P12ihipStream_tbEUlT_E_NS1_11comp_targetILNS1_3genE8ELNS1_11target_archE1030ELNS1_3gpuE2ELNS1_3repE0EEENS1_30default_config_static_selectorELNS0_4arch9wavefront6targetE1EEEvT1_,comdat
	.protected	_ZN7rocprim17ROCPRIM_400000_NS6detail17trampoline_kernelINS0_14default_configENS1_25transform_config_selectorIfLb1EEEZNS1_14transform_implILb1ES3_S5_PfS7_NS0_8identityIfEEEE10hipError_tT2_T3_mT4_P12ihipStream_tbEUlT_E_NS1_11comp_targetILNS1_3genE8ELNS1_11target_archE1030ELNS1_3gpuE2ELNS1_3repE0EEENS1_30default_config_static_selectorELNS0_4arch9wavefront6targetE1EEEvT1_ ; -- Begin function _ZN7rocprim17ROCPRIM_400000_NS6detail17trampoline_kernelINS0_14default_configENS1_25transform_config_selectorIfLb1EEEZNS1_14transform_implILb1ES3_S5_PfS7_NS0_8identityIfEEEE10hipError_tT2_T3_mT4_P12ihipStream_tbEUlT_E_NS1_11comp_targetILNS1_3genE8ELNS1_11target_archE1030ELNS1_3gpuE2ELNS1_3repE0EEENS1_30default_config_static_selectorELNS0_4arch9wavefront6targetE1EEEvT1_
	.globl	_ZN7rocprim17ROCPRIM_400000_NS6detail17trampoline_kernelINS0_14default_configENS1_25transform_config_selectorIfLb1EEEZNS1_14transform_implILb1ES3_S5_PfS7_NS0_8identityIfEEEE10hipError_tT2_T3_mT4_P12ihipStream_tbEUlT_E_NS1_11comp_targetILNS1_3genE8ELNS1_11target_archE1030ELNS1_3gpuE2ELNS1_3repE0EEENS1_30default_config_static_selectorELNS0_4arch9wavefront6targetE1EEEvT1_
	.p2align	8
	.type	_ZN7rocprim17ROCPRIM_400000_NS6detail17trampoline_kernelINS0_14default_configENS1_25transform_config_selectorIfLb1EEEZNS1_14transform_implILb1ES3_S5_PfS7_NS0_8identityIfEEEE10hipError_tT2_T3_mT4_P12ihipStream_tbEUlT_E_NS1_11comp_targetILNS1_3genE8ELNS1_11target_archE1030ELNS1_3gpuE2ELNS1_3repE0EEENS1_30default_config_static_selectorELNS0_4arch9wavefront6targetE1EEEvT1_,@function
_ZN7rocprim17ROCPRIM_400000_NS6detail17trampoline_kernelINS0_14default_configENS1_25transform_config_selectorIfLb1EEEZNS1_14transform_implILb1ES3_S5_PfS7_NS0_8identityIfEEEE10hipError_tT2_T3_mT4_P12ihipStream_tbEUlT_E_NS1_11comp_targetILNS1_3genE8ELNS1_11target_archE1030ELNS1_3gpuE2ELNS1_3repE0EEENS1_30default_config_static_selectorELNS0_4arch9wavefront6targetE1EEEvT1_: ; @_ZN7rocprim17ROCPRIM_400000_NS6detail17trampoline_kernelINS0_14default_configENS1_25transform_config_selectorIfLb1EEEZNS1_14transform_implILb1ES3_S5_PfS7_NS0_8identityIfEEEE10hipError_tT2_T3_mT4_P12ihipStream_tbEUlT_E_NS1_11comp_targetILNS1_3genE8ELNS1_11target_archE1030ELNS1_3gpuE2ELNS1_3repE0EEENS1_30default_config_static_selectorELNS0_4arch9wavefront6targetE1EEEvT1_
; %bb.0:
	.section	.rodata,"a",@progbits
	.p2align	6, 0x0
	.amdhsa_kernel _ZN7rocprim17ROCPRIM_400000_NS6detail17trampoline_kernelINS0_14default_configENS1_25transform_config_selectorIfLb1EEEZNS1_14transform_implILb1ES3_S5_PfS7_NS0_8identityIfEEEE10hipError_tT2_T3_mT4_P12ihipStream_tbEUlT_E_NS1_11comp_targetILNS1_3genE8ELNS1_11target_archE1030ELNS1_3gpuE2ELNS1_3repE0EEENS1_30default_config_static_selectorELNS0_4arch9wavefront6targetE1EEEvT1_
		.amdhsa_group_segment_fixed_size 0
		.amdhsa_private_segment_fixed_size 0
		.amdhsa_kernarg_size 40
		.amdhsa_user_sgpr_count 6
		.amdhsa_user_sgpr_private_segment_buffer 1
		.amdhsa_user_sgpr_dispatch_ptr 0
		.amdhsa_user_sgpr_queue_ptr 0
		.amdhsa_user_sgpr_kernarg_segment_ptr 1
		.amdhsa_user_sgpr_dispatch_id 0
		.amdhsa_user_sgpr_flat_scratch_init 0
		.amdhsa_user_sgpr_private_segment_size 0
		.amdhsa_uses_dynamic_stack 0
		.amdhsa_system_sgpr_private_segment_wavefront_offset 0
		.amdhsa_system_sgpr_workgroup_id_x 1
		.amdhsa_system_sgpr_workgroup_id_y 0
		.amdhsa_system_sgpr_workgroup_id_z 0
		.amdhsa_system_sgpr_workgroup_info 0
		.amdhsa_system_vgpr_workitem_id 0
		.amdhsa_next_free_vgpr 1
		.amdhsa_next_free_sgpr 0
		.amdhsa_reserve_vcc 0
		.amdhsa_reserve_flat_scratch 0
		.amdhsa_float_round_mode_32 0
		.amdhsa_float_round_mode_16_64 0
		.amdhsa_float_denorm_mode_32 3
		.amdhsa_float_denorm_mode_16_64 3
		.amdhsa_dx10_clamp 1
		.amdhsa_ieee_mode 1
		.amdhsa_fp16_overflow 0
		.amdhsa_exception_fp_ieee_invalid_op 0
		.amdhsa_exception_fp_denorm_src 0
		.amdhsa_exception_fp_ieee_div_zero 0
		.amdhsa_exception_fp_ieee_overflow 0
		.amdhsa_exception_fp_ieee_underflow 0
		.amdhsa_exception_fp_ieee_inexact 0
		.amdhsa_exception_int_div_zero 0
	.end_amdhsa_kernel
	.section	.text._ZN7rocprim17ROCPRIM_400000_NS6detail17trampoline_kernelINS0_14default_configENS1_25transform_config_selectorIfLb1EEEZNS1_14transform_implILb1ES3_S5_PfS7_NS0_8identityIfEEEE10hipError_tT2_T3_mT4_P12ihipStream_tbEUlT_E_NS1_11comp_targetILNS1_3genE8ELNS1_11target_archE1030ELNS1_3gpuE2ELNS1_3repE0EEENS1_30default_config_static_selectorELNS0_4arch9wavefront6targetE1EEEvT1_,"axG",@progbits,_ZN7rocprim17ROCPRIM_400000_NS6detail17trampoline_kernelINS0_14default_configENS1_25transform_config_selectorIfLb1EEEZNS1_14transform_implILb1ES3_S5_PfS7_NS0_8identityIfEEEE10hipError_tT2_T3_mT4_P12ihipStream_tbEUlT_E_NS1_11comp_targetILNS1_3genE8ELNS1_11target_archE1030ELNS1_3gpuE2ELNS1_3repE0EEENS1_30default_config_static_selectorELNS0_4arch9wavefront6targetE1EEEvT1_,comdat
.Lfunc_end104:
	.size	_ZN7rocprim17ROCPRIM_400000_NS6detail17trampoline_kernelINS0_14default_configENS1_25transform_config_selectorIfLb1EEEZNS1_14transform_implILb1ES3_S5_PfS7_NS0_8identityIfEEEE10hipError_tT2_T3_mT4_P12ihipStream_tbEUlT_E_NS1_11comp_targetILNS1_3genE8ELNS1_11target_archE1030ELNS1_3gpuE2ELNS1_3repE0EEENS1_30default_config_static_selectorELNS0_4arch9wavefront6targetE1EEEvT1_, .Lfunc_end104-_ZN7rocprim17ROCPRIM_400000_NS6detail17trampoline_kernelINS0_14default_configENS1_25transform_config_selectorIfLb1EEEZNS1_14transform_implILb1ES3_S5_PfS7_NS0_8identityIfEEEE10hipError_tT2_T3_mT4_P12ihipStream_tbEUlT_E_NS1_11comp_targetILNS1_3genE8ELNS1_11target_archE1030ELNS1_3gpuE2ELNS1_3repE0EEENS1_30default_config_static_selectorELNS0_4arch9wavefront6targetE1EEEvT1_
                                        ; -- End function
	.set _ZN7rocprim17ROCPRIM_400000_NS6detail17trampoline_kernelINS0_14default_configENS1_25transform_config_selectorIfLb1EEEZNS1_14transform_implILb1ES3_S5_PfS7_NS0_8identityIfEEEE10hipError_tT2_T3_mT4_P12ihipStream_tbEUlT_E_NS1_11comp_targetILNS1_3genE8ELNS1_11target_archE1030ELNS1_3gpuE2ELNS1_3repE0EEENS1_30default_config_static_selectorELNS0_4arch9wavefront6targetE1EEEvT1_.num_vgpr, 0
	.set _ZN7rocprim17ROCPRIM_400000_NS6detail17trampoline_kernelINS0_14default_configENS1_25transform_config_selectorIfLb1EEEZNS1_14transform_implILb1ES3_S5_PfS7_NS0_8identityIfEEEE10hipError_tT2_T3_mT4_P12ihipStream_tbEUlT_E_NS1_11comp_targetILNS1_3genE8ELNS1_11target_archE1030ELNS1_3gpuE2ELNS1_3repE0EEENS1_30default_config_static_selectorELNS0_4arch9wavefront6targetE1EEEvT1_.num_agpr, 0
	.set _ZN7rocprim17ROCPRIM_400000_NS6detail17trampoline_kernelINS0_14default_configENS1_25transform_config_selectorIfLb1EEEZNS1_14transform_implILb1ES3_S5_PfS7_NS0_8identityIfEEEE10hipError_tT2_T3_mT4_P12ihipStream_tbEUlT_E_NS1_11comp_targetILNS1_3genE8ELNS1_11target_archE1030ELNS1_3gpuE2ELNS1_3repE0EEENS1_30default_config_static_selectorELNS0_4arch9wavefront6targetE1EEEvT1_.numbered_sgpr, 0
	.set _ZN7rocprim17ROCPRIM_400000_NS6detail17trampoline_kernelINS0_14default_configENS1_25transform_config_selectorIfLb1EEEZNS1_14transform_implILb1ES3_S5_PfS7_NS0_8identityIfEEEE10hipError_tT2_T3_mT4_P12ihipStream_tbEUlT_E_NS1_11comp_targetILNS1_3genE8ELNS1_11target_archE1030ELNS1_3gpuE2ELNS1_3repE0EEENS1_30default_config_static_selectorELNS0_4arch9wavefront6targetE1EEEvT1_.num_named_barrier, 0
	.set _ZN7rocprim17ROCPRIM_400000_NS6detail17trampoline_kernelINS0_14default_configENS1_25transform_config_selectorIfLb1EEEZNS1_14transform_implILb1ES3_S5_PfS7_NS0_8identityIfEEEE10hipError_tT2_T3_mT4_P12ihipStream_tbEUlT_E_NS1_11comp_targetILNS1_3genE8ELNS1_11target_archE1030ELNS1_3gpuE2ELNS1_3repE0EEENS1_30default_config_static_selectorELNS0_4arch9wavefront6targetE1EEEvT1_.private_seg_size, 0
	.set _ZN7rocprim17ROCPRIM_400000_NS6detail17trampoline_kernelINS0_14default_configENS1_25transform_config_selectorIfLb1EEEZNS1_14transform_implILb1ES3_S5_PfS7_NS0_8identityIfEEEE10hipError_tT2_T3_mT4_P12ihipStream_tbEUlT_E_NS1_11comp_targetILNS1_3genE8ELNS1_11target_archE1030ELNS1_3gpuE2ELNS1_3repE0EEENS1_30default_config_static_selectorELNS0_4arch9wavefront6targetE1EEEvT1_.uses_vcc, 0
	.set _ZN7rocprim17ROCPRIM_400000_NS6detail17trampoline_kernelINS0_14default_configENS1_25transform_config_selectorIfLb1EEEZNS1_14transform_implILb1ES3_S5_PfS7_NS0_8identityIfEEEE10hipError_tT2_T3_mT4_P12ihipStream_tbEUlT_E_NS1_11comp_targetILNS1_3genE8ELNS1_11target_archE1030ELNS1_3gpuE2ELNS1_3repE0EEENS1_30default_config_static_selectorELNS0_4arch9wavefront6targetE1EEEvT1_.uses_flat_scratch, 0
	.set _ZN7rocprim17ROCPRIM_400000_NS6detail17trampoline_kernelINS0_14default_configENS1_25transform_config_selectorIfLb1EEEZNS1_14transform_implILb1ES3_S5_PfS7_NS0_8identityIfEEEE10hipError_tT2_T3_mT4_P12ihipStream_tbEUlT_E_NS1_11comp_targetILNS1_3genE8ELNS1_11target_archE1030ELNS1_3gpuE2ELNS1_3repE0EEENS1_30default_config_static_selectorELNS0_4arch9wavefront6targetE1EEEvT1_.has_dyn_sized_stack, 0
	.set _ZN7rocprim17ROCPRIM_400000_NS6detail17trampoline_kernelINS0_14default_configENS1_25transform_config_selectorIfLb1EEEZNS1_14transform_implILb1ES3_S5_PfS7_NS0_8identityIfEEEE10hipError_tT2_T3_mT4_P12ihipStream_tbEUlT_E_NS1_11comp_targetILNS1_3genE8ELNS1_11target_archE1030ELNS1_3gpuE2ELNS1_3repE0EEENS1_30default_config_static_selectorELNS0_4arch9wavefront6targetE1EEEvT1_.has_recursion, 0
	.set _ZN7rocprim17ROCPRIM_400000_NS6detail17trampoline_kernelINS0_14default_configENS1_25transform_config_selectorIfLb1EEEZNS1_14transform_implILb1ES3_S5_PfS7_NS0_8identityIfEEEE10hipError_tT2_T3_mT4_P12ihipStream_tbEUlT_E_NS1_11comp_targetILNS1_3genE8ELNS1_11target_archE1030ELNS1_3gpuE2ELNS1_3repE0EEENS1_30default_config_static_selectorELNS0_4arch9wavefront6targetE1EEEvT1_.has_indirect_call, 0
	.section	.AMDGPU.csdata,"",@progbits
; Kernel info:
; codeLenInByte = 0
; TotalNumSgprs: 4
; NumVgprs: 0
; ScratchSize: 0
; MemoryBound: 0
; FloatMode: 240
; IeeeMode: 1
; LDSByteSize: 0 bytes/workgroup (compile time only)
; SGPRBlocks: 0
; VGPRBlocks: 0
; NumSGPRsForWavesPerEU: 4
; NumVGPRsForWavesPerEU: 1
; Occupancy: 10
; WaveLimiterHint : 0
; COMPUTE_PGM_RSRC2:SCRATCH_EN: 0
; COMPUTE_PGM_RSRC2:USER_SGPR: 6
; COMPUTE_PGM_RSRC2:TRAP_HANDLER: 0
; COMPUTE_PGM_RSRC2:TGID_X_EN: 1
; COMPUTE_PGM_RSRC2:TGID_Y_EN: 0
; COMPUTE_PGM_RSRC2:TGID_Z_EN: 0
; COMPUTE_PGM_RSRC2:TIDIG_COMP_CNT: 0
	.section	.text._ZN7rocprim17ROCPRIM_400000_NS6detail17trampoline_kernelINS0_14default_configENS1_20scan_config_selectorIfEEZZNS1_9scan_implILNS1_25lookback_scan_determinismE0ELb0ELb0ES3_PKfPffZZZN2at6native31launch_logcumsumexp_cuda_kernelERKNSB_10TensorBaseESF_lENKUlvE_clEvENKUlvE0_clEvEUlffE_fEEDaPvRmT3_T4_T5_mT6_P12ihipStream_tbENKUlT_T0_E_clISt17integral_constantIbLb0EESW_EEDaSR_SS_EUlSR_E0_NS1_11comp_targetILNS1_3genE0ELNS1_11target_archE4294967295ELNS1_3gpuE0ELNS1_3repE0EEENS1_30default_config_static_selectorELNS0_4arch9wavefront6targetE1EEEvT1_,"axG",@progbits,_ZN7rocprim17ROCPRIM_400000_NS6detail17trampoline_kernelINS0_14default_configENS1_20scan_config_selectorIfEEZZNS1_9scan_implILNS1_25lookback_scan_determinismE0ELb0ELb0ES3_PKfPffZZZN2at6native31launch_logcumsumexp_cuda_kernelERKNSB_10TensorBaseESF_lENKUlvE_clEvENKUlvE0_clEvEUlffE_fEEDaPvRmT3_T4_T5_mT6_P12ihipStream_tbENKUlT_T0_E_clISt17integral_constantIbLb0EESW_EEDaSR_SS_EUlSR_E0_NS1_11comp_targetILNS1_3genE0ELNS1_11target_archE4294967295ELNS1_3gpuE0ELNS1_3repE0EEENS1_30default_config_static_selectorELNS0_4arch9wavefront6targetE1EEEvT1_,comdat
	.globl	_ZN7rocprim17ROCPRIM_400000_NS6detail17trampoline_kernelINS0_14default_configENS1_20scan_config_selectorIfEEZZNS1_9scan_implILNS1_25lookback_scan_determinismE0ELb0ELb0ES3_PKfPffZZZN2at6native31launch_logcumsumexp_cuda_kernelERKNSB_10TensorBaseESF_lENKUlvE_clEvENKUlvE0_clEvEUlffE_fEEDaPvRmT3_T4_T5_mT6_P12ihipStream_tbENKUlT_T0_E_clISt17integral_constantIbLb0EESW_EEDaSR_SS_EUlSR_E0_NS1_11comp_targetILNS1_3genE0ELNS1_11target_archE4294967295ELNS1_3gpuE0ELNS1_3repE0EEENS1_30default_config_static_selectorELNS0_4arch9wavefront6targetE1EEEvT1_ ; -- Begin function _ZN7rocprim17ROCPRIM_400000_NS6detail17trampoline_kernelINS0_14default_configENS1_20scan_config_selectorIfEEZZNS1_9scan_implILNS1_25lookback_scan_determinismE0ELb0ELb0ES3_PKfPffZZZN2at6native31launch_logcumsumexp_cuda_kernelERKNSB_10TensorBaseESF_lENKUlvE_clEvENKUlvE0_clEvEUlffE_fEEDaPvRmT3_T4_T5_mT6_P12ihipStream_tbENKUlT_T0_E_clISt17integral_constantIbLb0EESW_EEDaSR_SS_EUlSR_E0_NS1_11comp_targetILNS1_3genE0ELNS1_11target_archE4294967295ELNS1_3gpuE0ELNS1_3repE0EEENS1_30default_config_static_selectorELNS0_4arch9wavefront6targetE1EEEvT1_
	.p2align	8
	.type	_ZN7rocprim17ROCPRIM_400000_NS6detail17trampoline_kernelINS0_14default_configENS1_20scan_config_selectorIfEEZZNS1_9scan_implILNS1_25lookback_scan_determinismE0ELb0ELb0ES3_PKfPffZZZN2at6native31launch_logcumsumexp_cuda_kernelERKNSB_10TensorBaseESF_lENKUlvE_clEvENKUlvE0_clEvEUlffE_fEEDaPvRmT3_T4_T5_mT6_P12ihipStream_tbENKUlT_T0_E_clISt17integral_constantIbLb0EESW_EEDaSR_SS_EUlSR_E0_NS1_11comp_targetILNS1_3genE0ELNS1_11target_archE4294967295ELNS1_3gpuE0ELNS1_3repE0EEENS1_30default_config_static_selectorELNS0_4arch9wavefront6targetE1EEEvT1_,@function
_ZN7rocprim17ROCPRIM_400000_NS6detail17trampoline_kernelINS0_14default_configENS1_20scan_config_selectorIfEEZZNS1_9scan_implILNS1_25lookback_scan_determinismE0ELb0ELb0ES3_PKfPffZZZN2at6native31launch_logcumsumexp_cuda_kernelERKNSB_10TensorBaseESF_lENKUlvE_clEvENKUlvE0_clEvEUlffE_fEEDaPvRmT3_T4_T5_mT6_P12ihipStream_tbENKUlT_T0_E_clISt17integral_constantIbLb0EESW_EEDaSR_SS_EUlSR_E0_NS1_11comp_targetILNS1_3genE0ELNS1_11target_archE4294967295ELNS1_3gpuE0ELNS1_3repE0EEENS1_30default_config_static_selectorELNS0_4arch9wavefront6targetE1EEEvT1_: ; @_ZN7rocprim17ROCPRIM_400000_NS6detail17trampoline_kernelINS0_14default_configENS1_20scan_config_selectorIfEEZZNS1_9scan_implILNS1_25lookback_scan_determinismE0ELb0ELb0ES3_PKfPffZZZN2at6native31launch_logcumsumexp_cuda_kernelERKNSB_10TensorBaseESF_lENKUlvE_clEvENKUlvE0_clEvEUlffE_fEEDaPvRmT3_T4_T5_mT6_P12ihipStream_tbENKUlT_T0_E_clISt17integral_constantIbLb0EESW_EEDaSR_SS_EUlSR_E0_NS1_11comp_targetILNS1_3genE0ELNS1_11target_archE4294967295ELNS1_3gpuE0ELNS1_3repE0EEENS1_30default_config_static_selectorELNS0_4arch9wavefront6targetE1EEEvT1_
; %bb.0:
	.section	.rodata,"a",@progbits
	.p2align	6, 0x0
	.amdhsa_kernel _ZN7rocprim17ROCPRIM_400000_NS6detail17trampoline_kernelINS0_14default_configENS1_20scan_config_selectorIfEEZZNS1_9scan_implILNS1_25lookback_scan_determinismE0ELb0ELb0ES3_PKfPffZZZN2at6native31launch_logcumsumexp_cuda_kernelERKNSB_10TensorBaseESF_lENKUlvE_clEvENKUlvE0_clEvEUlffE_fEEDaPvRmT3_T4_T5_mT6_P12ihipStream_tbENKUlT_T0_E_clISt17integral_constantIbLb0EESW_EEDaSR_SS_EUlSR_E0_NS1_11comp_targetILNS1_3genE0ELNS1_11target_archE4294967295ELNS1_3gpuE0ELNS1_3repE0EEENS1_30default_config_static_selectorELNS0_4arch9wavefront6targetE1EEEvT1_
		.amdhsa_group_segment_fixed_size 0
		.amdhsa_private_segment_fixed_size 0
		.amdhsa_kernarg_size 32
		.amdhsa_user_sgpr_count 6
		.amdhsa_user_sgpr_private_segment_buffer 1
		.amdhsa_user_sgpr_dispatch_ptr 0
		.amdhsa_user_sgpr_queue_ptr 0
		.amdhsa_user_sgpr_kernarg_segment_ptr 1
		.amdhsa_user_sgpr_dispatch_id 0
		.amdhsa_user_sgpr_flat_scratch_init 0
		.amdhsa_user_sgpr_private_segment_size 0
		.amdhsa_uses_dynamic_stack 0
		.amdhsa_system_sgpr_private_segment_wavefront_offset 0
		.amdhsa_system_sgpr_workgroup_id_x 1
		.amdhsa_system_sgpr_workgroup_id_y 0
		.amdhsa_system_sgpr_workgroup_id_z 0
		.amdhsa_system_sgpr_workgroup_info 0
		.amdhsa_system_vgpr_workitem_id 0
		.amdhsa_next_free_vgpr 1
		.amdhsa_next_free_sgpr 0
		.amdhsa_reserve_vcc 0
		.amdhsa_reserve_flat_scratch 0
		.amdhsa_float_round_mode_32 0
		.amdhsa_float_round_mode_16_64 0
		.amdhsa_float_denorm_mode_32 3
		.amdhsa_float_denorm_mode_16_64 3
		.amdhsa_dx10_clamp 1
		.amdhsa_ieee_mode 1
		.amdhsa_fp16_overflow 0
		.amdhsa_exception_fp_ieee_invalid_op 0
		.amdhsa_exception_fp_denorm_src 0
		.amdhsa_exception_fp_ieee_div_zero 0
		.amdhsa_exception_fp_ieee_overflow 0
		.amdhsa_exception_fp_ieee_underflow 0
		.amdhsa_exception_fp_ieee_inexact 0
		.amdhsa_exception_int_div_zero 0
	.end_amdhsa_kernel
	.section	.text._ZN7rocprim17ROCPRIM_400000_NS6detail17trampoline_kernelINS0_14default_configENS1_20scan_config_selectorIfEEZZNS1_9scan_implILNS1_25lookback_scan_determinismE0ELb0ELb0ES3_PKfPffZZZN2at6native31launch_logcumsumexp_cuda_kernelERKNSB_10TensorBaseESF_lENKUlvE_clEvENKUlvE0_clEvEUlffE_fEEDaPvRmT3_T4_T5_mT6_P12ihipStream_tbENKUlT_T0_E_clISt17integral_constantIbLb0EESW_EEDaSR_SS_EUlSR_E0_NS1_11comp_targetILNS1_3genE0ELNS1_11target_archE4294967295ELNS1_3gpuE0ELNS1_3repE0EEENS1_30default_config_static_selectorELNS0_4arch9wavefront6targetE1EEEvT1_,"axG",@progbits,_ZN7rocprim17ROCPRIM_400000_NS6detail17trampoline_kernelINS0_14default_configENS1_20scan_config_selectorIfEEZZNS1_9scan_implILNS1_25lookback_scan_determinismE0ELb0ELb0ES3_PKfPffZZZN2at6native31launch_logcumsumexp_cuda_kernelERKNSB_10TensorBaseESF_lENKUlvE_clEvENKUlvE0_clEvEUlffE_fEEDaPvRmT3_T4_T5_mT6_P12ihipStream_tbENKUlT_T0_E_clISt17integral_constantIbLb0EESW_EEDaSR_SS_EUlSR_E0_NS1_11comp_targetILNS1_3genE0ELNS1_11target_archE4294967295ELNS1_3gpuE0ELNS1_3repE0EEENS1_30default_config_static_selectorELNS0_4arch9wavefront6targetE1EEEvT1_,comdat
.Lfunc_end105:
	.size	_ZN7rocprim17ROCPRIM_400000_NS6detail17trampoline_kernelINS0_14default_configENS1_20scan_config_selectorIfEEZZNS1_9scan_implILNS1_25lookback_scan_determinismE0ELb0ELb0ES3_PKfPffZZZN2at6native31launch_logcumsumexp_cuda_kernelERKNSB_10TensorBaseESF_lENKUlvE_clEvENKUlvE0_clEvEUlffE_fEEDaPvRmT3_T4_T5_mT6_P12ihipStream_tbENKUlT_T0_E_clISt17integral_constantIbLb0EESW_EEDaSR_SS_EUlSR_E0_NS1_11comp_targetILNS1_3genE0ELNS1_11target_archE4294967295ELNS1_3gpuE0ELNS1_3repE0EEENS1_30default_config_static_selectorELNS0_4arch9wavefront6targetE1EEEvT1_, .Lfunc_end105-_ZN7rocprim17ROCPRIM_400000_NS6detail17trampoline_kernelINS0_14default_configENS1_20scan_config_selectorIfEEZZNS1_9scan_implILNS1_25lookback_scan_determinismE0ELb0ELb0ES3_PKfPffZZZN2at6native31launch_logcumsumexp_cuda_kernelERKNSB_10TensorBaseESF_lENKUlvE_clEvENKUlvE0_clEvEUlffE_fEEDaPvRmT3_T4_T5_mT6_P12ihipStream_tbENKUlT_T0_E_clISt17integral_constantIbLb0EESW_EEDaSR_SS_EUlSR_E0_NS1_11comp_targetILNS1_3genE0ELNS1_11target_archE4294967295ELNS1_3gpuE0ELNS1_3repE0EEENS1_30default_config_static_selectorELNS0_4arch9wavefront6targetE1EEEvT1_
                                        ; -- End function
	.set _ZN7rocprim17ROCPRIM_400000_NS6detail17trampoline_kernelINS0_14default_configENS1_20scan_config_selectorIfEEZZNS1_9scan_implILNS1_25lookback_scan_determinismE0ELb0ELb0ES3_PKfPffZZZN2at6native31launch_logcumsumexp_cuda_kernelERKNSB_10TensorBaseESF_lENKUlvE_clEvENKUlvE0_clEvEUlffE_fEEDaPvRmT3_T4_T5_mT6_P12ihipStream_tbENKUlT_T0_E_clISt17integral_constantIbLb0EESW_EEDaSR_SS_EUlSR_E0_NS1_11comp_targetILNS1_3genE0ELNS1_11target_archE4294967295ELNS1_3gpuE0ELNS1_3repE0EEENS1_30default_config_static_selectorELNS0_4arch9wavefront6targetE1EEEvT1_.num_vgpr, 0
	.set _ZN7rocprim17ROCPRIM_400000_NS6detail17trampoline_kernelINS0_14default_configENS1_20scan_config_selectorIfEEZZNS1_9scan_implILNS1_25lookback_scan_determinismE0ELb0ELb0ES3_PKfPffZZZN2at6native31launch_logcumsumexp_cuda_kernelERKNSB_10TensorBaseESF_lENKUlvE_clEvENKUlvE0_clEvEUlffE_fEEDaPvRmT3_T4_T5_mT6_P12ihipStream_tbENKUlT_T0_E_clISt17integral_constantIbLb0EESW_EEDaSR_SS_EUlSR_E0_NS1_11comp_targetILNS1_3genE0ELNS1_11target_archE4294967295ELNS1_3gpuE0ELNS1_3repE0EEENS1_30default_config_static_selectorELNS0_4arch9wavefront6targetE1EEEvT1_.num_agpr, 0
	.set _ZN7rocprim17ROCPRIM_400000_NS6detail17trampoline_kernelINS0_14default_configENS1_20scan_config_selectorIfEEZZNS1_9scan_implILNS1_25lookback_scan_determinismE0ELb0ELb0ES3_PKfPffZZZN2at6native31launch_logcumsumexp_cuda_kernelERKNSB_10TensorBaseESF_lENKUlvE_clEvENKUlvE0_clEvEUlffE_fEEDaPvRmT3_T4_T5_mT6_P12ihipStream_tbENKUlT_T0_E_clISt17integral_constantIbLb0EESW_EEDaSR_SS_EUlSR_E0_NS1_11comp_targetILNS1_3genE0ELNS1_11target_archE4294967295ELNS1_3gpuE0ELNS1_3repE0EEENS1_30default_config_static_selectorELNS0_4arch9wavefront6targetE1EEEvT1_.numbered_sgpr, 0
	.set _ZN7rocprim17ROCPRIM_400000_NS6detail17trampoline_kernelINS0_14default_configENS1_20scan_config_selectorIfEEZZNS1_9scan_implILNS1_25lookback_scan_determinismE0ELb0ELb0ES3_PKfPffZZZN2at6native31launch_logcumsumexp_cuda_kernelERKNSB_10TensorBaseESF_lENKUlvE_clEvENKUlvE0_clEvEUlffE_fEEDaPvRmT3_T4_T5_mT6_P12ihipStream_tbENKUlT_T0_E_clISt17integral_constantIbLb0EESW_EEDaSR_SS_EUlSR_E0_NS1_11comp_targetILNS1_3genE0ELNS1_11target_archE4294967295ELNS1_3gpuE0ELNS1_3repE0EEENS1_30default_config_static_selectorELNS0_4arch9wavefront6targetE1EEEvT1_.num_named_barrier, 0
	.set _ZN7rocprim17ROCPRIM_400000_NS6detail17trampoline_kernelINS0_14default_configENS1_20scan_config_selectorIfEEZZNS1_9scan_implILNS1_25lookback_scan_determinismE0ELb0ELb0ES3_PKfPffZZZN2at6native31launch_logcumsumexp_cuda_kernelERKNSB_10TensorBaseESF_lENKUlvE_clEvENKUlvE0_clEvEUlffE_fEEDaPvRmT3_T4_T5_mT6_P12ihipStream_tbENKUlT_T0_E_clISt17integral_constantIbLb0EESW_EEDaSR_SS_EUlSR_E0_NS1_11comp_targetILNS1_3genE0ELNS1_11target_archE4294967295ELNS1_3gpuE0ELNS1_3repE0EEENS1_30default_config_static_selectorELNS0_4arch9wavefront6targetE1EEEvT1_.private_seg_size, 0
	.set _ZN7rocprim17ROCPRIM_400000_NS6detail17trampoline_kernelINS0_14default_configENS1_20scan_config_selectorIfEEZZNS1_9scan_implILNS1_25lookback_scan_determinismE0ELb0ELb0ES3_PKfPffZZZN2at6native31launch_logcumsumexp_cuda_kernelERKNSB_10TensorBaseESF_lENKUlvE_clEvENKUlvE0_clEvEUlffE_fEEDaPvRmT3_T4_T5_mT6_P12ihipStream_tbENKUlT_T0_E_clISt17integral_constantIbLb0EESW_EEDaSR_SS_EUlSR_E0_NS1_11comp_targetILNS1_3genE0ELNS1_11target_archE4294967295ELNS1_3gpuE0ELNS1_3repE0EEENS1_30default_config_static_selectorELNS0_4arch9wavefront6targetE1EEEvT1_.uses_vcc, 0
	.set _ZN7rocprim17ROCPRIM_400000_NS6detail17trampoline_kernelINS0_14default_configENS1_20scan_config_selectorIfEEZZNS1_9scan_implILNS1_25lookback_scan_determinismE0ELb0ELb0ES3_PKfPffZZZN2at6native31launch_logcumsumexp_cuda_kernelERKNSB_10TensorBaseESF_lENKUlvE_clEvENKUlvE0_clEvEUlffE_fEEDaPvRmT3_T4_T5_mT6_P12ihipStream_tbENKUlT_T0_E_clISt17integral_constantIbLb0EESW_EEDaSR_SS_EUlSR_E0_NS1_11comp_targetILNS1_3genE0ELNS1_11target_archE4294967295ELNS1_3gpuE0ELNS1_3repE0EEENS1_30default_config_static_selectorELNS0_4arch9wavefront6targetE1EEEvT1_.uses_flat_scratch, 0
	.set _ZN7rocprim17ROCPRIM_400000_NS6detail17trampoline_kernelINS0_14default_configENS1_20scan_config_selectorIfEEZZNS1_9scan_implILNS1_25lookback_scan_determinismE0ELb0ELb0ES3_PKfPffZZZN2at6native31launch_logcumsumexp_cuda_kernelERKNSB_10TensorBaseESF_lENKUlvE_clEvENKUlvE0_clEvEUlffE_fEEDaPvRmT3_T4_T5_mT6_P12ihipStream_tbENKUlT_T0_E_clISt17integral_constantIbLb0EESW_EEDaSR_SS_EUlSR_E0_NS1_11comp_targetILNS1_3genE0ELNS1_11target_archE4294967295ELNS1_3gpuE0ELNS1_3repE0EEENS1_30default_config_static_selectorELNS0_4arch9wavefront6targetE1EEEvT1_.has_dyn_sized_stack, 0
	.set _ZN7rocprim17ROCPRIM_400000_NS6detail17trampoline_kernelINS0_14default_configENS1_20scan_config_selectorIfEEZZNS1_9scan_implILNS1_25lookback_scan_determinismE0ELb0ELb0ES3_PKfPffZZZN2at6native31launch_logcumsumexp_cuda_kernelERKNSB_10TensorBaseESF_lENKUlvE_clEvENKUlvE0_clEvEUlffE_fEEDaPvRmT3_T4_T5_mT6_P12ihipStream_tbENKUlT_T0_E_clISt17integral_constantIbLb0EESW_EEDaSR_SS_EUlSR_E0_NS1_11comp_targetILNS1_3genE0ELNS1_11target_archE4294967295ELNS1_3gpuE0ELNS1_3repE0EEENS1_30default_config_static_selectorELNS0_4arch9wavefront6targetE1EEEvT1_.has_recursion, 0
	.set _ZN7rocprim17ROCPRIM_400000_NS6detail17trampoline_kernelINS0_14default_configENS1_20scan_config_selectorIfEEZZNS1_9scan_implILNS1_25lookback_scan_determinismE0ELb0ELb0ES3_PKfPffZZZN2at6native31launch_logcumsumexp_cuda_kernelERKNSB_10TensorBaseESF_lENKUlvE_clEvENKUlvE0_clEvEUlffE_fEEDaPvRmT3_T4_T5_mT6_P12ihipStream_tbENKUlT_T0_E_clISt17integral_constantIbLb0EESW_EEDaSR_SS_EUlSR_E0_NS1_11comp_targetILNS1_3genE0ELNS1_11target_archE4294967295ELNS1_3gpuE0ELNS1_3repE0EEENS1_30default_config_static_selectorELNS0_4arch9wavefront6targetE1EEEvT1_.has_indirect_call, 0
	.section	.AMDGPU.csdata,"",@progbits
; Kernel info:
; codeLenInByte = 0
; TotalNumSgprs: 4
; NumVgprs: 0
; ScratchSize: 0
; MemoryBound: 0
; FloatMode: 240
; IeeeMode: 1
; LDSByteSize: 0 bytes/workgroup (compile time only)
; SGPRBlocks: 0
; VGPRBlocks: 0
; NumSGPRsForWavesPerEU: 4
; NumVGPRsForWavesPerEU: 1
; Occupancy: 10
; WaveLimiterHint : 0
; COMPUTE_PGM_RSRC2:SCRATCH_EN: 0
; COMPUTE_PGM_RSRC2:USER_SGPR: 6
; COMPUTE_PGM_RSRC2:TRAP_HANDLER: 0
; COMPUTE_PGM_RSRC2:TGID_X_EN: 1
; COMPUTE_PGM_RSRC2:TGID_Y_EN: 0
; COMPUTE_PGM_RSRC2:TGID_Z_EN: 0
; COMPUTE_PGM_RSRC2:TIDIG_COMP_CNT: 0
	.section	.text._ZN7rocprim17ROCPRIM_400000_NS6detail17trampoline_kernelINS0_14default_configENS1_20scan_config_selectorIfEEZZNS1_9scan_implILNS1_25lookback_scan_determinismE0ELb0ELb0ES3_PKfPffZZZN2at6native31launch_logcumsumexp_cuda_kernelERKNSB_10TensorBaseESF_lENKUlvE_clEvENKUlvE0_clEvEUlffE_fEEDaPvRmT3_T4_T5_mT6_P12ihipStream_tbENKUlT_T0_E_clISt17integral_constantIbLb0EESW_EEDaSR_SS_EUlSR_E0_NS1_11comp_targetILNS1_3genE5ELNS1_11target_archE942ELNS1_3gpuE9ELNS1_3repE0EEENS1_30default_config_static_selectorELNS0_4arch9wavefront6targetE1EEEvT1_,"axG",@progbits,_ZN7rocprim17ROCPRIM_400000_NS6detail17trampoline_kernelINS0_14default_configENS1_20scan_config_selectorIfEEZZNS1_9scan_implILNS1_25lookback_scan_determinismE0ELb0ELb0ES3_PKfPffZZZN2at6native31launch_logcumsumexp_cuda_kernelERKNSB_10TensorBaseESF_lENKUlvE_clEvENKUlvE0_clEvEUlffE_fEEDaPvRmT3_T4_T5_mT6_P12ihipStream_tbENKUlT_T0_E_clISt17integral_constantIbLb0EESW_EEDaSR_SS_EUlSR_E0_NS1_11comp_targetILNS1_3genE5ELNS1_11target_archE942ELNS1_3gpuE9ELNS1_3repE0EEENS1_30default_config_static_selectorELNS0_4arch9wavefront6targetE1EEEvT1_,comdat
	.globl	_ZN7rocprim17ROCPRIM_400000_NS6detail17trampoline_kernelINS0_14default_configENS1_20scan_config_selectorIfEEZZNS1_9scan_implILNS1_25lookback_scan_determinismE0ELb0ELb0ES3_PKfPffZZZN2at6native31launch_logcumsumexp_cuda_kernelERKNSB_10TensorBaseESF_lENKUlvE_clEvENKUlvE0_clEvEUlffE_fEEDaPvRmT3_T4_T5_mT6_P12ihipStream_tbENKUlT_T0_E_clISt17integral_constantIbLb0EESW_EEDaSR_SS_EUlSR_E0_NS1_11comp_targetILNS1_3genE5ELNS1_11target_archE942ELNS1_3gpuE9ELNS1_3repE0EEENS1_30default_config_static_selectorELNS0_4arch9wavefront6targetE1EEEvT1_ ; -- Begin function _ZN7rocprim17ROCPRIM_400000_NS6detail17trampoline_kernelINS0_14default_configENS1_20scan_config_selectorIfEEZZNS1_9scan_implILNS1_25lookback_scan_determinismE0ELb0ELb0ES3_PKfPffZZZN2at6native31launch_logcumsumexp_cuda_kernelERKNSB_10TensorBaseESF_lENKUlvE_clEvENKUlvE0_clEvEUlffE_fEEDaPvRmT3_T4_T5_mT6_P12ihipStream_tbENKUlT_T0_E_clISt17integral_constantIbLb0EESW_EEDaSR_SS_EUlSR_E0_NS1_11comp_targetILNS1_3genE5ELNS1_11target_archE942ELNS1_3gpuE9ELNS1_3repE0EEENS1_30default_config_static_selectorELNS0_4arch9wavefront6targetE1EEEvT1_
	.p2align	8
	.type	_ZN7rocprim17ROCPRIM_400000_NS6detail17trampoline_kernelINS0_14default_configENS1_20scan_config_selectorIfEEZZNS1_9scan_implILNS1_25lookback_scan_determinismE0ELb0ELb0ES3_PKfPffZZZN2at6native31launch_logcumsumexp_cuda_kernelERKNSB_10TensorBaseESF_lENKUlvE_clEvENKUlvE0_clEvEUlffE_fEEDaPvRmT3_T4_T5_mT6_P12ihipStream_tbENKUlT_T0_E_clISt17integral_constantIbLb0EESW_EEDaSR_SS_EUlSR_E0_NS1_11comp_targetILNS1_3genE5ELNS1_11target_archE942ELNS1_3gpuE9ELNS1_3repE0EEENS1_30default_config_static_selectorELNS0_4arch9wavefront6targetE1EEEvT1_,@function
_ZN7rocprim17ROCPRIM_400000_NS6detail17trampoline_kernelINS0_14default_configENS1_20scan_config_selectorIfEEZZNS1_9scan_implILNS1_25lookback_scan_determinismE0ELb0ELb0ES3_PKfPffZZZN2at6native31launch_logcumsumexp_cuda_kernelERKNSB_10TensorBaseESF_lENKUlvE_clEvENKUlvE0_clEvEUlffE_fEEDaPvRmT3_T4_T5_mT6_P12ihipStream_tbENKUlT_T0_E_clISt17integral_constantIbLb0EESW_EEDaSR_SS_EUlSR_E0_NS1_11comp_targetILNS1_3genE5ELNS1_11target_archE942ELNS1_3gpuE9ELNS1_3repE0EEENS1_30default_config_static_selectorELNS0_4arch9wavefront6targetE1EEEvT1_: ; @_ZN7rocprim17ROCPRIM_400000_NS6detail17trampoline_kernelINS0_14default_configENS1_20scan_config_selectorIfEEZZNS1_9scan_implILNS1_25lookback_scan_determinismE0ELb0ELb0ES3_PKfPffZZZN2at6native31launch_logcumsumexp_cuda_kernelERKNSB_10TensorBaseESF_lENKUlvE_clEvENKUlvE0_clEvEUlffE_fEEDaPvRmT3_T4_T5_mT6_P12ihipStream_tbENKUlT_T0_E_clISt17integral_constantIbLb0EESW_EEDaSR_SS_EUlSR_E0_NS1_11comp_targetILNS1_3genE5ELNS1_11target_archE942ELNS1_3gpuE9ELNS1_3repE0EEENS1_30default_config_static_selectorELNS0_4arch9wavefront6targetE1EEEvT1_
; %bb.0:
	.section	.rodata,"a",@progbits
	.p2align	6, 0x0
	.amdhsa_kernel _ZN7rocprim17ROCPRIM_400000_NS6detail17trampoline_kernelINS0_14default_configENS1_20scan_config_selectorIfEEZZNS1_9scan_implILNS1_25lookback_scan_determinismE0ELb0ELb0ES3_PKfPffZZZN2at6native31launch_logcumsumexp_cuda_kernelERKNSB_10TensorBaseESF_lENKUlvE_clEvENKUlvE0_clEvEUlffE_fEEDaPvRmT3_T4_T5_mT6_P12ihipStream_tbENKUlT_T0_E_clISt17integral_constantIbLb0EESW_EEDaSR_SS_EUlSR_E0_NS1_11comp_targetILNS1_3genE5ELNS1_11target_archE942ELNS1_3gpuE9ELNS1_3repE0EEENS1_30default_config_static_selectorELNS0_4arch9wavefront6targetE1EEEvT1_
		.amdhsa_group_segment_fixed_size 0
		.amdhsa_private_segment_fixed_size 0
		.amdhsa_kernarg_size 32
		.amdhsa_user_sgpr_count 6
		.amdhsa_user_sgpr_private_segment_buffer 1
		.amdhsa_user_sgpr_dispatch_ptr 0
		.amdhsa_user_sgpr_queue_ptr 0
		.amdhsa_user_sgpr_kernarg_segment_ptr 1
		.amdhsa_user_sgpr_dispatch_id 0
		.amdhsa_user_sgpr_flat_scratch_init 0
		.amdhsa_user_sgpr_private_segment_size 0
		.amdhsa_uses_dynamic_stack 0
		.amdhsa_system_sgpr_private_segment_wavefront_offset 0
		.amdhsa_system_sgpr_workgroup_id_x 1
		.amdhsa_system_sgpr_workgroup_id_y 0
		.amdhsa_system_sgpr_workgroup_id_z 0
		.amdhsa_system_sgpr_workgroup_info 0
		.amdhsa_system_vgpr_workitem_id 0
		.amdhsa_next_free_vgpr 1
		.amdhsa_next_free_sgpr 0
		.amdhsa_reserve_vcc 0
		.amdhsa_reserve_flat_scratch 0
		.amdhsa_float_round_mode_32 0
		.amdhsa_float_round_mode_16_64 0
		.amdhsa_float_denorm_mode_32 3
		.amdhsa_float_denorm_mode_16_64 3
		.amdhsa_dx10_clamp 1
		.amdhsa_ieee_mode 1
		.amdhsa_fp16_overflow 0
		.amdhsa_exception_fp_ieee_invalid_op 0
		.amdhsa_exception_fp_denorm_src 0
		.amdhsa_exception_fp_ieee_div_zero 0
		.amdhsa_exception_fp_ieee_overflow 0
		.amdhsa_exception_fp_ieee_underflow 0
		.amdhsa_exception_fp_ieee_inexact 0
		.amdhsa_exception_int_div_zero 0
	.end_amdhsa_kernel
	.section	.text._ZN7rocprim17ROCPRIM_400000_NS6detail17trampoline_kernelINS0_14default_configENS1_20scan_config_selectorIfEEZZNS1_9scan_implILNS1_25lookback_scan_determinismE0ELb0ELb0ES3_PKfPffZZZN2at6native31launch_logcumsumexp_cuda_kernelERKNSB_10TensorBaseESF_lENKUlvE_clEvENKUlvE0_clEvEUlffE_fEEDaPvRmT3_T4_T5_mT6_P12ihipStream_tbENKUlT_T0_E_clISt17integral_constantIbLb0EESW_EEDaSR_SS_EUlSR_E0_NS1_11comp_targetILNS1_3genE5ELNS1_11target_archE942ELNS1_3gpuE9ELNS1_3repE0EEENS1_30default_config_static_selectorELNS0_4arch9wavefront6targetE1EEEvT1_,"axG",@progbits,_ZN7rocprim17ROCPRIM_400000_NS6detail17trampoline_kernelINS0_14default_configENS1_20scan_config_selectorIfEEZZNS1_9scan_implILNS1_25lookback_scan_determinismE0ELb0ELb0ES3_PKfPffZZZN2at6native31launch_logcumsumexp_cuda_kernelERKNSB_10TensorBaseESF_lENKUlvE_clEvENKUlvE0_clEvEUlffE_fEEDaPvRmT3_T4_T5_mT6_P12ihipStream_tbENKUlT_T0_E_clISt17integral_constantIbLb0EESW_EEDaSR_SS_EUlSR_E0_NS1_11comp_targetILNS1_3genE5ELNS1_11target_archE942ELNS1_3gpuE9ELNS1_3repE0EEENS1_30default_config_static_selectorELNS0_4arch9wavefront6targetE1EEEvT1_,comdat
.Lfunc_end106:
	.size	_ZN7rocprim17ROCPRIM_400000_NS6detail17trampoline_kernelINS0_14default_configENS1_20scan_config_selectorIfEEZZNS1_9scan_implILNS1_25lookback_scan_determinismE0ELb0ELb0ES3_PKfPffZZZN2at6native31launch_logcumsumexp_cuda_kernelERKNSB_10TensorBaseESF_lENKUlvE_clEvENKUlvE0_clEvEUlffE_fEEDaPvRmT3_T4_T5_mT6_P12ihipStream_tbENKUlT_T0_E_clISt17integral_constantIbLb0EESW_EEDaSR_SS_EUlSR_E0_NS1_11comp_targetILNS1_3genE5ELNS1_11target_archE942ELNS1_3gpuE9ELNS1_3repE0EEENS1_30default_config_static_selectorELNS0_4arch9wavefront6targetE1EEEvT1_, .Lfunc_end106-_ZN7rocprim17ROCPRIM_400000_NS6detail17trampoline_kernelINS0_14default_configENS1_20scan_config_selectorIfEEZZNS1_9scan_implILNS1_25lookback_scan_determinismE0ELb0ELb0ES3_PKfPffZZZN2at6native31launch_logcumsumexp_cuda_kernelERKNSB_10TensorBaseESF_lENKUlvE_clEvENKUlvE0_clEvEUlffE_fEEDaPvRmT3_T4_T5_mT6_P12ihipStream_tbENKUlT_T0_E_clISt17integral_constantIbLb0EESW_EEDaSR_SS_EUlSR_E0_NS1_11comp_targetILNS1_3genE5ELNS1_11target_archE942ELNS1_3gpuE9ELNS1_3repE0EEENS1_30default_config_static_selectorELNS0_4arch9wavefront6targetE1EEEvT1_
                                        ; -- End function
	.set _ZN7rocprim17ROCPRIM_400000_NS6detail17trampoline_kernelINS0_14default_configENS1_20scan_config_selectorIfEEZZNS1_9scan_implILNS1_25lookback_scan_determinismE0ELb0ELb0ES3_PKfPffZZZN2at6native31launch_logcumsumexp_cuda_kernelERKNSB_10TensorBaseESF_lENKUlvE_clEvENKUlvE0_clEvEUlffE_fEEDaPvRmT3_T4_T5_mT6_P12ihipStream_tbENKUlT_T0_E_clISt17integral_constantIbLb0EESW_EEDaSR_SS_EUlSR_E0_NS1_11comp_targetILNS1_3genE5ELNS1_11target_archE942ELNS1_3gpuE9ELNS1_3repE0EEENS1_30default_config_static_selectorELNS0_4arch9wavefront6targetE1EEEvT1_.num_vgpr, 0
	.set _ZN7rocprim17ROCPRIM_400000_NS6detail17trampoline_kernelINS0_14default_configENS1_20scan_config_selectorIfEEZZNS1_9scan_implILNS1_25lookback_scan_determinismE0ELb0ELb0ES3_PKfPffZZZN2at6native31launch_logcumsumexp_cuda_kernelERKNSB_10TensorBaseESF_lENKUlvE_clEvENKUlvE0_clEvEUlffE_fEEDaPvRmT3_T4_T5_mT6_P12ihipStream_tbENKUlT_T0_E_clISt17integral_constantIbLb0EESW_EEDaSR_SS_EUlSR_E0_NS1_11comp_targetILNS1_3genE5ELNS1_11target_archE942ELNS1_3gpuE9ELNS1_3repE0EEENS1_30default_config_static_selectorELNS0_4arch9wavefront6targetE1EEEvT1_.num_agpr, 0
	.set _ZN7rocprim17ROCPRIM_400000_NS6detail17trampoline_kernelINS0_14default_configENS1_20scan_config_selectorIfEEZZNS1_9scan_implILNS1_25lookback_scan_determinismE0ELb0ELb0ES3_PKfPffZZZN2at6native31launch_logcumsumexp_cuda_kernelERKNSB_10TensorBaseESF_lENKUlvE_clEvENKUlvE0_clEvEUlffE_fEEDaPvRmT3_T4_T5_mT6_P12ihipStream_tbENKUlT_T0_E_clISt17integral_constantIbLb0EESW_EEDaSR_SS_EUlSR_E0_NS1_11comp_targetILNS1_3genE5ELNS1_11target_archE942ELNS1_3gpuE9ELNS1_3repE0EEENS1_30default_config_static_selectorELNS0_4arch9wavefront6targetE1EEEvT1_.numbered_sgpr, 0
	.set _ZN7rocprim17ROCPRIM_400000_NS6detail17trampoline_kernelINS0_14default_configENS1_20scan_config_selectorIfEEZZNS1_9scan_implILNS1_25lookback_scan_determinismE0ELb0ELb0ES3_PKfPffZZZN2at6native31launch_logcumsumexp_cuda_kernelERKNSB_10TensorBaseESF_lENKUlvE_clEvENKUlvE0_clEvEUlffE_fEEDaPvRmT3_T4_T5_mT6_P12ihipStream_tbENKUlT_T0_E_clISt17integral_constantIbLb0EESW_EEDaSR_SS_EUlSR_E0_NS1_11comp_targetILNS1_3genE5ELNS1_11target_archE942ELNS1_3gpuE9ELNS1_3repE0EEENS1_30default_config_static_selectorELNS0_4arch9wavefront6targetE1EEEvT1_.num_named_barrier, 0
	.set _ZN7rocprim17ROCPRIM_400000_NS6detail17trampoline_kernelINS0_14default_configENS1_20scan_config_selectorIfEEZZNS1_9scan_implILNS1_25lookback_scan_determinismE0ELb0ELb0ES3_PKfPffZZZN2at6native31launch_logcumsumexp_cuda_kernelERKNSB_10TensorBaseESF_lENKUlvE_clEvENKUlvE0_clEvEUlffE_fEEDaPvRmT3_T4_T5_mT6_P12ihipStream_tbENKUlT_T0_E_clISt17integral_constantIbLb0EESW_EEDaSR_SS_EUlSR_E0_NS1_11comp_targetILNS1_3genE5ELNS1_11target_archE942ELNS1_3gpuE9ELNS1_3repE0EEENS1_30default_config_static_selectorELNS0_4arch9wavefront6targetE1EEEvT1_.private_seg_size, 0
	.set _ZN7rocprim17ROCPRIM_400000_NS6detail17trampoline_kernelINS0_14default_configENS1_20scan_config_selectorIfEEZZNS1_9scan_implILNS1_25lookback_scan_determinismE0ELb0ELb0ES3_PKfPffZZZN2at6native31launch_logcumsumexp_cuda_kernelERKNSB_10TensorBaseESF_lENKUlvE_clEvENKUlvE0_clEvEUlffE_fEEDaPvRmT3_T4_T5_mT6_P12ihipStream_tbENKUlT_T0_E_clISt17integral_constantIbLb0EESW_EEDaSR_SS_EUlSR_E0_NS1_11comp_targetILNS1_3genE5ELNS1_11target_archE942ELNS1_3gpuE9ELNS1_3repE0EEENS1_30default_config_static_selectorELNS0_4arch9wavefront6targetE1EEEvT1_.uses_vcc, 0
	.set _ZN7rocprim17ROCPRIM_400000_NS6detail17trampoline_kernelINS0_14default_configENS1_20scan_config_selectorIfEEZZNS1_9scan_implILNS1_25lookback_scan_determinismE0ELb0ELb0ES3_PKfPffZZZN2at6native31launch_logcumsumexp_cuda_kernelERKNSB_10TensorBaseESF_lENKUlvE_clEvENKUlvE0_clEvEUlffE_fEEDaPvRmT3_T4_T5_mT6_P12ihipStream_tbENKUlT_T0_E_clISt17integral_constantIbLb0EESW_EEDaSR_SS_EUlSR_E0_NS1_11comp_targetILNS1_3genE5ELNS1_11target_archE942ELNS1_3gpuE9ELNS1_3repE0EEENS1_30default_config_static_selectorELNS0_4arch9wavefront6targetE1EEEvT1_.uses_flat_scratch, 0
	.set _ZN7rocprim17ROCPRIM_400000_NS6detail17trampoline_kernelINS0_14default_configENS1_20scan_config_selectorIfEEZZNS1_9scan_implILNS1_25lookback_scan_determinismE0ELb0ELb0ES3_PKfPffZZZN2at6native31launch_logcumsumexp_cuda_kernelERKNSB_10TensorBaseESF_lENKUlvE_clEvENKUlvE0_clEvEUlffE_fEEDaPvRmT3_T4_T5_mT6_P12ihipStream_tbENKUlT_T0_E_clISt17integral_constantIbLb0EESW_EEDaSR_SS_EUlSR_E0_NS1_11comp_targetILNS1_3genE5ELNS1_11target_archE942ELNS1_3gpuE9ELNS1_3repE0EEENS1_30default_config_static_selectorELNS0_4arch9wavefront6targetE1EEEvT1_.has_dyn_sized_stack, 0
	.set _ZN7rocprim17ROCPRIM_400000_NS6detail17trampoline_kernelINS0_14default_configENS1_20scan_config_selectorIfEEZZNS1_9scan_implILNS1_25lookback_scan_determinismE0ELb0ELb0ES3_PKfPffZZZN2at6native31launch_logcumsumexp_cuda_kernelERKNSB_10TensorBaseESF_lENKUlvE_clEvENKUlvE0_clEvEUlffE_fEEDaPvRmT3_T4_T5_mT6_P12ihipStream_tbENKUlT_T0_E_clISt17integral_constantIbLb0EESW_EEDaSR_SS_EUlSR_E0_NS1_11comp_targetILNS1_3genE5ELNS1_11target_archE942ELNS1_3gpuE9ELNS1_3repE0EEENS1_30default_config_static_selectorELNS0_4arch9wavefront6targetE1EEEvT1_.has_recursion, 0
	.set _ZN7rocprim17ROCPRIM_400000_NS6detail17trampoline_kernelINS0_14default_configENS1_20scan_config_selectorIfEEZZNS1_9scan_implILNS1_25lookback_scan_determinismE0ELb0ELb0ES3_PKfPffZZZN2at6native31launch_logcumsumexp_cuda_kernelERKNSB_10TensorBaseESF_lENKUlvE_clEvENKUlvE0_clEvEUlffE_fEEDaPvRmT3_T4_T5_mT6_P12ihipStream_tbENKUlT_T0_E_clISt17integral_constantIbLb0EESW_EEDaSR_SS_EUlSR_E0_NS1_11comp_targetILNS1_3genE5ELNS1_11target_archE942ELNS1_3gpuE9ELNS1_3repE0EEENS1_30default_config_static_selectorELNS0_4arch9wavefront6targetE1EEEvT1_.has_indirect_call, 0
	.section	.AMDGPU.csdata,"",@progbits
; Kernel info:
; codeLenInByte = 0
; TotalNumSgprs: 4
; NumVgprs: 0
; ScratchSize: 0
; MemoryBound: 0
; FloatMode: 240
; IeeeMode: 1
; LDSByteSize: 0 bytes/workgroup (compile time only)
; SGPRBlocks: 0
; VGPRBlocks: 0
; NumSGPRsForWavesPerEU: 4
; NumVGPRsForWavesPerEU: 1
; Occupancy: 10
; WaveLimiterHint : 0
; COMPUTE_PGM_RSRC2:SCRATCH_EN: 0
; COMPUTE_PGM_RSRC2:USER_SGPR: 6
; COMPUTE_PGM_RSRC2:TRAP_HANDLER: 0
; COMPUTE_PGM_RSRC2:TGID_X_EN: 1
; COMPUTE_PGM_RSRC2:TGID_Y_EN: 0
; COMPUTE_PGM_RSRC2:TGID_Z_EN: 0
; COMPUTE_PGM_RSRC2:TIDIG_COMP_CNT: 0
	.section	.text._ZN7rocprim17ROCPRIM_400000_NS6detail17trampoline_kernelINS0_14default_configENS1_20scan_config_selectorIfEEZZNS1_9scan_implILNS1_25lookback_scan_determinismE0ELb0ELb0ES3_PKfPffZZZN2at6native31launch_logcumsumexp_cuda_kernelERKNSB_10TensorBaseESF_lENKUlvE_clEvENKUlvE0_clEvEUlffE_fEEDaPvRmT3_T4_T5_mT6_P12ihipStream_tbENKUlT_T0_E_clISt17integral_constantIbLb0EESW_EEDaSR_SS_EUlSR_E0_NS1_11comp_targetILNS1_3genE4ELNS1_11target_archE910ELNS1_3gpuE8ELNS1_3repE0EEENS1_30default_config_static_selectorELNS0_4arch9wavefront6targetE1EEEvT1_,"axG",@progbits,_ZN7rocprim17ROCPRIM_400000_NS6detail17trampoline_kernelINS0_14default_configENS1_20scan_config_selectorIfEEZZNS1_9scan_implILNS1_25lookback_scan_determinismE0ELb0ELb0ES3_PKfPffZZZN2at6native31launch_logcumsumexp_cuda_kernelERKNSB_10TensorBaseESF_lENKUlvE_clEvENKUlvE0_clEvEUlffE_fEEDaPvRmT3_T4_T5_mT6_P12ihipStream_tbENKUlT_T0_E_clISt17integral_constantIbLb0EESW_EEDaSR_SS_EUlSR_E0_NS1_11comp_targetILNS1_3genE4ELNS1_11target_archE910ELNS1_3gpuE8ELNS1_3repE0EEENS1_30default_config_static_selectorELNS0_4arch9wavefront6targetE1EEEvT1_,comdat
	.globl	_ZN7rocprim17ROCPRIM_400000_NS6detail17trampoline_kernelINS0_14default_configENS1_20scan_config_selectorIfEEZZNS1_9scan_implILNS1_25lookback_scan_determinismE0ELb0ELb0ES3_PKfPffZZZN2at6native31launch_logcumsumexp_cuda_kernelERKNSB_10TensorBaseESF_lENKUlvE_clEvENKUlvE0_clEvEUlffE_fEEDaPvRmT3_T4_T5_mT6_P12ihipStream_tbENKUlT_T0_E_clISt17integral_constantIbLb0EESW_EEDaSR_SS_EUlSR_E0_NS1_11comp_targetILNS1_3genE4ELNS1_11target_archE910ELNS1_3gpuE8ELNS1_3repE0EEENS1_30default_config_static_selectorELNS0_4arch9wavefront6targetE1EEEvT1_ ; -- Begin function _ZN7rocprim17ROCPRIM_400000_NS6detail17trampoline_kernelINS0_14default_configENS1_20scan_config_selectorIfEEZZNS1_9scan_implILNS1_25lookback_scan_determinismE0ELb0ELb0ES3_PKfPffZZZN2at6native31launch_logcumsumexp_cuda_kernelERKNSB_10TensorBaseESF_lENKUlvE_clEvENKUlvE0_clEvEUlffE_fEEDaPvRmT3_T4_T5_mT6_P12ihipStream_tbENKUlT_T0_E_clISt17integral_constantIbLb0EESW_EEDaSR_SS_EUlSR_E0_NS1_11comp_targetILNS1_3genE4ELNS1_11target_archE910ELNS1_3gpuE8ELNS1_3repE0EEENS1_30default_config_static_selectorELNS0_4arch9wavefront6targetE1EEEvT1_
	.p2align	8
	.type	_ZN7rocprim17ROCPRIM_400000_NS6detail17trampoline_kernelINS0_14default_configENS1_20scan_config_selectorIfEEZZNS1_9scan_implILNS1_25lookback_scan_determinismE0ELb0ELb0ES3_PKfPffZZZN2at6native31launch_logcumsumexp_cuda_kernelERKNSB_10TensorBaseESF_lENKUlvE_clEvENKUlvE0_clEvEUlffE_fEEDaPvRmT3_T4_T5_mT6_P12ihipStream_tbENKUlT_T0_E_clISt17integral_constantIbLb0EESW_EEDaSR_SS_EUlSR_E0_NS1_11comp_targetILNS1_3genE4ELNS1_11target_archE910ELNS1_3gpuE8ELNS1_3repE0EEENS1_30default_config_static_selectorELNS0_4arch9wavefront6targetE1EEEvT1_,@function
_ZN7rocprim17ROCPRIM_400000_NS6detail17trampoline_kernelINS0_14default_configENS1_20scan_config_selectorIfEEZZNS1_9scan_implILNS1_25lookback_scan_determinismE0ELb0ELb0ES3_PKfPffZZZN2at6native31launch_logcumsumexp_cuda_kernelERKNSB_10TensorBaseESF_lENKUlvE_clEvENKUlvE0_clEvEUlffE_fEEDaPvRmT3_T4_T5_mT6_P12ihipStream_tbENKUlT_T0_E_clISt17integral_constantIbLb0EESW_EEDaSR_SS_EUlSR_E0_NS1_11comp_targetILNS1_3genE4ELNS1_11target_archE910ELNS1_3gpuE8ELNS1_3repE0EEENS1_30default_config_static_selectorELNS0_4arch9wavefront6targetE1EEEvT1_: ; @_ZN7rocprim17ROCPRIM_400000_NS6detail17trampoline_kernelINS0_14default_configENS1_20scan_config_selectorIfEEZZNS1_9scan_implILNS1_25lookback_scan_determinismE0ELb0ELb0ES3_PKfPffZZZN2at6native31launch_logcumsumexp_cuda_kernelERKNSB_10TensorBaseESF_lENKUlvE_clEvENKUlvE0_clEvEUlffE_fEEDaPvRmT3_T4_T5_mT6_P12ihipStream_tbENKUlT_T0_E_clISt17integral_constantIbLb0EESW_EEDaSR_SS_EUlSR_E0_NS1_11comp_targetILNS1_3genE4ELNS1_11target_archE910ELNS1_3gpuE8ELNS1_3repE0EEENS1_30default_config_static_selectorELNS0_4arch9wavefront6targetE1EEEvT1_
; %bb.0:
	.section	.rodata,"a",@progbits
	.p2align	6, 0x0
	.amdhsa_kernel _ZN7rocprim17ROCPRIM_400000_NS6detail17trampoline_kernelINS0_14default_configENS1_20scan_config_selectorIfEEZZNS1_9scan_implILNS1_25lookback_scan_determinismE0ELb0ELb0ES3_PKfPffZZZN2at6native31launch_logcumsumexp_cuda_kernelERKNSB_10TensorBaseESF_lENKUlvE_clEvENKUlvE0_clEvEUlffE_fEEDaPvRmT3_T4_T5_mT6_P12ihipStream_tbENKUlT_T0_E_clISt17integral_constantIbLb0EESW_EEDaSR_SS_EUlSR_E0_NS1_11comp_targetILNS1_3genE4ELNS1_11target_archE910ELNS1_3gpuE8ELNS1_3repE0EEENS1_30default_config_static_selectorELNS0_4arch9wavefront6targetE1EEEvT1_
		.amdhsa_group_segment_fixed_size 0
		.amdhsa_private_segment_fixed_size 0
		.amdhsa_kernarg_size 32
		.amdhsa_user_sgpr_count 6
		.amdhsa_user_sgpr_private_segment_buffer 1
		.amdhsa_user_sgpr_dispatch_ptr 0
		.amdhsa_user_sgpr_queue_ptr 0
		.amdhsa_user_sgpr_kernarg_segment_ptr 1
		.amdhsa_user_sgpr_dispatch_id 0
		.amdhsa_user_sgpr_flat_scratch_init 0
		.amdhsa_user_sgpr_private_segment_size 0
		.amdhsa_uses_dynamic_stack 0
		.amdhsa_system_sgpr_private_segment_wavefront_offset 0
		.amdhsa_system_sgpr_workgroup_id_x 1
		.amdhsa_system_sgpr_workgroup_id_y 0
		.amdhsa_system_sgpr_workgroup_id_z 0
		.amdhsa_system_sgpr_workgroup_info 0
		.amdhsa_system_vgpr_workitem_id 0
		.amdhsa_next_free_vgpr 1
		.amdhsa_next_free_sgpr 0
		.amdhsa_reserve_vcc 0
		.amdhsa_reserve_flat_scratch 0
		.amdhsa_float_round_mode_32 0
		.amdhsa_float_round_mode_16_64 0
		.amdhsa_float_denorm_mode_32 3
		.amdhsa_float_denorm_mode_16_64 3
		.amdhsa_dx10_clamp 1
		.amdhsa_ieee_mode 1
		.amdhsa_fp16_overflow 0
		.amdhsa_exception_fp_ieee_invalid_op 0
		.amdhsa_exception_fp_denorm_src 0
		.amdhsa_exception_fp_ieee_div_zero 0
		.amdhsa_exception_fp_ieee_overflow 0
		.amdhsa_exception_fp_ieee_underflow 0
		.amdhsa_exception_fp_ieee_inexact 0
		.amdhsa_exception_int_div_zero 0
	.end_amdhsa_kernel
	.section	.text._ZN7rocprim17ROCPRIM_400000_NS6detail17trampoline_kernelINS0_14default_configENS1_20scan_config_selectorIfEEZZNS1_9scan_implILNS1_25lookback_scan_determinismE0ELb0ELb0ES3_PKfPffZZZN2at6native31launch_logcumsumexp_cuda_kernelERKNSB_10TensorBaseESF_lENKUlvE_clEvENKUlvE0_clEvEUlffE_fEEDaPvRmT3_T4_T5_mT6_P12ihipStream_tbENKUlT_T0_E_clISt17integral_constantIbLb0EESW_EEDaSR_SS_EUlSR_E0_NS1_11comp_targetILNS1_3genE4ELNS1_11target_archE910ELNS1_3gpuE8ELNS1_3repE0EEENS1_30default_config_static_selectorELNS0_4arch9wavefront6targetE1EEEvT1_,"axG",@progbits,_ZN7rocprim17ROCPRIM_400000_NS6detail17trampoline_kernelINS0_14default_configENS1_20scan_config_selectorIfEEZZNS1_9scan_implILNS1_25lookback_scan_determinismE0ELb0ELb0ES3_PKfPffZZZN2at6native31launch_logcumsumexp_cuda_kernelERKNSB_10TensorBaseESF_lENKUlvE_clEvENKUlvE0_clEvEUlffE_fEEDaPvRmT3_T4_T5_mT6_P12ihipStream_tbENKUlT_T0_E_clISt17integral_constantIbLb0EESW_EEDaSR_SS_EUlSR_E0_NS1_11comp_targetILNS1_3genE4ELNS1_11target_archE910ELNS1_3gpuE8ELNS1_3repE0EEENS1_30default_config_static_selectorELNS0_4arch9wavefront6targetE1EEEvT1_,comdat
.Lfunc_end107:
	.size	_ZN7rocprim17ROCPRIM_400000_NS6detail17trampoline_kernelINS0_14default_configENS1_20scan_config_selectorIfEEZZNS1_9scan_implILNS1_25lookback_scan_determinismE0ELb0ELb0ES3_PKfPffZZZN2at6native31launch_logcumsumexp_cuda_kernelERKNSB_10TensorBaseESF_lENKUlvE_clEvENKUlvE0_clEvEUlffE_fEEDaPvRmT3_T4_T5_mT6_P12ihipStream_tbENKUlT_T0_E_clISt17integral_constantIbLb0EESW_EEDaSR_SS_EUlSR_E0_NS1_11comp_targetILNS1_3genE4ELNS1_11target_archE910ELNS1_3gpuE8ELNS1_3repE0EEENS1_30default_config_static_selectorELNS0_4arch9wavefront6targetE1EEEvT1_, .Lfunc_end107-_ZN7rocprim17ROCPRIM_400000_NS6detail17trampoline_kernelINS0_14default_configENS1_20scan_config_selectorIfEEZZNS1_9scan_implILNS1_25lookback_scan_determinismE0ELb0ELb0ES3_PKfPffZZZN2at6native31launch_logcumsumexp_cuda_kernelERKNSB_10TensorBaseESF_lENKUlvE_clEvENKUlvE0_clEvEUlffE_fEEDaPvRmT3_T4_T5_mT6_P12ihipStream_tbENKUlT_T0_E_clISt17integral_constantIbLb0EESW_EEDaSR_SS_EUlSR_E0_NS1_11comp_targetILNS1_3genE4ELNS1_11target_archE910ELNS1_3gpuE8ELNS1_3repE0EEENS1_30default_config_static_selectorELNS0_4arch9wavefront6targetE1EEEvT1_
                                        ; -- End function
	.set _ZN7rocprim17ROCPRIM_400000_NS6detail17trampoline_kernelINS0_14default_configENS1_20scan_config_selectorIfEEZZNS1_9scan_implILNS1_25lookback_scan_determinismE0ELb0ELb0ES3_PKfPffZZZN2at6native31launch_logcumsumexp_cuda_kernelERKNSB_10TensorBaseESF_lENKUlvE_clEvENKUlvE0_clEvEUlffE_fEEDaPvRmT3_T4_T5_mT6_P12ihipStream_tbENKUlT_T0_E_clISt17integral_constantIbLb0EESW_EEDaSR_SS_EUlSR_E0_NS1_11comp_targetILNS1_3genE4ELNS1_11target_archE910ELNS1_3gpuE8ELNS1_3repE0EEENS1_30default_config_static_selectorELNS0_4arch9wavefront6targetE1EEEvT1_.num_vgpr, 0
	.set _ZN7rocprim17ROCPRIM_400000_NS6detail17trampoline_kernelINS0_14default_configENS1_20scan_config_selectorIfEEZZNS1_9scan_implILNS1_25lookback_scan_determinismE0ELb0ELb0ES3_PKfPffZZZN2at6native31launch_logcumsumexp_cuda_kernelERKNSB_10TensorBaseESF_lENKUlvE_clEvENKUlvE0_clEvEUlffE_fEEDaPvRmT3_T4_T5_mT6_P12ihipStream_tbENKUlT_T0_E_clISt17integral_constantIbLb0EESW_EEDaSR_SS_EUlSR_E0_NS1_11comp_targetILNS1_3genE4ELNS1_11target_archE910ELNS1_3gpuE8ELNS1_3repE0EEENS1_30default_config_static_selectorELNS0_4arch9wavefront6targetE1EEEvT1_.num_agpr, 0
	.set _ZN7rocprim17ROCPRIM_400000_NS6detail17trampoline_kernelINS0_14default_configENS1_20scan_config_selectorIfEEZZNS1_9scan_implILNS1_25lookback_scan_determinismE0ELb0ELb0ES3_PKfPffZZZN2at6native31launch_logcumsumexp_cuda_kernelERKNSB_10TensorBaseESF_lENKUlvE_clEvENKUlvE0_clEvEUlffE_fEEDaPvRmT3_T4_T5_mT6_P12ihipStream_tbENKUlT_T0_E_clISt17integral_constantIbLb0EESW_EEDaSR_SS_EUlSR_E0_NS1_11comp_targetILNS1_3genE4ELNS1_11target_archE910ELNS1_3gpuE8ELNS1_3repE0EEENS1_30default_config_static_selectorELNS0_4arch9wavefront6targetE1EEEvT1_.numbered_sgpr, 0
	.set _ZN7rocprim17ROCPRIM_400000_NS6detail17trampoline_kernelINS0_14default_configENS1_20scan_config_selectorIfEEZZNS1_9scan_implILNS1_25lookback_scan_determinismE0ELb0ELb0ES3_PKfPffZZZN2at6native31launch_logcumsumexp_cuda_kernelERKNSB_10TensorBaseESF_lENKUlvE_clEvENKUlvE0_clEvEUlffE_fEEDaPvRmT3_T4_T5_mT6_P12ihipStream_tbENKUlT_T0_E_clISt17integral_constantIbLb0EESW_EEDaSR_SS_EUlSR_E0_NS1_11comp_targetILNS1_3genE4ELNS1_11target_archE910ELNS1_3gpuE8ELNS1_3repE0EEENS1_30default_config_static_selectorELNS0_4arch9wavefront6targetE1EEEvT1_.num_named_barrier, 0
	.set _ZN7rocprim17ROCPRIM_400000_NS6detail17trampoline_kernelINS0_14default_configENS1_20scan_config_selectorIfEEZZNS1_9scan_implILNS1_25lookback_scan_determinismE0ELb0ELb0ES3_PKfPffZZZN2at6native31launch_logcumsumexp_cuda_kernelERKNSB_10TensorBaseESF_lENKUlvE_clEvENKUlvE0_clEvEUlffE_fEEDaPvRmT3_T4_T5_mT6_P12ihipStream_tbENKUlT_T0_E_clISt17integral_constantIbLb0EESW_EEDaSR_SS_EUlSR_E0_NS1_11comp_targetILNS1_3genE4ELNS1_11target_archE910ELNS1_3gpuE8ELNS1_3repE0EEENS1_30default_config_static_selectorELNS0_4arch9wavefront6targetE1EEEvT1_.private_seg_size, 0
	.set _ZN7rocprim17ROCPRIM_400000_NS6detail17trampoline_kernelINS0_14default_configENS1_20scan_config_selectorIfEEZZNS1_9scan_implILNS1_25lookback_scan_determinismE0ELb0ELb0ES3_PKfPffZZZN2at6native31launch_logcumsumexp_cuda_kernelERKNSB_10TensorBaseESF_lENKUlvE_clEvENKUlvE0_clEvEUlffE_fEEDaPvRmT3_T4_T5_mT6_P12ihipStream_tbENKUlT_T0_E_clISt17integral_constantIbLb0EESW_EEDaSR_SS_EUlSR_E0_NS1_11comp_targetILNS1_3genE4ELNS1_11target_archE910ELNS1_3gpuE8ELNS1_3repE0EEENS1_30default_config_static_selectorELNS0_4arch9wavefront6targetE1EEEvT1_.uses_vcc, 0
	.set _ZN7rocprim17ROCPRIM_400000_NS6detail17trampoline_kernelINS0_14default_configENS1_20scan_config_selectorIfEEZZNS1_9scan_implILNS1_25lookback_scan_determinismE0ELb0ELb0ES3_PKfPffZZZN2at6native31launch_logcumsumexp_cuda_kernelERKNSB_10TensorBaseESF_lENKUlvE_clEvENKUlvE0_clEvEUlffE_fEEDaPvRmT3_T4_T5_mT6_P12ihipStream_tbENKUlT_T0_E_clISt17integral_constantIbLb0EESW_EEDaSR_SS_EUlSR_E0_NS1_11comp_targetILNS1_3genE4ELNS1_11target_archE910ELNS1_3gpuE8ELNS1_3repE0EEENS1_30default_config_static_selectorELNS0_4arch9wavefront6targetE1EEEvT1_.uses_flat_scratch, 0
	.set _ZN7rocprim17ROCPRIM_400000_NS6detail17trampoline_kernelINS0_14default_configENS1_20scan_config_selectorIfEEZZNS1_9scan_implILNS1_25lookback_scan_determinismE0ELb0ELb0ES3_PKfPffZZZN2at6native31launch_logcumsumexp_cuda_kernelERKNSB_10TensorBaseESF_lENKUlvE_clEvENKUlvE0_clEvEUlffE_fEEDaPvRmT3_T4_T5_mT6_P12ihipStream_tbENKUlT_T0_E_clISt17integral_constantIbLb0EESW_EEDaSR_SS_EUlSR_E0_NS1_11comp_targetILNS1_3genE4ELNS1_11target_archE910ELNS1_3gpuE8ELNS1_3repE0EEENS1_30default_config_static_selectorELNS0_4arch9wavefront6targetE1EEEvT1_.has_dyn_sized_stack, 0
	.set _ZN7rocprim17ROCPRIM_400000_NS6detail17trampoline_kernelINS0_14default_configENS1_20scan_config_selectorIfEEZZNS1_9scan_implILNS1_25lookback_scan_determinismE0ELb0ELb0ES3_PKfPffZZZN2at6native31launch_logcumsumexp_cuda_kernelERKNSB_10TensorBaseESF_lENKUlvE_clEvENKUlvE0_clEvEUlffE_fEEDaPvRmT3_T4_T5_mT6_P12ihipStream_tbENKUlT_T0_E_clISt17integral_constantIbLb0EESW_EEDaSR_SS_EUlSR_E0_NS1_11comp_targetILNS1_3genE4ELNS1_11target_archE910ELNS1_3gpuE8ELNS1_3repE0EEENS1_30default_config_static_selectorELNS0_4arch9wavefront6targetE1EEEvT1_.has_recursion, 0
	.set _ZN7rocprim17ROCPRIM_400000_NS6detail17trampoline_kernelINS0_14default_configENS1_20scan_config_selectorIfEEZZNS1_9scan_implILNS1_25lookback_scan_determinismE0ELb0ELb0ES3_PKfPffZZZN2at6native31launch_logcumsumexp_cuda_kernelERKNSB_10TensorBaseESF_lENKUlvE_clEvENKUlvE0_clEvEUlffE_fEEDaPvRmT3_T4_T5_mT6_P12ihipStream_tbENKUlT_T0_E_clISt17integral_constantIbLb0EESW_EEDaSR_SS_EUlSR_E0_NS1_11comp_targetILNS1_3genE4ELNS1_11target_archE910ELNS1_3gpuE8ELNS1_3repE0EEENS1_30default_config_static_selectorELNS0_4arch9wavefront6targetE1EEEvT1_.has_indirect_call, 0
	.section	.AMDGPU.csdata,"",@progbits
; Kernel info:
; codeLenInByte = 0
; TotalNumSgprs: 4
; NumVgprs: 0
; ScratchSize: 0
; MemoryBound: 0
; FloatMode: 240
; IeeeMode: 1
; LDSByteSize: 0 bytes/workgroup (compile time only)
; SGPRBlocks: 0
; VGPRBlocks: 0
; NumSGPRsForWavesPerEU: 4
; NumVGPRsForWavesPerEU: 1
; Occupancy: 10
; WaveLimiterHint : 0
; COMPUTE_PGM_RSRC2:SCRATCH_EN: 0
; COMPUTE_PGM_RSRC2:USER_SGPR: 6
; COMPUTE_PGM_RSRC2:TRAP_HANDLER: 0
; COMPUTE_PGM_RSRC2:TGID_X_EN: 1
; COMPUTE_PGM_RSRC2:TGID_Y_EN: 0
; COMPUTE_PGM_RSRC2:TGID_Z_EN: 0
; COMPUTE_PGM_RSRC2:TIDIG_COMP_CNT: 0
	.section	.text._ZN7rocprim17ROCPRIM_400000_NS6detail17trampoline_kernelINS0_14default_configENS1_20scan_config_selectorIfEEZZNS1_9scan_implILNS1_25lookback_scan_determinismE0ELb0ELb0ES3_PKfPffZZZN2at6native31launch_logcumsumexp_cuda_kernelERKNSB_10TensorBaseESF_lENKUlvE_clEvENKUlvE0_clEvEUlffE_fEEDaPvRmT3_T4_T5_mT6_P12ihipStream_tbENKUlT_T0_E_clISt17integral_constantIbLb0EESW_EEDaSR_SS_EUlSR_E0_NS1_11comp_targetILNS1_3genE3ELNS1_11target_archE908ELNS1_3gpuE7ELNS1_3repE0EEENS1_30default_config_static_selectorELNS0_4arch9wavefront6targetE1EEEvT1_,"axG",@progbits,_ZN7rocprim17ROCPRIM_400000_NS6detail17trampoline_kernelINS0_14default_configENS1_20scan_config_selectorIfEEZZNS1_9scan_implILNS1_25lookback_scan_determinismE0ELb0ELb0ES3_PKfPffZZZN2at6native31launch_logcumsumexp_cuda_kernelERKNSB_10TensorBaseESF_lENKUlvE_clEvENKUlvE0_clEvEUlffE_fEEDaPvRmT3_T4_T5_mT6_P12ihipStream_tbENKUlT_T0_E_clISt17integral_constantIbLb0EESW_EEDaSR_SS_EUlSR_E0_NS1_11comp_targetILNS1_3genE3ELNS1_11target_archE908ELNS1_3gpuE7ELNS1_3repE0EEENS1_30default_config_static_selectorELNS0_4arch9wavefront6targetE1EEEvT1_,comdat
	.globl	_ZN7rocprim17ROCPRIM_400000_NS6detail17trampoline_kernelINS0_14default_configENS1_20scan_config_selectorIfEEZZNS1_9scan_implILNS1_25lookback_scan_determinismE0ELb0ELb0ES3_PKfPffZZZN2at6native31launch_logcumsumexp_cuda_kernelERKNSB_10TensorBaseESF_lENKUlvE_clEvENKUlvE0_clEvEUlffE_fEEDaPvRmT3_T4_T5_mT6_P12ihipStream_tbENKUlT_T0_E_clISt17integral_constantIbLb0EESW_EEDaSR_SS_EUlSR_E0_NS1_11comp_targetILNS1_3genE3ELNS1_11target_archE908ELNS1_3gpuE7ELNS1_3repE0EEENS1_30default_config_static_selectorELNS0_4arch9wavefront6targetE1EEEvT1_ ; -- Begin function _ZN7rocprim17ROCPRIM_400000_NS6detail17trampoline_kernelINS0_14default_configENS1_20scan_config_selectorIfEEZZNS1_9scan_implILNS1_25lookback_scan_determinismE0ELb0ELb0ES3_PKfPffZZZN2at6native31launch_logcumsumexp_cuda_kernelERKNSB_10TensorBaseESF_lENKUlvE_clEvENKUlvE0_clEvEUlffE_fEEDaPvRmT3_T4_T5_mT6_P12ihipStream_tbENKUlT_T0_E_clISt17integral_constantIbLb0EESW_EEDaSR_SS_EUlSR_E0_NS1_11comp_targetILNS1_3genE3ELNS1_11target_archE908ELNS1_3gpuE7ELNS1_3repE0EEENS1_30default_config_static_selectorELNS0_4arch9wavefront6targetE1EEEvT1_
	.p2align	8
	.type	_ZN7rocprim17ROCPRIM_400000_NS6detail17trampoline_kernelINS0_14default_configENS1_20scan_config_selectorIfEEZZNS1_9scan_implILNS1_25lookback_scan_determinismE0ELb0ELb0ES3_PKfPffZZZN2at6native31launch_logcumsumexp_cuda_kernelERKNSB_10TensorBaseESF_lENKUlvE_clEvENKUlvE0_clEvEUlffE_fEEDaPvRmT3_T4_T5_mT6_P12ihipStream_tbENKUlT_T0_E_clISt17integral_constantIbLb0EESW_EEDaSR_SS_EUlSR_E0_NS1_11comp_targetILNS1_3genE3ELNS1_11target_archE908ELNS1_3gpuE7ELNS1_3repE0EEENS1_30default_config_static_selectorELNS0_4arch9wavefront6targetE1EEEvT1_,@function
_ZN7rocprim17ROCPRIM_400000_NS6detail17trampoline_kernelINS0_14default_configENS1_20scan_config_selectorIfEEZZNS1_9scan_implILNS1_25lookback_scan_determinismE0ELb0ELb0ES3_PKfPffZZZN2at6native31launch_logcumsumexp_cuda_kernelERKNSB_10TensorBaseESF_lENKUlvE_clEvENKUlvE0_clEvEUlffE_fEEDaPvRmT3_T4_T5_mT6_P12ihipStream_tbENKUlT_T0_E_clISt17integral_constantIbLb0EESW_EEDaSR_SS_EUlSR_E0_NS1_11comp_targetILNS1_3genE3ELNS1_11target_archE908ELNS1_3gpuE7ELNS1_3repE0EEENS1_30default_config_static_selectorELNS0_4arch9wavefront6targetE1EEEvT1_: ; @_ZN7rocprim17ROCPRIM_400000_NS6detail17trampoline_kernelINS0_14default_configENS1_20scan_config_selectorIfEEZZNS1_9scan_implILNS1_25lookback_scan_determinismE0ELb0ELb0ES3_PKfPffZZZN2at6native31launch_logcumsumexp_cuda_kernelERKNSB_10TensorBaseESF_lENKUlvE_clEvENKUlvE0_clEvEUlffE_fEEDaPvRmT3_T4_T5_mT6_P12ihipStream_tbENKUlT_T0_E_clISt17integral_constantIbLb0EESW_EEDaSR_SS_EUlSR_E0_NS1_11comp_targetILNS1_3genE3ELNS1_11target_archE908ELNS1_3gpuE7ELNS1_3repE0EEENS1_30default_config_static_selectorELNS0_4arch9wavefront6targetE1EEEvT1_
; %bb.0:
	.section	.rodata,"a",@progbits
	.p2align	6, 0x0
	.amdhsa_kernel _ZN7rocprim17ROCPRIM_400000_NS6detail17trampoline_kernelINS0_14default_configENS1_20scan_config_selectorIfEEZZNS1_9scan_implILNS1_25lookback_scan_determinismE0ELb0ELb0ES3_PKfPffZZZN2at6native31launch_logcumsumexp_cuda_kernelERKNSB_10TensorBaseESF_lENKUlvE_clEvENKUlvE0_clEvEUlffE_fEEDaPvRmT3_T4_T5_mT6_P12ihipStream_tbENKUlT_T0_E_clISt17integral_constantIbLb0EESW_EEDaSR_SS_EUlSR_E0_NS1_11comp_targetILNS1_3genE3ELNS1_11target_archE908ELNS1_3gpuE7ELNS1_3repE0EEENS1_30default_config_static_selectorELNS0_4arch9wavefront6targetE1EEEvT1_
		.amdhsa_group_segment_fixed_size 0
		.amdhsa_private_segment_fixed_size 0
		.amdhsa_kernarg_size 32
		.amdhsa_user_sgpr_count 6
		.amdhsa_user_sgpr_private_segment_buffer 1
		.amdhsa_user_sgpr_dispatch_ptr 0
		.amdhsa_user_sgpr_queue_ptr 0
		.amdhsa_user_sgpr_kernarg_segment_ptr 1
		.amdhsa_user_sgpr_dispatch_id 0
		.amdhsa_user_sgpr_flat_scratch_init 0
		.amdhsa_user_sgpr_private_segment_size 0
		.amdhsa_uses_dynamic_stack 0
		.amdhsa_system_sgpr_private_segment_wavefront_offset 0
		.amdhsa_system_sgpr_workgroup_id_x 1
		.amdhsa_system_sgpr_workgroup_id_y 0
		.amdhsa_system_sgpr_workgroup_id_z 0
		.amdhsa_system_sgpr_workgroup_info 0
		.amdhsa_system_vgpr_workitem_id 0
		.amdhsa_next_free_vgpr 1
		.amdhsa_next_free_sgpr 0
		.amdhsa_reserve_vcc 0
		.amdhsa_reserve_flat_scratch 0
		.amdhsa_float_round_mode_32 0
		.amdhsa_float_round_mode_16_64 0
		.amdhsa_float_denorm_mode_32 3
		.amdhsa_float_denorm_mode_16_64 3
		.amdhsa_dx10_clamp 1
		.amdhsa_ieee_mode 1
		.amdhsa_fp16_overflow 0
		.amdhsa_exception_fp_ieee_invalid_op 0
		.amdhsa_exception_fp_denorm_src 0
		.amdhsa_exception_fp_ieee_div_zero 0
		.amdhsa_exception_fp_ieee_overflow 0
		.amdhsa_exception_fp_ieee_underflow 0
		.amdhsa_exception_fp_ieee_inexact 0
		.amdhsa_exception_int_div_zero 0
	.end_amdhsa_kernel
	.section	.text._ZN7rocprim17ROCPRIM_400000_NS6detail17trampoline_kernelINS0_14default_configENS1_20scan_config_selectorIfEEZZNS1_9scan_implILNS1_25lookback_scan_determinismE0ELb0ELb0ES3_PKfPffZZZN2at6native31launch_logcumsumexp_cuda_kernelERKNSB_10TensorBaseESF_lENKUlvE_clEvENKUlvE0_clEvEUlffE_fEEDaPvRmT3_T4_T5_mT6_P12ihipStream_tbENKUlT_T0_E_clISt17integral_constantIbLb0EESW_EEDaSR_SS_EUlSR_E0_NS1_11comp_targetILNS1_3genE3ELNS1_11target_archE908ELNS1_3gpuE7ELNS1_3repE0EEENS1_30default_config_static_selectorELNS0_4arch9wavefront6targetE1EEEvT1_,"axG",@progbits,_ZN7rocprim17ROCPRIM_400000_NS6detail17trampoline_kernelINS0_14default_configENS1_20scan_config_selectorIfEEZZNS1_9scan_implILNS1_25lookback_scan_determinismE0ELb0ELb0ES3_PKfPffZZZN2at6native31launch_logcumsumexp_cuda_kernelERKNSB_10TensorBaseESF_lENKUlvE_clEvENKUlvE0_clEvEUlffE_fEEDaPvRmT3_T4_T5_mT6_P12ihipStream_tbENKUlT_T0_E_clISt17integral_constantIbLb0EESW_EEDaSR_SS_EUlSR_E0_NS1_11comp_targetILNS1_3genE3ELNS1_11target_archE908ELNS1_3gpuE7ELNS1_3repE0EEENS1_30default_config_static_selectorELNS0_4arch9wavefront6targetE1EEEvT1_,comdat
.Lfunc_end108:
	.size	_ZN7rocprim17ROCPRIM_400000_NS6detail17trampoline_kernelINS0_14default_configENS1_20scan_config_selectorIfEEZZNS1_9scan_implILNS1_25lookback_scan_determinismE0ELb0ELb0ES3_PKfPffZZZN2at6native31launch_logcumsumexp_cuda_kernelERKNSB_10TensorBaseESF_lENKUlvE_clEvENKUlvE0_clEvEUlffE_fEEDaPvRmT3_T4_T5_mT6_P12ihipStream_tbENKUlT_T0_E_clISt17integral_constantIbLb0EESW_EEDaSR_SS_EUlSR_E0_NS1_11comp_targetILNS1_3genE3ELNS1_11target_archE908ELNS1_3gpuE7ELNS1_3repE0EEENS1_30default_config_static_selectorELNS0_4arch9wavefront6targetE1EEEvT1_, .Lfunc_end108-_ZN7rocprim17ROCPRIM_400000_NS6detail17trampoline_kernelINS0_14default_configENS1_20scan_config_selectorIfEEZZNS1_9scan_implILNS1_25lookback_scan_determinismE0ELb0ELb0ES3_PKfPffZZZN2at6native31launch_logcumsumexp_cuda_kernelERKNSB_10TensorBaseESF_lENKUlvE_clEvENKUlvE0_clEvEUlffE_fEEDaPvRmT3_T4_T5_mT6_P12ihipStream_tbENKUlT_T0_E_clISt17integral_constantIbLb0EESW_EEDaSR_SS_EUlSR_E0_NS1_11comp_targetILNS1_3genE3ELNS1_11target_archE908ELNS1_3gpuE7ELNS1_3repE0EEENS1_30default_config_static_selectorELNS0_4arch9wavefront6targetE1EEEvT1_
                                        ; -- End function
	.set _ZN7rocprim17ROCPRIM_400000_NS6detail17trampoline_kernelINS0_14default_configENS1_20scan_config_selectorIfEEZZNS1_9scan_implILNS1_25lookback_scan_determinismE0ELb0ELb0ES3_PKfPffZZZN2at6native31launch_logcumsumexp_cuda_kernelERKNSB_10TensorBaseESF_lENKUlvE_clEvENKUlvE0_clEvEUlffE_fEEDaPvRmT3_T4_T5_mT6_P12ihipStream_tbENKUlT_T0_E_clISt17integral_constantIbLb0EESW_EEDaSR_SS_EUlSR_E0_NS1_11comp_targetILNS1_3genE3ELNS1_11target_archE908ELNS1_3gpuE7ELNS1_3repE0EEENS1_30default_config_static_selectorELNS0_4arch9wavefront6targetE1EEEvT1_.num_vgpr, 0
	.set _ZN7rocprim17ROCPRIM_400000_NS6detail17trampoline_kernelINS0_14default_configENS1_20scan_config_selectorIfEEZZNS1_9scan_implILNS1_25lookback_scan_determinismE0ELb0ELb0ES3_PKfPffZZZN2at6native31launch_logcumsumexp_cuda_kernelERKNSB_10TensorBaseESF_lENKUlvE_clEvENKUlvE0_clEvEUlffE_fEEDaPvRmT3_T4_T5_mT6_P12ihipStream_tbENKUlT_T0_E_clISt17integral_constantIbLb0EESW_EEDaSR_SS_EUlSR_E0_NS1_11comp_targetILNS1_3genE3ELNS1_11target_archE908ELNS1_3gpuE7ELNS1_3repE0EEENS1_30default_config_static_selectorELNS0_4arch9wavefront6targetE1EEEvT1_.num_agpr, 0
	.set _ZN7rocprim17ROCPRIM_400000_NS6detail17trampoline_kernelINS0_14default_configENS1_20scan_config_selectorIfEEZZNS1_9scan_implILNS1_25lookback_scan_determinismE0ELb0ELb0ES3_PKfPffZZZN2at6native31launch_logcumsumexp_cuda_kernelERKNSB_10TensorBaseESF_lENKUlvE_clEvENKUlvE0_clEvEUlffE_fEEDaPvRmT3_T4_T5_mT6_P12ihipStream_tbENKUlT_T0_E_clISt17integral_constantIbLb0EESW_EEDaSR_SS_EUlSR_E0_NS1_11comp_targetILNS1_3genE3ELNS1_11target_archE908ELNS1_3gpuE7ELNS1_3repE0EEENS1_30default_config_static_selectorELNS0_4arch9wavefront6targetE1EEEvT1_.numbered_sgpr, 0
	.set _ZN7rocprim17ROCPRIM_400000_NS6detail17trampoline_kernelINS0_14default_configENS1_20scan_config_selectorIfEEZZNS1_9scan_implILNS1_25lookback_scan_determinismE0ELb0ELb0ES3_PKfPffZZZN2at6native31launch_logcumsumexp_cuda_kernelERKNSB_10TensorBaseESF_lENKUlvE_clEvENKUlvE0_clEvEUlffE_fEEDaPvRmT3_T4_T5_mT6_P12ihipStream_tbENKUlT_T0_E_clISt17integral_constantIbLb0EESW_EEDaSR_SS_EUlSR_E0_NS1_11comp_targetILNS1_3genE3ELNS1_11target_archE908ELNS1_3gpuE7ELNS1_3repE0EEENS1_30default_config_static_selectorELNS0_4arch9wavefront6targetE1EEEvT1_.num_named_barrier, 0
	.set _ZN7rocprim17ROCPRIM_400000_NS6detail17trampoline_kernelINS0_14default_configENS1_20scan_config_selectorIfEEZZNS1_9scan_implILNS1_25lookback_scan_determinismE0ELb0ELb0ES3_PKfPffZZZN2at6native31launch_logcumsumexp_cuda_kernelERKNSB_10TensorBaseESF_lENKUlvE_clEvENKUlvE0_clEvEUlffE_fEEDaPvRmT3_T4_T5_mT6_P12ihipStream_tbENKUlT_T0_E_clISt17integral_constantIbLb0EESW_EEDaSR_SS_EUlSR_E0_NS1_11comp_targetILNS1_3genE3ELNS1_11target_archE908ELNS1_3gpuE7ELNS1_3repE0EEENS1_30default_config_static_selectorELNS0_4arch9wavefront6targetE1EEEvT1_.private_seg_size, 0
	.set _ZN7rocprim17ROCPRIM_400000_NS6detail17trampoline_kernelINS0_14default_configENS1_20scan_config_selectorIfEEZZNS1_9scan_implILNS1_25lookback_scan_determinismE0ELb0ELb0ES3_PKfPffZZZN2at6native31launch_logcumsumexp_cuda_kernelERKNSB_10TensorBaseESF_lENKUlvE_clEvENKUlvE0_clEvEUlffE_fEEDaPvRmT3_T4_T5_mT6_P12ihipStream_tbENKUlT_T0_E_clISt17integral_constantIbLb0EESW_EEDaSR_SS_EUlSR_E0_NS1_11comp_targetILNS1_3genE3ELNS1_11target_archE908ELNS1_3gpuE7ELNS1_3repE0EEENS1_30default_config_static_selectorELNS0_4arch9wavefront6targetE1EEEvT1_.uses_vcc, 0
	.set _ZN7rocprim17ROCPRIM_400000_NS6detail17trampoline_kernelINS0_14default_configENS1_20scan_config_selectorIfEEZZNS1_9scan_implILNS1_25lookback_scan_determinismE0ELb0ELb0ES3_PKfPffZZZN2at6native31launch_logcumsumexp_cuda_kernelERKNSB_10TensorBaseESF_lENKUlvE_clEvENKUlvE0_clEvEUlffE_fEEDaPvRmT3_T4_T5_mT6_P12ihipStream_tbENKUlT_T0_E_clISt17integral_constantIbLb0EESW_EEDaSR_SS_EUlSR_E0_NS1_11comp_targetILNS1_3genE3ELNS1_11target_archE908ELNS1_3gpuE7ELNS1_3repE0EEENS1_30default_config_static_selectorELNS0_4arch9wavefront6targetE1EEEvT1_.uses_flat_scratch, 0
	.set _ZN7rocprim17ROCPRIM_400000_NS6detail17trampoline_kernelINS0_14default_configENS1_20scan_config_selectorIfEEZZNS1_9scan_implILNS1_25lookback_scan_determinismE0ELb0ELb0ES3_PKfPffZZZN2at6native31launch_logcumsumexp_cuda_kernelERKNSB_10TensorBaseESF_lENKUlvE_clEvENKUlvE0_clEvEUlffE_fEEDaPvRmT3_T4_T5_mT6_P12ihipStream_tbENKUlT_T0_E_clISt17integral_constantIbLb0EESW_EEDaSR_SS_EUlSR_E0_NS1_11comp_targetILNS1_3genE3ELNS1_11target_archE908ELNS1_3gpuE7ELNS1_3repE0EEENS1_30default_config_static_selectorELNS0_4arch9wavefront6targetE1EEEvT1_.has_dyn_sized_stack, 0
	.set _ZN7rocprim17ROCPRIM_400000_NS6detail17trampoline_kernelINS0_14default_configENS1_20scan_config_selectorIfEEZZNS1_9scan_implILNS1_25lookback_scan_determinismE0ELb0ELb0ES3_PKfPffZZZN2at6native31launch_logcumsumexp_cuda_kernelERKNSB_10TensorBaseESF_lENKUlvE_clEvENKUlvE0_clEvEUlffE_fEEDaPvRmT3_T4_T5_mT6_P12ihipStream_tbENKUlT_T0_E_clISt17integral_constantIbLb0EESW_EEDaSR_SS_EUlSR_E0_NS1_11comp_targetILNS1_3genE3ELNS1_11target_archE908ELNS1_3gpuE7ELNS1_3repE0EEENS1_30default_config_static_selectorELNS0_4arch9wavefront6targetE1EEEvT1_.has_recursion, 0
	.set _ZN7rocprim17ROCPRIM_400000_NS6detail17trampoline_kernelINS0_14default_configENS1_20scan_config_selectorIfEEZZNS1_9scan_implILNS1_25lookback_scan_determinismE0ELb0ELb0ES3_PKfPffZZZN2at6native31launch_logcumsumexp_cuda_kernelERKNSB_10TensorBaseESF_lENKUlvE_clEvENKUlvE0_clEvEUlffE_fEEDaPvRmT3_T4_T5_mT6_P12ihipStream_tbENKUlT_T0_E_clISt17integral_constantIbLb0EESW_EEDaSR_SS_EUlSR_E0_NS1_11comp_targetILNS1_3genE3ELNS1_11target_archE908ELNS1_3gpuE7ELNS1_3repE0EEENS1_30default_config_static_selectorELNS0_4arch9wavefront6targetE1EEEvT1_.has_indirect_call, 0
	.section	.AMDGPU.csdata,"",@progbits
; Kernel info:
; codeLenInByte = 0
; TotalNumSgprs: 4
; NumVgprs: 0
; ScratchSize: 0
; MemoryBound: 0
; FloatMode: 240
; IeeeMode: 1
; LDSByteSize: 0 bytes/workgroup (compile time only)
; SGPRBlocks: 0
; VGPRBlocks: 0
; NumSGPRsForWavesPerEU: 4
; NumVGPRsForWavesPerEU: 1
; Occupancy: 10
; WaveLimiterHint : 0
; COMPUTE_PGM_RSRC2:SCRATCH_EN: 0
; COMPUTE_PGM_RSRC2:USER_SGPR: 6
; COMPUTE_PGM_RSRC2:TRAP_HANDLER: 0
; COMPUTE_PGM_RSRC2:TGID_X_EN: 1
; COMPUTE_PGM_RSRC2:TGID_Y_EN: 0
; COMPUTE_PGM_RSRC2:TGID_Z_EN: 0
; COMPUTE_PGM_RSRC2:TIDIG_COMP_CNT: 0
	.section	.text._ZN7rocprim17ROCPRIM_400000_NS6detail17trampoline_kernelINS0_14default_configENS1_20scan_config_selectorIfEEZZNS1_9scan_implILNS1_25lookback_scan_determinismE0ELb0ELb0ES3_PKfPffZZZN2at6native31launch_logcumsumexp_cuda_kernelERKNSB_10TensorBaseESF_lENKUlvE_clEvENKUlvE0_clEvEUlffE_fEEDaPvRmT3_T4_T5_mT6_P12ihipStream_tbENKUlT_T0_E_clISt17integral_constantIbLb0EESW_EEDaSR_SS_EUlSR_E0_NS1_11comp_targetILNS1_3genE2ELNS1_11target_archE906ELNS1_3gpuE6ELNS1_3repE0EEENS1_30default_config_static_selectorELNS0_4arch9wavefront6targetE1EEEvT1_,"axG",@progbits,_ZN7rocprim17ROCPRIM_400000_NS6detail17trampoline_kernelINS0_14default_configENS1_20scan_config_selectorIfEEZZNS1_9scan_implILNS1_25lookback_scan_determinismE0ELb0ELb0ES3_PKfPffZZZN2at6native31launch_logcumsumexp_cuda_kernelERKNSB_10TensorBaseESF_lENKUlvE_clEvENKUlvE0_clEvEUlffE_fEEDaPvRmT3_T4_T5_mT6_P12ihipStream_tbENKUlT_T0_E_clISt17integral_constantIbLb0EESW_EEDaSR_SS_EUlSR_E0_NS1_11comp_targetILNS1_3genE2ELNS1_11target_archE906ELNS1_3gpuE6ELNS1_3repE0EEENS1_30default_config_static_selectorELNS0_4arch9wavefront6targetE1EEEvT1_,comdat
	.globl	_ZN7rocprim17ROCPRIM_400000_NS6detail17trampoline_kernelINS0_14default_configENS1_20scan_config_selectorIfEEZZNS1_9scan_implILNS1_25lookback_scan_determinismE0ELb0ELb0ES3_PKfPffZZZN2at6native31launch_logcumsumexp_cuda_kernelERKNSB_10TensorBaseESF_lENKUlvE_clEvENKUlvE0_clEvEUlffE_fEEDaPvRmT3_T4_T5_mT6_P12ihipStream_tbENKUlT_T0_E_clISt17integral_constantIbLb0EESW_EEDaSR_SS_EUlSR_E0_NS1_11comp_targetILNS1_3genE2ELNS1_11target_archE906ELNS1_3gpuE6ELNS1_3repE0EEENS1_30default_config_static_selectorELNS0_4arch9wavefront6targetE1EEEvT1_ ; -- Begin function _ZN7rocprim17ROCPRIM_400000_NS6detail17trampoline_kernelINS0_14default_configENS1_20scan_config_selectorIfEEZZNS1_9scan_implILNS1_25lookback_scan_determinismE0ELb0ELb0ES3_PKfPffZZZN2at6native31launch_logcumsumexp_cuda_kernelERKNSB_10TensorBaseESF_lENKUlvE_clEvENKUlvE0_clEvEUlffE_fEEDaPvRmT3_T4_T5_mT6_P12ihipStream_tbENKUlT_T0_E_clISt17integral_constantIbLb0EESW_EEDaSR_SS_EUlSR_E0_NS1_11comp_targetILNS1_3genE2ELNS1_11target_archE906ELNS1_3gpuE6ELNS1_3repE0EEENS1_30default_config_static_selectorELNS0_4arch9wavefront6targetE1EEEvT1_
	.p2align	8
	.type	_ZN7rocprim17ROCPRIM_400000_NS6detail17trampoline_kernelINS0_14default_configENS1_20scan_config_selectorIfEEZZNS1_9scan_implILNS1_25lookback_scan_determinismE0ELb0ELb0ES3_PKfPffZZZN2at6native31launch_logcumsumexp_cuda_kernelERKNSB_10TensorBaseESF_lENKUlvE_clEvENKUlvE0_clEvEUlffE_fEEDaPvRmT3_T4_T5_mT6_P12ihipStream_tbENKUlT_T0_E_clISt17integral_constantIbLb0EESW_EEDaSR_SS_EUlSR_E0_NS1_11comp_targetILNS1_3genE2ELNS1_11target_archE906ELNS1_3gpuE6ELNS1_3repE0EEENS1_30default_config_static_selectorELNS0_4arch9wavefront6targetE1EEEvT1_,@function
_ZN7rocprim17ROCPRIM_400000_NS6detail17trampoline_kernelINS0_14default_configENS1_20scan_config_selectorIfEEZZNS1_9scan_implILNS1_25lookback_scan_determinismE0ELb0ELb0ES3_PKfPffZZZN2at6native31launch_logcumsumexp_cuda_kernelERKNSB_10TensorBaseESF_lENKUlvE_clEvENKUlvE0_clEvEUlffE_fEEDaPvRmT3_T4_T5_mT6_P12ihipStream_tbENKUlT_T0_E_clISt17integral_constantIbLb0EESW_EEDaSR_SS_EUlSR_E0_NS1_11comp_targetILNS1_3genE2ELNS1_11target_archE906ELNS1_3gpuE6ELNS1_3repE0EEENS1_30default_config_static_selectorELNS0_4arch9wavefront6targetE1EEEvT1_: ; @_ZN7rocprim17ROCPRIM_400000_NS6detail17trampoline_kernelINS0_14default_configENS1_20scan_config_selectorIfEEZZNS1_9scan_implILNS1_25lookback_scan_determinismE0ELb0ELb0ES3_PKfPffZZZN2at6native31launch_logcumsumexp_cuda_kernelERKNSB_10TensorBaseESF_lENKUlvE_clEvENKUlvE0_clEvEUlffE_fEEDaPvRmT3_T4_T5_mT6_P12ihipStream_tbENKUlT_T0_E_clISt17integral_constantIbLb0EESW_EEDaSR_SS_EUlSR_E0_NS1_11comp_targetILNS1_3genE2ELNS1_11target_archE906ELNS1_3gpuE6ELNS1_3repE0EEENS1_30default_config_static_selectorELNS0_4arch9wavefront6targetE1EEEvT1_
; %bb.0:
	s_load_dwordx4 s[28:31], s[4:5], 0x0
	v_lshlrev_b32_e32 v16, 2, v0
	s_waitcnt lgkmcnt(0)
	s_load_dword s31, s[28:29], 0x0
	v_cmp_gt_u32_e32 vcc, s30, v0
	s_waitcnt lgkmcnt(0)
	v_mov_b32_e32 v1, s31
	s_and_saveexec_b64 s[0:1], vcc
	s_cbranch_execz .LBB109_2
; %bb.1:
	global_load_dword v1, v16, s[28:29]
.LBB109_2:
	s_or_b64 exec, exec, s[0:1]
	v_or_b32_e32 v2, 0x100, v0
	v_cmp_gt_u32_e64 s[0:1], s30, v2
	v_mov_b32_e32 v2, s31
	s_and_saveexec_b64 s[2:3], s[0:1]
	s_cbranch_execz .LBB109_4
; %bb.3:
	global_load_dword v2, v16, s[28:29] offset:1024
.LBB109_4:
	s_or_b64 exec, exec, s[2:3]
	v_or_b32_e32 v3, 0x200, v0
	v_cmp_gt_u32_e64 s[2:3], s30, v3
	v_mov_b32_e32 v3, s31
	s_and_saveexec_b64 s[6:7], s[2:3]
	s_cbranch_execz .LBB109_6
; %bb.5:
	global_load_dword v3, v16, s[28:29] offset:2048
.LBB109_6:
	;; [unrolled: 9-line block ×3, first 2 shown]
	s_or_b64 exec, exec, s[6:7]
	v_or_b32_e32 v6, 0x400, v0
	v_cmp_gt_u32_e64 s[6:7], s30, v6
	v_mov_b32_e32 v5, s31
	s_and_saveexec_b64 s[8:9], s[6:7]
	s_cbranch_execz .LBB109_10
; %bb.9:
	v_lshlrev_b32_e32 v5, 2, v6
	global_load_dword v5, v5, s[28:29]
.LBB109_10:
	s_or_b64 exec, exec, s[8:9]
	v_or_b32_e32 v7, 0x500, v0
	v_cmp_gt_u32_e64 s[8:9], s30, v7
	v_mov_b32_e32 v6, s31
	s_and_saveexec_b64 s[10:11], s[8:9]
	s_cbranch_execz .LBB109_12
; %bb.11:
	v_lshlrev_b32_e32 v6, 2, v7
	global_load_dword v6, v6, s[28:29]
.LBB109_12:
	;; [unrolled: 10-line block ×11, first 2 shown]
	s_or_b64 exec, exec, s[30:31]
	s_waitcnt vmcnt(0)
	ds_write2st64_b32 v16, v1, v2 offset1:4
	ds_write2st64_b32 v16, v3, v4 offset0:8 offset1:12
	ds_write2st64_b32 v16, v5, v6 offset0:16 offset1:20
	;; [unrolled: 1-line block ×6, first 2 shown]
	ds_write_b32 v16, v15 offset:14336
	v_mad_u32_u24 v15, v0, 56, v16
	s_waitcnt lgkmcnt(0)
	s_barrier
	ds_read2_b32 v[1:2], v15 offset1:1
	ds_read2_b32 v[13:14], v15 offset0:2 offset1:3
	ds_read2_b32 v[11:12], v15 offset0:4 offset1:5
	;; [unrolled: 1-line block ×6, first 2 shown]
	ds_read_b32 v15, v15 offset:56
	s_waitcnt lgkmcnt(7)
	v_max_f32_e32 v23, v2, v2
	v_max_f32_e32 v32, v1, v1
	v_min_f32_e32 v31, v32, v23
	v_cmp_u_f32_e64 s[58:59], v1, v1
	v_cndmask_b32_e64 v17, v31, v1, s[58:59]
	v_cmp_u_f32_e64 s[28:29], v2, v2
	v_max_f32_e32 v33, v32, v23
	v_cndmask_b32_e64 v18, v17, v2, s[28:29]
	v_cndmask_b32_e64 v17, v33, v1, s[58:59]
	;; [unrolled: 1-line block ×3, first 2 shown]
	s_movk_i32 s33, 0x1f8
	v_cmp_neq_f32_e64 s[30:31], v18, v17
	v_cmp_class_f32_e64 s[34:35], v18, s33
	s_or_b64 s[30:31], s[30:31], s[34:35]
	v_mov_b32_e32 v36, v1
	s_waitcnt lgkmcnt(0)
	s_barrier
	s_and_saveexec_b64 s[34:35], s[30:31]
	s_cbranch_execz .LBB109_32
; %bb.31:
	v_sub_f32_e32 v18, v18, v17
	s_mov_b32 s30, 0x3fb8aa3b
	v_mul_f32_e32 v19, 0x3fb8aa3b, v18
	v_fma_f32 v20, v18, s30, -v19
	v_rndne_f32_e32 v21, v19
	v_fmac_f32_e32 v20, 0x32a5705f, v18
	v_sub_f32_e32 v19, v19, v21
	v_add_f32_e32 v19, v19, v20
	v_exp_f32_e32 v19, v19
	v_cvt_i32_f32_e32 v20, v21
	s_mov_b32 s30, 0xc2ce8ed0
	v_cmp_ngt_f32_e64 s[30:31], s30, v18
	s_mov_b32 s36, 0x7f800000
	v_ldexp_f32 v19, v19, v20
	v_cndmask_b32_e64 v19, 0, v19, s[30:31]
	s_mov_b32 s30, 0x42b17218
	v_mov_b32_e32 v20, 0x7f800000
	v_cmp_nlt_f32_e64 s[30:31], s30, v18
	v_cndmask_b32_e64 v21, v20, v19, s[30:31]
	v_add_f32_e32 v22, 1.0, v21
	v_cvt_f64_f32_e32 v[18:19], v22
	v_add_f32_e32 v24, -1.0, v22
	v_sub_f32_e32 v25, v24, v22
	v_sub_f32_e32 v24, v21, v24
	v_frexp_exp_i32_f64_e32 v18, v[18:19]
	v_add_f32_e32 v19, 1.0, v25
	v_add_f32_e32 v19, v24, v19
	v_frexp_mant_f32_e32 v24, v22
	s_mov_b32 s30, 0x3f2aaaab
	v_cmp_gt_f32_e64 s[30:31], s30, v24
	v_subbrev_co_u32_e64 v18, s[30:31], 0, v18, s[30:31]
	v_sub_u32_e32 v24, 0, v18
	v_ldexp_f32 v22, v22, v24
	v_ldexp_f32 v19, v19, v24
	v_add_f32_e32 v24, -1.0, v22
	v_add_f32_e32 v27, 1.0, v22
	v_add_f32_e32 v25, 1.0, v24
	v_add_f32_e32 v28, -1.0, v27
	v_sub_f32_e32 v25, v22, v25
	v_sub_f32_e32 v22, v22, v28
	v_add_f32_e32 v25, v19, v25
	v_add_f32_e32 v19, v19, v22
	;; [unrolled: 1-line block ×3, first 2 shown]
	v_rcp_f32_e32 v28, v22
	v_add_f32_e32 v26, v24, v25
	v_sub_f32_e32 v24, v24, v26
	v_add_f32_e32 v24, v25, v24
	v_sub_f32_e32 v25, v27, v22
	v_add_f32_e32 v19, v19, v25
	v_mul_f32_e32 v25, v26, v28
	v_mul_f32_e32 v27, v22, v25
	v_fma_f32 v29, v25, v22, -v27
	v_fmac_f32_e32 v29, v25, v19
	v_add_f32_e32 v30, v27, v29
	v_sub_f32_e32 v34, v26, v30
	v_sub_f32_e32 v26, v26, v34
	;; [unrolled: 1-line block ×4, first 2 shown]
	v_add_f32_e32 v24, v24, v26
	v_sub_f32_e32 v26, v27, v29
	v_add_f32_e32 v24, v26, v24
	v_add_f32_e32 v26, v34, v24
	v_mul_f32_e32 v27, v28, v26
	v_mul_f32_e32 v29, v22, v27
	v_fma_f32 v22, v27, v22, -v29
	v_fmac_f32_e32 v22, v27, v19
	v_sub_f32_e32 v19, v34, v26
	v_add_f32_e32 v19, v24, v19
	v_add_f32_e32 v24, v29, v22
	v_sub_f32_e32 v30, v26, v24
	v_sub_f32_e32 v26, v26, v30
	;; [unrolled: 1-line block ×4, first 2 shown]
	v_add_f32_e32 v19, v19, v24
	v_sub_f32_e32 v22, v29, v22
	v_add_f32_e32 v19, v22, v19
	v_add_f32_e32 v22, v25, v27
	;; [unrolled: 1-line block ×3, first 2 shown]
	v_sub_f32_e32 v24, v22, v25
	v_mul_f32_e32 v19, v28, v19
	v_sub_f32_e32 v24, v27, v24
	v_add_f32_e32 v19, v24, v19
	v_cvt_f32_i32_e32 v18, v18
	v_add_f32_e32 v24, v22, v19
	v_mul_f32_e32 v25, v24, v24
	v_mov_b32_e32 v26, 0x3ecc95a3
	v_fmac_f32_e32 v26, 0x3e9b6dac, v25
	v_mov_b32_e32 v27, 0x3f2aaada
	v_fmac_f32_e32 v27, v25, v26
	s_mov_b32 s30, 0x3f317218
	v_mul_f32_e32 v26, 0x3f317218, v18
	v_fma_f32 v28, v18, s30, -v26
	v_fmac_f32_e32 v28, 0xb102e308, v18
	v_sub_f32_e32 v18, v24, v22
	v_sub_f32_e32 v18, v19, v18
	v_add_f32_e32 v19, v26, v28
	v_sub_f32_e32 v22, v19, v26
	v_ldexp_f32 v26, v24, 1
	v_mul_f32_e32 v24, v24, v25
	v_mul_f32_e32 v24, v24, v27
	v_add_f32_e32 v25, v26, v24
	v_sub_f32_e32 v26, v25, v26
	v_ldexp_f32 v18, v18, 1
	v_sub_f32_e32 v24, v24, v26
	v_add_f32_e32 v18, v18, v24
	v_add_f32_e32 v24, v25, v18
	v_sub_f32_e32 v25, v24, v25
	v_sub_f32_e32 v18, v18, v25
	v_add_f32_e32 v25, v19, v24
	v_sub_f32_e32 v26, v25, v19
	v_sub_f32_e32 v27, v25, v26
	;; [unrolled: 1-line block ×5, first 2 shown]
	v_add_f32_e32 v19, v24, v19
	v_add_f32_e32 v24, v22, v18
	v_sub_f32_e32 v26, v24, v22
	v_sub_f32_e32 v27, v24, v26
	;; [unrolled: 1-line block ×4, first 2 shown]
	v_add_f32_e32 v19, v24, v19
	v_add_f32_e32 v18, v18, v22
	;; [unrolled: 1-line block ×3, first 2 shown]
	v_sub_f32_e32 v24, v22, v25
	v_sub_f32_e32 v19, v19, v24
	v_add_f32_e32 v18, v18, v19
	v_add_f32_e32 v18, v22, v18
	v_cmp_neq_f32_e64 s[30:31], s36, v21
	v_cndmask_b32_e64 v18, v20, v18, s[30:31]
	s_mov_b32 s30, 0x33800000
	v_cmp_lt_f32_e64 s[30:31], |v21|, s30
	v_cndmask_b32_e64 v18, v18, v21, s[30:31]
	v_add_f32_e32 v36, v17, v18
.LBB109_32:
	s_or_b64 exec, exec, s[34:35]
	v_max_f32_e32 v18, v36, v36
	v_max_f32_e32 v17, v13, v13
	v_min_f32_e32 v19, v18, v17
	v_cmp_u_f32_e64 s[34:35], v36, v36
	v_max_f32_e32 v18, v18, v17
	v_cndmask_b32_e64 v19, v19, v36, s[34:35]
	v_cmp_u_f32_e64 s[30:31], v13, v13
	v_cndmask_b32_e64 v18, v18, v36, s[34:35]
	v_cndmask_b32_e64 v19, v19, v13, s[30:31]
	;; [unrolled: 1-line block ×3, first 2 shown]
	v_cmp_neq_f32_e64 s[34:35], v19, v18
	v_cmp_class_f32_e64 s[36:37], v19, s33
	s_or_b64 s[34:35], s[34:35], s[36:37]
	s_and_saveexec_b64 s[36:37], s[34:35]
	s_cbranch_execz .LBB109_34
; %bb.33:
	v_sub_f32_e32 v19, v19, v18
	s_mov_b32 s33, 0x3fb8aa3b
	v_mul_f32_e32 v20, 0x3fb8aa3b, v19
	v_fma_f32 v21, v19, s33, -v20
	v_rndne_f32_e32 v22, v20
	v_fmac_f32_e32 v21, 0x32a5705f, v19
	v_sub_f32_e32 v20, v20, v22
	v_add_f32_e32 v20, v20, v21
	v_exp_f32_e32 v20, v20
	v_cvt_i32_f32_e32 v21, v22
	s_mov_b32 s33, 0xc2ce8ed0
	v_cmp_ngt_f32_e64 s[34:35], s33, v19
	s_mov_b32 s33, 0x42b17218
	v_ldexp_f32 v20, v20, v21
	v_cndmask_b32_e64 v20, 0, v20, s[34:35]
	v_mov_b32_e32 v21, 0x7f800000
	v_cmp_nlt_f32_e64 s[34:35], s33, v19
	v_cndmask_b32_e64 v22, v21, v20, s[34:35]
	v_add_f32_e32 v24, 1.0, v22
	v_cvt_f64_f32_e32 v[19:20], v24
	v_add_f32_e32 v25, -1.0, v24
	v_sub_f32_e32 v26, v25, v24
	v_sub_f32_e32 v25, v22, v25
	v_frexp_exp_i32_f64_e32 v19, v[19:20]
	v_add_f32_e32 v20, 1.0, v26
	v_add_f32_e32 v20, v25, v20
	v_frexp_mant_f32_e32 v25, v24
	s_mov_b32 s34, 0x3f2aaaab
	v_cmp_gt_f32_e64 s[34:35], s34, v25
	s_mov_b32 s33, 0x7f800000
	v_subbrev_co_u32_e64 v19, s[34:35], 0, v19, s[34:35]
	v_sub_u32_e32 v25, 0, v19
	v_ldexp_f32 v24, v24, v25
	v_ldexp_f32 v20, v20, v25
	v_add_f32_e32 v25, -1.0, v24
	v_add_f32_e32 v28, 1.0, v24
	v_add_f32_e32 v26, 1.0, v25
	v_add_f32_e32 v29, -1.0, v28
	v_sub_f32_e32 v26, v24, v26
	v_sub_f32_e32 v24, v24, v29
	v_add_f32_e32 v26, v20, v26
	v_add_f32_e32 v20, v20, v24
	;; [unrolled: 1-line block ×3, first 2 shown]
	v_rcp_f32_e32 v29, v24
	v_add_f32_e32 v27, v25, v26
	v_sub_f32_e32 v25, v25, v27
	v_add_f32_e32 v25, v26, v25
	v_sub_f32_e32 v26, v28, v24
	v_add_f32_e32 v20, v20, v26
	v_mul_f32_e32 v26, v27, v29
	v_mul_f32_e32 v28, v24, v26
	v_fma_f32 v30, v26, v24, -v28
	v_fmac_f32_e32 v30, v26, v20
	v_add_f32_e32 v34, v28, v30
	v_sub_f32_e32 v35, v27, v34
	v_sub_f32_e32 v27, v27, v35
	v_sub_f32_e32 v28, v34, v28
	v_sub_f32_e32 v27, v27, v34
	v_add_f32_e32 v25, v25, v27
	v_sub_f32_e32 v27, v28, v30
	v_add_f32_e32 v25, v27, v25
	v_add_f32_e32 v27, v35, v25
	v_mul_f32_e32 v28, v29, v27
	v_mul_f32_e32 v30, v24, v28
	v_fma_f32 v24, v28, v24, -v30
	v_fmac_f32_e32 v24, v28, v20
	v_sub_f32_e32 v20, v35, v27
	v_add_f32_e32 v20, v25, v20
	v_add_f32_e32 v25, v30, v24
	v_sub_f32_e32 v34, v27, v25
	v_sub_f32_e32 v27, v27, v34
	v_sub_f32_e32 v30, v25, v30
	v_sub_f32_e32 v25, v27, v25
	v_add_f32_e32 v20, v20, v25
	v_sub_f32_e32 v24, v30, v24
	v_add_f32_e32 v20, v24, v20
	v_add_f32_e32 v24, v26, v28
	;; [unrolled: 1-line block ×3, first 2 shown]
	v_sub_f32_e32 v25, v24, v26
	v_mul_f32_e32 v20, v29, v20
	v_sub_f32_e32 v25, v28, v25
	v_add_f32_e32 v20, v25, v20
	v_cvt_f32_i32_e32 v19, v19
	v_add_f32_e32 v25, v24, v20
	v_mul_f32_e32 v26, v25, v25
	v_mov_b32_e32 v27, 0x3ecc95a3
	v_fmac_f32_e32 v27, 0x3e9b6dac, v26
	v_mov_b32_e32 v28, 0x3f2aaada
	v_fmac_f32_e32 v28, v26, v27
	s_mov_b32 s34, 0x3f317218
	v_mul_f32_e32 v27, 0x3f317218, v19
	v_fma_f32 v29, v19, s34, -v27
	v_fmac_f32_e32 v29, 0xb102e308, v19
	v_sub_f32_e32 v19, v25, v24
	v_sub_f32_e32 v19, v20, v19
	v_add_f32_e32 v20, v27, v29
	v_sub_f32_e32 v24, v20, v27
	v_ldexp_f32 v27, v25, 1
	v_mul_f32_e32 v25, v25, v26
	v_mul_f32_e32 v25, v25, v28
	v_add_f32_e32 v26, v27, v25
	v_sub_f32_e32 v27, v26, v27
	v_ldexp_f32 v19, v19, 1
	v_sub_f32_e32 v25, v25, v27
	v_add_f32_e32 v19, v19, v25
	v_add_f32_e32 v25, v26, v19
	v_sub_f32_e32 v26, v25, v26
	v_sub_f32_e32 v19, v19, v26
	v_add_f32_e32 v26, v20, v25
	v_sub_f32_e32 v27, v26, v20
	v_sub_f32_e32 v28, v26, v27
	;; [unrolled: 1-line block ×5, first 2 shown]
	v_add_f32_e32 v20, v25, v20
	v_add_f32_e32 v25, v24, v19
	v_sub_f32_e32 v27, v25, v24
	v_sub_f32_e32 v28, v25, v27
	;; [unrolled: 1-line block ×4, first 2 shown]
	v_add_f32_e32 v20, v25, v20
	v_add_f32_e32 v19, v19, v24
	;; [unrolled: 1-line block ×3, first 2 shown]
	v_sub_f32_e32 v25, v24, v26
	v_sub_f32_e32 v20, v20, v25
	v_add_f32_e32 v19, v19, v20
	v_add_f32_e32 v19, v24, v19
	v_cmp_neq_f32_e64 s[34:35], s33, v22
	s_mov_b32 s33, 0x33800000
	v_cndmask_b32_e64 v19, v21, v19, s[34:35]
	v_cmp_lt_f32_e64 s[34:35], |v22|, s33
	v_cndmask_b32_e64 v19, v19, v22, s[34:35]
	v_add_f32_e32 v36, v18, v19
.LBB109_34:
	s_or_b64 exec, exec, s[36:37]
	v_max_f32_e32 v19, v36, v36
	v_max_f32_e32 v18, v14, v14
	v_min_f32_e32 v20, v19, v18
	v_cmp_u_f32_e64 s[36:37], v36, v36
	v_max_f32_e32 v19, v19, v18
	v_cndmask_b32_e64 v20, v20, v36, s[36:37]
	v_cmp_u_f32_e64 s[34:35], v14, v14
	v_cndmask_b32_e64 v19, v19, v36, s[36:37]
	v_cndmask_b32_e64 v20, v20, v14, s[34:35]
	;; [unrolled: 1-line block ×3, first 2 shown]
	s_movk_i32 s33, 0x1f8
	v_cmp_neq_f32_e64 s[36:37], v20, v19
	v_cmp_class_f32_e64 s[38:39], v20, s33
	s_or_b64 s[36:37], s[36:37], s[38:39]
	s_and_saveexec_b64 s[38:39], s[36:37]
	s_cbranch_execz .LBB109_36
; %bb.35:
	v_sub_f32_e32 v20, v20, v19
	s_mov_b32 s36, 0x3fb8aa3b
	v_mul_f32_e32 v21, 0x3fb8aa3b, v20
	v_fma_f32 v22, v20, s36, -v21
	v_rndne_f32_e32 v24, v21
	v_fmac_f32_e32 v22, 0x32a5705f, v20
	v_sub_f32_e32 v21, v21, v24
	v_add_f32_e32 v21, v21, v22
	v_exp_f32_e32 v21, v21
	v_cvt_i32_f32_e32 v22, v24
	s_mov_b32 s36, 0xc2ce8ed0
	v_cmp_ngt_f32_e64 s[36:37], s36, v20
	s_mov_b32 s40, 0x7f800000
	v_ldexp_f32 v21, v21, v22
	v_cndmask_b32_e64 v21, 0, v21, s[36:37]
	s_mov_b32 s36, 0x42b17218
	v_mov_b32_e32 v22, 0x7f800000
	v_cmp_nlt_f32_e64 s[36:37], s36, v20
	v_cndmask_b32_e64 v24, v22, v21, s[36:37]
	v_add_f32_e32 v25, 1.0, v24
	v_cvt_f64_f32_e32 v[20:21], v25
	v_add_f32_e32 v26, -1.0, v25
	v_sub_f32_e32 v27, v26, v25
	v_sub_f32_e32 v26, v24, v26
	v_frexp_exp_i32_f64_e32 v20, v[20:21]
	v_add_f32_e32 v21, 1.0, v27
	v_add_f32_e32 v21, v26, v21
	v_frexp_mant_f32_e32 v26, v25
	s_mov_b32 s36, 0x3f2aaaab
	v_cmp_gt_f32_e64 s[36:37], s36, v26
	v_subbrev_co_u32_e64 v20, s[36:37], 0, v20, s[36:37]
	v_sub_u32_e32 v26, 0, v20
	v_ldexp_f32 v25, v25, v26
	v_ldexp_f32 v21, v21, v26
	v_add_f32_e32 v26, -1.0, v25
	v_add_f32_e32 v29, 1.0, v25
	v_add_f32_e32 v27, 1.0, v26
	v_add_f32_e32 v30, -1.0, v29
	v_sub_f32_e32 v27, v25, v27
	v_sub_f32_e32 v25, v25, v30
	v_add_f32_e32 v27, v21, v27
	v_add_f32_e32 v21, v21, v25
	;; [unrolled: 1-line block ×3, first 2 shown]
	v_rcp_f32_e32 v30, v25
	v_add_f32_e32 v28, v26, v27
	v_sub_f32_e32 v26, v26, v28
	v_add_f32_e32 v26, v27, v26
	v_sub_f32_e32 v27, v29, v25
	v_add_f32_e32 v21, v21, v27
	v_mul_f32_e32 v27, v28, v30
	v_mul_f32_e32 v29, v25, v27
	v_fma_f32 v34, v27, v25, -v29
	v_fmac_f32_e32 v34, v27, v21
	v_add_f32_e32 v35, v29, v34
	v_sub_f32_e32 v36, v28, v35
	v_sub_f32_e32 v28, v28, v36
	;; [unrolled: 1-line block ×4, first 2 shown]
	v_add_f32_e32 v26, v26, v28
	v_sub_f32_e32 v28, v29, v34
	v_add_f32_e32 v26, v28, v26
	v_add_f32_e32 v28, v36, v26
	v_mul_f32_e32 v29, v30, v28
	v_mul_f32_e32 v34, v25, v29
	v_fma_f32 v25, v29, v25, -v34
	v_fmac_f32_e32 v25, v29, v21
	v_sub_f32_e32 v21, v36, v28
	v_add_f32_e32 v21, v26, v21
	v_add_f32_e32 v26, v34, v25
	v_sub_f32_e32 v35, v28, v26
	v_sub_f32_e32 v28, v28, v35
	;; [unrolled: 1-line block ×4, first 2 shown]
	v_add_f32_e32 v21, v21, v26
	v_sub_f32_e32 v25, v34, v25
	v_add_f32_e32 v21, v25, v21
	v_add_f32_e32 v25, v27, v29
	;; [unrolled: 1-line block ×3, first 2 shown]
	v_sub_f32_e32 v26, v25, v27
	v_mul_f32_e32 v21, v30, v21
	v_sub_f32_e32 v26, v29, v26
	v_add_f32_e32 v21, v26, v21
	v_cvt_f32_i32_e32 v20, v20
	v_add_f32_e32 v26, v25, v21
	v_mul_f32_e32 v27, v26, v26
	v_mov_b32_e32 v28, 0x3ecc95a3
	v_fmac_f32_e32 v28, 0x3e9b6dac, v27
	v_mov_b32_e32 v29, 0x3f2aaada
	v_fmac_f32_e32 v29, v27, v28
	s_mov_b32 s36, 0x3f317218
	v_mul_f32_e32 v28, 0x3f317218, v20
	v_fma_f32 v30, v20, s36, -v28
	v_fmac_f32_e32 v30, 0xb102e308, v20
	v_sub_f32_e32 v20, v26, v25
	v_sub_f32_e32 v20, v21, v20
	v_add_f32_e32 v21, v28, v30
	v_sub_f32_e32 v25, v21, v28
	v_ldexp_f32 v28, v26, 1
	v_mul_f32_e32 v26, v26, v27
	v_mul_f32_e32 v26, v26, v29
	v_add_f32_e32 v27, v28, v26
	v_sub_f32_e32 v28, v27, v28
	v_ldexp_f32 v20, v20, 1
	v_sub_f32_e32 v26, v26, v28
	v_add_f32_e32 v20, v20, v26
	v_add_f32_e32 v26, v27, v20
	v_sub_f32_e32 v27, v26, v27
	v_sub_f32_e32 v20, v20, v27
	v_add_f32_e32 v27, v21, v26
	v_sub_f32_e32 v28, v27, v21
	v_sub_f32_e32 v29, v27, v28
	;; [unrolled: 1-line block ×5, first 2 shown]
	v_add_f32_e32 v21, v26, v21
	v_add_f32_e32 v26, v25, v20
	v_sub_f32_e32 v28, v26, v25
	v_sub_f32_e32 v29, v26, v28
	;; [unrolled: 1-line block ×4, first 2 shown]
	v_add_f32_e32 v21, v26, v21
	v_add_f32_e32 v20, v20, v25
	;; [unrolled: 1-line block ×3, first 2 shown]
	v_sub_f32_e32 v26, v25, v27
	v_sub_f32_e32 v21, v21, v26
	v_add_f32_e32 v20, v20, v21
	v_add_f32_e32 v20, v25, v20
	v_cmp_neq_f32_e64 s[36:37], s40, v24
	v_cndmask_b32_e64 v20, v22, v20, s[36:37]
	s_mov_b32 s36, 0x33800000
	v_cmp_lt_f32_e64 s[36:37], |v24|, s36
	v_cndmask_b32_e64 v20, v20, v24, s[36:37]
	v_add_f32_e32 v36, v19, v20
.LBB109_36:
	s_or_b64 exec, exec, s[38:39]
	v_max_f32_e32 v20, v36, v36
	v_max_f32_e32 v19, v11, v11
	v_min_f32_e32 v21, v20, v19
	v_cmp_u_f32_e64 s[38:39], v36, v36
	v_max_f32_e32 v20, v20, v19
	v_cndmask_b32_e64 v21, v21, v36, s[38:39]
	v_cmp_u_f32_e64 s[36:37], v11, v11
	v_cndmask_b32_e64 v20, v20, v36, s[38:39]
	v_cndmask_b32_e64 v21, v21, v11, s[36:37]
	;; [unrolled: 1-line block ×3, first 2 shown]
	v_cmp_neq_f32_e64 s[38:39], v21, v20
	v_cmp_class_f32_e64 s[40:41], v21, s33
	s_or_b64 s[38:39], s[38:39], s[40:41]
	s_and_saveexec_b64 s[40:41], s[38:39]
	s_cbranch_execz .LBB109_38
; %bb.37:
	v_sub_f32_e32 v21, v21, v20
	s_mov_b32 s33, 0x3fb8aa3b
	v_mul_f32_e32 v22, 0x3fb8aa3b, v21
	v_fma_f32 v24, v21, s33, -v22
	v_rndne_f32_e32 v25, v22
	v_fmac_f32_e32 v24, 0x32a5705f, v21
	v_sub_f32_e32 v22, v22, v25
	v_add_f32_e32 v22, v22, v24
	v_exp_f32_e32 v22, v22
	v_cvt_i32_f32_e32 v24, v25
	s_mov_b32 s33, 0xc2ce8ed0
	v_cmp_ngt_f32_e64 s[38:39], s33, v21
	s_mov_b32 s33, 0x42b17218
	v_ldexp_f32 v22, v22, v24
	v_cndmask_b32_e64 v22, 0, v22, s[38:39]
	v_mov_b32_e32 v24, 0x7f800000
	v_cmp_nlt_f32_e64 s[38:39], s33, v21
	v_cndmask_b32_e64 v25, v24, v22, s[38:39]
	v_add_f32_e32 v26, 1.0, v25
	v_cvt_f64_f32_e32 v[21:22], v26
	v_add_f32_e32 v27, -1.0, v26
	v_sub_f32_e32 v28, v27, v26
	v_sub_f32_e32 v27, v25, v27
	v_frexp_exp_i32_f64_e32 v21, v[21:22]
	v_add_f32_e32 v22, 1.0, v28
	v_add_f32_e32 v22, v27, v22
	v_frexp_mant_f32_e32 v27, v26
	s_mov_b32 s38, 0x3f2aaaab
	v_cmp_gt_f32_e64 s[38:39], s38, v27
	s_mov_b32 s33, 0x7f800000
	v_subbrev_co_u32_e64 v21, s[38:39], 0, v21, s[38:39]
	v_sub_u32_e32 v27, 0, v21
	v_ldexp_f32 v26, v26, v27
	v_ldexp_f32 v22, v22, v27
	v_add_f32_e32 v27, -1.0, v26
	v_add_f32_e32 v30, 1.0, v26
	v_add_f32_e32 v28, 1.0, v27
	v_add_f32_e32 v34, -1.0, v30
	v_sub_f32_e32 v28, v26, v28
	v_sub_f32_e32 v26, v26, v34
	v_add_f32_e32 v28, v22, v28
	v_add_f32_e32 v22, v22, v26
	;; [unrolled: 1-line block ×3, first 2 shown]
	v_rcp_f32_e32 v34, v26
	v_add_f32_e32 v29, v27, v28
	v_sub_f32_e32 v27, v27, v29
	v_add_f32_e32 v27, v28, v27
	v_sub_f32_e32 v28, v30, v26
	v_add_f32_e32 v22, v22, v28
	v_mul_f32_e32 v28, v29, v34
	v_mul_f32_e32 v30, v26, v28
	v_fma_f32 v35, v28, v26, -v30
	v_fmac_f32_e32 v35, v28, v22
	v_add_f32_e32 v36, v30, v35
	v_sub_f32_e32 v37, v29, v36
	v_sub_f32_e32 v29, v29, v37
	;; [unrolled: 1-line block ×4, first 2 shown]
	v_add_f32_e32 v27, v27, v29
	v_sub_f32_e32 v29, v30, v35
	v_add_f32_e32 v27, v29, v27
	v_add_f32_e32 v29, v37, v27
	v_mul_f32_e32 v30, v34, v29
	v_mul_f32_e32 v35, v26, v30
	v_fma_f32 v26, v30, v26, -v35
	v_fmac_f32_e32 v26, v30, v22
	v_sub_f32_e32 v22, v37, v29
	v_add_f32_e32 v22, v27, v22
	v_add_f32_e32 v27, v35, v26
	v_sub_f32_e32 v36, v29, v27
	v_sub_f32_e32 v29, v29, v36
	;; [unrolled: 1-line block ×4, first 2 shown]
	v_add_f32_e32 v22, v22, v27
	v_sub_f32_e32 v26, v35, v26
	v_add_f32_e32 v22, v26, v22
	v_add_f32_e32 v26, v28, v30
	;; [unrolled: 1-line block ×3, first 2 shown]
	v_sub_f32_e32 v27, v26, v28
	v_mul_f32_e32 v22, v34, v22
	v_sub_f32_e32 v27, v30, v27
	v_add_f32_e32 v22, v27, v22
	v_cvt_f32_i32_e32 v21, v21
	v_add_f32_e32 v27, v26, v22
	v_mul_f32_e32 v28, v27, v27
	v_mov_b32_e32 v29, 0x3ecc95a3
	v_fmac_f32_e32 v29, 0x3e9b6dac, v28
	v_mov_b32_e32 v30, 0x3f2aaada
	v_fmac_f32_e32 v30, v28, v29
	s_mov_b32 s38, 0x3f317218
	v_mul_f32_e32 v29, 0x3f317218, v21
	v_fma_f32 v34, v21, s38, -v29
	v_fmac_f32_e32 v34, 0xb102e308, v21
	v_sub_f32_e32 v21, v27, v26
	v_sub_f32_e32 v21, v22, v21
	v_add_f32_e32 v22, v29, v34
	v_sub_f32_e32 v26, v22, v29
	v_ldexp_f32 v29, v27, 1
	v_mul_f32_e32 v27, v27, v28
	v_mul_f32_e32 v27, v27, v30
	v_add_f32_e32 v28, v29, v27
	v_sub_f32_e32 v29, v28, v29
	v_ldexp_f32 v21, v21, 1
	v_sub_f32_e32 v27, v27, v29
	v_add_f32_e32 v21, v21, v27
	v_add_f32_e32 v27, v28, v21
	v_sub_f32_e32 v28, v27, v28
	v_sub_f32_e32 v21, v21, v28
	v_add_f32_e32 v28, v22, v27
	v_sub_f32_e32 v29, v28, v22
	v_sub_f32_e32 v30, v28, v29
	;; [unrolled: 1-line block ×5, first 2 shown]
	v_add_f32_e32 v22, v27, v22
	v_add_f32_e32 v27, v26, v21
	v_sub_f32_e32 v29, v27, v26
	v_sub_f32_e32 v30, v27, v29
	v_sub_f32_e32 v26, v26, v30
	v_sub_f32_e32 v21, v21, v29
	v_add_f32_e32 v22, v27, v22
	v_add_f32_e32 v21, v21, v26
	;; [unrolled: 1-line block ×3, first 2 shown]
	v_sub_f32_e32 v27, v26, v28
	v_sub_f32_e32 v22, v22, v27
	v_add_f32_e32 v21, v21, v22
	v_add_f32_e32 v21, v26, v21
	v_cmp_neq_f32_e64 s[38:39], s33, v25
	s_mov_b32 s33, 0x33800000
	v_cndmask_b32_e64 v21, v24, v21, s[38:39]
	v_cmp_lt_f32_e64 s[38:39], |v25|, s33
	v_cndmask_b32_e64 v21, v21, v25, s[38:39]
	v_add_f32_e32 v36, v20, v21
.LBB109_38:
	s_or_b64 exec, exec, s[40:41]
	v_max_f32_e32 v21, v36, v36
	v_max_f32_e32 v20, v12, v12
	v_min_f32_e32 v22, v21, v20
	v_cmp_u_f32_e64 s[40:41], v36, v36
	v_max_f32_e32 v21, v21, v20
	v_cndmask_b32_e64 v22, v22, v36, s[40:41]
	v_cmp_u_f32_e64 s[38:39], v12, v12
	v_cndmask_b32_e64 v21, v21, v36, s[40:41]
	v_cndmask_b32_e64 v22, v22, v12, s[38:39]
	;; [unrolled: 1-line block ×3, first 2 shown]
	s_movk_i32 s33, 0x1f8
	v_cmp_neq_f32_e64 s[40:41], v22, v21
	v_cmp_class_f32_e64 s[42:43], v22, s33
	s_or_b64 s[40:41], s[40:41], s[42:43]
	s_and_saveexec_b64 s[42:43], s[40:41]
	s_cbranch_execz .LBB109_40
; %bb.39:
	v_sub_f32_e32 v22, v22, v21
	s_mov_b32 s40, 0x3fb8aa3b
	v_mul_f32_e32 v24, 0x3fb8aa3b, v22
	v_fma_f32 v25, v22, s40, -v24
	v_rndne_f32_e32 v26, v24
	v_fmac_f32_e32 v25, 0x32a5705f, v22
	v_sub_f32_e32 v24, v24, v26
	v_add_f32_e32 v24, v24, v25
	v_exp_f32_e32 v24, v24
	v_cvt_i32_f32_e32 v25, v26
	s_mov_b32 s40, 0xc2ce8ed0
	v_cmp_ngt_f32_e64 s[40:41], s40, v22
	v_mov_b32_e32 v26, 0x7f800000
	v_ldexp_f32 v24, v24, v25
	v_cndmask_b32_e64 v24, 0, v24, s[40:41]
	s_mov_b32 s40, 0x42b17218
	v_cmp_nlt_f32_e64 s[40:41], s40, v22
	v_cndmask_b32_e64 v22, v26, v24, s[40:41]
	v_add_f32_e32 v27, 1.0, v22
	v_cvt_f64_f32_e32 v[24:25], v27
	v_add_f32_e32 v28, -1.0, v27
	v_sub_f32_e32 v29, v28, v27
	v_sub_f32_e32 v28, v22, v28
	v_frexp_exp_i32_f64_e32 v24, v[24:25]
	v_add_f32_e32 v25, 1.0, v29
	v_add_f32_e32 v25, v28, v25
	v_frexp_mant_f32_e32 v28, v27
	s_mov_b32 s40, 0x3f2aaaab
	v_cmp_gt_f32_e64 s[40:41], s40, v28
	s_mov_b32 s44, 0x7f800000
	v_subbrev_co_u32_e64 v24, s[40:41], 0, v24, s[40:41]
	v_sub_u32_e32 v28, 0, v24
	v_ldexp_f32 v27, v27, v28
	v_ldexp_f32 v25, v25, v28
	v_add_f32_e32 v28, -1.0, v27
	v_add_f32_e32 v34, 1.0, v27
	v_add_f32_e32 v29, 1.0, v28
	v_add_f32_e32 v35, -1.0, v34
	v_sub_f32_e32 v29, v27, v29
	v_sub_f32_e32 v27, v27, v35
	v_add_f32_e32 v29, v25, v29
	v_add_f32_e32 v25, v25, v27
	;; [unrolled: 1-line block ×3, first 2 shown]
	v_rcp_f32_e32 v35, v27
	v_add_f32_e32 v30, v28, v29
	v_sub_f32_e32 v28, v28, v30
	v_add_f32_e32 v28, v29, v28
	v_sub_f32_e32 v29, v34, v27
	v_add_f32_e32 v25, v25, v29
	v_mul_f32_e32 v29, v30, v35
	v_mul_f32_e32 v34, v27, v29
	v_fma_f32 v36, v29, v27, -v34
	v_fmac_f32_e32 v36, v29, v25
	v_add_f32_e32 v37, v34, v36
	v_sub_f32_e32 v38, v30, v37
	v_sub_f32_e32 v30, v30, v38
	;; [unrolled: 1-line block ×4, first 2 shown]
	v_add_f32_e32 v28, v28, v30
	v_sub_f32_e32 v30, v34, v36
	v_add_f32_e32 v28, v30, v28
	v_add_f32_e32 v30, v38, v28
	v_mul_f32_e32 v34, v35, v30
	v_mul_f32_e32 v36, v27, v34
	v_fma_f32 v27, v34, v27, -v36
	v_fmac_f32_e32 v27, v34, v25
	v_sub_f32_e32 v25, v38, v30
	v_add_f32_e32 v25, v28, v25
	v_add_f32_e32 v28, v36, v27
	v_sub_f32_e32 v37, v30, v28
	v_sub_f32_e32 v30, v30, v37
	;; [unrolled: 1-line block ×4, first 2 shown]
	v_add_f32_e32 v25, v25, v28
	v_sub_f32_e32 v27, v36, v27
	v_add_f32_e32 v25, v27, v25
	v_add_f32_e32 v27, v29, v34
	;; [unrolled: 1-line block ×3, first 2 shown]
	v_sub_f32_e32 v28, v27, v29
	v_mul_f32_e32 v25, v35, v25
	v_sub_f32_e32 v28, v34, v28
	v_add_f32_e32 v25, v28, v25
	v_cvt_f32_i32_e32 v24, v24
	v_add_f32_e32 v28, v27, v25
	v_mul_f32_e32 v29, v28, v28
	v_mov_b32_e32 v30, 0x3ecc95a3
	v_fmac_f32_e32 v30, 0x3e9b6dac, v29
	v_mov_b32_e32 v34, 0x3f2aaada
	v_fmac_f32_e32 v34, v29, v30
	s_mov_b32 s40, 0x3f317218
	v_mul_f32_e32 v30, 0x3f317218, v24
	v_fma_f32 v35, v24, s40, -v30
	v_fmac_f32_e32 v35, 0xb102e308, v24
	v_sub_f32_e32 v24, v28, v27
	v_sub_f32_e32 v24, v25, v24
	v_add_f32_e32 v25, v30, v35
	v_sub_f32_e32 v27, v25, v30
	v_ldexp_f32 v30, v28, 1
	v_mul_f32_e32 v28, v28, v29
	v_mul_f32_e32 v28, v28, v34
	v_add_f32_e32 v29, v30, v28
	v_sub_f32_e32 v30, v29, v30
	v_ldexp_f32 v24, v24, 1
	v_sub_f32_e32 v28, v28, v30
	v_add_f32_e32 v24, v24, v28
	v_add_f32_e32 v28, v29, v24
	v_sub_f32_e32 v29, v28, v29
	v_sub_f32_e32 v24, v24, v29
	v_add_f32_e32 v29, v25, v28
	v_sub_f32_e32 v30, v29, v25
	v_sub_f32_e32 v34, v29, v30
	;; [unrolled: 1-line block ×5, first 2 shown]
	v_add_f32_e32 v25, v28, v25
	v_add_f32_e32 v28, v27, v24
	v_sub_f32_e32 v30, v28, v27
	v_sub_f32_e32 v34, v28, v30
	;; [unrolled: 1-line block ×4, first 2 shown]
	v_add_f32_e32 v25, v28, v25
	v_add_f32_e32 v24, v24, v27
	;; [unrolled: 1-line block ×3, first 2 shown]
	v_sub_f32_e32 v28, v27, v29
	v_sub_f32_e32 v25, v25, v28
	v_add_f32_e32 v24, v24, v25
	v_add_f32_e32 v24, v27, v24
	v_cmp_neq_f32_e64 s[40:41], s44, v22
	v_cndmask_b32_e64 v24, v26, v24, s[40:41]
	s_mov_b32 s40, 0x33800000
	v_cmp_lt_f32_e64 s[40:41], |v22|, s40
	v_cndmask_b32_e64 v22, v24, v22, s[40:41]
	v_add_f32_e32 v36, v21, v22
.LBB109_40:
	s_or_b64 exec, exec, s[42:43]
	v_max_f32_e32 v22, v36, v36
	v_max_f32_e32 v21, v9, v9
	v_min_f32_e32 v24, v22, v21
	v_cmp_u_f32_e64 s[42:43], v36, v36
	v_max_f32_e32 v22, v22, v21
	v_cndmask_b32_e64 v24, v24, v36, s[42:43]
	v_cmp_u_f32_e64 s[40:41], v9, v9
	v_cndmask_b32_e64 v22, v22, v36, s[42:43]
	v_cndmask_b32_e64 v24, v24, v9, s[40:41]
	;; [unrolled: 1-line block ×3, first 2 shown]
	v_cmp_neq_f32_e64 s[42:43], v24, v22
	v_cmp_class_f32_e64 s[44:45], v24, s33
	s_or_b64 s[42:43], s[42:43], s[44:45]
	s_and_saveexec_b64 s[44:45], s[42:43]
	s_cbranch_execz .LBB109_42
; %bb.41:
	v_sub_f32_e32 v24, v24, v22
	s_mov_b32 s33, 0x3fb8aa3b
	v_mul_f32_e32 v25, 0x3fb8aa3b, v24
	v_fma_f32 v26, v24, s33, -v25
	v_rndne_f32_e32 v27, v25
	v_fmac_f32_e32 v26, 0x32a5705f, v24
	v_sub_f32_e32 v25, v25, v27
	v_add_f32_e32 v25, v25, v26
	v_exp_f32_e32 v25, v25
	v_cvt_i32_f32_e32 v26, v27
	s_mov_b32 s33, 0xc2ce8ed0
	v_cmp_ngt_f32_e64 s[42:43], s33, v24
	s_mov_b32 s33, 0x42b17218
	v_ldexp_f32 v25, v25, v26
	v_cndmask_b32_e64 v25, 0, v25, s[42:43]
	v_mov_b32_e32 v26, 0x7f800000
	v_cmp_nlt_f32_e64 s[42:43], s33, v24
	v_cndmask_b32_e64 v27, v26, v25, s[42:43]
	v_add_f32_e32 v28, 1.0, v27
	v_cvt_f64_f32_e32 v[24:25], v28
	v_add_f32_e32 v29, -1.0, v28
	v_sub_f32_e32 v30, v29, v28
	v_sub_f32_e32 v29, v27, v29
	v_frexp_exp_i32_f64_e32 v24, v[24:25]
	v_add_f32_e32 v25, 1.0, v30
	v_add_f32_e32 v25, v29, v25
	v_frexp_mant_f32_e32 v29, v28
	s_mov_b32 s42, 0x3f2aaaab
	v_cmp_gt_f32_e64 s[42:43], s42, v29
	s_mov_b32 s33, 0x7f800000
	v_subbrev_co_u32_e64 v24, s[42:43], 0, v24, s[42:43]
	v_sub_u32_e32 v29, 0, v24
	v_ldexp_f32 v28, v28, v29
	v_ldexp_f32 v25, v25, v29
	v_add_f32_e32 v29, -1.0, v28
	v_add_f32_e32 v35, 1.0, v28
	v_add_f32_e32 v30, 1.0, v29
	v_add_f32_e32 v36, -1.0, v35
	v_sub_f32_e32 v30, v28, v30
	v_sub_f32_e32 v28, v28, v36
	v_add_f32_e32 v30, v25, v30
	v_add_f32_e32 v25, v25, v28
	;; [unrolled: 1-line block ×3, first 2 shown]
	v_rcp_f32_e32 v36, v28
	v_add_f32_e32 v34, v29, v30
	v_sub_f32_e32 v29, v29, v34
	v_add_f32_e32 v29, v30, v29
	v_sub_f32_e32 v30, v35, v28
	v_add_f32_e32 v25, v25, v30
	v_mul_f32_e32 v30, v34, v36
	v_mul_f32_e32 v35, v28, v30
	v_fma_f32 v37, v30, v28, -v35
	v_fmac_f32_e32 v37, v30, v25
	v_add_f32_e32 v38, v35, v37
	v_sub_f32_e32 v39, v34, v38
	v_sub_f32_e32 v34, v34, v39
	v_sub_f32_e32 v35, v38, v35
	v_sub_f32_e32 v34, v34, v38
	v_add_f32_e32 v29, v29, v34
	v_sub_f32_e32 v34, v35, v37
	v_add_f32_e32 v29, v34, v29
	v_add_f32_e32 v34, v39, v29
	v_mul_f32_e32 v35, v36, v34
	v_mul_f32_e32 v37, v28, v35
	v_fma_f32 v28, v35, v28, -v37
	v_fmac_f32_e32 v28, v35, v25
	v_sub_f32_e32 v25, v39, v34
	v_add_f32_e32 v25, v29, v25
	v_add_f32_e32 v29, v37, v28
	v_sub_f32_e32 v38, v34, v29
	v_sub_f32_e32 v34, v34, v38
	;; [unrolled: 1-line block ×4, first 2 shown]
	v_add_f32_e32 v25, v25, v29
	v_sub_f32_e32 v28, v37, v28
	v_add_f32_e32 v25, v28, v25
	v_add_f32_e32 v28, v30, v35
	;; [unrolled: 1-line block ×3, first 2 shown]
	v_sub_f32_e32 v29, v28, v30
	v_mul_f32_e32 v25, v36, v25
	v_sub_f32_e32 v29, v35, v29
	v_add_f32_e32 v25, v29, v25
	v_cvt_f32_i32_e32 v24, v24
	v_add_f32_e32 v29, v28, v25
	v_mul_f32_e32 v30, v29, v29
	v_mov_b32_e32 v34, 0x3ecc95a3
	v_fmac_f32_e32 v34, 0x3e9b6dac, v30
	v_mov_b32_e32 v35, 0x3f2aaada
	v_fmac_f32_e32 v35, v30, v34
	s_mov_b32 s42, 0x3f317218
	v_mul_f32_e32 v34, 0x3f317218, v24
	v_fma_f32 v36, v24, s42, -v34
	v_fmac_f32_e32 v36, 0xb102e308, v24
	v_sub_f32_e32 v24, v29, v28
	v_sub_f32_e32 v24, v25, v24
	v_add_f32_e32 v25, v34, v36
	v_sub_f32_e32 v28, v25, v34
	v_ldexp_f32 v34, v29, 1
	v_mul_f32_e32 v29, v29, v30
	v_mul_f32_e32 v29, v29, v35
	v_add_f32_e32 v30, v34, v29
	v_sub_f32_e32 v34, v30, v34
	v_ldexp_f32 v24, v24, 1
	v_sub_f32_e32 v29, v29, v34
	v_add_f32_e32 v24, v24, v29
	v_add_f32_e32 v29, v30, v24
	v_sub_f32_e32 v30, v29, v30
	v_sub_f32_e32 v24, v24, v30
	v_add_f32_e32 v30, v25, v29
	v_sub_f32_e32 v34, v30, v25
	v_sub_f32_e32 v35, v30, v34
	;; [unrolled: 1-line block ×5, first 2 shown]
	v_add_f32_e32 v25, v29, v25
	v_add_f32_e32 v29, v28, v24
	v_sub_f32_e32 v34, v29, v28
	v_sub_f32_e32 v35, v29, v34
	;; [unrolled: 1-line block ×4, first 2 shown]
	v_add_f32_e32 v25, v29, v25
	v_add_f32_e32 v24, v24, v28
	;; [unrolled: 1-line block ×3, first 2 shown]
	v_sub_f32_e32 v29, v28, v30
	v_sub_f32_e32 v25, v25, v29
	v_add_f32_e32 v24, v24, v25
	v_add_f32_e32 v24, v28, v24
	v_cmp_neq_f32_e64 s[42:43], s33, v27
	s_mov_b32 s33, 0x33800000
	v_cndmask_b32_e64 v24, v26, v24, s[42:43]
	v_cmp_lt_f32_e64 s[42:43], |v27|, s33
	v_cndmask_b32_e64 v24, v24, v27, s[42:43]
	v_add_f32_e32 v36, v22, v24
.LBB109_42:
	s_or_b64 exec, exec, s[44:45]
	v_max_f32_e32 v24, v36, v36
	v_max_f32_e32 v22, v10, v10
	v_min_f32_e32 v25, v24, v22
	v_cmp_u_f32_e64 s[44:45], v36, v36
	v_max_f32_e32 v24, v24, v22
	v_cndmask_b32_e64 v25, v25, v36, s[44:45]
	v_cmp_u_f32_e64 s[42:43], v10, v10
	v_cndmask_b32_e64 v24, v24, v36, s[44:45]
	v_cndmask_b32_e64 v25, v25, v10, s[42:43]
	;; [unrolled: 1-line block ×3, first 2 shown]
	s_movk_i32 s33, 0x1f8
	v_cmp_neq_f32_e64 s[44:45], v25, v24
	v_cmp_class_f32_e64 s[46:47], v25, s33
	s_or_b64 s[44:45], s[44:45], s[46:47]
	s_and_saveexec_b64 s[46:47], s[44:45]
	s_cbranch_execz .LBB109_44
; %bb.43:
	v_sub_f32_e32 v25, v25, v24
	s_mov_b32 s44, 0x3fb8aa3b
	v_mul_f32_e32 v26, 0x3fb8aa3b, v25
	v_fma_f32 v27, v25, s44, -v26
	v_rndne_f32_e32 v28, v26
	v_fmac_f32_e32 v27, 0x32a5705f, v25
	v_sub_f32_e32 v26, v26, v28
	v_add_f32_e32 v26, v26, v27
	v_exp_f32_e32 v26, v26
	v_cvt_i32_f32_e32 v27, v28
	s_mov_b32 s44, 0xc2ce8ed0
	v_cmp_ngt_f32_e64 s[44:45], s44, v25
	s_mov_b32 s48, 0x7f800000
	v_ldexp_f32 v26, v26, v27
	v_cndmask_b32_e64 v26, 0, v26, s[44:45]
	s_mov_b32 s44, 0x42b17218
	v_mov_b32_e32 v27, 0x7f800000
	v_cmp_nlt_f32_e64 s[44:45], s44, v25
	v_cndmask_b32_e64 v28, v27, v26, s[44:45]
	v_add_f32_e32 v29, 1.0, v28
	v_cvt_f64_f32_e32 v[25:26], v29
	v_add_f32_e32 v30, -1.0, v29
	v_sub_f32_e32 v34, v30, v29
	v_sub_f32_e32 v30, v28, v30
	v_frexp_exp_i32_f64_e32 v25, v[25:26]
	v_add_f32_e32 v26, 1.0, v34
	v_add_f32_e32 v26, v30, v26
	v_frexp_mant_f32_e32 v30, v29
	s_mov_b32 s44, 0x3f2aaaab
	v_cmp_gt_f32_e64 s[44:45], s44, v30
	v_subbrev_co_u32_e64 v25, s[44:45], 0, v25, s[44:45]
	v_sub_u32_e32 v30, 0, v25
	v_ldexp_f32 v29, v29, v30
	v_ldexp_f32 v26, v26, v30
	v_add_f32_e32 v30, -1.0, v29
	v_add_f32_e32 v36, 1.0, v29
	v_add_f32_e32 v34, 1.0, v30
	v_add_f32_e32 v37, -1.0, v36
	v_sub_f32_e32 v34, v29, v34
	v_sub_f32_e32 v29, v29, v37
	v_add_f32_e32 v34, v26, v34
	v_add_f32_e32 v26, v26, v29
	;; [unrolled: 1-line block ×3, first 2 shown]
	v_rcp_f32_e32 v37, v29
	v_add_f32_e32 v35, v30, v34
	v_sub_f32_e32 v30, v30, v35
	v_add_f32_e32 v30, v34, v30
	v_sub_f32_e32 v34, v36, v29
	v_add_f32_e32 v26, v26, v34
	v_mul_f32_e32 v34, v35, v37
	v_mul_f32_e32 v36, v29, v34
	v_fma_f32 v38, v34, v29, -v36
	v_fmac_f32_e32 v38, v34, v26
	v_add_f32_e32 v39, v36, v38
	v_sub_f32_e32 v40, v35, v39
	v_sub_f32_e32 v35, v35, v40
	;; [unrolled: 1-line block ×4, first 2 shown]
	v_add_f32_e32 v30, v30, v35
	v_sub_f32_e32 v35, v36, v38
	v_add_f32_e32 v30, v35, v30
	v_add_f32_e32 v35, v40, v30
	v_mul_f32_e32 v36, v37, v35
	v_mul_f32_e32 v38, v29, v36
	v_fma_f32 v29, v36, v29, -v38
	v_fmac_f32_e32 v29, v36, v26
	v_sub_f32_e32 v26, v40, v35
	v_add_f32_e32 v26, v30, v26
	v_add_f32_e32 v30, v38, v29
	v_sub_f32_e32 v39, v35, v30
	v_sub_f32_e32 v35, v35, v39
	;; [unrolled: 1-line block ×4, first 2 shown]
	v_add_f32_e32 v26, v26, v30
	v_sub_f32_e32 v29, v38, v29
	v_add_f32_e32 v26, v29, v26
	v_add_f32_e32 v29, v34, v36
	v_add_f32_e32 v26, v39, v26
	v_sub_f32_e32 v30, v29, v34
	v_mul_f32_e32 v26, v37, v26
	v_sub_f32_e32 v30, v36, v30
	v_add_f32_e32 v26, v30, v26
	v_cvt_f32_i32_e32 v25, v25
	v_add_f32_e32 v30, v29, v26
	v_mul_f32_e32 v34, v30, v30
	v_mov_b32_e32 v35, 0x3ecc95a3
	v_fmac_f32_e32 v35, 0x3e9b6dac, v34
	v_mov_b32_e32 v36, 0x3f2aaada
	v_fmac_f32_e32 v36, v34, v35
	s_mov_b32 s44, 0x3f317218
	v_mul_f32_e32 v35, 0x3f317218, v25
	v_fma_f32 v37, v25, s44, -v35
	v_fmac_f32_e32 v37, 0xb102e308, v25
	v_sub_f32_e32 v25, v30, v29
	v_sub_f32_e32 v25, v26, v25
	v_add_f32_e32 v26, v35, v37
	v_sub_f32_e32 v29, v26, v35
	v_ldexp_f32 v35, v30, 1
	v_mul_f32_e32 v30, v30, v34
	v_mul_f32_e32 v30, v30, v36
	v_add_f32_e32 v34, v35, v30
	v_sub_f32_e32 v35, v34, v35
	v_ldexp_f32 v25, v25, 1
	v_sub_f32_e32 v30, v30, v35
	v_add_f32_e32 v25, v25, v30
	v_add_f32_e32 v30, v34, v25
	v_sub_f32_e32 v34, v30, v34
	v_sub_f32_e32 v25, v25, v34
	v_add_f32_e32 v34, v26, v30
	v_sub_f32_e32 v35, v34, v26
	v_sub_f32_e32 v36, v34, v35
	v_sub_f32_e32 v29, v37, v29
	v_sub_f32_e32 v26, v26, v36
	v_sub_f32_e32 v30, v30, v35
	v_add_f32_e32 v26, v30, v26
	v_add_f32_e32 v30, v29, v25
	v_sub_f32_e32 v35, v30, v29
	v_sub_f32_e32 v36, v30, v35
	;; [unrolled: 1-line block ×4, first 2 shown]
	v_add_f32_e32 v26, v30, v26
	v_add_f32_e32 v25, v25, v29
	;; [unrolled: 1-line block ×3, first 2 shown]
	v_sub_f32_e32 v30, v29, v34
	v_sub_f32_e32 v26, v26, v30
	v_add_f32_e32 v25, v25, v26
	v_add_f32_e32 v25, v29, v25
	v_cmp_neq_f32_e64 s[44:45], s48, v28
	v_cndmask_b32_e64 v25, v27, v25, s[44:45]
	s_mov_b32 s44, 0x33800000
	v_cmp_lt_f32_e64 s[44:45], |v28|, s44
	v_cndmask_b32_e64 v25, v25, v28, s[44:45]
	v_add_f32_e32 v36, v24, v25
.LBB109_44:
	s_or_b64 exec, exec, s[46:47]
	v_max_f32_e32 v25, v36, v36
	v_max_f32_e32 v24, v7, v7
	v_min_f32_e32 v26, v25, v24
	v_cmp_u_f32_e64 s[46:47], v36, v36
	v_max_f32_e32 v25, v25, v24
	v_cndmask_b32_e64 v26, v26, v36, s[46:47]
	v_cmp_u_f32_e64 s[44:45], v7, v7
	v_cndmask_b32_e64 v25, v25, v36, s[46:47]
	v_cndmask_b32_e64 v26, v26, v7, s[44:45]
	v_cndmask_b32_e64 v25, v25, v7, s[44:45]
	v_cmp_neq_f32_e64 s[46:47], v26, v25
	v_cmp_class_f32_e64 s[48:49], v26, s33
	s_or_b64 s[46:47], s[46:47], s[48:49]
	s_and_saveexec_b64 s[48:49], s[46:47]
	s_cbranch_execz .LBB109_46
; %bb.45:
	v_sub_f32_e32 v26, v26, v25
	s_mov_b32 s33, 0x3fb8aa3b
	v_mul_f32_e32 v27, 0x3fb8aa3b, v26
	v_fma_f32 v28, v26, s33, -v27
	v_rndne_f32_e32 v29, v27
	v_fmac_f32_e32 v28, 0x32a5705f, v26
	v_sub_f32_e32 v27, v27, v29
	v_add_f32_e32 v27, v27, v28
	v_exp_f32_e32 v27, v27
	v_cvt_i32_f32_e32 v28, v29
	s_mov_b32 s33, 0xc2ce8ed0
	v_cmp_ngt_f32_e64 s[46:47], s33, v26
	s_mov_b32 s33, 0x42b17218
	v_ldexp_f32 v27, v27, v28
	v_cndmask_b32_e64 v27, 0, v27, s[46:47]
	v_mov_b32_e32 v28, 0x7f800000
	v_cmp_nlt_f32_e64 s[46:47], s33, v26
	v_cndmask_b32_e64 v29, v28, v27, s[46:47]
	v_add_f32_e32 v30, 1.0, v29
	v_cvt_f64_f32_e32 v[26:27], v30
	v_add_f32_e32 v34, -1.0, v30
	v_sub_f32_e32 v35, v34, v30
	v_sub_f32_e32 v34, v29, v34
	v_frexp_exp_i32_f64_e32 v26, v[26:27]
	v_add_f32_e32 v27, 1.0, v35
	v_add_f32_e32 v27, v34, v27
	v_frexp_mant_f32_e32 v34, v30
	s_mov_b32 s46, 0x3f2aaaab
	v_cmp_gt_f32_e64 s[46:47], s46, v34
	s_mov_b32 s33, 0x7f800000
	v_subbrev_co_u32_e64 v26, s[46:47], 0, v26, s[46:47]
	v_sub_u32_e32 v34, 0, v26
	v_ldexp_f32 v30, v30, v34
	v_ldexp_f32 v27, v27, v34
	v_add_f32_e32 v34, -1.0, v30
	v_add_f32_e32 v37, 1.0, v30
	v_add_f32_e32 v35, 1.0, v34
	v_add_f32_e32 v38, -1.0, v37
	v_sub_f32_e32 v35, v30, v35
	v_sub_f32_e32 v30, v30, v38
	v_add_f32_e32 v35, v27, v35
	v_add_f32_e32 v27, v27, v30
	;; [unrolled: 1-line block ×3, first 2 shown]
	v_rcp_f32_e32 v38, v30
	v_add_f32_e32 v36, v34, v35
	v_sub_f32_e32 v34, v34, v36
	v_add_f32_e32 v34, v35, v34
	v_sub_f32_e32 v35, v37, v30
	v_add_f32_e32 v27, v27, v35
	v_mul_f32_e32 v35, v36, v38
	v_mul_f32_e32 v37, v30, v35
	v_fma_f32 v39, v35, v30, -v37
	v_fmac_f32_e32 v39, v35, v27
	v_add_f32_e32 v40, v37, v39
	v_sub_f32_e32 v41, v36, v40
	v_sub_f32_e32 v36, v36, v41
	;; [unrolled: 1-line block ×4, first 2 shown]
	v_add_f32_e32 v34, v34, v36
	v_sub_f32_e32 v36, v37, v39
	v_add_f32_e32 v34, v36, v34
	v_add_f32_e32 v36, v41, v34
	v_mul_f32_e32 v37, v38, v36
	v_mul_f32_e32 v39, v30, v37
	v_fma_f32 v30, v37, v30, -v39
	v_fmac_f32_e32 v30, v37, v27
	v_sub_f32_e32 v27, v41, v36
	v_add_f32_e32 v27, v34, v27
	v_add_f32_e32 v34, v39, v30
	v_sub_f32_e32 v40, v36, v34
	v_sub_f32_e32 v36, v36, v40
	;; [unrolled: 1-line block ×4, first 2 shown]
	v_add_f32_e32 v27, v27, v34
	v_sub_f32_e32 v30, v39, v30
	v_add_f32_e32 v27, v30, v27
	v_add_f32_e32 v30, v35, v37
	;; [unrolled: 1-line block ×3, first 2 shown]
	v_sub_f32_e32 v34, v30, v35
	v_mul_f32_e32 v27, v38, v27
	v_sub_f32_e32 v34, v37, v34
	v_add_f32_e32 v27, v34, v27
	v_cvt_f32_i32_e32 v26, v26
	v_add_f32_e32 v34, v30, v27
	v_mul_f32_e32 v35, v34, v34
	v_mov_b32_e32 v36, 0x3ecc95a3
	v_fmac_f32_e32 v36, 0x3e9b6dac, v35
	v_mov_b32_e32 v37, 0x3f2aaada
	v_fmac_f32_e32 v37, v35, v36
	s_mov_b32 s46, 0x3f317218
	v_mul_f32_e32 v36, 0x3f317218, v26
	v_fma_f32 v38, v26, s46, -v36
	v_fmac_f32_e32 v38, 0xb102e308, v26
	v_sub_f32_e32 v26, v34, v30
	v_sub_f32_e32 v26, v27, v26
	v_add_f32_e32 v27, v36, v38
	v_sub_f32_e32 v30, v27, v36
	v_ldexp_f32 v36, v34, 1
	v_mul_f32_e32 v34, v34, v35
	v_mul_f32_e32 v34, v34, v37
	v_add_f32_e32 v35, v36, v34
	v_sub_f32_e32 v36, v35, v36
	v_ldexp_f32 v26, v26, 1
	v_sub_f32_e32 v34, v34, v36
	v_add_f32_e32 v26, v26, v34
	v_add_f32_e32 v34, v35, v26
	v_sub_f32_e32 v35, v34, v35
	v_sub_f32_e32 v26, v26, v35
	v_add_f32_e32 v35, v27, v34
	v_sub_f32_e32 v36, v35, v27
	v_sub_f32_e32 v37, v35, v36
	;; [unrolled: 1-line block ×5, first 2 shown]
	v_add_f32_e32 v27, v34, v27
	v_add_f32_e32 v34, v30, v26
	v_sub_f32_e32 v36, v34, v30
	v_sub_f32_e32 v37, v34, v36
	;; [unrolled: 1-line block ×4, first 2 shown]
	v_add_f32_e32 v27, v34, v27
	v_add_f32_e32 v26, v26, v30
	;; [unrolled: 1-line block ×3, first 2 shown]
	v_sub_f32_e32 v34, v30, v35
	v_sub_f32_e32 v27, v27, v34
	v_add_f32_e32 v26, v26, v27
	v_add_f32_e32 v26, v30, v26
	v_cmp_neq_f32_e64 s[46:47], s33, v29
	s_mov_b32 s33, 0x33800000
	v_cndmask_b32_e64 v26, v28, v26, s[46:47]
	v_cmp_lt_f32_e64 s[46:47], |v29|, s33
	v_cndmask_b32_e64 v26, v26, v29, s[46:47]
	v_add_f32_e32 v36, v25, v26
.LBB109_46:
	s_or_b64 exec, exec, s[48:49]
	v_max_f32_e32 v26, v36, v36
	v_max_f32_e32 v25, v8, v8
	v_min_f32_e32 v27, v26, v25
	v_cmp_u_f32_e64 s[48:49], v36, v36
	v_max_f32_e32 v26, v26, v25
	v_cndmask_b32_e64 v27, v27, v36, s[48:49]
	v_cmp_u_f32_e64 s[46:47], v8, v8
	v_cndmask_b32_e64 v26, v26, v36, s[48:49]
	v_cndmask_b32_e64 v27, v27, v8, s[46:47]
	;; [unrolled: 1-line block ×3, first 2 shown]
	s_movk_i32 s33, 0x1f8
	v_cmp_neq_f32_e64 s[48:49], v27, v26
	v_cmp_class_f32_e64 s[50:51], v27, s33
	s_or_b64 s[48:49], s[48:49], s[50:51]
	s_and_saveexec_b64 s[50:51], s[48:49]
	s_cbranch_execz .LBB109_48
; %bb.47:
	v_sub_f32_e32 v27, v27, v26
	s_mov_b32 s48, 0x3fb8aa3b
	v_mul_f32_e32 v28, 0x3fb8aa3b, v27
	v_fma_f32 v29, v27, s48, -v28
	v_rndne_f32_e32 v30, v28
	v_fmac_f32_e32 v29, 0x32a5705f, v27
	v_sub_f32_e32 v28, v28, v30
	v_add_f32_e32 v28, v28, v29
	v_exp_f32_e32 v28, v28
	v_cvt_i32_f32_e32 v29, v30
	s_mov_b32 s48, 0xc2ce8ed0
	v_cmp_ngt_f32_e64 s[48:49], s48, v27
	s_mov_b32 s52, 0x7f800000
	v_ldexp_f32 v28, v28, v29
	v_cndmask_b32_e64 v28, 0, v28, s[48:49]
	s_mov_b32 s48, 0x42b17218
	v_mov_b32_e32 v29, 0x7f800000
	v_cmp_nlt_f32_e64 s[48:49], s48, v27
	v_cndmask_b32_e64 v30, v29, v28, s[48:49]
	v_add_f32_e32 v34, 1.0, v30
	v_cvt_f64_f32_e32 v[27:28], v34
	v_add_f32_e32 v35, -1.0, v34
	v_sub_f32_e32 v36, v35, v34
	v_sub_f32_e32 v35, v30, v35
	v_frexp_exp_i32_f64_e32 v27, v[27:28]
	v_add_f32_e32 v28, 1.0, v36
	v_add_f32_e32 v28, v35, v28
	v_frexp_mant_f32_e32 v35, v34
	s_mov_b32 s48, 0x3f2aaaab
	v_cmp_gt_f32_e64 s[48:49], s48, v35
	v_subbrev_co_u32_e64 v27, s[48:49], 0, v27, s[48:49]
	v_sub_u32_e32 v35, 0, v27
	v_ldexp_f32 v34, v34, v35
	v_ldexp_f32 v28, v28, v35
	v_add_f32_e32 v35, -1.0, v34
	v_add_f32_e32 v38, 1.0, v34
	v_add_f32_e32 v36, 1.0, v35
	v_add_f32_e32 v39, -1.0, v38
	v_sub_f32_e32 v36, v34, v36
	v_sub_f32_e32 v34, v34, v39
	v_add_f32_e32 v36, v28, v36
	v_add_f32_e32 v28, v28, v34
	;; [unrolled: 1-line block ×3, first 2 shown]
	v_rcp_f32_e32 v39, v34
	v_add_f32_e32 v37, v35, v36
	v_sub_f32_e32 v35, v35, v37
	v_add_f32_e32 v35, v36, v35
	v_sub_f32_e32 v36, v38, v34
	v_add_f32_e32 v28, v28, v36
	v_mul_f32_e32 v36, v37, v39
	v_mul_f32_e32 v38, v34, v36
	v_fma_f32 v40, v36, v34, -v38
	v_fmac_f32_e32 v40, v36, v28
	v_add_f32_e32 v41, v38, v40
	v_sub_f32_e32 v42, v37, v41
	v_sub_f32_e32 v37, v37, v42
	;; [unrolled: 1-line block ×4, first 2 shown]
	v_add_f32_e32 v35, v35, v37
	v_sub_f32_e32 v37, v38, v40
	v_add_f32_e32 v35, v37, v35
	v_add_f32_e32 v37, v42, v35
	v_mul_f32_e32 v38, v39, v37
	v_mul_f32_e32 v40, v34, v38
	v_fma_f32 v34, v38, v34, -v40
	v_fmac_f32_e32 v34, v38, v28
	v_sub_f32_e32 v28, v42, v37
	v_add_f32_e32 v28, v35, v28
	v_add_f32_e32 v35, v40, v34
	v_sub_f32_e32 v41, v37, v35
	v_sub_f32_e32 v37, v37, v41
	;; [unrolled: 1-line block ×4, first 2 shown]
	v_add_f32_e32 v28, v28, v35
	v_sub_f32_e32 v34, v40, v34
	v_add_f32_e32 v28, v34, v28
	v_add_f32_e32 v34, v36, v38
	;; [unrolled: 1-line block ×3, first 2 shown]
	v_sub_f32_e32 v35, v34, v36
	v_mul_f32_e32 v28, v39, v28
	v_sub_f32_e32 v35, v38, v35
	v_add_f32_e32 v28, v35, v28
	v_cvt_f32_i32_e32 v27, v27
	v_add_f32_e32 v35, v34, v28
	v_mul_f32_e32 v36, v35, v35
	v_mov_b32_e32 v37, 0x3ecc95a3
	v_fmac_f32_e32 v37, 0x3e9b6dac, v36
	v_mov_b32_e32 v38, 0x3f2aaada
	v_fmac_f32_e32 v38, v36, v37
	s_mov_b32 s48, 0x3f317218
	v_mul_f32_e32 v37, 0x3f317218, v27
	v_fma_f32 v39, v27, s48, -v37
	v_fmac_f32_e32 v39, 0xb102e308, v27
	v_sub_f32_e32 v27, v35, v34
	v_sub_f32_e32 v27, v28, v27
	v_add_f32_e32 v28, v37, v39
	v_sub_f32_e32 v34, v28, v37
	v_ldexp_f32 v37, v35, 1
	v_mul_f32_e32 v35, v35, v36
	v_mul_f32_e32 v35, v35, v38
	v_add_f32_e32 v36, v37, v35
	v_sub_f32_e32 v37, v36, v37
	v_ldexp_f32 v27, v27, 1
	v_sub_f32_e32 v35, v35, v37
	v_add_f32_e32 v27, v27, v35
	v_add_f32_e32 v35, v36, v27
	v_sub_f32_e32 v36, v35, v36
	v_sub_f32_e32 v27, v27, v36
	v_add_f32_e32 v36, v28, v35
	v_sub_f32_e32 v37, v36, v28
	v_sub_f32_e32 v38, v36, v37
	;; [unrolled: 1-line block ×5, first 2 shown]
	v_add_f32_e32 v28, v35, v28
	v_add_f32_e32 v35, v34, v27
	v_sub_f32_e32 v37, v35, v34
	v_sub_f32_e32 v38, v35, v37
	;; [unrolled: 1-line block ×4, first 2 shown]
	v_add_f32_e32 v28, v35, v28
	v_add_f32_e32 v27, v27, v34
	v_add_f32_e32 v34, v36, v28
	v_sub_f32_e32 v35, v34, v36
	v_sub_f32_e32 v28, v28, v35
	v_add_f32_e32 v27, v27, v28
	v_add_f32_e32 v27, v34, v27
	v_cmp_neq_f32_e64 s[48:49], s52, v30
	v_cndmask_b32_e64 v27, v29, v27, s[48:49]
	s_mov_b32 s48, 0x33800000
	v_cmp_lt_f32_e64 s[48:49], |v30|, s48
	v_cndmask_b32_e64 v27, v27, v30, s[48:49]
	v_add_f32_e32 v36, v26, v27
.LBB109_48:
	s_or_b64 exec, exec, s[50:51]
	v_max_f32_e32 v27, v36, v36
	v_max_f32_e32 v26, v5, v5
	v_min_f32_e32 v28, v27, v26
	v_cmp_u_f32_e64 s[50:51], v36, v36
	v_max_f32_e32 v27, v27, v26
	v_cndmask_b32_e64 v28, v28, v36, s[50:51]
	v_cmp_u_f32_e64 s[48:49], v5, v5
	v_cndmask_b32_e64 v27, v27, v36, s[50:51]
	v_cndmask_b32_e64 v28, v28, v5, s[48:49]
	;; [unrolled: 1-line block ×3, first 2 shown]
	v_cmp_neq_f32_e64 s[50:51], v28, v27
	v_cmp_class_f32_e64 s[52:53], v28, s33
	s_or_b64 s[50:51], s[50:51], s[52:53]
	s_and_saveexec_b64 s[52:53], s[50:51]
	s_cbranch_execz .LBB109_50
; %bb.49:
	v_sub_f32_e32 v28, v28, v27
	s_mov_b32 s33, 0x3fb8aa3b
	v_mul_f32_e32 v29, 0x3fb8aa3b, v28
	v_fma_f32 v30, v28, s33, -v29
	v_rndne_f32_e32 v34, v29
	v_fmac_f32_e32 v30, 0x32a5705f, v28
	v_sub_f32_e32 v29, v29, v34
	v_add_f32_e32 v29, v29, v30
	v_exp_f32_e32 v29, v29
	v_cvt_i32_f32_e32 v30, v34
	s_mov_b32 s33, 0xc2ce8ed0
	v_cmp_ngt_f32_e64 s[50:51], s33, v28
	s_mov_b32 s33, 0x42b17218
	v_ldexp_f32 v29, v29, v30
	v_cndmask_b32_e64 v29, 0, v29, s[50:51]
	v_mov_b32_e32 v30, 0x7f800000
	v_cmp_nlt_f32_e64 s[50:51], s33, v28
	v_cndmask_b32_e64 v34, v30, v29, s[50:51]
	v_add_f32_e32 v35, 1.0, v34
	v_cvt_f64_f32_e32 v[28:29], v35
	v_add_f32_e32 v36, -1.0, v35
	v_sub_f32_e32 v37, v36, v35
	v_sub_f32_e32 v36, v34, v36
	v_frexp_exp_i32_f64_e32 v28, v[28:29]
	v_add_f32_e32 v29, 1.0, v37
	v_add_f32_e32 v29, v36, v29
	v_frexp_mant_f32_e32 v36, v35
	s_mov_b32 s50, 0x3f2aaaab
	v_cmp_gt_f32_e64 s[50:51], s50, v36
	s_mov_b32 s33, 0x7f800000
	v_subbrev_co_u32_e64 v28, s[50:51], 0, v28, s[50:51]
	v_sub_u32_e32 v36, 0, v28
	v_ldexp_f32 v35, v35, v36
	v_ldexp_f32 v29, v29, v36
	v_add_f32_e32 v36, -1.0, v35
	v_add_f32_e32 v39, 1.0, v35
	v_add_f32_e32 v37, 1.0, v36
	v_add_f32_e32 v40, -1.0, v39
	v_sub_f32_e32 v37, v35, v37
	v_sub_f32_e32 v35, v35, v40
	v_add_f32_e32 v37, v29, v37
	v_add_f32_e32 v29, v29, v35
	;; [unrolled: 1-line block ×3, first 2 shown]
	v_rcp_f32_e32 v40, v35
	v_add_f32_e32 v38, v36, v37
	v_sub_f32_e32 v36, v36, v38
	v_add_f32_e32 v36, v37, v36
	v_sub_f32_e32 v37, v39, v35
	v_add_f32_e32 v29, v29, v37
	v_mul_f32_e32 v37, v38, v40
	v_mul_f32_e32 v39, v35, v37
	v_fma_f32 v41, v37, v35, -v39
	v_fmac_f32_e32 v41, v37, v29
	v_add_f32_e32 v42, v39, v41
	v_sub_f32_e32 v43, v38, v42
	v_sub_f32_e32 v38, v38, v43
	;; [unrolled: 1-line block ×4, first 2 shown]
	v_add_f32_e32 v36, v36, v38
	v_sub_f32_e32 v38, v39, v41
	v_add_f32_e32 v36, v38, v36
	v_add_f32_e32 v38, v43, v36
	v_mul_f32_e32 v39, v40, v38
	v_mul_f32_e32 v41, v35, v39
	v_fma_f32 v35, v39, v35, -v41
	v_fmac_f32_e32 v35, v39, v29
	v_sub_f32_e32 v29, v43, v38
	v_add_f32_e32 v29, v36, v29
	v_add_f32_e32 v36, v41, v35
	v_sub_f32_e32 v42, v38, v36
	v_sub_f32_e32 v38, v38, v42
	;; [unrolled: 1-line block ×4, first 2 shown]
	v_add_f32_e32 v29, v29, v36
	v_sub_f32_e32 v35, v41, v35
	v_add_f32_e32 v29, v35, v29
	v_add_f32_e32 v35, v37, v39
	;; [unrolled: 1-line block ×3, first 2 shown]
	v_sub_f32_e32 v36, v35, v37
	v_mul_f32_e32 v29, v40, v29
	v_sub_f32_e32 v36, v39, v36
	v_add_f32_e32 v29, v36, v29
	v_cvt_f32_i32_e32 v28, v28
	v_add_f32_e32 v36, v35, v29
	v_mul_f32_e32 v37, v36, v36
	v_mov_b32_e32 v38, 0x3ecc95a3
	v_fmac_f32_e32 v38, 0x3e9b6dac, v37
	v_mov_b32_e32 v39, 0x3f2aaada
	v_fmac_f32_e32 v39, v37, v38
	s_mov_b32 s50, 0x3f317218
	v_mul_f32_e32 v38, 0x3f317218, v28
	v_fma_f32 v40, v28, s50, -v38
	v_fmac_f32_e32 v40, 0xb102e308, v28
	v_sub_f32_e32 v28, v36, v35
	v_sub_f32_e32 v28, v29, v28
	v_add_f32_e32 v29, v38, v40
	v_sub_f32_e32 v35, v29, v38
	v_ldexp_f32 v38, v36, 1
	v_mul_f32_e32 v36, v36, v37
	v_mul_f32_e32 v36, v36, v39
	v_add_f32_e32 v37, v38, v36
	v_sub_f32_e32 v38, v37, v38
	v_ldexp_f32 v28, v28, 1
	v_sub_f32_e32 v36, v36, v38
	v_add_f32_e32 v28, v28, v36
	v_add_f32_e32 v36, v37, v28
	v_sub_f32_e32 v37, v36, v37
	v_sub_f32_e32 v28, v28, v37
	v_add_f32_e32 v37, v29, v36
	v_sub_f32_e32 v38, v37, v29
	v_sub_f32_e32 v39, v37, v38
	;; [unrolled: 1-line block ×5, first 2 shown]
	v_add_f32_e32 v29, v36, v29
	v_add_f32_e32 v36, v35, v28
	v_sub_f32_e32 v38, v36, v35
	v_sub_f32_e32 v39, v36, v38
	v_sub_f32_e32 v35, v35, v39
	v_sub_f32_e32 v28, v28, v38
	v_add_f32_e32 v29, v36, v29
	v_add_f32_e32 v28, v28, v35
	;; [unrolled: 1-line block ×3, first 2 shown]
	v_sub_f32_e32 v36, v35, v37
	v_sub_f32_e32 v29, v29, v36
	v_add_f32_e32 v28, v28, v29
	v_add_f32_e32 v28, v35, v28
	v_cmp_neq_f32_e64 s[50:51], s33, v34
	s_mov_b32 s33, 0x33800000
	v_cndmask_b32_e64 v28, v30, v28, s[50:51]
	v_cmp_lt_f32_e64 s[50:51], |v34|, s33
	v_cndmask_b32_e64 v28, v28, v34, s[50:51]
	v_add_f32_e32 v36, v27, v28
.LBB109_50:
	s_or_b64 exec, exec, s[52:53]
	v_max_f32_e32 v28, v36, v36
	v_max_f32_e32 v27, v6, v6
	v_min_f32_e32 v29, v28, v27
	v_cmp_u_f32_e64 s[52:53], v36, v36
	v_max_f32_e32 v28, v28, v27
	v_cndmask_b32_e64 v29, v29, v36, s[52:53]
	v_cmp_u_f32_e64 s[50:51], v6, v6
	v_cndmask_b32_e64 v28, v28, v36, s[52:53]
	v_cndmask_b32_e64 v29, v29, v6, s[50:51]
	v_cndmask_b32_e64 v28, v28, v6, s[50:51]
	s_movk_i32 s33, 0x1f8
	v_cmp_neq_f32_e64 s[52:53], v29, v28
	v_cmp_class_f32_e64 s[54:55], v29, s33
	s_or_b64 s[52:53], s[52:53], s[54:55]
	s_and_saveexec_b64 s[54:55], s[52:53]
	s_cbranch_execz .LBB109_52
; %bb.51:
	v_sub_f32_e32 v29, v29, v28
	s_mov_b32 s52, 0x3fb8aa3b
	v_mul_f32_e32 v30, 0x3fb8aa3b, v29
	v_fma_f32 v34, v29, s52, -v30
	v_rndne_f32_e32 v35, v30
	v_fmac_f32_e32 v34, 0x32a5705f, v29
	v_sub_f32_e32 v30, v30, v35
	v_add_f32_e32 v30, v30, v34
	v_exp_f32_e32 v30, v30
	v_cvt_i32_f32_e32 v34, v35
	s_mov_b32 s52, 0xc2ce8ed0
	v_cmp_ngt_f32_e64 s[52:53], s52, v29
	s_mov_b32 s56, 0x7f800000
	v_ldexp_f32 v30, v30, v34
	v_cndmask_b32_e64 v30, 0, v30, s[52:53]
	s_mov_b32 s52, 0x42b17218
	v_mov_b32_e32 v34, 0x7f800000
	v_cmp_nlt_f32_e64 s[52:53], s52, v29
	v_cndmask_b32_e64 v35, v34, v30, s[52:53]
	v_add_f32_e32 v36, 1.0, v35
	v_cvt_f64_f32_e32 v[29:30], v36
	v_add_f32_e32 v37, -1.0, v36
	v_sub_f32_e32 v38, v37, v36
	v_sub_f32_e32 v37, v35, v37
	v_frexp_exp_i32_f64_e32 v29, v[29:30]
	v_add_f32_e32 v30, 1.0, v38
	v_add_f32_e32 v30, v37, v30
	v_frexp_mant_f32_e32 v37, v36
	s_mov_b32 s52, 0x3f2aaaab
	v_cmp_gt_f32_e64 s[52:53], s52, v37
	v_subbrev_co_u32_e64 v29, s[52:53], 0, v29, s[52:53]
	v_sub_u32_e32 v37, 0, v29
	v_ldexp_f32 v36, v36, v37
	v_ldexp_f32 v30, v30, v37
	v_add_f32_e32 v37, -1.0, v36
	v_add_f32_e32 v40, 1.0, v36
	v_add_f32_e32 v38, 1.0, v37
	v_add_f32_e32 v41, -1.0, v40
	v_sub_f32_e32 v38, v36, v38
	v_sub_f32_e32 v36, v36, v41
	v_add_f32_e32 v38, v30, v38
	v_add_f32_e32 v30, v30, v36
	;; [unrolled: 1-line block ×3, first 2 shown]
	v_rcp_f32_e32 v41, v36
	v_add_f32_e32 v39, v37, v38
	v_sub_f32_e32 v37, v37, v39
	v_add_f32_e32 v37, v38, v37
	v_sub_f32_e32 v38, v40, v36
	v_add_f32_e32 v30, v30, v38
	v_mul_f32_e32 v38, v39, v41
	v_mul_f32_e32 v40, v36, v38
	v_fma_f32 v42, v38, v36, -v40
	v_fmac_f32_e32 v42, v38, v30
	v_add_f32_e32 v43, v40, v42
	v_sub_f32_e32 v44, v39, v43
	v_sub_f32_e32 v39, v39, v44
	;; [unrolled: 1-line block ×4, first 2 shown]
	v_add_f32_e32 v37, v37, v39
	v_sub_f32_e32 v39, v40, v42
	v_add_f32_e32 v37, v39, v37
	v_add_f32_e32 v39, v44, v37
	v_mul_f32_e32 v40, v41, v39
	v_mul_f32_e32 v42, v36, v40
	v_fma_f32 v36, v40, v36, -v42
	v_fmac_f32_e32 v36, v40, v30
	v_sub_f32_e32 v30, v44, v39
	v_add_f32_e32 v30, v37, v30
	v_add_f32_e32 v37, v42, v36
	v_sub_f32_e32 v43, v39, v37
	v_sub_f32_e32 v39, v39, v43
	;; [unrolled: 1-line block ×4, first 2 shown]
	v_add_f32_e32 v30, v30, v37
	v_sub_f32_e32 v36, v42, v36
	v_add_f32_e32 v30, v36, v30
	v_add_f32_e32 v36, v38, v40
	;; [unrolled: 1-line block ×3, first 2 shown]
	v_sub_f32_e32 v37, v36, v38
	v_mul_f32_e32 v30, v41, v30
	v_sub_f32_e32 v37, v40, v37
	v_add_f32_e32 v30, v37, v30
	v_cvt_f32_i32_e32 v29, v29
	v_add_f32_e32 v37, v36, v30
	v_mul_f32_e32 v38, v37, v37
	v_mov_b32_e32 v39, 0x3ecc95a3
	v_fmac_f32_e32 v39, 0x3e9b6dac, v38
	v_mov_b32_e32 v40, 0x3f2aaada
	v_fmac_f32_e32 v40, v38, v39
	s_mov_b32 s52, 0x3f317218
	v_mul_f32_e32 v39, 0x3f317218, v29
	v_fma_f32 v41, v29, s52, -v39
	v_fmac_f32_e32 v41, 0xb102e308, v29
	v_sub_f32_e32 v29, v37, v36
	v_sub_f32_e32 v29, v30, v29
	v_add_f32_e32 v30, v39, v41
	v_sub_f32_e32 v36, v30, v39
	v_ldexp_f32 v39, v37, 1
	v_mul_f32_e32 v37, v37, v38
	v_mul_f32_e32 v37, v37, v40
	v_add_f32_e32 v38, v39, v37
	v_sub_f32_e32 v39, v38, v39
	v_ldexp_f32 v29, v29, 1
	v_sub_f32_e32 v37, v37, v39
	v_add_f32_e32 v29, v29, v37
	v_add_f32_e32 v37, v38, v29
	v_sub_f32_e32 v38, v37, v38
	v_sub_f32_e32 v29, v29, v38
	v_add_f32_e32 v38, v30, v37
	v_sub_f32_e32 v39, v38, v30
	v_sub_f32_e32 v40, v38, v39
	;; [unrolled: 1-line block ×5, first 2 shown]
	v_add_f32_e32 v30, v37, v30
	v_add_f32_e32 v37, v36, v29
	v_sub_f32_e32 v39, v37, v36
	v_sub_f32_e32 v40, v37, v39
	;; [unrolled: 1-line block ×4, first 2 shown]
	v_add_f32_e32 v30, v37, v30
	v_add_f32_e32 v29, v29, v36
	v_add_f32_e32 v36, v38, v30
	v_sub_f32_e32 v37, v36, v38
	v_sub_f32_e32 v30, v30, v37
	v_add_f32_e32 v29, v29, v30
	v_add_f32_e32 v29, v36, v29
	v_cmp_neq_f32_e64 s[52:53], s56, v35
	v_cndmask_b32_e64 v29, v34, v29, s[52:53]
	s_mov_b32 s52, 0x33800000
	v_cmp_lt_f32_e64 s[52:53], |v35|, s52
	v_cndmask_b32_e64 v29, v29, v35, s[52:53]
	v_add_f32_e32 v36, v28, v29
.LBB109_52:
	s_or_b64 exec, exec, s[54:55]
	v_max_f32_e32 v29, v36, v36
	v_max_f32_e32 v28, v3, v3
	v_min_f32_e32 v30, v29, v28
	v_cmp_u_f32_e64 s[54:55], v36, v36
	v_max_f32_e32 v29, v29, v28
	v_cndmask_b32_e64 v30, v30, v36, s[54:55]
	v_cmp_u_f32_e64 s[52:53], v3, v3
	v_cndmask_b32_e64 v29, v29, v36, s[54:55]
	v_cndmask_b32_e64 v30, v30, v3, s[52:53]
	;; [unrolled: 1-line block ×3, first 2 shown]
	v_cmp_neq_f32_e64 s[54:55], v30, v29
	v_cmp_class_f32_e64 s[56:57], v30, s33
	s_or_b64 s[54:55], s[54:55], s[56:57]
	s_and_saveexec_b64 s[56:57], s[54:55]
	s_cbranch_execz .LBB109_54
; %bb.53:
	v_sub_f32_e32 v30, v30, v29
	s_mov_b32 s33, 0x3fb8aa3b
	v_mul_f32_e32 v34, 0x3fb8aa3b, v30
	v_fma_f32 v35, v30, s33, -v34
	v_rndne_f32_e32 v36, v34
	v_fmac_f32_e32 v35, 0x32a5705f, v30
	v_sub_f32_e32 v34, v34, v36
	v_add_f32_e32 v34, v34, v35
	v_exp_f32_e32 v34, v34
	v_cvt_i32_f32_e32 v35, v36
	s_mov_b32 s33, 0xc2ce8ed0
	v_cmp_ngt_f32_e64 s[54:55], s33, v30
	s_mov_b32 s33, 0x42b17218
	v_ldexp_f32 v34, v34, v35
	v_cndmask_b32_e64 v34, 0, v34, s[54:55]
	v_mov_b32_e32 v36, 0x7f800000
	v_cmp_nlt_f32_e64 s[54:55], s33, v30
	v_cndmask_b32_e64 v30, v36, v34, s[54:55]
	v_add_f32_e32 v37, 1.0, v30
	v_cvt_f64_f32_e32 v[34:35], v37
	v_add_f32_e32 v38, -1.0, v37
	v_sub_f32_e32 v39, v38, v37
	v_sub_f32_e32 v38, v30, v38
	v_frexp_exp_i32_f64_e32 v34, v[34:35]
	v_add_f32_e32 v35, 1.0, v39
	v_add_f32_e32 v35, v38, v35
	v_frexp_mant_f32_e32 v38, v37
	s_mov_b32 s54, 0x3f2aaaab
	v_cmp_gt_f32_e64 s[54:55], s54, v38
	s_mov_b32 s33, 0x7f800000
	v_subbrev_co_u32_e64 v34, s[54:55], 0, v34, s[54:55]
	v_sub_u32_e32 v38, 0, v34
	v_ldexp_f32 v37, v37, v38
	v_ldexp_f32 v35, v35, v38
	v_add_f32_e32 v38, -1.0, v37
	v_add_f32_e32 v41, 1.0, v37
	v_add_f32_e32 v39, 1.0, v38
	v_add_f32_e32 v42, -1.0, v41
	v_sub_f32_e32 v39, v37, v39
	v_sub_f32_e32 v37, v37, v42
	v_add_f32_e32 v39, v35, v39
	v_add_f32_e32 v35, v35, v37
	;; [unrolled: 1-line block ×3, first 2 shown]
	v_rcp_f32_e32 v42, v37
	v_add_f32_e32 v40, v38, v39
	v_sub_f32_e32 v38, v38, v40
	v_add_f32_e32 v38, v39, v38
	v_sub_f32_e32 v39, v41, v37
	v_add_f32_e32 v35, v35, v39
	v_mul_f32_e32 v39, v40, v42
	v_mul_f32_e32 v41, v37, v39
	v_fma_f32 v43, v39, v37, -v41
	v_fmac_f32_e32 v43, v39, v35
	v_add_f32_e32 v44, v41, v43
	v_sub_f32_e32 v45, v40, v44
	v_sub_f32_e32 v40, v40, v45
	;; [unrolled: 1-line block ×4, first 2 shown]
	v_add_f32_e32 v38, v38, v40
	v_sub_f32_e32 v40, v41, v43
	v_add_f32_e32 v38, v40, v38
	v_add_f32_e32 v40, v45, v38
	v_mul_f32_e32 v41, v42, v40
	v_mul_f32_e32 v43, v37, v41
	v_fma_f32 v37, v41, v37, -v43
	v_fmac_f32_e32 v37, v41, v35
	v_sub_f32_e32 v35, v45, v40
	v_add_f32_e32 v35, v38, v35
	v_add_f32_e32 v38, v43, v37
	v_sub_f32_e32 v44, v40, v38
	v_sub_f32_e32 v40, v40, v44
	;; [unrolled: 1-line block ×4, first 2 shown]
	v_add_f32_e32 v35, v35, v38
	v_sub_f32_e32 v37, v43, v37
	v_add_f32_e32 v35, v37, v35
	v_add_f32_e32 v37, v39, v41
	;; [unrolled: 1-line block ×3, first 2 shown]
	v_sub_f32_e32 v38, v37, v39
	v_mul_f32_e32 v35, v42, v35
	v_sub_f32_e32 v38, v41, v38
	v_add_f32_e32 v35, v38, v35
	v_cvt_f32_i32_e32 v34, v34
	v_add_f32_e32 v38, v37, v35
	v_mul_f32_e32 v39, v38, v38
	v_mov_b32_e32 v40, 0x3ecc95a3
	v_fmac_f32_e32 v40, 0x3e9b6dac, v39
	v_mov_b32_e32 v41, 0x3f2aaada
	v_fmac_f32_e32 v41, v39, v40
	s_mov_b32 s54, 0x3f317218
	v_mul_f32_e32 v40, 0x3f317218, v34
	v_fma_f32 v42, v34, s54, -v40
	v_fmac_f32_e32 v42, 0xb102e308, v34
	v_sub_f32_e32 v34, v38, v37
	v_sub_f32_e32 v34, v35, v34
	v_add_f32_e32 v35, v40, v42
	v_sub_f32_e32 v37, v35, v40
	v_ldexp_f32 v40, v38, 1
	v_mul_f32_e32 v38, v38, v39
	v_mul_f32_e32 v38, v38, v41
	v_add_f32_e32 v39, v40, v38
	v_sub_f32_e32 v40, v39, v40
	v_ldexp_f32 v34, v34, 1
	v_sub_f32_e32 v38, v38, v40
	v_add_f32_e32 v34, v34, v38
	v_add_f32_e32 v38, v39, v34
	v_sub_f32_e32 v39, v38, v39
	v_sub_f32_e32 v34, v34, v39
	v_add_f32_e32 v39, v35, v38
	v_sub_f32_e32 v40, v39, v35
	v_sub_f32_e32 v41, v39, v40
	;; [unrolled: 1-line block ×5, first 2 shown]
	v_add_f32_e32 v35, v38, v35
	v_add_f32_e32 v38, v37, v34
	v_sub_f32_e32 v40, v38, v37
	v_sub_f32_e32 v41, v38, v40
	;; [unrolled: 1-line block ×4, first 2 shown]
	v_add_f32_e32 v35, v38, v35
	v_add_f32_e32 v34, v34, v37
	;; [unrolled: 1-line block ×3, first 2 shown]
	v_sub_f32_e32 v38, v37, v39
	v_sub_f32_e32 v35, v35, v38
	v_add_f32_e32 v34, v34, v35
	v_add_f32_e32 v34, v37, v34
	v_cmp_neq_f32_e64 s[54:55], s33, v30
	s_mov_b32 s33, 0x33800000
	v_cndmask_b32_e64 v34, v36, v34, s[54:55]
	v_cmp_lt_f32_e64 s[54:55], |v30|, s33
	v_cndmask_b32_e64 v30, v34, v30, s[54:55]
	v_add_f32_e32 v36, v29, v30
.LBB109_54:
	s_or_b64 exec, exec, s[56:57]
	v_max_f32_e32 v30, v36, v36
	v_max_f32_e32 v29, v4, v4
	v_min_f32_e32 v34, v30, v29
	v_cmp_u_f32_e64 s[56:57], v36, v36
	v_max_f32_e32 v30, v30, v29
	v_cndmask_b32_e64 v34, v34, v36, s[56:57]
	v_cmp_u_f32_e64 s[54:55], v4, v4
	v_cndmask_b32_e64 v30, v30, v36, s[56:57]
	v_cndmask_b32_e64 v34, v34, v4, s[54:55]
	;; [unrolled: 1-line block ×3, first 2 shown]
	s_movk_i32 s33, 0x1f8
	v_cmp_neq_f32_e64 s[56:57], v34, v30
	v_cmp_class_f32_e64 s[62:63], v34, s33
	s_or_b64 s[56:57], s[56:57], s[62:63]
	s_and_saveexec_b64 s[62:63], s[56:57]
	s_cbranch_execz .LBB109_56
; %bb.55:
	v_sub_f32_e32 v34, v34, v30
	s_mov_b32 s56, 0x3fb8aa3b
	v_mul_f32_e32 v35, 0x3fb8aa3b, v34
	v_fma_f32 v36, v34, s56, -v35
	v_rndne_f32_e32 v37, v35
	v_fmac_f32_e32 v36, 0x32a5705f, v34
	v_sub_f32_e32 v35, v35, v37
	v_add_f32_e32 v35, v35, v36
	v_exp_f32_e32 v35, v35
	v_cvt_i32_f32_e32 v36, v37
	s_mov_b32 s56, 0xc2ce8ed0
	v_cmp_ngt_f32_e64 s[56:57], s56, v34
	s_mov_b32 s64, 0x7f800000
	v_ldexp_f32 v35, v35, v36
	v_cndmask_b32_e64 v35, 0, v35, s[56:57]
	s_mov_b32 s56, 0x42b17218
	v_mov_b32_e32 v36, 0x7f800000
	v_cmp_nlt_f32_e64 s[56:57], s56, v34
	v_cndmask_b32_e64 v37, v36, v35, s[56:57]
	v_add_f32_e32 v38, 1.0, v37
	v_cvt_f64_f32_e32 v[34:35], v38
	v_add_f32_e32 v39, -1.0, v38
	v_sub_f32_e32 v40, v39, v38
	v_sub_f32_e32 v39, v37, v39
	v_frexp_exp_i32_f64_e32 v34, v[34:35]
	v_add_f32_e32 v35, 1.0, v40
	v_add_f32_e32 v35, v39, v35
	v_frexp_mant_f32_e32 v39, v38
	s_mov_b32 s56, 0x3f2aaaab
	v_cmp_gt_f32_e64 s[56:57], s56, v39
	v_subbrev_co_u32_e64 v34, s[56:57], 0, v34, s[56:57]
	v_sub_u32_e32 v39, 0, v34
	v_ldexp_f32 v38, v38, v39
	v_ldexp_f32 v35, v35, v39
	v_add_f32_e32 v39, -1.0, v38
	v_add_f32_e32 v42, 1.0, v38
	v_add_f32_e32 v40, 1.0, v39
	v_add_f32_e32 v43, -1.0, v42
	v_sub_f32_e32 v40, v38, v40
	v_sub_f32_e32 v38, v38, v43
	v_add_f32_e32 v40, v35, v40
	v_add_f32_e32 v35, v35, v38
	;; [unrolled: 1-line block ×3, first 2 shown]
	v_rcp_f32_e32 v43, v38
	v_add_f32_e32 v41, v39, v40
	v_sub_f32_e32 v39, v39, v41
	v_add_f32_e32 v39, v40, v39
	v_sub_f32_e32 v40, v42, v38
	v_add_f32_e32 v35, v35, v40
	v_mul_f32_e32 v40, v41, v43
	v_mul_f32_e32 v42, v38, v40
	v_fma_f32 v44, v40, v38, -v42
	v_fmac_f32_e32 v44, v40, v35
	v_add_f32_e32 v45, v42, v44
	v_sub_f32_e32 v46, v41, v45
	v_sub_f32_e32 v41, v41, v46
	;; [unrolled: 1-line block ×4, first 2 shown]
	v_add_f32_e32 v39, v39, v41
	v_sub_f32_e32 v41, v42, v44
	v_add_f32_e32 v39, v41, v39
	v_add_f32_e32 v41, v46, v39
	v_mul_f32_e32 v42, v43, v41
	v_mul_f32_e32 v44, v38, v42
	v_fma_f32 v38, v42, v38, -v44
	v_fmac_f32_e32 v38, v42, v35
	v_sub_f32_e32 v35, v46, v41
	v_add_f32_e32 v35, v39, v35
	v_add_f32_e32 v39, v44, v38
	v_sub_f32_e32 v45, v41, v39
	v_sub_f32_e32 v41, v41, v45
	;; [unrolled: 1-line block ×4, first 2 shown]
	v_add_f32_e32 v35, v35, v39
	v_sub_f32_e32 v38, v44, v38
	v_add_f32_e32 v35, v38, v35
	v_add_f32_e32 v38, v40, v42
	;; [unrolled: 1-line block ×3, first 2 shown]
	v_sub_f32_e32 v39, v38, v40
	v_mul_f32_e32 v35, v43, v35
	v_sub_f32_e32 v39, v42, v39
	v_add_f32_e32 v35, v39, v35
	v_cvt_f32_i32_e32 v34, v34
	v_add_f32_e32 v39, v38, v35
	v_mul_f32_e32 v40, v39, v39
	v_mov_b32_e32 v41, 0x3ecc95a3
	v_fmac_f32_e32 v41, 0x3e9b6dac, v40
	v_mov_b32_e32 v42, 0x3f2aaada
	v_fmac_f32_e32 v42, v40, v41
	s_mov_b32 s56, 0x3f317218
	v_mul_f32_e32 v41, 0x3f317218, v34
	v_fma_f32 v43, v34, s56, -v41
	v_fmac_f32_e32 v43, 0xb102e308, v34
	v_sub_f32_e32 v34, v39, v38
	v_sub_f32_e32 v34, v35, v34
	v_add_f32_e32 v35, v41, v43
	v_sub_f32_e32 v38, v35, v41
	v_ldexp_f32 v41, v39, 1
	v_mul_f32_e32 v39, v39, v40
	v_mul_f32_e32 v39, v39, v42
	v_add_f32_e32 v40, v41, v39
	v_sub_f32_e32 v41, v40, v41
	v_ldexp_f32 v34, v34, 1
	v_sub_f32_e32 v39, v39, v41
	v_add_f32_e32 v34, v34, v39
	v_add_f32_e32 v39, v40, v34
	v_sub_f32_e32 v40, v39, v40
	v_sub_f32_e32 v34, v34, v40
	v_add_f32_e32 v40, v35, v39
	v_sub_f32_e32 v41, v40, v35
	v_sub_f32_e32 v42, v40, v41
	v_sub_f32_e32 v38, v43, v38
	v_sub_f32_e32 v35, v35, v42
	v_sub_f32_e32 v39, v39, v41
	v_add_f32_e32 v35, v39, v35
	v_add_f32_e32 v39, v38, v34
	v_sub_f32_e32 v41, v39, v38
	v_sub_f32_e32 v42, v39, v41
	v_sub_f32_e32 v38, v38, v42
	v_sub_f32_e32 v34, v34, v41
	v_add_f32_e32 v35, v39, v35
	v_add_f32_e32 v34, v34, v38
	;; [unrolled: 1-line block ×3, first 2 shown]
	v_sub_f32_e32 v39, v38, v40
	v_sub_f32_e32 v35, v35, v39
	v_add_f32_e32 v34, v34, v35
	v_add_f32_e32 v34, v38, v34
	v_cmp_neq_f32_e64 s[56:57], s64, v37
	v_cndmask_b32_e64 v34, v36, v34, s[56:57]
	s_mov_b32 s56, 0x33800000
	v_cmp_lt_f32_e64 s[56:57], |v37|, s56
	v_cndmask_b32_e64 v34, v34, v37, s[56:57]
	v_add_f32_e32 v36, v30, v34
.LBB109_56:
	s_or_b64 exec, exec, s[62:63]
	v_max_f32_e32 v30, v15, v15
	v_max_f32_e32 v34, v36, v36
	v_min_f32_e32 v35, v34, v30
	v_cmp_u_f32_e64 s[62:63], v36, v36
	v_max_f32_e32 v34, v34, v30
	v_cndmask_b32_e64 v35, v35, v36, s[62:63]
	v_cmp_u_f32_e64 s[56:57], v15, v15
	v_cndmask_b32_e64 v34, v34, v36, s[62:63]
	v_cndmask_b32_e64 v35, v35, v15, s[56:57]
	;; [unrolled: 1-line block ×3, first 2 shown]
	v_cmp_neq_f32_e64 s[62:63], v35, v34
	v_cmp_class_f32_e64 s[64:65], v35, s33
	s_or_b64 s[62:63], s[62:63], s[64:65]
	s_and_saveexec_b64 s[64:65], s[62:63]
	s_cbranch_execz .LBB109_58
; %bb.57:
	v_sub_f32_e32 v35, v35, v34
	s_mov_b32 s33, 0x3fb8aa3b
	v_mul_f32_e32 v36, 0x3fb8aa3b, v35
	v_fma_f32 v37, v35, s33, -v36
	v_rndne_f32_e32 v38, v36
	v_fmac_f32_e32 v37, 0x32a5705f, v35
	v_sub_f32_e32 v36, v36, v38
	v_add_f32_e32 v36, v36, v37
	v_exp_f32_e32 v36, v36
	v_cvt_i32_f32_e32 v37, v38
	s_mov_b32 s33, 0xc2ce8ed0
	v_cmp_ngt_f32_e64 s[62:63], s33, v35
	s_mov_b32 s33, 0x42b17218
	v_ldexp_f32 v36, v36, v37
	v_cndmask_b32_e64 v36, 0, v36, s[62:63]
	v_mov_b32_e32 v37, 0x7f800000
	v_cmp_nlt_f32_e64 s[62:63], s33, v35
	v_cndmask_b32_e64 v38, v37, v36, s[62:63]
	v_add_f32_e32 v39, 1.0, v38
	v_cvt_f64_f32_e32 v[35:36], v39
	v_add_f32_e32 v40, -1.0, v39
	v_sub_f32_e32 v41, v40, v39
	v_sub_f32_e32 v40, v38, v40
	v_frexp_exp_i32_f64_e32 v35, v[35:36]
	v_add_f32_e32 v36, 1.0, v41
	v_add_f32_e32 v36, v40, v36
	v_frexp_mant_f32_e32 v40, v39
	s_mov_b32 s62, 0x3f2aaaab
	v_cmp_gt_f32_e64 s[62:63], s62, v40
	s_mov_b32 s33, 0x7f800000
	v_subbrev_co_u32_e64 v35, s[62:63], 0, v35, s[62:63]
	v_sub_u32_e32 v40, 0, v35
	v_ldexp_f32 v39, v39, v40
	v_ldexp_f32 v36, v36, v40
	v_add_f32_e32 v40, -1.0, v39
	v_add_f32_e32 v43, 1.0, v39
	v_add_f32_e32 v41, 1.0, v40
	v_add_f32_e32 v44, -1.0, v43
	v_sub_f32_e32 v41, v39, v41
	v_sub_f32_e32 v39, v39, v44
	v_add_f32_e32 v41, v36, v41
	v_add_f32_e32 v36, v36, v39
	v_add_f32_e32 v39, v43, v36
	v_rcp_f32_e32 v44, v39
	v_add_f32_e32 v42, v40, v41
	v_sub_f32_e32 v40, v40, v42
	v_add_f32_e32 v40, v41, v40
	v_sub_f32_e32 v41, v43, v39
	v_add_f32_e32 v36, v36, v41
	v_mul_f32_e32 v41, v42, v44
	v_mul_f32_e32 v43, v39, v41
	v_fma_f32 v45, v41, v39, -v43
	v_fmac_f32_e32 v45, v41, v36
	v_add_f32_e32 v46, v43, v45
	v_sub_f32_e32 v47, v42, v46
	v_sub_f32_e32 v42, v42, v47
	;; [unrolled: 1-line block ×4, first 2 shown]
	v_add_f32_e32 v40, v40, v42
	v_sub_f32_e32 v42, v43, v45
	v_add_f32_e32 v40, v42, v40
	v_add_f32_e32 v42, v47, v40
	v_mul_f32_e32 v43, v44, v42
	v_mul_f32_e32 v45, v39, v43
	v_fma_f32 v39, v43, v39, -v45
	v_fmac_f32_e32 v39, v43, v36
	v_sub_f32_e32 v36, v47, v42
	v_add_f32_e32 v36, v40, v36
	v_add_f32_e32 v40, v45, v39
	v_sub_f32_e32 v46, v42, v40
	v_sub_f32_e32 v42, v42, v46
	;; [unrolled: 1-line block ×4, first 2 shown]
	v_add_f32_e32 v36, v36, v40
	v_sub_f32_e32 v39, v45, v39
	v_add_f32_e32 v36, v39, v36
	v_add_f32_e32 v39, v41, v43
	;; [unrolled: 1-line block ×3, first 2 shown]
	v_sub_f32_e32 v40, v39, v41
	v_mul_f32_e32 v36, v44, v36
	v_sub_f32_e32 v40, v43, v40
	v_add_f32_e32 v36, v40, v36
	v_cvt_f32_i32_e32 v35, v35
	v_add_f32_e32 v40, v39, v36
	v_mul_f32_e32 v41, v40, v40
	v_mov_b32_e32 v42, 0x3ecc95a3
	v_fmac_f32_e32 v42, 0x3e9b6dac, v41
	v_mov_b32_e32 v43, 0x3f2aaada
	v_fmac_f32_e32 v43, v41, v42
	s_mov_b32 s62, 0x3f317218
	v_mul_f32_e32 v42, 0x3f317218, v35
	v_fma_f32 v44, v35, s62, -v42
	v_fmac_f32_e32 v44, 0xb102e308, v35
	v_sub_f32_e32 v35, v40, v39
	v_sub_f32_e32 v35, v36, v35
	v_add_f32_e32 v36, v42, v44
	v_sub_f32_e32 v39, v36, v42
	v_ldexp_f32 v42, v40, 1
	v_mul_f32_e32 v40, v40, v41
	v_mul_f32_e32 v40, v40, v43
	v_add_f32_e32 v41, v42, v40
	v_sub_f32_e32 v42, v41, v42
	v_ldexp_f32 v35, v35, 1
	v_sub_f32_e32 v40, v40, v42
	v_add_f32_e32 v35, v35, v40
	v_add_f32_e32 v40, v41, v35
	v_sub_f32_e32 v41, v40, v41
	v_sub_f32_e32 v35, v35, v41
	v_add_f32_e32 v41, v36, v40
	v_sub_f32_e32 v42, v41, v36
	v_sub_f32_e32 v43, v41, v42
	;; [unrolled: 1-line block ×5, first 2 shown]
	v_add_f32_e32 v36, v40, v36
	v_add_f32_e32 v40, v39, v35
	v_sub_f32_e32 v42, v40, v39
	v_sub_f32_e32 v43, v40, v42
	;; [unrolled: 1-line block ×4, first 2 shown]
	v_add_f32_e32 v36, v40, v36
	v_add_f32_e32 v35, v35, v39
	;; [unrolled: 1-line block ×3, first 2 shown]
	v_sub_f32_e32 v40, v39, v41
	v_sub_f32_e32 v36, v36, v40
	v_add_f32_e32 v35, v35, v36
	v_add_f32_e32 v35, v39, v35
	v_cmp_neq_f32_e64 s[62:63], s33, v38
	s_mov_b32 s33, 0x33800000
	v_cndmask_b32_e64 v35, v37, v35, s[62:63]
	v_cmp_lt_f32_e64 s[62:63], |v38|, s33
	v_cndmask_b32_e64 v35, v35, v38, s[62:63]
	v_add_f32_e32 v36, v34, v35
.LBB109_58:
	s_or_b64 exec, exec, s[64:65]
	s_load_dwordx2 s[64:65], s[4:5], 0x18
	v_mbcnt_lo_u32_b32 v34, -1, 0
	v_mbcnt_hi_u32_b32 v35, -1, v34
	v_and_b32_e32 v37, 15, v35
	v_mov_b32_dpp v38, v36 row_shr:1 row_mask:0xf bank_mask:0xf
	v_cmp_ne_u32_e64 s[4:5], 0, v37
	s_and_saveexec_b64 s[66:67], s[4:5]
	s_cbranch_execz .LBB109_62
; %bb.59:
	v_max_f32_e32 v34, v36, v36
	v_max_f32_e32 v40, v38, v38
	v_min_f32_e32 v39, v40, v34
	v_cmp_u_f32_e64 s[4:5], v38, v38
	v_max_f32_e32 v34, v40, v34
	v_cndmask_b32_e64 v39, v39, v38, s[4:5]
	v_cmp_u_f32_e64 s[62:63], v36, v36
	v_cndmask_b32_e64 v34, v34, v38, s[4:5]
	v_cndmask_b32_e64 v39, v39, v36, s[62:63]
	;; [unrolled: 1-line block ×3, first 2 shown]
	s_movk_i32 s33, 0x1f8
	v_cmp_neq_f32_e64 s[4:5], v39, v34
	v_cmp_class_f32_e64 s[62:63], v39, s33
	s_or_b64 s[4:5], s[4:5], s[62:63]
	s_and_saveexec_b64 s[62:63], s[4:5]
	s_cbranch_execz .LBB109_61
; %bb.60:
	v_sub_f32_e32 v36, v39, v34
	s_mov_b32 s4, 0x3fb8aa3b
	v_mul_f32_e32 v38, 0x3fb8aa3b, v36
	v_fma_f32 v39, v36, s4, -v38
	v_rndne_f32_e32 v40, v38
	v_fmac_f32_e32 v39, 0x32a5705f, v36
	v_sub_f32_e32 v38, v38, v40
	v_add_f32_e32 v38, v38, v39
	v_exp_f32_e32 v38, v38
	v_cvt_i32_f32_e32 v39, v40
	s_mov_b32 s4, 0xc2ce8ed0
	v_cmp_ngt_f32_e64 s[4:5], s4, v36
	v_mov_b32_e32 v40, 0x7f800000
	v_ldexp_f32 v38, v38, v39
	v_cndmask_b32_e64 v38, 0, v38, s[4:5]
	s_mov_b32 s4, 0x42b17218
	v_cmp_nlt_f32_e64 s[4:5], s4, v36
	v_cndmask_b32_e64 v36, v40, v38, s[4:5]
	v_add_f32_e32 v41, 1.0, v36
	v_cvt_f64_f32_e32 v[38:39], v41
	v_add_f32_e32 v42, -1.0, v41
	v_sub_f32_e32 v43, v42, v41
	v_sub_f32_e32 v42, v36, v42
	v_frexp_exp_i32_f64_e32 v38, v[38:39]
	v_add_f32_e32 v39, 1.0, v43
	v_add_f32_e32 v39, v42, v39
	v_frexp_mant_f32_e32 v42, v41
	s_mov_b32 s4, 0x3f2aaaab
	v_cmp_gt_f32_e64 s[4:5], s4, v42
	s_mov_b32 s33, 0x7f800000
	v_subbrev_co_u32_e64 v38, s[4:5], 0, v38, s[4:5]
	v_sub_u32_e32 v42, 0, v38
	v_ldexp_f32 v41, v41, v42
	v_ldexp_f32 v39, v39, v42
	v_add_f32_e32 v42, -1.0, v41
	v_add_f32_e32 v45, 1.0, v41
	v_add_f32_e32 v43, 1.0, v42
	v_add_f32_e32 v46, -1.0, v45
	v_sub_f32_e32 v43, v41, v43
	v_sub_f32_e32 v41, v41, v46
	v_add_f32_e32 v43, v39, v43
	v_add_f32_e32 v39, v39, v41
	;; [unrolled: 1-line block ×3, first 2 shown]
	v_rcp_f32_e32 v46, v41
	v_add_f32_e32 v44, v42, v43
	v_sub_f32_e32 v42, v42, v44
	v_add_f32_e32 v42, v43, v42
	v_sub_f32_e32 v43, v45, v41
	v_add_f32_e32 v39, v39, v43
	v_mul_f32_e32 v43, v44, v46
	v_mul_f32_e32 v45, v41, v43
	v_fma_f32 v47, v43, v41, -v45
	v_fmac_f32_e32 v47, v43, v39
	v_add_f32_e32 v48, v45, v47
	v_sub_f32_e32 v49, v44, v48
	v_sub_f32_e32 v44, v44, v49
	;; [unrolled: 1-line block ×4, first 2 shown]
	v_add_f32_e32 v42, v42, v44
	v_sub_f32_e32 v44, v45, v47
	v_add_f32_e32 v42, v44, v42
	v_add_f32_e32 v44, v49, v42
	v_mul_f32_e32 v45, v46, v44
	v_mul_f32_e32 v47, v41, v45
	v_fma_f32 v41, v45, v41, -v47
	v_fmac_f32_e32 v41, v45, v39
	v_sub_f32_e32 v39, v49, v44
	v_add_f32_e32 v39, v42, v39
	v_add_f32_e32 v42, v47, v41
	v_sub_f32_e32 v48, v44, v42
	v_sub_f32_e32 v44, v44, v48
	;; [unrolled: 1-line block ×4, first 2 shown]
	v_add_f32_e32 v39, v39, v42
	v_sub_f32_e32 v41, v47, v41
	v_add_f32_e32 v39, v41, v39
	v_add_f32_e32 v41, v43, v45
	;; [unrolled: 1-line block ×3, first 2 shown]
	v_sub_f32_e32 v42, v41, v43
	v_mul_f32_e32 v39, v46, v39
	v_sub_f32_e32 v42, v45, v42
	v_add_f32_e32 v39, v42, v39
	v_cvt_f32_i32_e32 v38, v38
	v_add_f32_e32 v42, v41, v39
	v_mul_f32_e32 v43, v42, v42
	v_mov_b32_e32 v44, 0x3ecc95a3
	v_fmac_f32_e32 v44, 0x3e9b6dac, v43
	v_mov_b32_e32 v45, 0x3f2aaada
	v_fmac_f32_e32 v45, v43, v44
	s_mov_b32 s4, 0x3f317218
	v_mul_f32_e32 v44, 0x3f317218, v38
	v_fma_f32 v46, v38, s4, -v44
	v_fmac_f32_e32 v46, 0xb102e308, v38
	v_sub_f32_e32 v38, v42, v41
	v_sub_f32_e32 v38, v39, v38
	v_add_f32_e32 v39, v44, v46
	v_sub_f32_e32 v41, v39, v44
	v_ldexp_f32 v44, v42, 1
	v_mul_f32_e32 v42, v42, v43
	v_mul_f32_e32 v42, v42, v45
	v_add_f32_e32 v43, v44, v42
	v_sub_f32_e32 v44, v43, v44
	v_ldexp_f32 v38, v38, 1
	v_sub_f32_e32 v42, v42, v44
	v_add_f32_e32 v38, v38, v42
	v_add_f32_e32 v42, v43, v38
	v_sub_f32_e32 v43, v42, v43
	v_sub_f32_e32 v38, v38, v43
	v_add_f32_e32 v43, v39, v42
	v_sub_f32_e32 v44, v43, v39
	v_sub_f32_e32 v45, v43, v44
	v_sub_f32_e32 v41, v46, v41
	v_sub_f32_e32 v39, v39, v45
	v_sub_f32_e32 v42, v42, v44
	v_add_f32_e32 v39, v42, v39
	v_add_f32_e32 v42, v41, v38
	v_sub_f32_e32 v44, v42, v41
	v_sub_f32_e32 v45, v42, v44
	;; [unrolled: 1-line block ×4, first 2 shown]
	v_add_f32_e32 v39, v42, v39
	v_add_f32_e32 v38, v38, v41
	;; [unrolled: 1-line block ×3, first 2 shown]
	v_sub_f32_e32 v42, v41, v43
	v_sub_f32_e32 v39, v39, v42
	v_add_f32_e32 v38, v38, v39
	v_add_f32_e32 v38, v41, v38
	v_cmp_neq_f32_e64 s[4:5], s33, v36
	v_cndmask_b32_e64 v38, v40, v38, s[4:5]
	s_mov_b32 s4, 0x33800000
	v_cmp_lt_f32_e64 s[4:5], |v36|, s4
	v_cndmask_b32_e64 v36, v38, v36, s[4:5]
	v_add_f32_e32 v38, v34, v36
.LBB109_61:
	s_or_b64 exec, exec, s[62:63]
	v_mov_b32_e32 v36, v38
.LBB109_62:
	s_or_b64 exec, exec, s[66:67]
	v_mul_u32_u24_e32 v34, 56, v0
	v_mov_b32_dpp v38, v36 row_shr:2 row_mask:0xf bank_mask:0xf
	v_cmp_lt_u32_e64 s[4:5], 1, v37
	s_and_saveexec_b64 s[66:67], s[4:5]
	s_cbranch_execz .LBB109_66
; %bb.63:
	v_max_f32_e32 v40, v36, v36
	v_max_f32_e32 v41, v38, v38
	v_min_f32_e32 v39, v41, v40
	v_cmp_u_f32_e64 s[4:5], v38, v38
	v_max_f32_e32 v40, v41, v40
	v_cndmask_b32_e64 v39, v39, v38, s[4:5]
	v_cmp_u_f32_e64 s[62:63], v36, v36
	v_cndmask_b32_e64 v40, v40, v38, s[4:5]
	v_cndmask_b32_e64 v39, v39, v36, s[62:63]
	;; [unrolled: 1-line block ×3, first 2 shown]
	s_movk_i32 s33, 0x1f8
	v_cmp_neq_f32_e64 s[4:5], v39, v36
	v_cmp_class_f32_e64 s[62:63], v39, s33
	s_or_b64 s[4:5], s[4:5], s[62:63]
	s_and_saveexec_b64 s[62:63], s[4:5]
	s_cbranch_execz .LBB109_65
; %bb.64:
	v_sub_f32_e32 v38, v39, v36
	s_mov_b32 s4, 0x3fb8aa3b
	v_mul_f32_e32 v39, 0x3fb8aa3b, v38
	v_fma_f32 v40, v38, s4, -v39
	v_rndne_f32_e32 v41, v39
	v_fmac_f32_e32 v40, 0x32a5705f, v38
	v_sub_f32_e32 v39, v39, v41
	v_add_f32_e32 v39, v39, v40
	v_exp_f32_e32 v39, v39
	v_cvt_i32_f32_e32 v40, v41
	s_mov_b32 s4, 0xc2ce8ed0
	v_cmp_ngt_f32_e64 s[4:5], s4, v38
	s_mov_b32 s33, 0x7f800000
	v_ldexp_f32 v39, v39, v40
	v_cndmask_b32_e64 v39, 0, v39, s[4:5]
	s_mov_b32 s4, 0x42b17218
	v_mov_b32_e32 v40, 0x7f800000
	v_cmp_nlt_f32_e64 s[4:5], s4, v38
	v_cndmask_b32_e64 v41, v40, v39, s[4:5]
	v_add_f32_e32 v42, 1.0, v41
	v_cvt_f64_f32_e32 v[38:39], v42
	v_add_f32_e32 v43, -1.0, v42
	v_sub_f32_e32 v44, v43, v42
	v_sub_f32_e32 v43, v41, v43
	v_frexp_exp_i32_f64_e32 v38, v[38:39]
	v_add_f32_e32 v39, 1.0, v44
	v_add_f32_e32 v39, v43, v39
	v_frexp_mant_f32_e32 v43, v42
	s_mov_b32 s4, 0x3f2aaaab
	v_cmp_gt_f32_e64 s[4:5], s4, v43
	v_subbrev_co_u32_e64 v38, s[4:5], 0, v38, s[4:5]
	v_sub_u32_e32 v43, 0, v38
	v_ldexp_f32 v42, v42, v43
	v_ldexp_f32 v39, v39, v43
	v_add_f32_e32 v43, -1.0, v42
	v_add_f32_e32 v46, 1.0, v42
	v_add_f32_e32 v44, 1.0, v43
	v_add_f32_e32 v47, -1.0, v46
	v_sub_f32_e32 v44, v42, v44
	v_sub_f32_e32 v42, v42, v47
	v_add_f32_e32 v44, v39, v44
	v_add_f32_e32 v39, v39, v42
	;; [unrolled: 1-line block ×3, first 2 shown]
	v_rcp_f32_e32 v47, v42
	v_add_f32_e32 v45, v43, v44
	v_sub_f32_e32 v43, v43, v45
	v_add_f32_e32 v43, v44, v43
	v_sub_f32_e32 v44, v46, v42
	v_add_f32_e32 v39, v39, v44
	v_mul_f32_e32 v44, v45, v47
	v_mul_f32_e32 v46, v42, v44
	v_fma_f32 v48, v44, v42, -v46
	v_fmac_f32_e32 v48, v44, v39
	v_add_f32_e32 v49, v46, v48
	v_sub_f32_e32 v50, v45, v49
	v_sub_f32_e32 v45, v45, v50
	;; [unrolled: 1-line block ×4, first 2 shown]
	v_add_f32_e32 v43, v43, v45
	v_sub_f32_e32 v45, v46, v48
	v_add_f32_e32 v43, v45, v43
	v_add_f32_e32 v45, v50, v43
	v_mul_f32_e32 v46, v47, v45
	v_mul_f32_e32 v48, v42, v46
	v_fma_f32 v42, v46, v42, -v48
	v_fmac_f32_e32 v42, v46, v39
	v_sub_f32_e32 v39, v50, v45
	v_add_f32_e32 v39, v43, v39
	v_add_f32_e32 v43, v48, v42
	v_sub_f32_e32 v49, v45, v43
	v_sub_f32_e32 v45, v45, v49
	;; [unrolled: 1-line block ×4, first 2 shown]
	v_add_f32_e32 v39, v39, v43
	v_sub_f32_e32 v42, v48, v42
	v_add_f32_e32 v39, v42, v39
	v_add_f32_e32 v42, v44, v46
	;; [unrolled: 1-line block ×3, first 2 shown]
	v_sub_f32_e32 v43, v42, v44
	v_mul_f32_e32 v39, v47, v39
	v_sub_f32_e32 v43, v46, v43
	v_add_f32_e32 v39, v43, v39
	v_cvt_f32_i32_e32 v38, v38
	v_add_f32_e32 v43, v42, v39
	v_mul_f32_e32 v44, v43, v43
	v_mov_b32_e32 v45, 0x3ecc95a3
	v_fmac_f32_e32 v45, 0x3e9b6dac, v44
	v_mov_b32_e32 v46, 0x3f2aaada
	v_fmac_f32_e32 v46, v44, v45
	s_mov_b32 s4, 0x3f317218
	v_mul_f32_e32 v45, 0x3f317218, v38
	v_fma_f32 v47, v38, s4, -v45
	v_fmac_f32_e32 v47, 0xb102e308, v38
	v_sub_f32_e32 v38, v43, v42
	v_sub_f32_e32 v38, v39, v38
	v_add_f32_e32 v39, v45, v47
	v_sub_f32_e32 v42, v39, v45
	v_ldexp_f32 v45, v43, 1
	v_mul_f32_e32 v43, v43, v44
	v_mul_f32_e32 v43, v43, v46
	v_add_f32_e32 v44, v45, v43
	v_sub_f32_e32 v45, v44, v45
	v_ldexp_f32 v38, v38, 1
	v_sub_f32_e32 v43, v43, v45
	v_add_f32_e32 v38, v38, v43
	v_add_f32_e32 v43, v44, v38
	v_sub_f32_e32 v44, v43, v44
	v_sub_f32_e32 v38, v38, v44
	v_add_f32_e32 v44, v39, v43
	v_sub_f32_e32 v45, v44, v39
	v_sub_f32_e32 v46, v44, v45
	v_sub_f32_e32 v42, v47, v42
	v_sub_f32_e32 v39, v39, v46
	v_sub_f32_e32 v43, v43, v45
	v_add_f32_e32 v39, v43, v39
	v_add_f32_e32 v43, v42, v38
	v_sub_f32_e32 v45, v43, v42
	v_sub_f32_e32 v46, v43, v45
	;; [unrolled: 1-line block ×4, first 2 shown]
	v_add_f32_e32 v39, v43, v39
	v_add_f32_e32 v38, v38, v42
	;; [unrolled: 1-line block ×3, first 2 shown]
	v_sub_f32_e32 v43, v42, v44
	v_sub_f32_e32 v39, v39, v43
	v_add_f32_e32 v38, v38, v39
	v_add_f32_e32 v38, v42, v38
	v_cmp_neq_f32_e64 s[4:5], s33, v41
	v_cndmask_b32_e64 v38, v40, v38, s[4:5]
	s_mov_b32 s4, 0x33800000
	v_cmp_lt_f32_e64 s[4:5], |v41|, s4
	v_cndmask_b32_e64 v38, v38, v41, s[4:5]
	v_add_f32_e32 v38, v36, v38
.LBB109_65:
	s_or_b64 exec, exec, s[62:63]
	v_mov_b32_e32 v36, v38
.LBB109_66:
	s_or_b64 exec, exec, s[66:67]
	s_nop 0
	v_mov_b32_dpp v38, v36 row_shr:4 row_mask:0xf bank_mask:0xf
	v_cmp_lt_u32_e64 s[4:5], 3, v37
	s_and_saveexec_b64 s[66:67], s[4:5]
	s_cbranch_execz .LBB109_70
; %bb.67:
	v_max_f32_e32 v40, v36, v36
	v_max_f32_e32 v41, v38, v38
	v_min_f32_e32 v39, v41, v40
	v_cmp_u_f32_e64 s[4:5], v38, v38
	v_max_f32_e32 v40, v41, v40
	v_cndmask_b32_e64 v39, v39, v38, s[4:5]
	v_cmp_u_f32_e64 s[62:63], v36, v36
	v_cndmask_b32_e64 v40, v40, v38, s[4:5]
	v_cndmask_b32_e64 v39, v39, v36, s[62:63]
	;; [unrolled: 1-line block ×3, first 2 shown]
	s_movk_i32 s33, 0x1f8
	v_cmp_neq_f32_e64 s[4:5], v39, v36
	v_cmp_class_f32_e64 s[62:63], v39, s33
	s_or_b64 s[4:5], s[4:5], s[62:63]
	s_and_saveexec_b64 s[62:63], s[4:5]
	s_cbranch_execz .LBB109_69
; %bb.68:
	v_sub_f32_e32 v38, v39, v36
	s_mov_b32 s4, 0x3fb8aa3b
	v_mul_f32_e32 v39, 0x3fb8aa3b, v38
	v_fma_f32 v40, v38, s4, -v39
	v_rndne_f32_e32 v41, v39
	v_fmac_f32_e32 v40, 0x32a5705f, v38
	v_sub_f32_e32 v39, v39, v41
	v_add_f32_e32 v39, v39, v40
	v_exp_f32_e32 v39, v39
	v_cvt_i32_f32_e32 v40, v41
	s_mov_b32 s4, 0xc2ce8ed0
	v_cmp_ngt_f32_e64 s[4:5], s4, v38
	s_mov_b32 s33, 0x7f800000
	v_ldexp_f32 v39, v39, v40
	v_cndmask_b32_e64 v39, 0, v39, s[4:5]
	s_mov_b32 s4, 0x42b17218
	v_mov_b32_e32 v40, 0x7f800000
	v_cmp_nlt_f32_e64 s[4:5], s4, v38
	v_cndmask_b32_e64 v41, v40, v39, s[4:5]
	v_add_f32_e32 v42, 1.0, v41
	v_cvt_f64_f32_e32 v[38:39], v42
	v_add_f32_e32 v43, -1.0, v42
	v_sub_f32_e32 v44, v43, v42
	v_sub_f32_e32 v43, v41, v43
	v_frexp_exp_i32_f64_e32 v38, v[38:39]
	v_add_f32_e32 v39, 1.0, v44
	v_add_f32_e32 v39, v43, v39
	v_frexp_mant_f32_e32 v43, v42
	s_mov_b32 s4, 0x3f2aaaab
	v_cmp_gt_f32_e64 s[4:5], s4, v43
	v_subbrev_co_u32_e64 v38, s[4:5], 0, v38, s[4:5]
	v_sub_u32_e32 v43, 0, v38
	v_ldexp_f32 v42, v42, v43
	v_ldexp_f32 v39, v39, v43
	v_add_f32_e32 v43, -1.0, v42
	v_add_f32_e32 v46, 1.0, v42
	v_add_f32_e32 v44, 1.0, v43
	v_add_f32_e32 v47, -1.0, v46
	v_sub_f32_e32 v44, v42, v44
	v_sub_f32_e32 v42, v42, v47
	v_add_f32_e32 v44, v39, v44
	v_add_f32_e32 v39, v39, v42
	;; [unrolled: 1-line block ×3, first 2 shown]
	v_rcp_f32_e32 v47, v42
	v_add_f32_e32 v45, v43, v44
	v_sub_f32_e32 v43, v43, v45
	v_add_f32_e32 v43, v44, v43
	v_sub_f32_e32 v44, v46, v42
	v_add_f32_e32 v39, v39, v44
	v_mul_f32_e32 v44, v45, v47
	v_mul_f32_e32 v46, v42, v44
	v_fma_f32 v48, v44, v42, -v46
	v_fmac_f32_e32 v48, v44, v39
	v_add_f32_e32 v49, v46, v48
	v_sub_f32_e32 v50, v45, v49
	v_sub_f32_e32 v45, v45, v50
	v_sub_f32_e32 v46, v49, v46
	v_sub_f32_e32 v45, v45, v49
	v_add_f32_e32 v43, v43, v45
	v_sub_f32_e32 v45, v46, v48
	v_add_f32_e32 v43, v45, v43
	v_add_f32_e32 v45, v50, v43
	v_mul_f32_e32 v46, v47, v45
	v_mul_f32_e32 v48, v42, v46
	v_fma_f32 v42, v46, v42, -v48
	v_fmac_f32_e32 v42, v46, v39
	v_sub_f32_e32 v39, v50, v45
	v_add_f32_e32 v39, v43, v39
	v_add_f32_e32 v43, v48, v42
	v_sub_f32_e32 v49, v45, v43
	v_sub_f32_e32 v45, v45, v49
	v_sub_f32_e32 v48, v43, v48
	v_sub_f32_e32 v43, v45, v43
	v_add_f32_e32 v39, v39, v43
	v_sub_f32_e32 v42, v48, v42
	v_add_f32_e32 v39, v42, v39
	v_add_f32_e32 v42, v44, v46
	;; [unrolled: 1-line block ×3, first 2 shown]
	v_sub_f32_e32 v43, v42, v44
	v_mul_f32_e32 v39, v47, v39
	v_sub_f32_e32 v43, v46, v43
	v_add_f32_e32 v39, v43, v39
	v_cvt_f32_i32_e32 v38, v38
	v_add_f32_e32 v43, v42, v39
	v_mul_f32_e32 v44, v43, v43
	v_mov_b32_e32 v45, 0x3ecc95a3
	v_fmac_f32_e32 v45, 0x3e9b6dac, v44
	v_mov_b32_e32 v46, 0x3f2aaada
	v_fmac_f32_e32 v46, v44, v45
	s_mov_b32 s4, 0x3f317218
	v_mul_f32_e32 v45, 0x3f317218, v38
	v_fma_f32 v47, v38, s4, -v45
	v_fmac_f32_e32 v47, 0xb102e308, v38
	v_sub_f32_e32 v38, v43, v42
	v_sub_f32_e32 v38, v39, v38
	v_add_f32_e32 v39, v45, v47
	v_sub_f32_e32 v42, v39, v45
	v_ldexp_f32 v45, v43, 1
	v_mul_f32_e32 v43, v43, v44
	v_mul_f32_e32 v43, v43, v46
	v_add_f32_e32 v44, v45, v43
	v_sub_f32_e32 v45, v44, v45
	v_ldexp_f32 v38, v38, 1
	v_sub_f32_e32 v43, v43, v45
	v_add_f32_e32 v38, v38, v43
	v_add_f32_e32 v43, v44, v38
	v_sub_f32_e32 v44, v43, v44
	v_sub_f32_e32 v38, v38, v44
	v_add_f32_e32 v44, v39, v43
	v_sub_f32_e32 v45, v44, v39
	v_sub_f32_e32 v46, v44, v45
	v_sub_f32_e32 v42, v47, v42
	v_sub_f32_e32 v39, v39, v46
	v_sub_f32_e32 v43, v43, v45
	v_add_f32_e32 v39, v43, v39
	v_add_f32_e32 v43, v42, v38
	v_sub_f32_e32 v45, v43, v42
	v_sub_f32_e32 v46, v43, v45
	;; [unrolled: 1-line block ×4, first 2 shown]
	v_add_f32_e32 v39, v43, v39
	v_add_f32_e32 v38, v38, v42
	;; [unrolled: 1-line block ×3, first 2 shown]
	v_sub_f32_e32 v43, v42, v44
	v_sub_f32_e32 v39, v39, v43
	v_add_f32_e32 v38, v38, v39
	v_add_f32_e32 v38, v42, v38
	v_cmp_neq_f32_e64 s[4:5], s33, v41
	v_cndmask_b32_e64 v38, v40, v38, s[4:5]
	s_mov_b32 s4, 0x33800000
	v_cmp_lt_f32_e64 s[4:5], |v41|, s4
	v_cndmask_b32_e64 v38, v38, v41, s[4:5]
	v_add_f32_e32 v38, v36, v38
.LBB109_69:
	s_or_b64 exec, exec, s[62:63]
	v_mov_b32_e32 v36, v38
.LBB109_70:
	s_or_b64 exec, exec, s[66:67]
	s_nop 0
	v_mov_b32_dpp v38, v36 row_shr:8 row_mask:0xf bank_mask:0xf
	v_cmp_lt_u32_e64 s[4:5], 7, v37
	s_and_saveexec_b64 s[66:67], s[4:5]
	s_cbranch_execz .LBB109_74
; %bb.71:
	v_max_f32_e32 v39, v36, v36
	v_max_f32_e32 v40, v38, v38
	v_min_f32_e32 v37, v40, v39
	v_cmp_u_f32_e64 s[4:5], v38, v38
	v_max_f32_e32 v39, v40, v39
	v_cndmask_b32_e64 v37, v37, v38, s[4:5]
	v_cmp_u_f32_e64 s[62:63], v36, v36
	v_cndmask_b32_e64 v39, v39, v38, s[4:5]
	v_cndmask_b32_e64 v37, v37, v36, s[62:63]
	;; [unrolled: 1-line block ×3, first 2 shown]
	s_movk_i32 s33, 0x1f8
	v_cmp_neq_f32_e64 s[4:5], v37, v36
	v_cmp_class_f32_e64 s[62:63], v37, s33
	s_or_b64 s[4:5], s[4:5], s[62:63]
	s_and_saveexec_b64 s[62:63], s[4:5]
	s_cbranch_execz .LBB109_73
; %bb.72:
	v_sub_f32_e32 v37, v37, v36
	s_mov_b32 s4, 0x3fb8aa3b
	v_mul_f32_e32 v38, 0x3fb8aa3b, v37
	v_fma_f32 v39, v37, s4, -v38
	v_rndne_f32_e32 v40, v38
	v_fmac_f32_e32 v39, 0x32a5705f, v37
	v_sub_f32_e32 v38, v38, v40
	v_add_f32_e32 v38, v38, v39
	v_exp_f32_e32 v38, v38
	v_cvt_i32_f32_e32 v39, v40
	s_mov_b32 s4, 0xc2ce8ed0
	v_cmp_ngt_f32_e64 s[4:5], s4, v37
	s_mov_b32 s33, 0x7f800000
	v_ldexp_f32 v38, v38, v39
	v_cndmask_b32_e64 v38, 0, v38, s[4:5]
	s_mov_b32 s4, 0x42b17218
	v_mov_b32_e32 v39, 0x7f800000
	v_cmp_nlt_f32_e64 s[4:5], s4, v37
	v_cndmask_b32_e64 v40, v39, v38, s[4:5]
	v_add_f32_e32 v41, 1.0, v40
	v_cvt_f64_f32_e32 v[37:38], v41
	v_add_f32_e32 v42, -1.0, v41
	v_sub_f32_e32 v43, v42, v41
	v_sub_f32_e32 v42, v40, v42
	v_frexp_exp_i32_f64_e32 v37, v[37:38]
	v_add_f32_e32 v38, 1.0, v43
	v_add_f32_e32 v38, v42, v38
	v_frexp_mant_f32_e32 v42, v41
	s_mov_b32 s4, 0x3f2aaaab
	v_cmp_gt_f32_e64 s[4:5], s4, v42
	v_subbrev_co_u32_e64 v37, s[4:5], 0, v37, s[4:5]
	v_sub_u32_e32 v42, 0, v37
	v_ldexp_f32 v41, v41, v42
	v_ldexp_f32 v38, v38, v42
	v_add_f32_e32 v42, -1.0, v41
	v_add_f32_e32 v45, 1.0, v41
	v_add_f32_e32 v43, 1.0, v42
	v_add_f32_e32 v46, -1.0, v45
	v_sub_f32_e32 v43, v41, v43
	v_sub_f32_e32 v41, v41, v46
	v_add_f32_e32 v43, v38, v43
	v_add_f32_e32 v38, v38, v41
	;; [unrolled: 1-line block ×3, first 2 shown]
	v_rcp_f32_e32 v46, v41
	v_add_f32_e32 v44, v42, v43
	v_sub_f32_e32 v42, v42, v44
	v_add_f32_e32 v42, v43, v42
	v_sub_f32_e32 v43, v45, v41
	v_add_f32_e32 v38, v38, v43
	v_mul_f32_e32 v43, v44, v46
	v_mul_f32_e32 v45, v41, v43
	v_fma_f32 v47, v43, v41, -v45
	v_fmac_f32_e32 v47, v43, v38
	v_add_f32_e32 v48, v45, v47
	v_sub_f32_e32 v49, v44, v48
	v_sub_f32_e32 v44, v44, v49
	;; [unrolled: 1-line block ×4, first 2 shown]
	v_add_f32_e32 v42, v42, v44
	v_sub_f32_e32 v44, v45, v47
	v_add_f32_e32 v42, v44, v42
	v_add_f32_e32 v44, v49, v42
	v_mul_f32_e32 v45, v46, v44
	v_mul_f32_e32 v47, v41, v45
	v_fma_f32 v41, v45, v41, -v47
	v_fmac_f32_e32 v41, v45, v38
	v_sub_f32_e32 v38, v49, v44
	v_add_f32_e32 v38, v42, v38
	v_add_f32_e32 v42, v47, v41
	v_sub_f32_e32 v48, v44, v42
	v_sub_f32_e32 v44, v44, v48
	;; [unrolled: 1-line block ×4, first 2 shown]
	v_add_f32_e32 v38, v38, v42
	v_sub_f32_e32 v41, v47, v41
	v_add_f32_e32 v38, v41, v38
	v_add_f32_e32 v41, v43, v45
	;; [unrolled: 1-line block ×3, first 2 shown]
	v_sub_f32_e32 v42, v41, v43
	v_mul_f32_e32 v38, v46, v38
	v_sub_f32_e32 v42, v45, v42
	v_add_f32_e32 v38, v42, v38
	v_cvt_f32_i32_e32 v37, v37
	v_add_f32_e32 v42, v41, v38
	v_mul_f32_e32 v43, v42, v42
	v_mov_b32_e32 v44, 0x3ecc95a3
	v_fmac_f32_e32 v44, 0x3e9b6dac, v43
	v_mov_b32_e32 v45, 0x3f2aaada
	v_fmac_f32_e32 v45, v43, v44
	s_mov_b32 s4, 0x3f317218
	v_mul_f32_e32 v44, 0x3f317218, v37
	v_fma_f32 v46, v37, s4, -v44
	v_fmac_f32_e32 v46, 0xb102e308, v37
	v_sub_f32_e32 v37, v42, v41
	v_sub_f32_e32 v37, v38, v37
	v_add_f32_e32 v38, v44, v46
	v_sub_f32_e32 v41, v38, v44
	v_ldexp_f32 v44, v42, 1
	v_mul_f32_e32 v42, v42, v43
	v_mul_f32_e32 v42, v42, v45
	v_add_f32_e32 v43, v44, v42
	v_sub_f32_e32 v44, v43, v44
	v_ldexp_f32 v37, v37, 1
	v_sub_f32_e32 v42, v42, v44
	v_add_f32_e32 v37, v37, v42
	v_add_f32_e32 v42, v43, v37
	v_sub_f32_e32 v43, v42, v43
	v_sub_f32_e32 v37, v37, v43
	v_add_f32_e32 v43, v38, v42
	v_sub_f32_e32 v44, v43, v38
	v_sub_f32_e32 v45, v43, v44
	v_sub_f32_e32 v41, v46, v41
	v_sub_f32_e32 v38, v38, v45
	v_sub_f32_e32 v42, v42, v44
	v_add_f32_e32 v38, v42, v38
	v_add_f32_e32 v42, v41, v37
	v_sub_f32_e32 v44, v42, v41
	v_sub_f32_e32 v45, v42, v44
	;; [unrolled: 1-line block ×4, first 2 shown]
	v_add_f32_e32 v38, v42, v38
	v_add_f32_e32 v37, v37, v41
	;; [unrolled: 1-line block ×3, first 2 shown]
	v_sub_f32_e32 v42, v41, v43
	v_sub_f32_e32 v38, v38, v42
	v_add_f32_e32 v37, v37, v38
	v_add_f32_e32 v37, v41, v37
	v_cmp_neq_f32_e64 s[4:5], s33, v40
	v_cndmask_b32_e64 v37, v39, v37, s[4:5]
	s_mov_b32 s4, 0x33800000
	v_cmp_lt_f32_e64 s[4:5], |v40|, s4
	v_cndmask_b32_e64 v37, v37, v40, s[4:5]
	v_add_f32_e32 v38, v36, v37
.LBB109_73:
	s_or_b64 exec, exec, s[62:63]
	v_mov_b32_e32 v36, v38
.LBB109_74:
	s_or_b64 exec, exec, s[66:67]
	v_and_b32_e32 v38, 16, v35
	v_mov_b32_dpp v37, v36 row_bcast:15 row_mask:0xf bank_mask:0xf
	v_cmp_ne_u32_e64 s[4:5], 0, v38
	s_and_saveexec_b64 s[66:67], s[4:5]
	s_cbranch_execz .LBB109_78
; %bb.75:
	v_max_f32_e32 v39, v36, v36
	v_max_f32_e32 v40, v37, v37
	v_min_f32_e32 v38, v40, v39
	v_cmp_u_f32_e64 s[4:5], v37, v37
	v_max_f32_e32 v39, v40, v39
	v_cndmask_b32_e64 v38, v38, v37, s[4:5]
	v_cmp_u_f32_e64 s[62:63], v36, v36
	v_cndmask_b32_e64 v39, v39, v37, s[4:5]
	v_cndmask_b32_e64 v38, v38, v36, s[62:63]
	;; [unrolled: 1-line block ×3, first 2 shown]
	s_movk_i32 s33, 0x1f8
	v_cmp_neq_f32_e64 s[4:5], v38, v36
	v_cmp_class_f32_e64 s[62:63], v38, s33
	s_or_b64 s[4:5], s[4:5], s[62:63]
	s_and_saveexec_b64 s[62:63], s[4:5]
	s_cbranch_execz .LBB109_77
; %bb.76:
	v_sub_f32_e32 v37, v38, v36
	s_mov_b32 s4, 0x3fb8aa3b
	v_mul_f32_e32 v38, 0x3fb8aa3b, v37
	v_fma_f32 v39, v37, s4, -v38
	v_rndne_f32_e32 v40, v38
	v_fmac_f32_e32 v39, 0x32a5705f, v37
	v_sub_f32_e32 v38, v38, v40
	v_add_f32_e32 v38, v38, v39
	v_exp_f32_e32 v38, v38
	v_cvt_i32_f32_e32 v39, v40
	s_mov_b32 s4, 0xc2ce8ed0
	v_cmp_ngt_f32_e64 s[4:5], s4, v37
	s_mov_b32 s33, 0x7f800000
	v_ldexp_f32 v38, v38, v39
	v_cndmask_b32_e64 v38, 0, v38, s[4:5]
	s_mov_b32 s4, 0x42b17218
	v_mov_b32_e32 v39, 0x7f800000
	v_cmp_nlt_f32_e64 s[4:5], s4, v37
	v_cndmask_b32_e64 v40, v39, v38, s[4:5]
	v_add_f32_e32 v41, 1.0, v40
	v_cvt_f64_f32_e32 v[37:38], v41
	v_add_f32_e32 v42, -1.0, v41
	v_sub_f32_e32 v43, v42, v41
	v_sub_f32_e32 v42, v40, v42
	v_frexp_exp_i32_f64_e32 v37, v[37:38]
	v_add_f32_e32 v38, 1.0, v43
	v_add_f32_e32 v38, v42, v38
	v_frexp_mant_f32_e32 v42, v41
	s_mov_b32 s4, 0x3f2aaaab
	v_cmp_gt_f32_e64 s[4:5], s4, v42
	v_subbrev_co_u32_e64 v37, s[4:5], 0, v37, s[4:5]
	v_sub_u32_e32 v42, 0, v37
	v_ldexp_f32 v41, v41, v42
	v_ldexp_f32 v38, v38, v42
	v_add_f32_e32 v42, -1.0, v41
	v_add_f32_e32 v45, 1.0, v41
	v_add_f32_e32 v43, 1.0, v42
	v_add_f32_e32 v46, -1.0, v45
	v_sub_f32_e32 v43, v41, v43
	v_sub_f32_e32 v41, v41, v46
	v_add_f32_e32 v43, v38, v43
	v_add_f32_e32 v38, v38, v41
	;; [unrolled: 1-line block ×3, first 2 shown]
	v_rcp_f32_e32 v46, v41
	v_add_f32_e32 v44, v42, v43
	v_sub_f32_e32 v42, v42, v44
	v_add_f32_e32 v42, v43, v42
	v_sub_f32_e32 v43, v45, v41
	v_add_f32_e32 v38, v38, v43
	v_mul_f32_e32 v43, v44, v46
	v_mul_f32_e32 v45, v41, v43
	v_fma_f32 v47, v43, v41, -v45
	v_fmac_f32_e32 v47, v43, v38
	v_add_f32_e32 v48, v45, v47
	v_sub_f32_e32 v49, v44, v48
	v_sub_f32_e32 v44, v44, v49
	v_sub_f32_e32 v45, v48, v45
	v_sub_f32_e32 v44, v44, v48
	v_add_f32_e32 v42, v42, v44
	v_sub_f32_e32 v44, v45, v47
	v_add_f32_e32 v42, v44, v42
	v_add_f32_e32 v44, v49, v42
	v_mul_f32_e32 v45, v46, v44
	v_mul_f32_e32 v47, v41, v45
	v_fma_f32 v41, v45, v41, -v47
	v_fmac_f32_e32 v41, v45, v38
	v_sub_f32_e32 v38, v49, v44
	v_add_f32_e32 v38, v42, v38
	v_add_f32_e32 v42, v47, v41
	v_sub_f32_e32 v48, v44, v42
	v_sub_f32_e32 v44, v44, v48
	;; [unrolled: 1-line block ×4, first 2 shown]
	v_add_f32_e32 v38, v38, v42
	v_sub_f32_e32 v41, v47, v41
	v_add_f32_e32 v38, v41, v38
	v_add_f32_e32 v41, v43, v45
	;; [unrolled: 1-line block ×3, first 2 shown]
	v_sub_f32_e32 v42, v41, v43
	v_mul_f32_e32 v38, v46, v38
	v_sub_f32_e32 v42, v45, v42
	v_add_f32_e32 v38, v42, v38
	v_cvt_f32_i32_e32 v37, v37
	v_add_f32_e32 v42, v41, v38
	v_mul_f32_e32 v43, v42, v42
	v_mov_b32_e32 v44, 0x3ecc95a3
	v_fmac_f32_e32 v44, 0x3e9b6dac, v43
	v_mov_b32_e32 v45, 0x3f2aaada
	v_fmac_f32_e32 v45, v43, v44
	s_mov_b32 s4, 0x3f317218
	v_mul_f32_e32 v44, 0x3f317218, v37
	v_fma_f32 v46, v37, s4, -v44
	v_fmac_f32_e32 v46, 0xb102e308, v37
	v_sub_f32_e32 v37, v42, v41
	v_sub_f32_e32 v37, v38, v37
	v_add_f32_e32 v38, v44, v46
	v_sub_f32_e32 v41, v38, v44
	v_ldexp_f32 v44, v42, 1
	v_mul_f32_e32 v42, v42, v43
	v_mul_f32_e32 v42, v42, v45
	v_add_f32_e32 v43, v44, v42
	v_sub_f32_e32 v44, v43, v44
	v_ldexp_f32 v37, v37, 1
	v_sub_f32_e32 v42, v42, v44
	v_add_f32_e32 v37, v37, v42
	v_add_f32_e32 v42, v43, v37
	v_sub_f32_e32 v43, v42, v43
	v_sub_f32_e32 v37, v37, v43
	v_add_f32_e32 v43, v38, v42
	v_sub_f32_e32 v44, v43, v38
	v_sub_f32_e32 v45, v43, v44
	;; [unrolled: 1-line block ×5, first 2 shown]
	v_add_f32_e32 v38, v42, v38
	v_add_f32_e32 v42, v41, v37
	v_sub_f32_e32 v44, v42, v41
	v_sub_f32_e32 v45, v42, v44
	;; [unrolled: 1-line block ×4, first 2 shown]
	v_add_f32_e32 v38, v42, v38
	v_add_f32_e32 v37, v37, v41
	v_add_f32_e32 v41, v43, v38
	v_sub_f32_e32 v42, v41, v43
	v_sub_f32_e32 v38, v38, v42
	v_add_f32_e32 v37, v37, v38
	v_add_f32_e32 v37, v41, v37
	v_cmp_neq_f32_e64 s[4:5], s33, v40
	v_cndmask_b32_e64 v37, v39, v37, s[4:5]
	s_mov_b32 s4, 0x33800000
	v_cmp_lt_f32_e64 s[4:5], |v40|, s4
	v_cndmask_b32_e64 v37, v37, v40, s[4:5]
	v_add_f32_e32 v37, v36, v37
.LBB109_77:
	s_or_b64 exec, exec, s[62:63]
	v_mov_b32_e32 v36, v37
.LBB109_78:
	s_or_b64 exec, exec, s[66:67]
	s_nop 0
	v_mov_b32_dpp v37, v36 row_bcast:31 row_mask:0xf bank_mask:0xf
	v_cmp_lt_u32_e64 s[4:5], 31, v35
	s_and_saveexec_b64 s[66:67], s[4:5]
	s_cbranch_execz .LBB109_82
; %bb.79:
	v_max_f32_e32 v39, v36, v36
	v_max_f32_e32 v40, v37, v37
	v_min_f32_e32 v38, v40, v39
	v_cmp_u_f32_e64 s[4:5], v37, v37
	v_max_f32_e32 v39, v40, v39
	v_cndmask_b32_e64 v38, v38, v37, s[4:5]
	v_cmp_u_f32_e64 s[62:63], v36, v36
	v_cndmask_b32_e64 v39, v39, v37, s[4:5]
	v_cndmask_b32_e64 v38, v38, v36, s[62:63]
	;; [unrolled: 1-line block ×3, first 2 shown]
	s_movk_i32 s33, 0x1f8
	v_cmp_neq_f32_e64 s[4:5], v38, v36
	v_cmp_class_f32_e64 s[62:63], v38, s33
	s_or_b64 s[4:5], s[4:5], s[62:63]
	s_and_saveexec_b64 s[62:63], s[4:5]
	s_cbranch_execz .LBB109_81
; %bb.80:
	v_sub_f32_e32 v37, v38, v36
	s_mov_b32 s4, 0x3fb8aa3b
	v_mul_f32_e32 v38, 0x3fb8aa3b, v37
	v_fma_f32 v39, v37, s4, -v38
	v_rndne_f32_e32 v40, v38
	v_fmac_f32_e32 v39, 0x32a5705f, v37
	v_sub_f32_e32 v38, v38, v40
	v_add_f32_e32 v38, v38, v39
	v_exp_f32_e32 v38, v38
	v_cvt_i32_f32_e32 v39, v40
	s_mov_b32 s4, 0xc2ce8ed0
	v_cmp_ngt_f32_e64 s[4:5], s4, v37
	s_mov_b32 s33, 0x7f800000
	v_ldexp_f32 v38, v38, v39
	v_cndmask_b32_e64 v38, 0, v38, s[4:5]
	s_mov_b32 s4, 0x42b17218
	v_mov_b32_e32 v39, 0x7f800000
	v_cmp_nlt_f32_e64 s[4:5], s4, v37
	v_cndmask_b32_e64 v40, v39, v38, s[4:5]
	v_add_f32_e32 v41, 1.0, v40
	v_cvt_f64_f32_e32 v[37:38], v41
	v_add_f32_e32 v42, -1.0, v41
	v_sub_f32_e32 v43, v42, v41
	v_sub_f32_e32 v42, v40, v42
	v_frexp_exp_i32_f64_e32 v37, v[37:38]
	v_add_f32_e32 v38, 1.0, v43
	v_add_f32_e32 v38, v42, v38
	v_frexp_mant_f32_e32 v42, v41
	s_mov_b32 s4, 0x3f2aaaab
	v_cmp_gt_f32_e64 s[4:5], s4, v42
	v_subbrev_co_u32_e64 v37, s[4:5], 0, v37, s[4:5]
	v_sub_u32_e32 v42, 0, v37
	v_ldexp_f32 v41, v41, v42
	v_ldexp_f32 v38, v38, v42
	v_add_f32_e32 v42, -1.0, v41
	v_add_f32_e32 v45, 1.0, v41
	v_add_f32_e32 v43, 1.0, v42
	v_add_f32_e32 v46, -1.0, v45
	v_sub_f32_e32 v43, v41, v43
	v_sub_f32_e32 v41, v41, v46
	v_add_f32_e32 v43, v38, v43
	v_add_f32_e32 v38, v38, v41
	;; [unrolled: 1-line block ×3, first 2 shown]
	v_rcp_f32_e32 v46, v41
	v_add_f32_e32 v44, v42, v43
	v_sub_f32_e32 v42, v42, v44
	v_add_f32_e32 v42, v43, v42
	v_sub_f32_e32 v43, v45, v41
	v_add_f32_e32 v38, v38, v43
	v_mul_f32_e32 v43, v44, v46
	v_mul_f32_e32 v45, v41, v43
	v_fma_f32 v47, v43, v41, -v45
	v_fmac_f32_e32 v47, v43, v38
	v_add_f32_e32 v48, v45, v47
	v_sub_f32_e32 v49, v44, v48
	v_sub_f32_e32 v44, v44, v49
	;; [unrolled: 1-line block ×4, first 2 shown]
	v_add_f32_e32 v42, v42, v44
	v_sub_f32_e32 v44, v45, v47
	v_add_f32_e32 v42, v44, v42
	v_add_f32_e32 v44, v49, v42
	v_mul_f32_e32 v45, v46, v44
	v_mul_f32_e32 v47, v41, v45
	v_fma_f32 v41, v45, v41, -v47
	v_fmac_f32_e32 v41, v45, v38
	v_sub_f32_e32 v38, v49, v44
	v_add_f32_e32 v38, v42, v38
	v_add_f32_e32 v42, v47, v41
	v_sub_f32_e32 v48, v44, v42
	v_sub_f32_e32 v44, v44, v48
	;; [unrolled: 1-line block ×4, first 2 shown]
	v_add_f32_e32 v38, v38, v42
	v_sub_f32_e32 v41, v47, v41
	v_add_f32_e32 v38, v41, v38
	v_add_f32_e32 v41, v43, v45
	;; [unrolled: 1-line block ×3, first 2 shown]
	v_sub_f32_e32 v42, v41, v43
	v_mul_f32_e32 v38, v46, v38
	v_sub_f32_e32 v42, v45, v42
	v_add_f32_e32 v38, v42, v38
	v_cvt_f32_i32_e32 v37, v37
	v_add_f32_e32 v42, v41, v38
	v_mul_f32_e32 v43, v42, v42
	v_mov_b32_e32 v44, 0x3ecc95a3
	v_fmac_f32_e32 v44, 0x3e9b6dac, v43
	v_mov_b32_e32 v45, 0x3f2aaada
	v_fmac_f32_e32 v45, v43, v44
	s_mov_b32 s4, 0x3f317218
	v_mul_f32_e32 v44, 0x3f317218, v37
	v_fma_f32 v46, v37, s4, -v44
	v_fmac_f32_e32 v46, 0xb102e308, v37
	v_sub_f32_e32 v37, v42, v41
	v_sub_f32_e32 v37, v38, v37
	v_add_f32_e32 v38, v44, v46
	v_sub_f32_e32 v41, v38, v44
	v_ldexp_f32 v44, v42, 1
	v_mul_f32_e32 v42, v42, v43
	v_mul_f32_e32 v42, v42, v45
	v_add_f32_e32 v43, v44, v42
	v_sub_f32_e32 v44, v43, v44
	v_ldexp_f32 v37, v37, 1
	v_sub_f32_e32 v42, v42, v44
	v_add_f32_e32 v37, v37, v42
	v_add_f32_e32 v42, v43, v37
	v_sub_f32_e32 v43, v42, v43
	v_sub_f32_e32 v37, v37, v43
	v_add_f32_e32 v43, v38, v42
	v_sub_f32_e32 v44, v43, v38
	v_sub_f32_e32 v45, v43, v44
	v_sub_f32_e32 v41, v46, v41
	v_sub_f32_e32 v38, v38, v45
	v_sub_f32_e32 v42, v42, v44
	v_add_f32_e32 v38, v42, v38
	v_add_f32_e32 v42, v41, v37
	v_sub_f32_e32 v44, v42, v41
	v_sub_f32_e32 v45, v42, v44
	;; [unrolled: 1-line block ×4, first 2 shown]
	v_add_f32_e32 v38, v42, v38
	v_add_f32_e32 v37, v37, v41
	;; [unrolled: 1-line block ×3, first 2 shown]
	v_sub_f32_e32 v42, v41, v43
	v_sub_f32_e32 v38, v38, v42
	v_add_f32_e32 v37, v37, v38
	v_add_f32_e32 v37, v41, v37
	v_cmp_neq_f32_e64 s[4:5], s33, v40
	v_cndmask_b32_e64 v37, v39, v37, s[4:5]
	s_mov_b32 s4, 0x33800000
	v_cmp_lt_f32_e64 s[4:5], |v40|, s4
	v_cndmask_b32_e64 v37, v37, v40, s[4:5]
	v_add_f32_e32 v37, v36, v37
.LBB109_81:
	s_or_b64 exec, exec, s[62:63]
	v_mov_b32_e32 v36, v37
.LBB109_82:
	s_or_b64 exec, exec, s[66:67]
	v_or_b32_e32 v38, 63, v0
	v_lshrrev_b32_e32 v37, 6, v0
	v_cmp_eq_u32_e64 s[4:5], v0, v38
	s_and_saveexec_b64 s[62:63], s[4:5]
; %bb.83:
	v_lshlrev_b32_e32 v38, 2, v37
	ds_write_b32 v38, v36
; %bb.84:
	s_or_b64 exec, exec, s[62:63]
	v_cmp_gt_u32_e64 s[4:5], 4, v0
	s_waitcnt lgkmcnt(0)
	s_barrier
	s_and_saveexec_b64 s[66:67], s[4:5]
	s_cbranch_execz .LBB109_94
; %bb.85:
	ds_read_b32 v39, v16
	v_and_b32_e32 v38, 3, v35
	v_cmp_ne_u32_e64 s[4:5], 0, v38
	s_waitcnt lgkmcnt(0)
	v_mov_b32_dpp v40, v39 row_shr:1 row_mask:0xf bank_mask:0xf
	s_and_saveexec_b64 s[68:69], s[4:5]
	s_cbranch_execz .LBB109_89
; %bb.86:
	v_max_f32_e32 v42, v39, v39
	v_max_f32_e32 v43, v40, v40
	v_min_f32_e32 v41, v43, v42
	v_cmp_u_f32_e64 s[4:5], v40, v40
	v_max_f32_e32 v42, v43, v42
	v_cndmask_b32_e64 v41, v41, v40, s[4:5]
	v_cmp_u_f32_e64 s[62:63], v39, v39
	v_cndmask_b32_e64 v42, v42, v40, s[4:5]
	v_cndmask_b32_e64 v41, v41, v39, s[62:63]
	;; [unrolled: 1-line block ×3, first 2 shown]
	s_movk_i32 s33, 0x1f8
	v_cmp_neq_f32_e64 s[4:5], v41, v39
	v_cmp_class_f32_e64 s[62:63], v41, s33
	s_or_b64 s[4:5], s[4:5], s[62:63]
	s_and_saveexec_b64 s[62:63], s[4:5]
	s_cbranch_execz .LBB109_88
; %bb.87:
	v_sub_f32_e32 v40, v41, v39
	s_mov_b32 s4, 0x3fb8aa3b
	v_mul_f32_e32 v41, 0x3fb8aa3b, v40
	v_fma_f32 v42, v40, s4, -v41
	v_rndne_f32_e32 v43, v41
	v_fmac_f32_e32 v42, 0x32a5705f, v40
	v_sub_f32_e32 v41, v41, v43
	v_add_f32_e32 v41, v41, v42
	v_exp_f32_e32 v41, v41
	v_cvt_i32_f32_e32 v42, v43
	s_mov_b32 s4, 0xc2ce8ed0
	v_cmp_ngt_f32_e64 s[4:5], s4, v40
	s_mov_b32 s33, 0x7f800000
	v_ldexp_f32 v41, v41, v42
	v_cndmask_b32_e64 v41, 0, v41, s[4:5]
	s_mov_b32 s4, 0x42b17218
	v_mov_b32_e32 v42, 0x7f800000
	v_cmp_nlt_f32_e64 s[4:5], s4, v40
	v_cndmask_b32_e64 v43, v42, v41, s[4:5]
	v_add_f32_e32 v44, 1.0, v43
	v_cvt_f64_f32_e32 v[40:41], v44
	v_add_f32_e32 v45, -1.0, v44
	v_sub_f32_e32 v46, v45, v44
	v_sub_f32_e32 v45, v43, v45
	v_frexp_exp_i32_f64_e32 v40, v[40:41]
	v_add_f32_e32 v41, 1.0, v46
	v_add_f32_e32 v41, v45, v41
	v_frexp_mant_f32_e32 v45, v44
	s_mov_b32 s4, 0x3f2aaaab
	v_cmp_gt_f32_e64 s[4:5], s4, v45
	v_subbrev_co_u32_e64 v40, s[4:5], 0, v40, s[4:5]
	v_sub_u32_e32 v45, 0, v40
	v_ldexp_f32 v44, v44, v45
	v_ldexp_f32 v41, v41, v45
	v_add_f32_e32 v45, -1.0, v44
	v_add_f32_e32 v48, 1.0, v44
	v_add_f32_e32 v46, 1.0, v45
	v_add_f32_e32 v49, -1.0, v48
	v_sub_f32_e32 v46, v44, v46
	v_sub_f32_e32 v44, v44, v49
	v_add_f32_e32 v46, v41, v46
	v_add_f32_e32 v41, v41, v44
	;; [unrolled: 1-line block ×3, first 2 shown]
	v_rcp_f32_e32 v49, v44
	v_add_f32_e32 v47, v45, v46
	v_sub_f32_e32 v45, v45, v47
	v_add_f32_e32 v45, v46, v45
	v_sub_f32_e32 v46, v48, v44
	v_add_f32_e32 v41, v41, v46
	v_mul_f32_e32 v46, v47, v49
	v_mul_f32_e32 v48, v44, v46
	v_fma_f32 v50, v46, v44, -v48
	v_fmac_f32_e32 v50, v46, v41
	v_add_f32_e32 v51, v48, v50
	v_sub_f32_e32 v52, v47, v51
	v_sub_f32_e32 v47, v47, v52
	;; [unrolled: 1-line block ×4, first 2 shown]
	v_add_f32_e32 v45, v45, v47
	v_sub_f32_e32 v47, v48, v50
	v_add_f32_e32 v45, v47, v45
	v_add_f32_e32 v47, v52, v45
	v_mul_f32_e32 v48, v49, v47
	v_mul_f32_e32 v50, v44, v48
	v_fma_f32 v44, v48, v44, -v50
	v_fmac_f32_e32 v44, v48, v41
	v_sub_f32_e32 v41, v52, v47
	v_add_f32_e32 v41, v45, v41
	v_add_f32_e32 v45, v50, v44
	v_sub_f32_e32 v51, v47, v45
	v_sub_f32_e32 v47, v47, v51
	;; [unrolled: 1-line block ×4, first 2 shown]
	v_add_f32_e32 v41, v41, v45
	v_sub_f32_e32 v44, v50, v44
	v_add_f32_e32 v41, v44, v41
	v_add_f32_e32 v44, v46, v48
	;; [unrolled: 1-line block ×3, first 2 shown]
	v_sub_f32_e32 v45, v44, v46
	v_mul_f32_e32 v41, v49, v41
	v_sub_f32_e32 v45, v48, v45
	v_add_f32_e32 v41, v45, v41
	v_cvt_f32_i32_e32 v40, v40
	v_add_f32_e32 v45, v44, v41
	v_mul_f32_e32 v46, v45, v45
	v_mov_b32_e32 v47, 0x3ecc95a3
	v_fmac_f32_e32 v47, 0x3e9b6dac, v46
	v_mov_b32_e32 v48, 0x3f2aaada
	v_fmac_f32_e32 v48, v46, v47
	s_mov_b32 s4, 0x3f317218
	v_mul_f32_e32 v47, 0x3f317218, v40
	v_fma_f32 v49, v40, s4, -v47
	v_fmac_f32_e32 v49, 0xb102e308, v40
	v_sub_f32_e32 v40, v45, v44
	v_sub_f32_e32 v40, v41, v40
	v_add_f32_e32 v41, v47, v49
	v_sub_f32_e32 v44, v41, v47
	v_ldexp_f32 v47, v45, 1
	v_mul_f32_e32 v45, v45, v46
	v_mul_f32_e32 v45, v45, v48
	v_add_f32_e32 v46, v47, v45
	v_sub_f32_e32 v47, v46, v47
	v_ldexp_f32 v40, v40, 1
	v_sub_f32_e32 v45, v45, v47
	v_add_f32_e32 v40, v40, v45
	v_add_f32_e32 v45, v46, v40
	v_sub_f32_e32 v46, v45, v46
	v_sub_f32_e32 v40, v40, v46
	v_add_f32_e32 v46, v41, v45
	v_sub_f32_e32 v47, v46, v41
	v_sub_f32_e32 v48, v46, v47
	;; [unrolled: 1-line block ×5, first 2 shown]
	v_add_f32_e32 v41, v45, v41
	v_add_f32_e32 v45, v44, v40
	v_sub_f32_e32 v47, v45, v44
	v_sub_f32_e32 v48, v45, v47
	;; [unrolled: 1-line block ×4, first 2 shown]
	v_add_f32_e32 v41, v45, v41
	v_add_f32_e32 v40, v40, v44
	;; [unrolled: 1-line block ×3, first 2 shown]
	v_sub_f32_e32 v45, v44, v46
	v_sub_f32_e32 v41, v41, v45
	v_add_f32_e32 v40, v40, v41
	v_add_f32_e32 v40, v44, v40
	v_cmp_neq_f32_e64 s[4:5], s33, v43
	v_cndmask_b32_e64 v40, v42, v40, s[4:5]
	s_mov_b32 s4, 0x33800000
	v_cmp_lt_f32_e64 s[4:5], |v43|, s4
	v_cndmask_b32_e64 v40, v40, v43, s[4:5]
	v_add_f32_e32 v40, v39, v40
.LBB109_88:
	s_or_b64 exec, exec, s[62:63]
	v_mov_b32_e32 v39, v40
.LBB109_89:
	s_or_b64 exec, exec, s[68:69]
	s_nop 0
	v_mov_b32_dpp v40, v39 row_shr:2 row_mask:0xf bank_mask:0xf
	v_cmp_lt_u32_e64 s[4:5], 1, v38
	s_and_saveexec_b64 s[68:69], s[4:5]
	s_cbranch_execz .LBB109_93
; %bb.90:
	v_max_f32_e32 v38, v39, v39
	v_max_f32_e32 v42, v40, v40
	v_min_f32_e32 v41, v42, v38
	v_cmp_u_f32_e64 s[4:5], v40, v40
	v_max_f32_e32 v38, v42, v38
	v_cndmask_b32_e64 v41, v41, v40, s[4:5]
	v_cmp_u_f32_e64 s[62:63], v39, v39
	v_cndmask_b32_e64 v38, v38, v40, s[4:5]
	v_cndmask_b32_e64 v41, v41, v39, s[62:63]
	;; [unrolled: 1-line block ×3, first 2 shown]
	s_movk_i32 s33, 0x1f8
	v_cmp_neq_f32_e64 s[4:5], v41, v38
	v_cmp_class_f32_e64 s[62:63], v41, s33
	s_or_b64 s[4:5], s[4:5], s[62:63]
	s_and_saveexec_b64 s[62:63], s[4:5]
	s_cbranch_execz .LBB109_92
; %bb.91:
	v_sub_f32_e32 v39, v41, v38
	s_mov_b32 s4, 0x3fb8aa3b
	v_mul_f32_e32 v40, 0x3fb8aa3b, v39
	v_fma_f32 v41, v39, s4, -v40
	v_rndne_f32_e32 v42, v40
	v_fmac_f32_e32 v41, 0x32a5705f, v39
	v_sub_f32_e32 v40, v40, v42
	v_add_f32_e32 v40, v40, v41
	v_exp_f32_e32 v40, v40
	v_cvt_i32_f32_e32 v41, v42
	s_mov_b32 s4, 0xc2ce8ed0
	v_cmp_ngt_f32_e64 s[4:5], s4, v39
	s_mov_b32 s33, 0x7f800000
	v_ldexp_f32 v40, v40, v41
	v_cndmask_b32_e64 v40, 0, v40, s[4:5]
	s_mov_b32 s4, 0x42b17218
	v_mov_b32_e32 v41, 0x7f800000
	v_cmp_nlt_f32_e64 s[4:5], s4, v39
	v_cndmask_b32_e64 v42, v41, v40, s[4:5]
	v_add_f32_e32 v43, 1.0, v42
	v_cvt_f64_f32_e32 v[39:40], v43
	v_add_f32_e32 v44, -1.0, v43
	v_sub_f32_e32 v45, v44, v43
	v_sub_f32_e32 v44, v42, v44
	v_frexp_exp_i32_f64_e32 v39, v[39:40]
	v_add_f32_e32 v40, 1.0, v45
	v_add_f32_e32 v40, v44, v40
	v_frexp_mant_f32_e32 v44, v43
	s_mov_b32 s4, 0x3f2aaaab
	v_cmp_gt_f32_e64 s[4:5], s4, v44
	v_subbrev_co_u32_e64 v39, s[4:5], 0, v39, s[4:5]
	v_sub_u32_e32 v44, 0, v39
	v_ldexp_f32 v43, v43, v44
	v_ldexp_f32 v40, v40, v44
	v_add_f32_e32 v44, -1.0, v43
	v_add_f32_e32 v47, 1.0, v43
	v_add_f32_e32 v45, 1.0, v44
	v_add_f32_e32 v48, -1.0, v47
	v_sub_f32_e32 v45, v43, v45
	v_sub_f32_e32 v43, v43, v48
	v_add_f32_e32 v45, v40, v45
	v_add_f32_e32 v40, v40, v43
	;; [unrolled: 1-line block ×3, first 2 shown]
	v_rcp_f32_e32 v48, v43
	v_add_f32_e32 v46, v44, v45
	v_sub_f32_e32 v44, v44, v46
	v_add_f32_e32 v44, v45, v44
	v_sub_f32_e32 v45, v47, v43
	v_add_f32_e32 v40, v40, v45
	v_mul_f32_e32 v45, v46, v48
	v_mul_f32_e32 v47, v43, v45
	v_fma_f32 v49, v45, v43, -v47
	v_fmac_f32_e32 v49, v45, v40
	v_add_f32_e32 v50, v47, v49
	v_sub_f32_e32 v51, v46, v50
	v_sub_f32_e32 v46, v46, v51
	;; [unrolled: 1-line block ×4, first 2 shown]
	v_add_f32_e32 v44, v44, v46
	v_sub_f32_e32 v46, v47, v49
	v_add_f32_e32 v44, v46, v44
	v_add_f32_e32 v46, v51, v44
	v_mul_f32_e32 v47, v48, v46
	v_mul_f32_e32 v49, v43, v47
	v_fma_f32 v43, v47, v43, -v49
	v_fmac_f32_e32 v43, v47, v40
	v_sub_f32_e32 v40, v51, v46
	v_add_f32_e32 v40, v44, v40
	v_add_f32_e32 v44, v49, v43
	v_sub_f32_e32 v50, v46, v44
	v_sub_f32_e32 v46, v46, v50
	;; [unrolled: 1-line block ×4, first 2 shown]
	v_add_f32_e32 v40, v40, v44
	v_sub_f32_e32 v43, v49, v43
	v_add_f32_e32 v40, v43, v40
	v_add_f32_e32 v43, v45, v47
	;; [unrolled: 1-line block ×3, first 2 shown]
	v_sub_f32_e32 v44, v43, v45
	v_mul_f32_e32 v40, v48, v40
	v_sub_f32_e32 v44, v47, v44
	v_add_f32_e32 v40, v44, v40
	v_cvt_f32_i32_e32 v39, v39
	v_add_f32_e32 v44, v43, v40
	v_mul_f32_e32 v45, v44, v44
	v_mov_b32_e32 v46, 0x3ecc95a3
	v_fmac_f32_e32 v46, 0x3e9b6dac, v45
	v_mov_b32_e32 v47, 0x3f2aaada
	v_fmac_f32_e32 v47, v45, v46
	s_mov_b32 s4, 0x3f317218
	v_mul_f32_e32 v46, 0x3f317218, v39
	v_fma_f32 v48, v39, s4, -v46
	v_fmac_f32_e32 v48, 0xb102e308, v39
	v_sub_f32_e32 v39, v44, v43
	v_sub_f32_e32 v39, v40, v39
	v_add_f32_e32 v40, v46, v48
	v_sub_f32_e32 v43, v40, v46
	v_ldexp_f32 v46, v44, 1
	v_mul_f32_e32 v44, v44, v45
	v_mul_f32_e32 v44, v44, v47
	v_add_f32_e32 v45, v46, v44
	v_sub_f32_e32 v46, v45, v46
	v_ldexp_f32 v39, v39, 1
	v_sub_f32_e32 v44, v44, v46
	v_add_f32_e32 v39, v39, v44
	v_add_f32_e32 v44, v45, v39
	v_sub_f32_e32 v45, v44, v45
	v_sub_f32_e32 v39, v39, v45
	v_add_f32_e32 v45, v40, v44
	v_sub_f32_e32 v46, v45, v40
	v_sub_f32_e32 v47, v45, v46
	;; [unrolled: 1-line block ×5, first 2 shown]
	v_add_f32_e32 v40, v44, v40
	v_add_f32_e32 v44, v43, v39
	v_sub_f32_e32 v46, v44, v43
	v_sub_f32_e32 v47, v44, v46
	;; [unrolled: 1-line block ×4, first 2 shown]
	v_add_f32_e32 v40, v44, v40
	v_add_f32_e32 v39, v39, v43
	;; [unrolled: 1-line block ×3, first 2 shown]
	v_sub_f32_e32 v44, v43, v45
	v_sub_f32_e32 v40, v40, v44
	v_add_f32_e32 v39, v39, v40
	v_add_f32_e32 v39, v43, v39
	v_cmp_neq_f32_e64 s[4:5], s33, v42
	v_cndmask_b32_e64 v39, v41, v39, s[4:5]
	s_mov_b32 s4, 0x33800000
	v_cmp_lt_f32_e64 s[4:5], |v42|, s4
	v_cndmask_b32_e64 v39, v39, v42, s[4:5]
	v_add_f32_e32 v40, v38, v39
.LBB109_92:
	s_or_b64 exec, exec, s[62:63]
	v_mov_b32_e32 v39, v40
.LBB109_93:
	s_or_b64 exec, exec, s[68:69]
	ds_write_b32 v16, v39
.LBB109_94:
	s_or_b64 exec, exec, s[66:67]
	v_cmp_lt_u32_e64 s[4:5], 63, v0
	s_waitcnt lgkmcnt(0)
	s_barrier
                                        ; implicit-def: $vgpr38
	s_and_saveexec_b64 s[66:67], s[4:5]
	s_cbranch_execz .LBB109_98
; %bb.95:
	v_lshl_add_u32 v37, v37, 2, -4
	ds_read_b32 v38, v37
	v_max_f32_e32 v37, v36, v36
	v_cmp_u_f32_e64 s[62:63], v36, v36
	s_movk_i32 s33, 0x1f8
	s_waitcnt lgkmcnt(0)
	v_max_f32_e32 v39, v38, v38
	v_min_f32_e32 v40, v39, v37
	v_max_f32_e32 v37, v39, v37
	v_cmp_u_f32_e64 s[4:5], v38, v38
	v_cndmask_b32_e64 v39, v40, v38, s[4:5]
	v_cndmask_b32_e64 v37, v37, v38, s[4:5]
	;; [unrolled: 1-line block ×4, first 2 shown]
	v_cmp_neq_f32_e64 s[4:5], v39, v37
	v_cmp_class_f32_e64 s[62:63], v39, s33
	s_or_b64 s[4:5], s[4:5], s[62:63]
	v_mov_b32_e32 v36, v38
	s_and_saveexec_b64 s[62:63], s[4:5]
	s_cbranch_execz .LBB109_97
; %bb.96:
	v_sub_f32_e32 v36, v39, v37
	s_mov_b32 s4, 0x3fb8aa3b
	v_mul_f32_e32 v39, 0x3fb8aa3b, v36
	v_fma_f32 v40, v36, s4, -v39
	v_rndne_f32_e32 v41, v39
	v_fmac_f32_e32 v40, 0x32a5705f, v36
	v_sub_f32_e32 v39, v39, v41
	v_add_f32_e32 v39, v39, v40
	v_exp_f32_e32 v39, v39
	v_cvt_i32_f32_e32 v40, v41
	s_mov_b32 s4, 0xc2ce8ed0
	v_cmp_ngt_f32_e64 s[4:5], s4, v36
	v_mov_b32_e32 v41, 0x7f800000
	v_ldexp_f32 v39, v39, v40
	v_cndmask_b32_e64 v39, 0, v39, s[4:5]
	s_mov_b32 s4, 0x42b17218
	v_cmp_nlt_f32_e64 s[4:5], s4, v36
	v_cndmask_b32_e64 v36, v41, v39, s[4:5]
	v_add_f32_e32 v42, 1.0, v36
	v_cvt_f64_f32_e32 v[39:40], v42
	v_add_f32_e32 v43, -1.0, v42
	v_sub_f32_e32 v44, v43, v42
	v_sub_f32_e32 v43, v36, v43
	v_frexp_exp_i32_f64_e32 v39, v[39:40]
	v_add_f32_e32 v40, 1.0, v44
	v_add_f32_e32 v40, v43, v40
	v_frexp_mant_f32_e32 v43, v42
	s_mov_b32 s4, 0x3f2aaaab
	v_cmp_gt_f32_e64 s[4:5], s4, v43
	s_mov_b32 s33, 0x7f800000
	v_subbrev_co_u32_e64 v39, s[4:5], 0, v39, s[4:5]
	v_sub_u32_e32 v43, 0, v39
	v_ldexp_f32 v42, v42, v43
	v_ldexp_f32 v40, v40, v43
	v_add_f32_e32 v43, -1.0, v42
	v_add_f32_e32 v46, 1.0, v42
	v_add_f32_e32 v44, 1.0, v43
	v_add_f32_e32 v47, -1.0, v46
	v_sub_f32_e32 v44, v42, v44
	v_sub_f32_e32 v42, v42, v47
	v_add_f32_e32 v44, v40, v44
	v_add_f32_e32 v40, v40, v42
	v_add_f32_e32 v42, v46, v40
	v_rcp_f32_e32 v47, v42
	v_add_f32_e32 v45, v43, v44
	v_sub_f32_e32 v43, v43, v45
	v_add_f32_e32 v43, v44, v43
	v_sub_f32_e32 v44, v46, v42
	v_add_f32_e32 v40, v40, v44
	v_mul_f32_e32 v44, v45, v47
	v_mul_f32_e32 v46, v42, v44
	v_fma_f32 v48, v44, v42, -v46
	v_fmac_f32_e32 v48, v44, v40
	v_add_f32_e32 v49, v46, v48
	v_sub_f32_e32 v50, v45, v49
	v_sub_f32_e32 v45, v45, v50
	;; [unrolled: 1-line block ×4, first 2 shown]
	v_add_f32_e32 v43, v43, v45
	v_sub_f32_e32 v45, v46, v48
	v_add_f32_e32 v43, v45, v43
	v_add_f32_e32 v45, v50, v43
	v_mul_f32_e32 v46, v47, v45
	v_mul_f32_e32 v48, v42, v46
	v_fma_f32 v42, v46, v42, -v48
	v_fmac_f32_e32 v42, v46, v40
	v_sub_f32_e32 v40, v50, v45
	v_add_f32_e32 v40, v43, v40
	v_add_f32_e32 v43, v48, v42
	v_sub_f32_e32 v49, v45, v43
	v_sub_f32_e32 v45, v45, v49
	;; [unrolled: 1-line block ×4, first 2 shown]
	v_add_f32_e32 v40, v40, v43
	v_sub_f32_e32 v42, v48, v42
	v_add_f32_e32 v40, v42, v40
	v_add_f32_e32 v42, v44, v46
	;; [unrolled: 1-line block ×3, first 2 shown]
	v_sub_f32_e32 v43, v42, v44
	v_mul_f32_e32 v40, v47, v40
	v_sub_f32_e32 v43, v46, v43
	v_add_f32_e32 v40, v43, v40
	v_cvt_f32_i32_e32 v39, v39
	v_add_f32_e32 v43, v42, v40
	v_mul_f32_e32 v44, v43, v43
	v_mov_b32_e32 v45, 0x3ecc95a3
	v_fmac_f32_e32 v45, 0x3e9b6dac, v44
	v_mov_b32_e32 v46, 0x3f2aaada
	v_fmac_f32_e32 v46, v44, v45
	s_mov_b32 s4, 0x3f317218
	v_mul_f32_e32 v45, 0x3f317218, v39
	v_fma_f32 v47, v39, s4, -v45
	v_fmac_f32_e32 v47, 0xb102e308, v39
	v_sub_f32_e32 v39, v43, v42
	v_sub_f32_e32 v39, v40, v39
	v_add_f32_e32 v40, v45, v47
	v_sub_f32_e32 v42, v40, v45
	v_ldexp_f32 v45, v43, 1
	v_mul_f32_e32 v43, v43, v44
	v_mul_f32_e32 v43, v43, v46
	v_add_f32_e32 v44, v45, v43
	v_sub_f32_e32 v45, v44, v45
	v_ldexp_f32 v39, v39, 1
	v_sub_f32_e32 v43, v43, v45
	v_add_f32_e32 v39, v39, v43
	v_add_f32_e32 v43, v44, v39
	v_sub_f32_e32 v44, v43, v44
	v_sub_f32_e32 v39, v39, v44
	v_add_f32_e32 v44, v40, v43
	v_sub_f32_e32 v45, v44, v40
	v_sub_f32_e32 v46, v44, v45
	;; [unrolled: 1-line block ×5, first 2 shown]
	v_add_f32_e32 v40, v43, v40
	v_add_f32_e32 v43, v42, v39
	v_sub_f32_e32 v45, v43, v42
	v_sub_f32_e32 v46, v43, v45
	v_sub_f32_e32 v42, v42, v46
	v_sub_f32_e32 v39, v39, v45
	v_add_f32_e32 v40, v43, v40
	v_add_f32_e32 v39, v39, v42
	v_add_f32_e32 v42, v44, v40
	v_sub_f32_e32 v43, v42, v44
	v_sub_f32_e32 v40, v40, v43
	v_add_f32_e32 v39, v39, v40
	v_add_f32_e32 v39, v42, v39
	v_cmp_neq_f32_e64 s[4:5], s33, v36
	v_cndmask_b32_e64 v39, v41, v39, s[4:5]
	s_mov_b32 s4, 0x33800000
	v_cmp_lt_f32_e64 s[4:5], |v36|, s4
	v_cndmask_b32_e64 v36, v39, v36, s[4:5]
	v_add_f32_e32 v36, v37, v36
.LBB109_97:
	s_or_b64 exec, exec, s[62:63]
.LBB109_98:
	s_or_b64 exec, exec, s[66:67]
	v_add_u32_e32 v37, -1, v35
	v_and_b32_e32 v39, 64, v35
	v_cmp_lt_i32_e64 s[4:5], v37, v39
	v_cndmask_b32_e64 v37, v37, v35, s[4:5]
	v_lshlrev_b32_e32 v37, 2, v37
	ds_bpermute_b32 v36, v37, v36
	v_cmp_ne_u32_e64 s[4:5], 0, v0
	s_and_saveexec_b64 s[62:63], s[4:5]
	s_cbranch_execz .LBB109_102
; %bb.99:
	v_cmp_eq_u32_e64 s[4:5], 0, v35
	s_waitcnt lgkmcnt(0)
	v_cndmask_b32_e64 v35, v36, v38, s[4:5]
	v_max_f32_e32 v0, v35, v35
	v_min_f32_e32 v31, v0, v32
	v_cmp_u_f32_e64 s[4:5], v35, v35
	v_max_f32_e32 v0, v0, v32
	v_cndmask_b32_e64 v31, v31, v35, s[4:5]
	v_cndmask_b32_e64 v0, v0, v35, s[4:5]
	;; [unrolled: 1-line block ×4, first 2 shown]
	s_movk_i32 s33, 0x1f8
	v_cmp_neq_f32_e64 s[4:5], v31, v0
	v_cmp_class_f32_e64 s[58:59], v31, s33
	s_or_b64 s[4:5], s[4:5], s[58:59]
	s_and_saveexec_b64 s[58:59], s[4:5]
	s_cbranch_execz .LBB109_101
; %bb.100:
	v_sub_f32_e32 v1, v31, v0
	s_mov_b32 s4, 0x3fb8aa3b
	v_mul_f32_e32 v31, 0x3fb8aa3b, v1
	v_fma_f32 v32, v1, s4, -v31
	v_rndne_f32_e32 v33, v31
	v_fmac_f32_e32 v32, 0x32a5705f, v1
	v_sub_f32_e32 v31, v31, v33
	v_add_f32_e32 v31, v31, v32
	v_exp_f32_e32 v31, v31
	v_cvt_i32_f32_e32 v32, v33
	s_mov_b32 s4, 0xc2ce8ed0
	v_cmp_ngt_f32_e64 s[4:5], s4, v1
	v_mov_b32_e32 v33, 0x7f800000
	v_ldexp_f32 v31, v31, v32
	v_cndmask_b32_e64 v31, 0, v31, s[4:5]
	s_mov_b32 s4, 0x42b17218
	v_cmp_nlt_f32_e64 s[4:5], s4, v1
	v_cndmask_b32_e64 v1, v33, v31, s[4:5]
	v_add_f32_e32 v35, 1.0, v1
	v_cvt_f64_f32_e32 v[31:32], v35
	v_add_f32_e32 v36, -1.0, v35
	v_sub_f32_e32 v37, v36, v35
	v_sub_f32_e32 v36, v1, v36
	v_frexp_exp_i32_f64_e32 v31, v[31:32]
	v_add_f32_e32 v32, 1.0, v37
	v_add_f32_e32 v32, v36, v32
	v_frexp_mant_f32_e32 v36, v35
	s_mov_b32 s4, 0x3f2aaaab
	v_cmp_gt_f32_e64 s[4:5], s4, v36
	s_mov_b32 s33, 0x7f800000
	v_subbrev_co_u32_e64 v31, s[4:5], 0, v31, s[4:5]
	v_sub_u32_e32 v36, 0, v31
	v_ldexp_f32 v35, v35, v36
	v_ldexp_f32 v32, v32, v36
	v_add_f32_e32 v36, -1.0, v35
	v_add_f32_e32 v39, 1.0, v35
	v_add_f32_e32 v37, 1.0, v36
	v_add_f32_e32 v40, -1.0, v39
	v_sub_f32_e32 v37, v35, v37
	v_sub_f32_e32 v35, v35, v40
	v_add_f32_e32 v37, v32, v37
	v_add_f32_e32 v32, v32, v35
	v_add_f32_e32 v35, v39, v32
	v_rcp_f32_e32 v40, v35
	v_add_f32_e32 v38, v36, v37
	v_sub_f32_e32 v36, v36, v38
	v_add_f32_e32 v36, v37, v36
	v_sub_f32_e32 v37, v39, v35
	v_add_f32_e32 v32, v32, v37
	v_mul_f32_e32 v37, v38, v40
	v_mul_f32_e32 v39, v35, v37
	v_fma_f32 v41, v37, v35, -v39
	v_fmac_f32_e32 v41, v37, v32
	v_add_f32_e32 v42, v39, v41
	v_sub_f32_e32 v43, v38, v42
	v_sub_f32_e32 v38, v38, v43
	;; [unrolled: 1-line block ×4, first 2 shown]
	v_add_f32_e32 v36, v36, v38
	v_sub_f32_e32 v38, v39, v41
	v_add_f32_e32 v36, v38, v36
	v_add_f32_e32 v38, v43, v36
	v_mul_f32_e32 v39, v40, v38
	v_mul_f32_e32 v41, v35, v39
	v_fma_f32 v35, v39, v35, -v41
	v_fmac_f32_e32 v35, v39, v32
	v_sub_f32_e32 v32, v43, v38
	v_add_f32_e32 v32, v36, v32
	v_add_f32_e32 v36, v41, v35
	v_sub_f32_e32 v42, v38, v36
	v_sub_f32_e32 v38, v38, v42
	;; [unrolled: 1-line block ×4, first 2 shown]
	v_add_f32_e32 v32, v32, v36
	v_sub_f32_e32 v35, v41, v35
	v_add_f32_e32 v32, v35, v32
	v_add_f32_e32 v35, v37, v39
	;; [unrolled: 1-line block ×3, first 2 shown]
	v_sub_f32_e32 v36, v35, v37
	v_mul_f32_e32 v32, v40, v32
	v_sub_f32_e32 v36, v39, v36
	v_add_f32_e32 v32, v36, v32
	v_cvt_f32_i32_e32 v31, v31
	v_add_f32_e32 v36, v35, v32
	v_mul_f32_e32 v37, v36, v36
	v_mov_b32_e32 v38, 0x3ecc95a3
	v_fmac_f32_e32 v38, 0x3e9b6dac, v37
	v_mov_b32_e32 v39, 0x3f2aaada
	v_fmac_f32_e32 v39, v37, v38
	s_mov_b32 s4, 0x3f317218
	v_mul_f32_e32 v38, 0x3f317218, v31
	v_fma_f32 v40, v31, s4, -v38
	v_fmac_f32_e32 v40, 0xb102e308, v31
	v_sub_f32_e32 v31, v36, v35
	v_sub_f32_e32 v31, v32, v31
	v_add_f32_e32 v32, v38, v40
	v_sub_f32_e32 v35, v32, v38
	v_ldexp_f32 v38, v36, 1
	v_mul_f32_e32 v36, v36, v37
	v_mul_f32_e32 v36, v36, v39
	v_add_f32_e32 v37, v38, v36
	v_sub_f32_e32 v38, v37, v38
	v_ldexp_f32 v31, v31, 1
	v_sub_f32_e32 v36, v36, v38
	v_add_f32_e32 v31, v31, v36
	v_add_f32_e32 v36, v37, v31
	v_sub_f32_e32 v37, v36, v37
	v_sub_f32_e32 v31, v31, v37
	v_add_f32_e32 v37, v32, v36
	v_sub_f32_e32 v38, v37, v32
	v_sub_f32_e32 v39, v37, v38
	;; [unrolled: 1-line block ×5, first 2 shown]
	v_add_f32_e32 v32, v36, v32
	v_add_f32_e32 v36, v35, v31
	v_sub_f32_e32 v38, v36, v35
	v_sub_f32_e32 v39, v36, v38
	;; [unrolled: 1-line block ×4, first 2 shown]
	v_add_f32_e32 v32, v36, v32
	v_add_f32_e32 v31, v31, v35
	;; [unrolled: 1-line block ×3, first 2 shown]
	v_sub_f32_e32 v36, v35, v37
	v_sub_f32_e32 v32, v32, v36
	v_add_f32_e32 v31, v31, v32
	v_add_f32_e32 v31, v35, v31
	v_cmp_neq_f32_e64 s[4:5], s33, v1
	v_cndmask_b32_e64 v31, v33, v31, s[4:5]
	s_mov_b32 s4, 0x33800000
	v_cmp_lt_f32_e64 s[4:5], |v1|, s4
	v_cndmask_b32_e64 v1, v31, v1, s[4:5]
	v_add_f32_e32 v35, v0, v1
.LBB109_101:
	s_or_b64 exec, exec, s[58:59]
	v_max_f32_e32 v0, v35, v35
	v_min_f32_e32 v31, v0, v23
	v_max_f32_e32 v33, v0, v23
	v_mov_b32_e32 v1, v35
	;;#ASMSTART
	;;#ASMEND
.LBB109_102:
	s_or_b64 exec, exec, s[62:63]
	v_cmp_u_f32_e64 s[4:5], v1, v1
	v_cndmask_b32_e64 v0, v31, v1, s[4:5]
	v_cndmask_b32_e64 v23, v0, v2, s[28:29]
	;; [unrolled: 1-line block ×4, first 2 shown]
	s_movk_i32 s33, 0x1f8
	v_cmp_neq_f32_e64 s[4:5], v23, v2
	v_cmp_class_f32_e64 s[28:29], v23, s33
	s_or_b64 s[4:5], s[4:5], s[28:29]
	v_mov_b32_e32 v0, v1
	s_and_saveexec_b64 s[28:29], s[4:5]
	s_cbranch_execz .LBB109_104
; %bb.103:
	v_sub_f32_e32 v0, v23, v2
	s_mov_b32 s4, 0x3fb8aa3b
	v_mul_f32_e32 v23, 0x3fb8aa3b, v0
	v_fma_f32 v31, v0, s4, -v23
	v_rndne_f32_e32 v32, v23
	v_fmac_f32_e32 v31, 0x32a5705f, v0
	v_sub_f32_e32 v23, v23, v32
	v_add_f32_e32 v23, v23, v31
	v_exp_f32_e32 v23, v23
	v_cvt_i32_f32_e32 v31, v32
	s_mov_b32 s4, 0xc2ce8ed0
	v_cmp_ngt_f32_e64 s[4:5], s4, v0
	v_mov_b32_e32 v33, 0x7f800000
	v_ldexp_f32 v23, v23, v31
	v_cndmask_b32_e64 v23, 0, v23, s[4:5]
	s_mov_b32 s4, 0x42b17218
	v_cmp_nlt_f32_e64 s[4:5], s4, v0
	v_cndmask_b32_e64 v0, v33, v23, s[4:5]
	v_add_f32_e32 v23, 1.0, v0
	v_cvt_f64_f32_e32 v[31:32], v23
	v_add_f32_e32 v35, -1.0, v23
	s_waitcnt lgkmcnt(0)
	v_sub_f32_e32 v36, v35, v23
	v_sub_f32_e32 v35, v0, v35
	v_frexp_exp_i32_f64_e32 v31, v[31:32]
	v_add_f32_e32 v32, 1.0, v36
	v_add_f32_e32 v32, v35, v32
	v_frexp_mant_f32_e32 v35, v23
	s_mov_b32 s4, 0x3f2aaaab
	v_cmp_gt_f32_e64 s[4:5], s4, v35
	s_mov_b32 s58, 0x7f800000
	v_subbrev_co_u32_e64 v31, s[4:5], 0, v31, s[4:5]
	v_sub_u32_e32 v35, 0, v31
	v_ldexp_f32 v23, v23, v35
	v_ldexp_f32 v32, v32, v35
	v_add_f32_e32 v35, -1.0, v23
	v_add_f32_e32 v38, 1.0, v23
	v_add_f32_e32 v36, 1.0, v35
	v_add_f32_e32 v39, -1.0, v38
	v_sub_f32_e32 v36, v23, v36
	v_sub_f32_e32 v23, v23, v39
	v_add_f32_e32 v23, v32, v23
	v_add_f32_e32 v36, v32, v36
	;; [unrolled: 1-line block ×3, first 2 shown]
	v_rcp_f32_e32 v39, v32
	v_add_f32_e32 v37, v35, v36
	v_sub_f32_e32 v35, v35, v37
	v_add_f32_e32 v35, v36, v35
	v_sub_f32_e32 v36, v38, v32
	v_add_f32_e32 v23, v23, v36
	v_mul_f32_e32 v36, v37, v39
	v_mul_f32_e32 v38, v32, v36
	v_fma_f32 v40, v36, v32, -v38
	v_fmac_f32_e32 v40, v36, v23
	v_add_f32_e32 v41, v38, v40
	v_sub_f32_e32 v42, v37, v41
	v_sub_f32_e32 v37, v37, v42
	;; [unrolled: 1-line block ×4, first 2 shown]
	v_add_f32_e32 v35, v35, v37
	v_sub_f32_e32 v37, v38, v40
	v_add_f32_e32 v35, v37, v35
	v_add_f32_e32 v37, v42, v35
	v_mul_f32_e32 v38, v39, v37
	v_mul_f32_e32 v40, v32, v38
	v_fma_f32 v32, v38, v32, -v40
	v_fmac_f32_e32 v32, v38, v23
	v_sub_f32_e32 v23, v42, v37
	v_add_f32_e32 v23, v35, v23
	v_add_f32_e32 v35, v40, v32
	v_sub_f32_e32 v41, v37, v35
	v_sub_f32_e32 v37, v37, v41
	;; [unrolled: 1-line block ×4, first 2 shown]
	v_add_f32_e32 v23, v23, v35
	v_sub_f32_e32 v32, v40, v32
	v_add_f32_e32 v23, v32, v23
	v_add_f32_e32 v32, v36, v38
	;; [unrolled: 1-line block ×3, first 2 shown]
	v_sub_f32_e32 v35, v32, v36
	v_mul_f32_e32 v23, v39, v23
	v_sub_f32_e32 v35, v38, v35
	v_add_f32_e32 v23, v35, v23
	v_cvt_f32_i32_e32 v31, v31
	v_add_f32_e32 v35, v32, v23
	v_mul_f32_e32 v36, v35, v35
	v_mov_b32_e32 v37, 0x3ecc95a3
	v_fmac_f32_e32 v37, 0x3e9b6dac, v36
	v_mov_b32_e32 v38, 0x3f2aaada
	v_fmac_f32_e32 v38, v36, v37
	s_mov_b32 s4, 0x3f317218
	v_mul_f32_e32 v37, 0x3f317218, v31
	v_fma_f32 v39, v31, s4, -v37
	v_fmac_f32_e32 v39, 0xb102e308, v31
	v_sub_f32_e32 v31, v35, v32
	v_sub_f32_e32 v23, v23, v31
	v_add_f32_e32 v31, v37, v39
	v_sub_f32_e32 v32, v31, v37
	v_ldexp_f32 v37, v35, 1
	v_mul_f32_e32 v35, v35, v36
	v_mul_f32_e32 v35, v35, v38
	v_add_f32_e32 v36, v37, v35
	v_sub_f32_e32 v37, v36, v37
	v_ldexp_f32 v23, v23, 1
	v_sub_f32_e32 v35, v35, v37
	v_add_f32_e32 v23, v23, v35
	v_add_f32_e32 v35, v36, v23
	v_sub_f32_e32 v36, v35, v36
	v_sub_f32_e32 v23, v23, v36
	v_add_f32_e32 v36, v31, v35
	v_sub_f32_e32 v37, v36, v31
	v_sub_f32_e32 v38, v36, v37
	;; [unrolled: 1-line block ×5, first 2 shown]
	v_add_f32_e32 v31, v35, v31
	v_add_f32_e32 v35, v32, v23
	v_sub_f32_e32 v37, v35, v32
	v_sub_f32_e32 v38, v35, v37
	;; [unrolled: 1-line block ×4, first 2 shown]
	v_add_f32_e32 v31, v35, v31
	v_add_f32_e32 v23, v23, v32
	v_add_f32_e32 v32, v36, v31
	v_sub_f32_e32 v35, v32, v36
	v_sub_f32_e32 v31, v31, v35
	v_add_f32_e32 v23, v23, v31
	v_add_f32_e32 v23, v32, v23
	v_cmp_neq_f32_e64 s[4:5], s58, v0
	v_cndmask_b32_e64 v23, v33, v23, s[4:5]
	s_mov_b32 s4, 0x33800000
	v_cmp_lt_f32_e64 s[4:5], |v0|, s4
	v_cndmask_b32_e64 v0, v23, v0, s[4:5]
	v_add_f32_e32 v0, v2, v0
.LBB109_104:
	s_or_b64 exec, exec, s[28:29]
	v_max_f32_e32 v2, v0, v0
	v_min_f32_e32 v23, v2, v17
	v_cmp_u_f32_e64 s[4:5], v0, v0
	v_max_f32_e32 v2, v2, v17
	v_cndmask_b32_e64 v23, v23, v0, s[4:5]
	v_cndmask_b32_e64 v2, v2, v0, s[4:5]
	;; [unrolled: 1-line block ×4, first 2 shown]
	v_cmp_neq_f32_e64 s[4:5], v23, v13
	v_cmp_class_f32_e64 s[28:29], v23, s33
	s_or_b64 s[4:5], s[4:5], s[28:29]
	v_mov_b32_e32 v2, v0
	s_and_saveexec_b64 s[28:29], s[4:5]
	s_cbranch_execz .LBB109_106
; %bb.105:
	v_sub_f32_e32 v2, v23, v13
	s_mov_b32 s4, 0x3fb8aa3b
	v_mul_f32_e32 v17, 0x3fb8aa3b, v2
	v_fma_f32 v23, v2, s4, -v17
	v_rndne_f32_e32 v31, v17
	v_fmac_f32_e32 v23, 0x32a5705f, v2
	v_sub_f32_e32 v17, v17, v31
	v_add_f32_e32 v17, v17, v23
	v_exp_f32_e32 v17, v17
	v_cvt_i32_f32_e32 v23, v31
	s_mov_b32 s4, 0xc2ce8ed0
	v_cmp_ngt_f32_e64 s[4:5], s4, v2
	s_mov_b32 s30, 0x7f800000
	v_ldexp_f32 v17, v17, v23
	v_cndmask_b32_e64 v17, 0, v17, s[4:5]
	s_mov_b32 s4, 0x42b17218
	v_mov_b32_e32 v23, 0x7f800000
	v_cmp_nlt_f32_e64 s[4:5], s4, v2
	v_cndmask_b32_e64 v2, v23, v17, s[4:5]
	v_add_f32_e32 v17, 1.0, v2
	v_cvt_f64_f32_e32 v[31:32], v17
	v_add_f32_e32 v33, -1.0, v17
	v_sub_f32_e32 v35, v33, v17
	v_sub_f32_e32 v33, v2, v33
	v_frexp_exp_i32_f64_e32 v31, v[31:32]
	v_add_f32_e32 v32, 1.0, v35
	v_add_f32_e32 v32, v33, v32
	v_frexp_mant_f32_e32 v33, v17
	s_mov_b32 s4, 0x3f2aaaab
	v_cmp_gt_f32_e64 s[4:5], s4, v33
	v_subbrev_co_u32_e64 v31, s[4:5], 0, v31, s[4:5]
	v_sub_u32_e32 v33, 0, v31
	v_ldexp_f32 v17, v17, v33
	v_ldexp_f32 v32, v32, v33
	v_add_f32_e32 v33, -1.0, v17
	v_add_f32_e32 v37, 1.0, v17
	v_add_f32_e32 v35, 1.0, v33
	v_add_f32_e32 v38, -1.0, v37
	v_sub_f32_e32 v35, v17, v35
	v_sub_f32_e32 v17, v17, v38
	v_add_f32_e32 v17, v32, v17
	v_add_f32_e32 v35, v32, v35
	;; [unrolled: 1-line block ×3, first 2 shown]
	v_rcp_f32_e32 v38, v32
	s_waitcnt lgkmcnt(0)
	v_add_f32_e32 v36, v33, v35
	v_sub_f32_e32 v33, v33, v36
	v_add_f32_e32 v33, v35, v33
	v_sub_f32_e32 v35, v37, v32
	v_add_f32_e32 v17, v17, v35
	v_mul_f32_e32 v35, v36, v38
	v_mul_f32_e32 v37, v32, v35
	v_fma_f32 v39, v35, v32, -v37
	v_fmac_f32_e32 v39, v35, v17
	v_add_f32_e32 v40, v37, v39
	v_sub_f32_e32 v41, v36, v40
	v_sub_f32_e32 v36, v36, v41
	;; [unrolled: 1-line block ×4, first 2 shown]
	v_add_f32_e32 v33, v33, v36
	v_sub_f32_e32 v36, v37, v39
	v_add_f32_e32 v33, v36, v33
	v_add_f32_e32 v36, v41, v33
	v_mul_f32_e32 v37, v38, v36
	v_mul_f32_e32 v39, v32, v37
	v_fma_f32 v32, v37, v32, -v39
	v_fmac_f32_e32 v32, v37, v17
	v_sub_f32_e32 v17, v41, v36
	v_add_f32_e32 v17, v33, v17
	v_add_f32_e32 v33, v39, v32
	v_sub_f32_e32 v40, v36, v33
	v_sub_f32_e32 v36, v36, v40
	;; [unrolled: 1-line block ×4, first 2 shown]
	v_add_f32_e32 v17, v17, v33
	v_sub_f32_e32 v32, v39, v32
	v_add_f32_e32 v17, v32, v17
	v_add_f32_e32 v32, v35, v37
	;; [unrolled: 1-line block ×3, first 2 shown]
	v_sub_f32_e32 v33, v32, v35
	v_mul_f32_e32 v17, v38, v17
	v_sub_f32_e32 v33, v37, v33
	v_add_f32_e32 v17, v33, v17
	v_cvt_f32_i32_e32 v31, v31
	v_add_f32_e32 v33, v32, v17
	v_mul_f32_e32 v35, v33, v33
	v_mov_b32_e32 v36, 0x3ecc95a3
	v_fmac_f32_e32 v36, 0x3e9b6dac, v35
	v_mov_b32_e32 v37, 0x3f2aaada
	v_fmac_f32_e32 v37, v35, v36
	s_mov_b32 s4, 0x3f317218
	v_mul_f32_e32 v36, 0x3f317218, v31
	v_fma_f32 v38, v31, s4, -v36
	v_fmac_f32_e32 v38, 0xb102e308, v31
	v_sub_f32_e32 v31, v33, v32
	v_sub_f32_e32 v17, v17, v31
	v_add_f32_e32 v31, v36, v38
	v_sub_f32_e32 v32, v31, v36
	v_ldexp_f32 v36, v33, 1
	v_mul_f32_e32 v33, v33, v35
	v_mul_f32_e32 v33, v33, v37
	v_add_f32_e32 v35, v36, v33
	v_sub_f32_e32 v36, v35, v36
	v_ldexp_f32 v17, v17, 1
	v_sub_f32_e32 v33, v33, v36
	v_add_f32_e32 v17, v17, v33
	v_add_f32_e32 v33, v35, v17
	v_sub_f32_e32 v35, v33, v35
	v_sub_f32_e32 v17, v17, v35
	v_add_f32_e32 v35, v31, v33
	v_sub_f32_e32 v36, v35, v31
	v_sub_f32_e32 v37, v35, v36
	;; [unrolled: 1-line block ×5, first 2 shown]
	v_add_f32_e32 v31, v33, v31
	v_add_f32_e32 v33, v32, v17
	v_sub_f32_e32 v36, v33, v32
	v_sub_f32_e32 v37, v33, v36
	;; [unrolled: 1-line block ×4, first 2 shown]
	v_add_f32_e32 v31, v33, v31
	v_add_f32_e32 v17, v17, v32
	;; [unrolled: 1-line block ×3, first 2 shown]
	v_sub_f32_e32 v33, v32, v35
	v_sub_f32_e32 v31, v31, v33
	v_add_f32_e32 v17, v17, v31
	v_add_f32_e32 v17, v32, v17
	v_cmp_neq_f32_e64 s[4:5], s30, v2
	v_cndmask_b32_e64 v17, v23, v17, s[4:5]
	s_mov_b32 s4, 0x33800000
	v_cmp_lt_f32_e64 s[4:5], |v2|, s4
	v_cndmask_b32_e64 v2, v17, v2, s[4:5]
	v_add_f32_e32 v2, v13, v2
.LBB109_106:
	s_or_b64 exec, exec, s[28:29]
	v_max_f32_e32 v13, v2, v2
	v_min_f32_e32 v17, v13, v18
	v_cmp_u_f32_e64 s[4:5], v2, v2
	v_max_f32_e32 v13, v13, v18
	v_cndmask_b32_e64 v17, v17, v2, s[4:5]
	v_cndmask_b32_e64 v13, v13, v2, s[4:5]
	;; [unrolled: 1-line block ×4, first 2 shown]
	s_movk_i32 s30, 0x1f8
	v_cmp_neq_f32_e64 s[4:5], v17, v14
	v_cmp_class_f32_e64 s[28:29], v17, s30
	s_or_b64 s[4:5], s[4:5], s[28:29]
	v_mov_b32_e32 v13, v2
	s_and_saveexec_b64 s[28:29], s[4:5]
	s_cbranch_execz .LBB109_108
; %bb.107:
	v_sub_f32_e32 v13, v17, v14
	s_mov_b32 s4, 0x3fb8aa3b
	v_mul_f32_e32 v17, 0x3fb8aa3b, v13
	v_fma_f32 v18, v13, s4, -v17
	v_rndne_f32_e32 v23, v17
	v_fmac_f32_e32 v18, 0x32a5705f, v13
	v_sub_f32_e32 v17, v17, v23
	v_add_f32_e32 v17, v17, v18
	v_exp_f32_e32 v17, v17
	v_cvt_i32_f32_e32 v18, v23
	s_mov_b32 s4, 0xc2ce8ed0
	v_cmp_ngt_f32_e64 s[4:5], s4, v13
	v_mov_b32_e32 v23, 0x7f800000
	v_ldexp_f32 v17, v17, v18
	v_cndmask_b32_e64 v17, 0, v17, s[4:5]
	s_mov_b32 s4, 0x42b17218
	v_cmp_nlt_f32_e64 s[4:5], s4, v13
	v_cndmask_b32_e64 v13, v23, v17, s[4:5]
	v_add_f32_e32 v31, 1.0, v13
	v_cvt_f64_f32_e32 v[17:18], v31
	v_add_f32_e32 v32, -1.0, v31
	v_sub_f32_e32 v33, v32, v31
	v_sub_f32_e32 v32, v13, v32
	v_frexp_exp_i32_f64_e32 v17, v[17:18]
	v_add_f32_e32 v18, 1.0, v33
	v_add_f32_e32 v18, v32, v18
	v_frexp_mant_f32_e32 v32, v31
	s_mov_b32 s4, 0x3f2aaaab
	v_cmp_gt_f32_e64 s[4:5], s4, v32
	s_mov_b32 s31, 0x7f800000
	v_subbrev_co_u32_e64 v17, s[4:5], 0, v17, s[4:5]
	v_sub_u32_e32 v32, 0, v17
	v_ldexp_f32 v31, v31, v32
	v_ldexp_f32 v18, v18, v32
	v_add_f32_e32 v32, -1.0, v31
	s_waitcnt lgkmcnt(0)
	v_add_f32_e32 v36, 1.0, v31
	v_add_f32_e32 v33, 1.0, v32
	v_add_f32_e32 v37, -1.0, v36
	v_sub_f32_e32 v33, v31, v33
	v_sub_f32_e32 v31, v31, v37
	v_add_f32_e32 v33, v18, v33
	v_add_f32_e32 v18, v18, v31
	;; [unrolled: 1-line block ×3, first 2 shown]
	v_rcp_f32_e32 v37, v31
	v_add_f32_e32 v35, v32, v33
	v_sub_f32_e32 v32, v32, v35
	v_add_f32_e32 v32, v33, v32
	v_sub_f32_e32 v33, v36, v31
	v_add_f32_e32 v18, v18, v33
	v_mul_f32_e32 v33, v35, v37
	v_mul_f32_e32 v36, v31, v33
	v_fma_f32 v38, v33, v31, -v36
	v_fmac_f32_e32 v38, v33, v18
	v_add_f32_e32 v39, v36, v38
	v_sub_f32_e32 v40, v35, v39
	v_sub_f32_e32 v35, v35, v40
	v_sub_f32_e32 v36, v39, v36
	v_sub_f32_e32 v35, v35, v39
	v_add_f32_e32 v32, v32, v35
	v_sub_f32_e32 v35, v36, v38
	v_add_f32_e32 v32, v35, v32
	v_add_f32_e32 v35, v40, v32
	v_mul_f32_e32 v36, v37, v35
	v_mul_f32_e32 v38, v31, v36
	v_fma_f32 v31, v36, v31, -v38
	v_fmac_f32_e32 v31, v36, v18
	v_sub_f32_e32 v18, v40, v35
	v_add_f32_e32 v18, v32, v18
	v_add_f32_e32 v32, v38, v31
	v_sub_f32_e32 v39, v35, v32
	v_sub_f32_e32 v35, v35, v39
	v_sub_f32_e32 v38, v32, v38
	v_sub_f32_e32 v32, v35, v32
	v_add_f32_e32 v18, v18, v32
	v_sub_f32_e32 v31, v38, v31
	v_add_f32_e32 v18, v31, v18
	v_add_f32_e32 v31, v33, v36
	;; [unrolled: 1-line block ×3, first 2 shown]
	v_sub_f32_e32 v32, v31, v33
	v_mul_f32_e32 v18, v37, v18
	v_sub_f32_e32 v32, v36, v32
	v_add_f32_e32 v18, v32, v18
	v_cvt_f32_i32_e32 v17, v17
	v_add_f32_e32 v32, v31, v18
	v_mul_f32_e32 v33, v32, v32
	v_mov_b32_e32 v35, 0x3ecc95a3
	v_fmac_f32_e32 v35, 0x3e9b6dac, v33
	v_mov_b32_e32 v36, 0x3f2aaada
	v_fmac_f32_e32 v36, v33, v35
	s_mov_b32 s4, 0x3f317218
	v_mul_f32_e32 v35, 0x3f317218, v17
	v_fma_f32 v37, v17, s4, -v35
	v_fmac_f32_e32 v37, 0xb102e308, v17
	v_sub_f32_e32 v17, v32, v31
	v_sub_f32_e32 v17, v18, v17
	v_add_f32_e32 v18, v35, v37
	v_sub_f32_e32 v31, v18, v35
	v_ldexp_f32 v35, v32, 1
	v_mul_f32_e32 v32, v32, v33
	v_mul_f32_e32 v32, v32, v36
	v_add_f32_e32 v33, v35, v32
	v_sub_f32_e32 v35, v33, v35
	v_ldexp_f32 v17, v17, 1
	v_sub_f32_e32 v32, v32, v35
	v_add_f32_e32 v17, v17, v32
	v_add_f32_e32 v32, v33, v17
	v_sub_f32_e32 v33, v32, v33
	v_sub_f32_e32 v17, v17, v33
	v_add_f32_e32 v33, v18, v32
	v_sub_f32_e32 v35, v33, v18
	v_sub_f32_e32 v36, v33, v35
	;; [unrolled: 1-line block ×5, first 2 shown]
	v_add_f32_e32 v18, v32, v18
	v_add_f32_e32 v32, v31, v17
	v_sub_f32_e32 v35, v32, v31
	v_sub_f32_e32 v36, v32, v35
	;; [unrolled: 1-line block ×4, first 2 shown]
	v_add_f32_e32 v18, v32, v18
	v_add_f32_e32 v17, v17, v31
	;; [unrolled: 1-line block ×3, first 2 shown]
	v_sub_f32_e32 v32, v31, v33
	v_sub_f32_e32 v18, v18, v32
	v_add_f32_e32 v17, v17, v18
	v_add_f32_e32 v17, v31, v17
	v_cmp_neq_f32_e64 s[4:5], s31, v13
	v_cndmask_b32_e64 v17, v23, v17, s[4:5]
	s_mov_b32 s4, 0x33800000
	v_cmp_lt_f32_e64 s[4:5], |v13|, s4
	v_cndmask_b32_e64 v13, v17, v13, s[4:5]
	v_add_f32_e32 v13, v14, v13
.LBB109_108:
	s_or_b64 exec, exec, s[28:29]
	v_max_f32_e32 v14, v13, v13
	v_min_f32_e32 v17, v14, v19
	v_cmp_u_f32_e64 s[4:5], v13, v13
	v_max_f32_e32 v14, v14, v19
	v_cndmask_b32_e64 v17, v17, v13, s[4:5]
	v_cndmask_b32_e64 v14, v14, v13, s[4:5]
	;; [unrolled: 1-line block ×4, first 2 shown]
	v_cmp_neq_f32_e64 s[4:5], v17, v14
	v_cmp_class_f32_e64 s[28:29], v17, s30
	s_or_b64 s[4:5], s[4:5], s[28:29]
	v_mov_b32_e32 v11, v13
	s_and_saveexec_b64 s[28:29], s[4:5]
	s_cbranch_execz .LBB109_110
; %bb.109:
	v_sub_f32_e32 v11, v17, v14
	s_mov_b32 s4, 0x3fb8aa3b
	v_mul_f32_e32 v17, 0x3fb8aa3b, v11
	v_fma_f32 v18, v11, s4, -v17
	v_rndne_f32_e32 v19, v17
	v_fmac_f32_e32 v18, 0x32a5705f, v11
	v_sub_f32_e32 v17, v17, v19
	v_add_f32_e32 v17, v17, v18
	v_exp_f32_e32 v17, v17
	v_cvt_i32_f32_e32 v18, v19
	s_mov_b32 s4, 0xc2ce8ed0
	v_cmp_ngt_f32_e64 s[4:5], s4, v11
	v_mov_b32_e32 v19, 0x7f800000
	v_ldexp_f32 v17, v17, v18
	v_cndmask_b32_e64 v17, 0, v17, s[4:5]
	s_mov_b32 s4, 0x42b17218
	v_cmp_nlt_f32_e64 s[4:5], s4, v11
	v_cndmask_b32_e64 v11, v19, v17, s[4:5]
	v_add_f32_e32 v23, 1.0, v11
	v_cvt_f64_f32_e32 v[17:18], v23
	v_add_f32_e32 v31, -1.0, v23
	v_sub_f32_e32 v32, v31, v23
	v_sub_f32_e32 v31, v11, v31
	v_frexp_exp_i32_f64_e32 v17, v[17:18]
	v_add_f32_e32 v18, 1.0, v32
	v_add_f32_e32 v18, v31, v18
	v_frexp_mant_f32_e32 v31, v23
	s_mov_b32 s4, 0x3f2aaaab
	v_cmp_gt_f32_e64 s[4:5], s4, v31
	s_mov_b32 s30, 0x7f800000
	v_subbrev_co_u32_e64 v17, s[4:5], 0, v17, s[4:5]
	v_sub_u32_e32 v31, 0, v17
	v_ldexp_f32 v23, v23, v31
	v_ldexp_f32 v18, v18, v31
	v_add_f32_e32 v31, -1.0, v23
	v_add_f32_e32 v35, 1.0, v23
	v_add_f32_e32 v32, 1.0, v31
	s_waitcnt lgkmcnt(0)
	v_add_f32_e32 v36, -1.0, v35
	v_sub_f32_e32 v32, v23, v32
	v_sub_f32_e32 v23, v23, v36
	v_add_f32_e32 v32, v18, v32
	v_add_f32_e32 v18, v18, v23
	;; [unrolled: 1-line block ×3, first 2 shown]
	v_rcp_f32_e32 v36, v23
	v_add_f32_e32 v33, v31, v32
	v_sub_f32_e32 v31, v31, v33
	v_add_f32_e32 v31, v32, v31
	v_sub_f32_e32 v32, v35, v23
	v_add_f32_e32 v18, v18, v32
	v_mul_f32_e32 v32, v33, v36
	v_mul_f32_e32 v35, v23, v32
	v_fma_f32 v37, v32, v23, -v35
	v_fmac_f32_e32 v37, v32, v18
	v_add_f32_e32 v38, v35, v37
	v_sub_f32_e32 v39, v33, v38
	v_sub_f32_e32 v33, v33, v39
	v_sub_f32_e32 v35, v38, v35
	v_sub_f32_e32 v33, v33, v38
	v_add_f32_e32 v31, v31, v33
	v_sub_f32_e32 v33, v35, v37
	v_add_f32_e32 v31, v33, v31
	v_add_f32_e32 v33, v39, v31
	v_mul_f32_e32 v35, v36, v33
	v_mul_f32_e32 v37, v23, v35
	v_fma_f32 v23, v35, v23, -v37
	v_fmac_f32_e32 v23, v35, v18
	v_sub_f32_e32 v18, v39, v33
	v_add_f32_e32 v18, v31, v18
	v_add_f32_e32 v31, v37, v23
	v_sub_f32_e32 v38, v33, v31
	v_sub_f32_e32 v33, v33, v38
	v_sub_f32_e32 v37, v31, v37
	v_sub_f32_e32 v31, v33, v31
	v_add_f32_e32 v18, v18, v31
	v_sub_f32_e32 v23, v37, v23
	v_add_f32_e32 v18, v23, v18
	v_add_f32_e32 v23, v32, v35
	;; [unrolled: 1-line block ×3, first 2 shown]
	v_sub_f32_e32 v31, v23, v32
	v_mul_f32_e32 v18, v36, v18
	v_sub_f32_e32 v31, v35, v31
	v_add_f32_e32 v18, v31, v18
	v_cvt_f32_i32_e32 v17, v17
	v_add_f32_e32 v31, v23, v18
	v_mul_f32_e32 v32, v31, v31
	v_mov_b32_e32 v33, 0x3ecc95a3
	v_fmac_f32_e32 v33, 0x3e9b6dac, v32
	v_mov_b32_e32 v35, 0x3f2aaada
	v_fmac_f32_e32 v35, v32, v33
	s_mov_b32 s4, 0x3f317218
	v_mul_f32_e32 v33, 0x3f317218, v17
	v_fma_f32 v36, v17, s4, -v33
	v_fmac_f32_e32 v36, 0xb102e308, v17
	v_sub_f32_e32 v17, v31, v23
	v_sub_f32_e32 v17, v18, v17
	v_add_f32_e32 v18, v33, v36
	v_sub_f32_e32 v23, v18, v33
	v_ldexp_f32 v33, v31, 1
	v_mul_f32_e32 v31, v31, v32
	v_mul_f32_e32 v31, v31, v35
	v_add_f32_e32 v32, v33, v31
	v_sub_f32_e32 v33, v32, v33
	v_ldexp_f32 v17, v17, 1
	v_sub_f32_e32 v31, v31, v33
	v_add_f32_e32 v17, v17, v31
	v_add_f32_e32 v31, v32, v17
	v_sub_f32_e32 v32, v31, v32
	v_sub_f32_e32 v17, v17, v32
	v_add_f32_e32 v32, v18, v31
	v_sub_f32_e32 v33, v32, v18
	v_sub_f32_e32 v35, v32, v33
	;; [unrolled: 1-line block ×5, first 2 shown]
	v_add_f32_e32 v18, v31, v18
	v_add_f32_e32 v31, v23, v17
	v_sub_f32_e32 v33, v31, v23
	v_sub_f32_e32 v35, v31, v33
	;; [unrolled: 1-line block ×4, first 2 shown]
	v_add_f32_e32 v18, v31, v18
	v_add_f32_e32 v17, v17, v23
	v_add_f32_e32 v23, v32, v18
	v_sub_f32_e32 v31, v23, v32
	v_sub_f32_e32 v18, v18, v31
	v_add_f32_e32 v17, v17, v18
	v_add_f32_e32 v17, v23, v17
	v_cmp_neq_f32_e64 s[4:5], s30, v11
	v_cndmask_b32_e64 v17, v19, v17, s[4:5]
	s_mov_b32 s4, 0x33800000
	v_cmp_lt_f32_e64 s[4:5], |v11|, s4
	v_cndmask_b32_e64 v11, v17, v11, s[4:5]
	v_add_f32_e32 v11, v14, v11
.LBB109_110:
	s_or_b64 exec, exec, s[28:29]
	v_max_f32_e32 v14, v11, v11
	v_min_f32_e32 v17, v14, v20
	v_cmp_u_f32_e64 s[4:5], v11, v11
	v_max_f32_e32 v14, v14, v20
	v_cndmask_b32_e64 v17, v17, v11, s[4:5]
	v_cndmask_b32_e64 v14, v14, v11, s[4:5]
	v_cndmask_b32_e64 v17, v17, v12, s[38:39]
	v_cndmask_b32_e64 v14, v14, v12, s[38:39]
	s_movk_i32 s30, 0x1f8
	v_cmp_neq_f32_e64 s[4:5], v17, v14
	v_cmp_class_f32_e64 s[28:29], v17, s30
	s_or_b64 s[4:5], s[4:5], s[28:29]
	v_mov_b32_e32 v12, v11
	s_and_saveexec_b64 s[28:29], s[4:5]
	s_cbranch_execz .LBB109_112
; %bb.111:
	v_sub_f32_e32 v12, v17, v14
	s_mov_b32 s4, 0x3fb8aa3b
	v_mul_f32_e32 v17, 0x3fb8aa3b, v12
	v_fma_f32 v18, v12, s4, -v17
	v_rndne_f32_e32 v19, v17
	v_fmac_f32_e32 v18, 0x32a5705f, v12
	v_sub_f32_e32 v17, v17, v19
	v_add_f32_e32 v17, v17, v18
	v_exp_f32_e32 v17, v17
	v_cvt_i32_f32_e32 v18, v19
	s_mov_b32 s4, 0xc2ce8ed0
	v_cmp_ngt_f32_e64 s[4:5], s4, v12
	v_mov_b32_e32 v19, 0x7f800000
	v_ldexp_f32 v17, v17, v18
	v_cndmask_b32_e64 v17, 0, v17, s[4:5]
	s_mov_b32 s4, 0x42b17218
	v_cmp_nlt_f32_e64 s[4:5], s4, v12
	v_cndmask_b32_e64 v12, v19, v17, s[4:5]
	v_add_f32_e32 v20, 1.0, v12
	v_cvt_f64_f32_e32 v[17:18], v20
	v_add_f32_e32 v23, -1.0, v20
	v_sub_f32_e32 v31, v23, v20
	v_sub_f32_e32 v23, v12, v23
	v_frexp_exp_i32_f64_e32 v17, v[17:18]
	v_add_f32_e32 v18, 1.0, v31
	v_add_f32_e32 v18, v23, v18
	v_frexp_mant_f32_e32 v23, v20
	s_mov_b32 s4, 0x3f2aaaab
	v_cmp_gt_f32_e64 s[4:5], s4, v23
	s_mov_b32 s31, 0x7f800000
	v_subbrev_co_u32_e64 v17, s[4:5], 0, v17, s[4:5]
	v_sub_u32_e32 v23, 0, v17
	v_ldexp_f32 v20, v20, v23
	v_ldexp_f32 v18, v18, v23
	v_add_f32_e32 v23, -1.0, v20
	v_add_f32_e32 v33, 1.0, v20
	v_add_f32_e32 v31, 1.0, v23
	v_add_f32_e32 v35, -1.0, v33
	v_sub_f32_e32 v31, v20, v31
	v_sub_f32_e32 v20, v20, v35
	v_add_f32_e32 v31, v18, v31
	v_add_f32_e32 v18, v18, v20
	;; [unrolled: 1-line block ×3, first 2 shown]
	v_rcp_f32_e32 v35, v20
	v_add_f32_e32 v32, v23, v31
	v_sub_f32_e32 v23, v23, v32
	v_add_f32_e32 v23, v31, v23
	v_sub_f32_e32 v31, v33, v20
	v_add_f32_e32 v18, v18, v31
	v_mul_f32_e32 v31, v32, v35
	v_mul_f32_e32 v33, v20, v31
	s_waitcnt lgkmcnt(0)
	v_fma_f32 v36, v31, v20, -v33
	v_fmac_f32_e32 v36, v31, v18
	v_add_f32_e32 v37, v33, v36
	v_sub_f32_e32 v38, v32, v37
	v_sub_f32_e32 v32, v32, v38
	;; [unrolled: 1-line block ×4, first 2 shown]
	v_add_f32_e32 v23, v23, v32
	v_sub_f32_e32 v32, v33, v36
	v_add_f32_e32 v23, v32, v23
	v_add_f32_e32 v32, v38, v23
	v_mul_f32_e32 v33, v35, v32
	v_mul_f32_e32 v36, v20, v33
	v_fma_f32 v20, v33, v20, -v36
	v_fmac_f32_e32 v20, v33, v18
	v_sub_f32_e32 v18, v38, v32
	v_add_f32_e32 v18, v23, v18
	v_add_f32_e32 v23, v36, v20
	v_sub_f32_e32 v37, v32, v23
	v_sub_f32_e32 v32, v32, v37
	;; [unrolled: 1-line block ×4, first 2 shown]
	v_add_f32_e32 v18, v18, v23
	v_sub_f32_e32 v20, v36, v20
	v_add_f32_e32 v18, v20, v18
	v_add_f32_e32 v20, v31, v33
	;; [unrolled: 1-line block ×3, first 2 shown]
	v_sub_f32_e32 v23, v20, v31
	v_mul_f32_e32 v18, v35, v18
	v_sub_f32_e32 v23, v33, v23
	v_add_f32_e32 v18, v23, v18
	v_cvt_f32_i32_e32 v17, v17
	v_add_f32_e32 v23, v20, v18
	v_mul_f32_e32 v31, v23, v23
	v_mov_b32_e32 v32, 0x3ecc95a3
	v_fmac_f32_e32 v32, 0x3e9b6dac, v31
	v_mov_b32_e32 v33, 0x3f2aaada
	v_fmac_f32_e32 v33, v31, v32
	s_mov_b32 s4, 0x3f317218
	v_mul_f32_e32 v32, 0x3f317218, v17
	v_fma_f32 v35, v17, s4, -v32
	v_fmac_f32_e32 v35, 0xb102e308, v17
	v_sub_f32_e32 v17, v23, v20
	v_sub_f32_e32 v17, v18, v17
	v_add_f32_e32 v18, v32, v35
	v_sub_f32_e32 v20, v18, v32
	v_ldexp_f32 v32, v23, 1
	v_mul_f32_e32 v23, v23, v31
	v_mul_f32_e32 v23, v23, v33
	v_add_f32_e32 v31, v32, v23
	v_sub_f32_e32 v32, v31, v32
	v_ldexp_f32 v17, v17, 1
	v_sub_f32_e32 v23, v23, v32
	v_add_f32_e32 v17, v17, v23
	v_add_f32_e32 v23, v31, v17
	v_sub_f32_e32 v31, v23, v31
	v_sub_f32_e32 v17, v17, v31
	v_add_f32_e32 v31, v18, v23
	v_sub_f32_e32 v32, v31, v18
	v_sub_f32_e32 v33, v31, v32
	;; [unrolled: 1-line block ×5, first 2 shown]
	v_add_f32_e32 v18, v23, v18
	v_add_f32_e32 v23, v20, v17
	v_sub_f32_e32 v32, v23, v20
	v_sub_f32_e32 v33, v23, v32
	;; [unrolled: 1-line block ×4, first 2 shown]
	v_add_f32_e32 v18, v23, v18
	v_add_f32_e32 v17, v17, v20
	;; [unrolled: 1-line block ×3, first 2 shown]
	v_sub_f32_e32 v23, v20, v31
	v_sub_f32_e32 v18, v18, v23
	v_add_f32_e32 v17, v17, v18
	v_add_f32_e32 v17, v20, v17
	v_cmp_neq_f32_e64 s[4:5], s31, v12
	v_cndmask_b32_e64 v17, v19, v17, s[4:5]
	s_mov_b32 s4, 0x33800000
	v_cmp_lt_f32_e64 s[4:5], |v12|, s4
	v_cndmask_b32_e64 v12, v17, v12, s[4:5]
	v_add_f32_e32 v12, v14, v12
.LBB109_112:
	s_or_b64 exec, exec, s[28:29]
	v_max_f32_e32 v14, v12, v12
	v_min_f32_e32 v17, v14, v21
	v_cmp_u_f32_e64 s[4:5], v12, v12
	v_max_f32_e32 v14, v14, v21
	v_cndmask_b32_e64 v17, v17, v12, s[4:5]
	v_cndmask_b32_e64 v14, v14, v12, s[4:5]
	;; [unrolled: 1-line block ×4, first 2 shown]
	v_cmp_neq_f32_e64 s[4:5], v17, v14
	v_cmp_class_f32_e64 s[28:29], v17, s30
	s_or_b64 s[4:5], s[4:5], s[28:29]
	v_mov_b32_e32 v9, v12
	s_and_saveexec_b64 s[28:29], s[4:5]
	s_cbranch_execz .LBB109_114
; %bb.113:
	v_sub_f32_e32 v9, v17, v14
	s_mov_b32 s4, 0x3fb8aa3b
	v_mul_f32_e32 v17, 0x3fb8aa3b, v9
	v_fma_f32 v18, v9, s4, -v17
	v_rndne_f32_e32 v19, v17
	v_fmac_f32_e32 v18, 0x32a5705f, v9
	v_sub_f32_e32 v17, v17, v19
	v_add_f32_e32 v17, v17, v18
	v_exp_f32_e32 v17, v17
	v_cvt_i32_f32_e32 v18, v19
	s_mov_b32 s4, 0xc2ce8ed0
	v_cmp_ngt_f32_e64 s[4:5], s4, v9
	v_mov_b32_e32 v19, 0x7f800000
	v_ldexp_f32 v17, v17, v18
	v_cndmask_b32_e64 v17, 0, v17, s[4:5]
	s_mov_b32 s4, 0x42b17218
	v_cmp_nlt_f32_e64 s[4:5], s4, v9
	v_cndmask_b32_e64 v9, v19, v17, s[4:5]
	v_add_f32_e32 v20, 1.0, v9
	v_cvt_f64_f32_e32 v[17:18], v20
	v_add_f32_e32 v21, -1.0, v20
	v_sub_f32_e32 v23, v21, v20
	v_sub_f32_e32 v21, v9, v21
	v_frexp_exp_i32_f64_e32 v17, v[17:18]
	v_add_f32_e32 v18, 1.0, v23
	v_add_f32_e32 v18, v21, v18
	v_frexp_mant_f32_e32 v21, v20
	s_mov_b32 s4, 0x3f2aaaab
	v_cmp_gt_f32_e64 s[4:5], s4, v21
	s_mov_b32 s30, 0x7f800000
	v_subbrev_co_u32_e64 v17, s[4:5], 0, v17, s[4:5]
	v_sub_u32_e32 v21, 0, v17
	v_ldexp_f32 v20, v20, v21
	v_ldexp_f32 v18, v18, v21
	v_add_f32_e32 v21, -1.0, v20
	v_add_f32_e32 v32, 1.0, v20
	v_add_f32_e32 v23, 1.0, v21
	v_add_f32_e32 v33, -1.0, v32
	v_sub_f32_e32 v23, v20, v23
	v_sub_f32_e32 v20, v20, v33
	v_add_f32_e32 v23, v18, v23
	v_add_f32_e32 v18, v18, v20
	;; [unrolled: 1-line block ×3, first 2 shown]
	v_rcp_f32_e32 v33, v20
	v_add_f32_e32 v31, v21, v23
	v_sub_f32_e32 v21, v21, v31
	v_add_f32_e32 v21, v23, v21
	v_sub_f32_e32 v23, v32, v20
	v_add_f32_e32 v18, v18, v23
	v_mul_f32_e32 v23, v31, v33
	v_mul_f32_e32 v32, v20, v23
	v_fma_f32 v35, v23, v20, -v32
	v_fmac_f32_e32 v35, v23, v18
	s_waitcnt lgkmcnt(0)
	v_add_f32_e32 v36, v32, v35
	v_sub_f32_e32 v37, v31, v36
	v_sub_f32_e32 v31, v31, v37
	;; [unrolled: 1-line block ×4, first 2 shown]
	v_add_f32_e32 v21, v21, v31
	v_sub_f32_e32 v31, v32, v35
	v_add_f32_e32 v21, v31, v21
	v_add_f32_e32 v31, v37, v21
	v_mul_f32_e32 v32, v33, v31
	v_mul_f32_e32 v35, v20, v32
	v_fma_f32 v20, v32, v20, -v35
	v_fmac_f32_e32 v20, v32, v18
	v_sub_f32_e32 v18, v37, v31
	v_add_f32_e32 v18, v21, v18
	v_add_f32_e32 v21, v35, v20
	v_sub_f32_e32 v36, v31, v21
	v_sub_f32_e32 v31, v31, v36
	;; [unrolled: 1-line block ×4, first 2 shown]
	v_add_f32_e32 v18, v18, v21
	v_sub_f32_e32 v20, v35, v20
	v_add_f32_e32 v18, v20, v18
	v_add_f32_e32 v20, v23, v32
	v_add_f32_e32 v18, v36, v18
	v_sub_f32_e32 v21, v20, v23
	v_mul_f32_e32 v18, v33, v18
	v_sub_f32_e32 v21, v32, v21
	v_add_f32_e32 v18, v21, v18
	v_cvt_f32_i32_e32 v17, v17
	v_add_f32_e32 v21, v20, v18
	v_mul_f32_e32 v23, v21, v21
	v_mov_b32_e32 v31, 0x3ecc95a3
	v_fmac_f32_e32 v31, 0x3e9b6dac, v23
	v_mov_b32_e32 v32, 0x3f2aaada
	v_fmac_f32_e32 v32, v23, v31
	s_mov_b32 s4, 0x3f317218
	v_mul_f32_e32 v31, 0x3f317218, v17
	v_fma_f32 v33, v17, s4, -v31
	v_fmac_f32_e32 v33, 0xb102e308, v17
	v_sub_f32_e32 v17, v21, v20
	v_sub_f32_e32 v17, v18, v17
	v_add_f32_e32 v18, v31, v33
	v_sub_f32_e32 v20, v18, v31
	v_ldexp_f32 v31, v21, 1
	v_mul_f32_e32 v21, v21, v23
	v_mul_f32_e32 v21, v21, v32
	v_add_f32_e32 v23, v31, v21
	v_sub_f32_e32 v31, v23, v31
	v_ldexp_f32 v17, v17, 1
	v_sub_f32_e32 v21, v21, v31
	v_add_f32_e32 v17, v17, v21
	v_add_f32_e32 v21, v23, v17
	v_sub_f32_e32 v23, v21, v23
	v_sub_f32_e32 v17, v17, v23
	v_add_f32_e32 v23, v18, v21
	v_sub_f32_e32 v31, v23, v18
	v_sub_f32_e32 v32, v23, v31
	;; [unrolled: 1-line block ×5, first 2 shown]
	v_add_f32_e32 v18, v21, v18
	v_add_f32_e32 v21, v20, v17
	v_sub_f32_e32 v31, v21, v20
	v_sub_f32_e32 v32, v21, v31
	;; [unrolled: 1-line block ×4, first 2 shown]
	v_add_f32_e32 v18, v21, v18
	v_add_f32_e32 v17, v17, v20
	;; [unrolled: 1-line block ×3, first 2 shown]
	v_sub_f32_e32 v21, v20, v23
	v_sub_f32_e32 v18, v18, v21
	v_add_f32_e32 v17, v17, v18
	v_add_f32_e32 v17, v20, v17
	v_cmp_neq_f32_e64 s[4:5], s30, v9
	v_cndmask_b32_e64 v17, v19, v17, s[4:5]
	s_mov_b32 s4, 0x33800000
	v_cmp_lt_f32_e64 s[4:5], |v9|, s4
	v_cndmask_b32_e64 v9, v17, v9, s[4:5]
	v_add_f32_e32 v9, v14, v9
.LBB109_114:
	s_or_b64 exec, exec, s[28:29]
	v_max_f32_e32 v14, v9, v9
	v_min_f32_e32 v17, v14, v22
	v_cmp_u_f32_e64 s[4:5], v9, v9
	v_max_f32_e32 v14, v14, v22
	v_cndmask_b32_e64 v17, v17, v9, s[4:5]
	v_cndmask_b32_e64 v14, v14, v9, s[4:5]
	v_cndmask_b32_e64 v17, v17, v10, s[42:43]
	v_cndmask_b32_e64 v14, v14, v10, s[42:43]
	s_movk_i32 s30, 0x1f8
	v_cmp_neq_f32_e64 s[4:5], v17, v14
	v_cmp_class_f32_e64 s[28:29], v17, s30
	s_or_b64 s[4:5], s[4:5], s[28:29]
	v_mov_b32_e32 v10, v9
	s_and_saveexec_b64 s[28:29], s[4:5]
	s_cbranch_execz .LBB109_116
; %bb.115:
	v_sub_f32_e32 v10, v17, v14
	s_mov_b32 s4, 0x3fb8aa3b
	v_mul_f32_e32 v17, 0x3fb8aa3b, v10
	v_fma_f32 v18, v10, s4, -v17
	v_rndne_f32_e32 v19, v17
	v_fmac_f32_e32 v18, 0x32a5705f, v10
	v_sub_f32_e32 v17, v17, v19
	v_add_f32_e32 v17, v17, v18
	v_exp_f32_e32 v17, v17
	v_cvt_i32_f32_e32 v18, v19
	s_mov_b32 s4, 0xc2ce8ed0
	v_cmp_ngt_f32_e64 s[4:5], s4, v10
	v_mov_b32_e32 v19, 0x7f800000
	v_ldexp_f32 v17, v17, v18
	v_cndmask_b32_e64 v17, 0, v17, s[4:5]
	s_mov_b32 s4, 0x42b17218
	v_cmp_nlt_f32_e64 s[4:5], s4, v10
	v_cndmask_b32_e64 v10, v19, v17, s[4:5]
	v_add_f32_e32 v20, 1.0, v10
	v_cvt_f64_f32_e32 v[17:18], v20
	v_add_f32_e32 v21, -1.0, v20
	v_sub_f32_e32 v22, v21, v20
	v_sub_f32_e32 v21, v10, v21
	v_frexp_exp_i32_f64_e32 v17, v[17:18]
	v_add_f32_e32 v18, 1.0, v22
	v_add_f32_e32 v18, v21, v18
	v_frexp_mant_f32_e32 v21, v20
	s_mov_b32 s4, 0x3f2aaaab
	v_cmp_gt_f32_e64 s[4:5], s4, v21
	s_mov_b32 s31, 0x7f800000
	v_subbrev_co_u32_e64 v17, s[4:5], 0, v17, s[4:5]
	v_sub_u32_e32 v21, 0, v17
	v_ldexp_f32 v20, v20, v21
	v_ldexp_f32 v18, v18, v21
	v_add_f32_e32 v21, -1.0, v20
	v_add_f32_e32 v31, 1.0, v20
	v_add_f32_e32 v22, 1.0, v21
	v_add_f32_e32 v32, -1.0, v31
	v_sub_f32_e32 v22, v20, v22
	v_sub_f32_e32 v20, v20, v32
	v_add_f32_e32 v22, v18, v22
	v_add_f32_e32 v18, v18, v20
	;; [unrolled: 1-line block ×3, first 2 shown]
	v_rcp_f32_e32 v32, v20
	v_add_f32_e32 v23, v21, v22
	v_sub_f32_e32 v21, v21, v23
	v_add_f32_e32 v21, v22, v21
	v_sub_f32_e32 v22, v31, v20
	v_add_f32_e32 v18, v18, v22
	v_mul_f32_e32 v22, v23, v32
	v_mul_f32_e32 v31, v20, v22
	v_fma_f32 v33, v22, v20, -v31
	v_fmac_f32_e32 v33, v22, v18
	v_add_f32_e32 v35, v31, v33
	s_waitcnt lgkmcnt(0)
	v_sub_f32_e32 v36, v23, v35
	v_sub_f32_e32 v23, v23, v36
	;; [unrolled: 1-line block ×4, first 2 shown]
	v_add_f32_e32 v21, v21, v23
	v_sub_f32_e32 v23, v31, v33
	v_add_f32_e32 v21, v23, v21
	v_add_f32_e32 v23, v36, v21
	v_mul_f32_e32 v31, v32, v23
	v_mul_f32_e32 v33, v20, v31
	v_fma_f32 v20, v31, v20, -v33
	v_fmac_f32_e32 v20, v31, v18
	v_sub_f32_e32 v18, v36, v23
	v_add_f32_e32 v18, v21, v18
	v_add_f32_e32 v21, v33, v20
	v_sub_f32_e32 v35, v23, v21
	v_sub_f32_e32 v23, v23, v35
	;; [unrolled: 1-line block ×4, first 2 shown]
	v_add_f32_e32 v18, v18, v21
	v_sub_f32_e32 v20, v33, v20
	v_add_f32_e32 v18, v20, v18
	v_add_f32_e32 v20, v22, v31
	;; [unrolled: 1-line block ×3, first 2 shown]
	v_sub_f32_e32 v21, v20, v22
	v_mul_f32_e32 v18, v32, v18
	v_sub_f32_e32 v21, v31, v21
	v_add_f32_e32 v18, v21, v18
	v_cvt_f32_i32_e32 v17, v17
	v_add_f32_e32 v21, v20, v18
	v_mul_f32_e32 v22, v21, v21
	v_mov_b32_e32 v23, 0x3ecc95a3
	v_fmac_f32_e32 v23, 0x3e9b6dac, v22
	v_mov_b32_e32 v31, 0x3f2aaada
	v_fmac_f32_e32 v31, v22, v23
	s_mov_b32 s4, 0x3f317218
	v_mul_f32_e32 v23, 0x3f317218, v17
	v_fma_f32 v32, v17, s4, -v23
	v_fmac_f32_e32 v32, 0xb102e308, v17
	v_sub_f32_e32 v17, v21, v20
	v_sub_f32_e32 v17, v18, v17
	v_add_f32_e32 v18, v23, v32
	v_sub_f32_e32 v20, v18, v23
	v_ldexp_f32 v23, v21, 1
	v_mul_f32_e32 v21, v21, v22
	v_mul_f32_e32 v21, v21, v31
	v_add_f32_e32 v22, v23, v21
	v_sub_f32_e32 v23, v22, v23
	v_ldexp_f32 v17, v17, 1
	v_sub_f32_e32 v21, v21, v23
	v_add_f32_e32 v17, v17, v21
	v_add_f32_e32 v21, v22, v17
	v_sub_f32_e32 v22, v21, v22
	v_sub_f32_e32 v17, v17, v22
	v_add_f32_e32 v22, v18, v21
	v_sub_f32_e32 v23, v22, v18
	v_sub_f32_e32 v31, v22, v23
	;; [unrolled: 1-line block ×5, first 2 shown]
	v_add_f32_e32 v18, v21, v18
	v_add_f32_e32 v21, v20, v17
	v_sub_f32_e32 v23, v21, v20
	v_sub_f32_e32 v31, v21, v23
	;; [unrolled: 1-line block ×4, first 2 shown]
	v_add_f32_e32 v18, v21, v18
	v_add_f32_e32 v17, v17, v20
	;; [unrolled: 1-line block ×3, first 2 shown]
	v_sub_f32_e32 v21, v20, v22
	v_sub_f32_e32 v18, v18, v21
	v_add_f32_e32 v17, v17, v18
	v_add_f32_e32 v17, v20, v17
	v_cmp_neq_f32_e64 s[4:5], s31, v10
	v_cndmask_b32_e64 v17, v19, v17, s[4:5]
	s_mov_b32 s4, 0x33800000
	v_cmp_lt_f32_e64 s[4:5], |v10|, s4
	v_cndmask_b32_e64 v10, v17, v10, s[4:5]
	v_add_f32_e32 v10, v14, v10
.LBB109_116:
	s_or_b64 exec, exec, s[28:29]
	v_max_f32_e32 v14, v10, v10
	v_min_f32_e32 v17, v14, v24
	v_cmp_u_f32_e64 s[4:5], v10, v10
	v_max_f32_e32 v14, v14, v24
	v_cndmask_b32_e64 v17, v17, v10, s[4:5]
	v_cndmask_b32_e64 v14, v14, v10, s[4:5]
	;; [unrolled: 1-line block ×4, first 2 shown]
	v_cmp_neq_f32_e64 s[4:5], v17, v14
	v_cmp_class_f32_e64 s[28:29], v17, s30
	s_or_b64 s[4:5], s[4:5], s[28:29]
	v_mov_b32_e32 v7, v10
	s_and_saveexec_b64 s[28:29], s[4:5]
	s_cbranch_execz .LBB109_118
; %bb.117:
	v_sub_f32_e32 v7, v17, v14
	s_mov_b32 s4, 0x3fb8aa3b
	v_mul_f32_e32 v17, 0x3fb8aa3b, v7
	v_fma_f32 v18, v7, s4, -v17
	v_rndne_f32_e32 v19, v17
	v_fmac_f32_e32 v18, 0x32a5705f, v7
	v_sub_f32_e32 v17, v17, v19
	v_add_f32_e32 v17, v17, v18
	v_exp_f32_e32 v17, v17
	v_cvt_i32_f32_e32 v18, v19
	s_mov_b32 s4, 0xc2ce8ed0
	v_cmp_ngt_f32_e64 s[4:5], s4, v7
	v_mov_b32_e32 v19, 0x7f800000
	v_ldexp_f32 v17, v17, v18
	v_cndmask_b32_e64 v17, 0, v17, s[4:5]
	s_mov_b32 s4, 0x42b17218
	v_cmp_nlt_f32_e64 s[4:5], s4, v7
	v_cndmask_b32_e64 v7, v19, v17, s[4:5]
	v_add_f32_e32 v20, 1.0, v7
	v_cvt_f64_f32_e32 v[17:18], v20
	v_add_f32_e32 v21, -1.0, v20
	v_sub_f32_e32 v22, v21, v20
	v_sub_f32_e32 v21, v7, v21
	v_frexp_exp_i32_f64_e32 v17, v[17:18]
	v_add_f32_e32 v18, 1.0, v22
	v_add_f32_e32 v18, v21, v18
	v_frexp_mant_f32_e32 v21, v20
	s_mov_b32 s4, 0x3f2aaaab
	v_cmp_gt_f32_e64 s[4:5], s4, v21
	s_mov_b32 s30, 0x7f800000
	v_subbrev_co_u32_e64 v17, s[4:5], 0, v17, s[4:5]
	v_sub_u32_e32 v21, 0, v17
	v_ldexp_f32 v20, v20, v21
	v_ldexp_f32 v18, v18, v21
	v_add_f32_e32 v21, -1.0, v20
	v_add_f32_e32 v24, 1.0, v20
	v_add_f32_e32 v22, 1.0, v21
	v_add_f32_e32 v31, -1.0, v24
	v_sub_f32_e32 v22, v20, v22
	v_sub_f32_e32 v20, v20, v31
	v_add_f32_e32 v22, v18, v22
	v_add_f32_e32 v18, v18, v20
	;; [unrolled: 1-line block ×3, first 2 shown]
	v_rcp_f32_e32 v31, v20
	v_add_f32_e32 v23, v21, v22
	v_sub_f32_e32 v21, v21, v23
	v_add_f32_e32 v21, v22, v21
	v_sub_f32_e32 v22, v24, v20
	v_add_f32_e32 v18, v18, v22
	v_mul_f32_e32 v22, v23, v31
	v_mul_f32_e32 v24, v20, v22
	v_fma_f32 v32, v22, v20, -v24
	v_fmac_f32_e32 v32, v22, v18
	v_add_f32_e32 v33, v24, v32
	v_sub_f32_e32 v35, v23, v33
	v_sub_f32_e32 v23, v23, v35
	;; [unrolled: 1-line block ×4, first 2 shown]
	v_add_f32_e32 v21, v21, v23
	v_sub_f32_e32 v23, v24, v32
	v_add_f32_e32 v21, v23, v21
	v_add_f32_e32 v23, v35, v21
	v_mul_f32_e32 v24, v31, v23
	v_mul_f32_e32 v32, v20, v24
	v_fma_f32 v20, v24, v20, -v32
	v_fmac_f32_e32 v20, v24, v18
	v_sub_f32_e32 v18, v35, v23
	v_add_f32_e32 v18, v21, v18
	v_add_f32_e32 v21, v32, v20
	v_sub_f32_e32 v33, v23, v21
	v_sub_f32_e32 v23, v23, v33
	;; [unrolled: 1-line block ×4, first 2 shown]
	v_add_f32_e32 v18, v18, v21
	v_sub_f32_e32 v20, v32, v20
	v_add_f32_e32 v18, v20, v18
	v_add_f32_e32 v20, v22, v24
	;; [unrolled: 1-line block ×3, first 2 shown]
	v_sub_f32_e32 v21, v20, v22
	v_mul_f32_e32 v18, v31, v18
	v_sub_f32_e32 v21, v24, v21
	v_add_f32_e32 v18, v21, v18
	v_cvt_f32_i32_e32 v17, v17
	v_add_f32_e32 v21, v20, v18
	v_mul_f32_e32 v22, v21, v21
	v_mov_b32_e32 v23, 0x3ecc95a3
	v_fmac_f32_e32 v23, 0x3e9b6dac, v22
	v_mov_b32_e32 v24, 0x3f2aaada
	v_fmac_f32_e32 v24, v22, v23
	s_mov_b32 s4, 0x3f317218
	v_mul_f32_e32 v23, 0x3f317218, v17
	v_fma_f32 v31, v17, s4, -v23
	v_fmac_f32_e32 v31, 0xb102e308, v17
	v_sub_f32_e32 v17, v21, v20
	v_sub_f32_e32 v17, v18, v17
	v_add_f32_e32 v18, v23, v31
	v_sub_f32_e32 v20, v18, v23
	v_ldexp_f32 v23, v21, 1
	v_mul_f32_e32 v21, v21, v22
	v_mul_f32_e32 v21, v21, v24
	v_add_f32_e32 v22, v23, v21
	v_sub_f32_e32 v23, v22, v23
	v_ldexp_f32 v17, v17, 1
	v_sub_f32_e32 v21, v21, v23
	v_add_f32_e32 v17, v17, v21
	v_add_f32_e32 v21, v22, v17
	v_sub_f32_e32 v22, v21, v22
	v_sub_f32_e32 v17, v17, v22
	v_add_f32_e32 v22, v18, v21
	v_sub_f32_e32 v23, v22, v18
	v_sub_f32_e32 v24, v22, v23
	;; [unrolled: 1-line block ×5, first 2 shown]
	v_add_f32_e32 v18, v21, v18
	v_add_f32_e32 v21, v20, v17
	v_sub_f32_e32 v23, v21, v20
	v_sub_f32_e32 v24, v21, v23
	;; [unrolled: 1-line block ×4, first 2 shown]
	v_add_f32_e32 v18, v21, v18
	v_add_f32_e32 v17, v17, v20
	;; [unrolled: 1-line block ×3, first 2 shown]
	v_sub_f32_e32 v21, v20, v22
	v_sub_f32_e32 v18, v18, v21
	v_add_f32_e32 v17, v17, v18
	v_add_f32_e32 v17, v20, v17
	v_cmp_neq_f32_e64 s[4:5], s30, v7
	v_cndmask_b32_e64 v17, v19, v17, s[4:5]
	s_mov_b32 s4, 0x33800000
	v_cmp_lt_f32_e64 s[4:5], |v7|, s4
	v_cndmask_b32_e64 v7, v17, v7, s[4:5]
	v_add_f32_e32 v7, v14, v7
.LBB109_118:
	s_or_b64 exec, exec, s[28:29]
	v_max_f32_e32 v14, v7, v7
	v_min_f32_e32 v17, v14, v25
	v_cmp_u_f32_e64 s[4:5], v7, v7
	v_max_f32_e32 v14, v14, v25
	v_cndmask_b32_e64 v17, v17, v7, s[4:5]
	v_cndmask_b32_e64 v14, v14, v7, s[4:5]
	;; [unrolled: 1-line block ×4, first 2 shown]
	s_movk_i32 s30, 0x1f8
	v_cmp_neq_f32_e64 s[4:5], v17, v14
	v_cmp_class_f32_e64 s[28:29], v17, s30
	s_or_b64 s[4:5], s[4:5], s[28:29]
	v_mov_b32_e32 v8, v7
	s_and_saveexec_b64 s[28:29], s[4:5]
	s_cbranch_execz .LBB109_120
; %bb.119:
	v_sub_f32_e32 v8, v17, v14
	s_mov_b32 s4, 0x3fb8aa3b
	v_mul_f32_e32 v17, 0x3fb8aa3b, v8
	v_fma_f32 v18, v8, s4, -v17
	v_rndne_f32_e32 v19, v17
	v_fmac_f32_e32 v18, 0x32a5705f, v8
	v_sub_f32_e32 v17, v17, v19
	v_add_f32_e32 v17, v17, v18
	v_exp_f32_e32 v17, v17
	v_cvt_i32_f32_e32 v18, v19
	s_mov_b32 s4, 0xc2ce8ed0
	v_cmp_ngt_f32_e64 s[4:5], s4, v8
	v_mov_b32_e32 v19, 0x7f800000
	v_ldexp_f32 v17, v17, v18
	v_cndmask_b32_e64 v17, 0, v17, s[4:5]
	s_mov_b32 s4, 0x42b17218
	v_cmp_nlt_f32_e64 s[4:5], s4, v8
	v_cndmask_b32_e64 v8, v19, v17, s[4:5]
	v_add_f32_e32 v20, 1.0, v8
	v_cvt_f64_f32_e32 v[17:18], v20
	v_add_f32_e32 v21, -1.0, v20
	v_sub_f32_e32 v22, v21, v20
	v_sub_f32_e32 v21, v8, v21
	v_frexp_exp_i32_f64_e32 v17, v[17:18]
	v_add_f32_e32 v18, 1.0, v22
	v_add_f32_e32 v18, v21, v18
	v_frexp_mant_f32_e32 v21, v20
	s_mov_b32 s4, 0x3f2aaaab
	v_cmp_gt_f32_e64 s[4:5], s4, v21
	s_mov_b32 s31, 0x7f800000
	v_subbrev_co_u32_e64 v17, s[4:5], 0, v17, s[4:5]
	v_sub_u32_e32 v21, 0, v17
	v_ldexp_f32 v20, v20, v21
	v_ldexp_f32 v18, v18, v21
	v_add_f32_e32 v21, -1.0, v20
	v_add_f32_e32 v24, 1.0, v20
	v_add_f32_e32 v22, 1.0, v21
	v_add_f32_e32 v25, -1.0, v24
	v_sub_f32_e32 v22, v20, v22
	v_sub_f32_e32 v20, v20, v25
	v_add_f32_e32 v22, v18, v22
	v_add_f32_e32 v18, v18, v20
	;; [unrolled: 1-line block ×3, first 2 shown]
	v_rcp_f32_e32 v25, v20
	v_add_f32_e32 v23, v21, v22
	v_sub_f32_e32 v21, v21, v23
	v_add_f32_e32 v21, v22, v21
	v_sub_f32_e32 v22, v24, v20
	v_add_f32_e32 v18, v18, v22
	v_mul_f32_e32 v22, v23, v25
	v_mul_f32_e32 v24, v20, v22
	v_fma_f32 v31, v22, v20, -v24
	v_fmac_f32_e32 v31, v22, v18
	v_add_f32_e32 v32, v24, v31
	v_sub_f32_e32 v33, v23, v32
	v_sub_f32_e32 v23, v23, v33
	;; [unrolled: 1-line block ×4, first 2 shown]
	v_add_f32_e32 v21, v21, v23
	v_sub_f32_e32 v23, v24, v31
	v_add_f32_e32 v21, v23, v21
	v_add_f32_e32 v23, v33, v21
	v_mul_f32_e32 v24, v25, v23
	v_mul_f32_e32 v31, v20, v24
	v_fma_f32 v20, v24, v20, -v31
	v_fmac_f32_e32 v20, v24, v18
	v_sub_f32_e32 v18, v33, v23
	v_add_f32_e32 v18, v21, v18
	v_add_f32_e32 v21, v31, v20
	v_sub_f32_e32 v32, v23, v21
	v_sub_f32_e32 v23, v23, v32
	;; [unrolled: 1-line block ×4, first 2 shown]
	v_add_f32_e32 v18, v18, v21
	v_sub_f32_e32 v20, v31, v20
	v_add_f32_e32 v18, v20, v18
	v_add_f32_e32 v20, v22, v24
	v_add_f32_e32 v18, v32, v18
	v_sub_f32_e32 v21, v20, v22
	v_mul_f32_e32 v18, v25, v18
	v_sub_f32_e32 v21, v24, v21
	v_add_f32_e32 v18, v21, v18
	v_cvt_f32_i32_e32 v17, v17
	v_add_f32_e32 v21, v20, v18
	v_mul_f32_e32 v22, v21, v21
	v_mov_b32_e32 v23, 0x3ecc95a3
	v_fmac_f32_e32 v23, 0x3e9b6dac, v22
	v_mov_b32_e32 v24, 0x3f2aaada
	v_fmac_f32_e32 v24, v22, v23
	s_mov_b32 s4, 0x3f317218
	v_mul_f32_e32 v23, 0x3f317218, v17
	v_fma_f32 v25, v17, s4, -v23
	v_fmac_f32_e32 v25, 0xb102e308, v17
	v_sub_f32_e32 v17, v21, v20
	v_sub_f32_e32 v17, v18, v17
	v_add_f32_e32 v18, v23, v25
	v_sub_f32_e32 v20, v18, v23
	v_ldexp_f32 v23, v21, 1
	v_mul_f32_e32 v21, v21, v22
	v_mul_f32_e32 v21, v21, v24
	v_add_f32_e32 v22, v23, v21
	v_sub_f32_e32 v23, v22, v23
	v_ldexp_f32 v17, v17, 1
	v_sub_f32_e32 v21, v21, v23
	v_add_f32_e32 v17, v17, v21
	v_add_f32_e32 v21, v22, v17
	v_sub_f32_e32 v22, v21, v22
	v_sub_f32_e32 v17, v17, v22
	v_add_f32_e32 v22, v18, v21
	v_sub_f32_e32 v23, v22, v18
	v_sub_f32_e32 v24, v22, v23
	;; [unrolled: 1-line block ×5, first 2 shown]
	v_add_f32_e32 v18, v21, v18
	v_add_f32_e32 v21, v20, v17
	v_sub_f32_e32 v23, v21, v20
	v_sub_f32_e32 v24, v21, v23
	;; [unrolled: 1-line block ×4, first 2 shown]
	v_add_f32_e32 v18, v21, v18
	v_add_f32_e32 v17, v17, v20
	;; [unrolled: 1-line block ×3, first 2 shown]
	v_sub_f32_e32 v21, v20, v22
	v_sub_f32_e32 v18, v18, v21
	v_add_f32_e32 v17, v17, v18
	v_add_f32_e32 v17, v20, v17
	v_cmp_neq_f32_e64 s[4:5], s31, v8
	v_cndmask_b32_e64 v17, v19, v17, s[4:5]
	s_mov_b32 s4, 0x33800000
	v_cmp_lt_f32_e64 s[4:5], |v8|, s4
	v_cndmask_b32_e64 v8, v17, v8, s[4:5]
	v_add_f32_e32 v8, v14, v8
.LBB109_120:
	s_or_b64 exec, exec, s[28:29]
	v_max_f32_e32 v14, v8, v8
	v_min_f32_e32 v17, v14, v26
	v_cmp_u_f32_e64 s[4:5], v8, v8
	v_max_f32_e32 v14, v14, v26
	v_cndmask_b32_e64 v17, v17, v8, s[4:5]
	v_cndmask_b32_e64 v14, v14, v8, s[4:5]
	;; [unrolled: 1-line block ×4, first 2 shown]
	v_cmp_neq_f32_e64 s[4:5], v17, v14
	v_cmp_class_f32_e64 s[28:29], v17, s30
	s_or_b64 s[4:5], s[4:5], s[28:29]
	v_mov_b32_e32 v5, v8
	s_and_saveexec_b64 s[28:29], s[4:5]
	s_cbranch_execz .LBB109_122
; %bb.121:
	v_sub_f32_e32 v5, v17, v14
	s_mov_b32 s4, 0x3fb8aa3b
	v_mul_f32_e32 v17, 0x3fb8aa3b, v5
	v_fma_f32 v18, v5, s4, -v17
	v_rndne_f32_e32 v19, v17
	v_fmac_f32_e32 v18, 0x32a5705f, v5
	v_sub_f32_e32 v17, v17, v19
	v_add_f32_e32 v17, v17, v18
	v_exp_f32_e32 v17, v17
	v_cvt_i32_f32_e32 v18, v19
	s_mov_b32 s4, 0xc2ce8ed0
	v_cmp_ngt_f32_e64 s[4:5], s4, v5
	v_mov_b32_e32 v19, 0x7f800000
	v_ldexp_f32 v17, v17, v18
	v_cndmask_b32_e64 v17, 0, v17, s[4:5]
	s_mov_b32 s4, 0x42b17218
	v_cmp_nlt_f32_e64 s[4:5], s4, v5
	v_cndmask_b32_e64 v5, v19, v17, s[4:5]
	v_add_f32_e32 v20, 1.0, v5
	v_cvt_f64_f32_e32 v[17:18], v20
	v_add_f32_e32 v21, -1.0, v20
	v_sub_f32_e32 v22, v21, v20
	v_sub_f32_e32 v21, v5, v21
	v_frexp_exp_i32_f64_e32 v17, v[17:18]
	v_add_f32_e32 v18, 1.0, v22
	v_add_f32_e32 v18, v21, v18
	v_frexp_mant_f32_e32 v21, v20
	s_mov_b32 s4, 0x3f2aaaab
	v_cmp_gt_f32_e64 s[4:5], s4, v21
	s_mov_b32 s30, 0x7f800000
	v_subbrev_co_u32_e64 v17, s[4:5], 0, v17, s[4:5]
	v_sub_u32_e32 v21, 0, v17
	v_ldexp_f32 v20, v20, v21
	v_ldexp_f32 v18, v18, v21
	v_add_f32_e32 v21, -1.0, v20
	v_add_f32_e32 v24, 1.0, v20
	v_add_f32_e32 v22, 1.0, v21
	v_add_f32_e32 v25, -1.0, v24
	v_sub_f32_e32 v22, v20, v22
	v_sub_f32_e32 v20, v20, v25
	v_add_f32_e32 v22, v18, v22
	v_add_f32_e32 v18, v18, v20
	;; [unrolled: 1-line block ×3, first 2 shown]
	v_rcp_f32_e32 v25, v20
	v_add_f32_e32 v23, v21, v22
	v_sub_f32_e32 v21, v21, v23
	v_add_f32_e32 v21, v22, v21
	v_sub_f32_e32 v22, v24, v20
	v_add_f32_e32 v18, v18, v22
	v_mul_f32_e32 v22, v23, v25
	v_mul_f32_e32 v24, v20, v22
	v_fma_f32 v26, v22, v20, -v24
	v_fmac_f32_e32 v26, v22, v18
	v_add_f32_e32 v31, v24, v26
	v_sub_f32_e32 v32, v23, v31
	v_sub_f32_e32 v23, v23, v32
	;; [unrolled: 1-line block ×4, first 2 shown]
	v_add_f32_e32 v21, v21, v23
	v_sub_f32_e32 v23, v24, v26
	v_add_f32_e32 v21, v23, v21
	v_add_f32_e32 v23, v32, v21
	v_mul_f32_e32 v24, v25, v23
	v_mul_f32_e32 v26, v20, v24
	v_fma_f32 v20, v24, v20, -v26
	v_fmac_f32_e32 v20, v24, v18
	v_sub_f32_e32 v18, v32, v23
	v_add_f32_e32 v18, v21, v18
	v_add_f32_e32 v21, v26, v20
	v_sub_f32_e32 v31, v23, v21
	v_sub_f32_e32 v23, v23, v31
	;; [unrolled: 1-line block ×4, first 2 shown]
	v_add_f32_e32 v18, v18, v21
	v_sub_f32_e32 v20, v26, v20
	v_add_f32_e32 v18, v20, v18
	v_add_f32_e32 v20, v22, v24
	;; [unrolled: 1-line block ×3, first 2 shown]
	v_sub_f32_e32 v21, v20, v22
	v_mul_f32_e32 v18, v25, v18
	v_sub_f32_e32 v21, v24, v21
	v_add_f32_e32 v18, v21, v18
	v_cvt_f32_i32_e32 v17, v17
	v_add_f32_e32 v21, v20, v18
	v_mul_f32_e32 v22, v21, v21
	v_mov_b32_e32 v23, 0x3ecc95a3
	v_fmac_f32_e32 v23, 0x3e9b6dac, v22
	v_mov_b32_e32 v24, 0x3f2aaada
	v_fmac_f32_e32 v24, v22, v23
	s_mov_b32 s4, 0x3f317218
	v_mul_f32_e32 v23, 0x3f317218, v17
	v_fma_f32 v25, v17, s4, -v23
	v_fmac_f32_e32 v25, 0xb102e308, v17
	v_sub_f32_e32 v17, v21, v20
	v_sub_f32_e32 v17, v18, v17
	v_add_f32_e32 v18, v23, v25
	v_sub_f32_e32 v20, v18, v23
	v_ldexp_f32 v23, v21, 1
	v_mul_f32_e32 v21, v21, v22
	v_mul_f32_e32 v21, v21, v24
	v_add_f32_e32 v22, v23, v21
	v_sub_f32_e32 v23, v22, v23
	v_ldexp_f32 v17, v17, 1
	v_sub_f32_e32 v21, v21, v23
	v_add_f32_e32 v17, v17, v21
	v_add_f32_e32 v21, v22, v17
	v_sub_f32_e32 v22, v21, v22
	v_sub_f32_e32 v17, v17, v22
	v_add_f32_e32 v22, v18, v21
	v_sub_f32_e32 v23, v22, v18
	v_sub_f32_e32 v24, v22, v23
	;; [unrolled: 1-line block ×5, first 2 shown]
	v_add_f32_e32 v18, v21, v18
	v_add_f32_e32 v21, v20, v17
	v_sub_f32_e32 v23, v21, v20
	v_sub_f32_e32 v24, v21, v23
	;; [unrolled: 1-line block ×4, first 2 shown]
	v_add_f32_e32 v18, v21, v18
	v_add_f32_e32 v17, v17, v20
	;; [unrolled: 1-line block ×3, first 2 shown]
	v_sub_f32_e32 v21, v20, v22
	v_sub_f32_e32 v18, v18, v21
	v_add_f32_e32 v17, v17, v18
	v_add_f32_e32 v17, v20, v17
	v_cmp_neq_f32_e64 s[4:5], s30, v5
	v_cndmask_b32_e64 v17, v19, v17, s[4:5]
	s_mov_b32 s4, 0x33800000
	v_cmp_lt_f32_e64 s[4:5], |v5|, s4
	v_cndmask_b32_e64 v5, v17, v5, s[4:5]
	v_add_f32_e32 v5, v14, v5
.LBB109_122:
	s_or_b64 exec, exec, s[28:29]
	v_max_f32_e32 v14, v5, v5
	v_min_f32_e32 v17, v14, v27
	v_cmp_u_f32_e64 s[4:5], v5, v5
	v_max_f32_e32 v14, v14, v27
	v_cndmask_b32_e64 v17, v17, v5, s[4:5]
	v_cndmask_b32_e64 v14, v14, v5, s[4:5]
	;; [unrolled: 1-line block ×4, first 2 shown]
	s_movk_i32 s30, 0x1f8
	v_cmp_neq_f32_e64 s[4:5], v17, v14
	v_cmp_class_f32_e64 s[28:29], v17, s30
	s_or_b64 s[4:5], s[4:5], s[28:29]
	v_mov_b32_e32 v6, v5
	s_and_saveexec_b64 s[28:29], s[4:5]
	s_cbranch_execz .LBB109_124
; %bb.123:
	v_sub_f32_e32 v6, v17, v14
	s_mov_b32 s4, 0x3fb8aa3b
	v_mul_f32_e32 v17, 0x3fb8aa3b, v6
	v_fma_f32 v18, v6, s4, -v17
	v_rndne_f32_e32 v19, v17
	v_fmac_f32_e32 v18, 0x32a5705f, v6
	v_sub_f32_e32 v17, v17, v19
	v_add_f32_e32 v17, v17, v18
	v_exp_f32_e32 v17, v17
	v_cvt_i32_f32_e32 v18, v19
	s_mov_b32 s4, 0xc2ce8ed0
	v_cmp_ngt_f32_e64 s[4:5], s4, v6
	v_mov_b32_e32 v19, 0x7f800000
	v_ldexp_f32 v17, v17, v18
	v_cndmask_b32_e64 v17, 0, v17, s[4:5]
	s_mov_b32 s4, 0x42b17218
	v_cmp_nlt_f32_e64 s[4:5], s4, v6
	v_cndmask_b32_e64 v6, v19, v17, s[4:5]
	v_add_f32_e32 v20, 1.0, v6
	v_cvt_f64_f32_e32 v[17:18], v20
	v_add_f32_e32 v21, -1.0, v20
	v_sub_f32_e32 v22, v21, v20
	v_sub_f32_e32 v21, v6, v21
	v_frexp_exp_i32_f64_e32 v17, v[17:18]
	v_add_f32_e32 v18, 1.0, v22
	v_add_f32_e32 v18, v21, v18
	v_frexp_mant_f32_e32 v21, v20
	s_mov_b32 s4, 0x3f2aaaab
	v_cmp_gt_f32_e64 s[4:5], s4, v21
	s_mov_b32 s31, 0x7f800000
	v_subbrev_co_u32_e64 v17, s[4:5], 0, v17, s[4:5]
	v_sub_u32_e32 v21, 0, v17
	v_ldexp_f32 v20, v20, v21
	v_ldexp_f32 v18, v18, v21
	v_add_f32_e32 v21, -1.0, v20
	v_add_f32_e32 v24, 1.0, v20
	v_add_f32_e32 v22, 1.0, v21
	v_add_f32_e32 v25, -1.0, v24
	v_sub_f32_e32 v22, v20, v22
	v_sub_f32_e32 v20, v20, v25
	v_add_f32_e32 v22, v18, v22
	v_add_f32_e32 v18, v18, v20
	;; [unrolled: 1-line block ×3, first 2 shown]
	v_rcp_f32_e32 v25, v20
	v_add_f32_e32 v23, v21, v22
	v_sub_f32_e32 v21, v21, v23
	v_add_f32_e32 v21, v22, v21
	v_sub_f32_e32 v22, v24, v20
	v_add_f32_e32 v18, v18, v22
	v_mul_f32_e32 v22, v23, v25
	v_mul_f32_e32 v24, v20, v22
	v_fma_f32 v26, v22, v20, -v24
	v_fmac_f32_e32 v26, v22, v18
	v_add_f32_e32 v27, v24, v26
	v_sub_f32_e32 v31, v23, v27
	v_sub_f32_e32 v23, v23, v31
	;; [unrolled: 1-line block ×4, first 2 shown]
	v_add_f32_e32 v21, v21, v23
	v_sub_f32_e32 v23, v24, v26
	v_add_f32_e32 v21, v23, v21
	v_add_f32_e32 v23, v31, v21
	v_mul_f32_e32 v24, v25, v23
	v_mul_f32_e32 v26, v20, v24
	v_fma_f32 v20, v24, v20, -v26
	v_fmac_f32_e32 v20, v24, v18
	v_sub_f32_e32 v18, v31, v23
	v_add_f32_e32 v18, v21, v18
	v_add_f32_e32 v21, v26, v20
	v_sub_f32_e32 v27, v23, v21
	v_sub_f32_e32 v23, v23, v27
	;; [unrolled: 1-line block ×4, first 2 shown]
	v_add_f32_e32 v18, v18, v21
	v_sub_f32_e32 v20, v26, v20
	v_add_f32_e32 v18, v20, v18
	v_add_f32_e32 v20, v22, v24
	v_add_f32_e32 v18, v27, v18
	v_sub_f32_e32 v21, v20, v22
	v_mul_f32_e32 v18, v25, v18
	v_sub_f32_e32 v21, v24, v21
	v_add_f32_e32 v18, v21, v18
	v_cvt_f32_i32_e32 v17, v17
	v_add_f32_e32 v21, v20, v18
	v_mul_f32_e32 v22, v21, v21
	v_mov_b32_e32 v23, 0x3ecc95a3
	v_fmac_f32_e32 v23, 0x3e9b6dac, v22
	v_mov_b32_e32 v24, 0x3f2aaada
	v_fmac_f32_e32 v24, v22, v23
	s_mov_b32 s4, 0x3f317218
	v_mul_f32_e32 v23, 0x3f317218, v17
	v_fma_f32 v25, v17, s4, -v23
	v_fmac_f32_e32 v25, 0xb102e308, v17
	v_sub_f32_e32 v17, v21, v20
	v_sub_f32_e32 v17, v18, v17
	v_add_f32_e32 v18, v23, v25
	v_sub_f32_e32 v20, v18, v23
	v_ldexp_f32 v23, v21, 1
	v_mul_f32_e32 v21, v21, v22
	v_mul_f32_e32 v21, v21, v24
	v_add_f32_e32 v22, v23, v21
	v_sub_f32_e32 v23, v22, v23
	v_ldexp_f32 v17, v17, 1
	v_sub_f32_e32 v21, v21, v23
	v_add_f32_e32 v17, v17, v21
	v_add_f32_e32 v21, v22, v17
	v_sub_f32_e32 v22, v21, v22
	v_sub_f32_e32 v17, v17, v22
	v_add_f32_e32 v22, v18, v21
	v_sub_f32_e32 v23, v22, v18
	v_sub_f32_e32 v24, v22, v23
	;; [unrolled: 1-line block ×5, first 2 shown]
	v_add_f32_e32 v18, v21, v18
	v_add_f32_e32 v21, v20, v17
	v_sub_f32_e32 v23, v21, v20
	v_sub_f32_e32 v24, v21, v23
	;; [unrolled: 1-line block ×4, first 2 shown]
	v_add_f32_e32 v18, v21, v18
	v_add_f32_e32 v17, v17, v20
	;; [unrolled: 1-line block ×3, first 2 shown]
	v_sub_f32_e32 v21, v20, v22
	v_sub_f32_e32 v18, v18, v21
	v_add_f32_e32 v17, v17, v18
	v_add_f32_e32 v17, v20, v17
	v_cmp_neq_f32_e64 s[4:5], s31, v6
	v_cndmask_b32_e64 v17, v19, v17, s[4:5]
	s_mov_b32 s4, 0x33800000
	v_cmp_lt_f32_e64 s[4:5], |v6|, s4
	v_cndmask_b32_e64 v6, v17, v6, s[4:5]
	v_add_f32_e32 v6, v14, v6
.LBB109_124:
	s_or_b64 exec, exec, s[28:29]
	v_max_f32_e32 v14, v6, v6
	v_min_f32_e32 v17, v14, v28
	v_cmp_u_f32_e64 s[4:5], v6, v6
	v_max_f32_e32 v14, v14, v28
	v_cndmask_b32_e64 v17, v17, v6, s[4:5]
	v_cndmask_b32_e64 v14, v14, v6, s[4:5]
	;; [unrolled: 1-line block ×4, first 2 shown]
	v_cmp_neq_f32_e64 s[4:5], v17, v14
	v_cmp_class_f32_e64 s[28:29], v17, s30
	s_or_b64 s[4:5], s[4:5], s[28:29]
	v_mov_b32_e32 v3, v6
	s_and_saveexec_b64 s[28:29], s[4:5]
	s_cbranch_execz .LBB109_126
; %bb.125:
	v_sub_f32_e32 v3, v17, v14
	s_mov_b32 s4, 0x3fb8aa3b
	v_mul_f32_e32 v17, 0x3fb8aa3b, v3
	v_fma_f32 v18, v3, s4, -v17
	v_rndne_f32_e32 v19, v17
	v_fmac_f32_e32 v18, 0x32a5705f, v3
	v_sub_f32_e32 v17, v17, v19
	v_add_f32_e32 v17, v17, v18
	v_exp_f32_e32 v17, v17
	v_cvt_i32_f32_e32 v18, v19
	s_mov_b32 s4, 0xc2ce8ed0
	v_cmp_ngt_f32_e64 s[4:5], s4, v3
	v_mov_b32_e32 v19, 0x7f800000
	v_ldexp_f32 v17, v17, v18
	v_cndmask_b32_e64 v17, 0, v17, s[4:5]
	s_mov_b32 s4, 0x42b17218
	v_cmp_nlt_f32_e64 s[4:5], s4, v3
	v_cndmask_b32_e64 v3, v19, v17, s[4:5]
	v_add_f32_e32 v20, 1.0, v3
	v_cvt_f64_f32_e32 v[17:18], v20
	v_add_f32_e32 v21, -1.0, v20
	v_sub_f32_e32 v22, v21, v20
	v_sub_f32_e32 v21, v3, v21
	v_frexp_exp_i32_f64_e32 v17, v[17:18]
	v_add_f32_e32 v18, 1.0, v22
	v_add_f32_e32 v18, v21, v18
	v_frexp_mant_f32_e32 v21, v20
	s_mov_b32 s4, 0x3f2aaaab
	v_cmp_gt_f32_e64 s[4:5], s4, v21
	s_mov_b32 s30, 0x7f800000
	v_subbrev_co_u32_e64 v17, s[4:5], 0, v17, s[4:5]
	v_sub_u32_e32 v21, 0, v17
	v_ldexp_f32 v20, v20, v21
	v_ldexp_f32 v18, v18, v21
	v_add_f32_e32 v21, -1.0, v20
	v_add_f32_e32 v24, 1.0, v20
	v_add_f32_e32 v22, 1.0, v21
	v_add_f32_e32 v25, -1.0, v24
	v_sub_f32_e32 v22, v20, v22
	v_sub_f32_e32 v20, v20, v25
	v_add_f32_e32 v22, v18, v22
	v_add_f32_e32 v18, v18, v20
	;; [unrolled: 1-line block ×3, first 2 shown]
	v_rcp_f32_e32 v25, v20
	v_add_f32_e32 v23, v21, v22
	v_sub_f32_e32 v21, v21, v23
	v_add_f32_e32 v21, v22, v21
	v_sub_f32_e32 v22, v24, v20
	v_add_f32_e32 v18, v18, v22
	v_mul_f32_e32 v22, v23, v25
	v_mul_f32_e32 v24, v20, v22
	v_fma_f32 v26, v22, v20, -v24
	v_fmac_f32_e32 v26, v22, v18
	v_add_f32_e32 v27, v24, v26
	v_sub_f32_e32 v28, v23, v27
	v_sub_f32_e32 v23, v23, v28
	;; [unrolled: 1-line block ×4, first 2 shown]
	v_add_f32_e32 v21, v21, v23
	v_sub_f32_e32 v23, v24, v26
	v_add_f32_e32 v21, v23, v21
	v_add_f32_e32 v23, v28, v21
	v_mul_f32_e32 v24, v25, v23
	v_mul_f32_e32 v26, v20, v24
	v_fma_f32 v20, v24, v20, -v26
	v_fmac_f32_e32 v20, v24, v18
	v_sub_f32_e32 v18, v28, v23
	v_add_f32_e32 v18, v21, v18
	v_add_f32_e32 v21, v26, v20
	v_sub_f32_e32 v27, v23, v21
	v_sub_f32_e32 v23, v23, v27
	;; [unrolled: 1-line block ×4, first 2 shown]
	v_add_f32_e32 v18, v18, v21
	v_sub_f32_e32 v20, v26, v20
	v_add_f32_e32 v18, v20, v18
	v_add_f32_e32 v20, v22, v24
	;; [unrolled: 1-line block ×3, first 2 shown]
	v_sub_f32_e32 v21, v20, v22
	v_mul_f32_e32 v18, v25, v18
	v_sub_f32_e32 v21, v24, v21
	v_add_f32_e32 v18, v21, v18
	v_cvt_f32_i32_e32 v17, v17
	v_add_f32_e32 v21, v20, v18
	v_mul_f32_e32 v22, v21, v21
	v_mov_b32_e32 v23, 0x3ecc95a3
	v_fmac_f32_e32 v23, 0x3e9b6dac, v22
	v_mov_b32_e32 v24, 0x3f2aaada
	v_fmac_f32_e32 v24, v22, v23
	s_mov_b32 s4, 0x3f317218
	v_mul_f32_e32 v23, 0x3f317218, v17
	v_fma_f32 v25, v17, s4, -v23
	v_fmac_f32_e32 v25, 0xb102e308, v17
	v_sub_f32_e32 v17, v21, v20
	v_sub_f32_e32 v17, v18, v17
	v_add_f32_e32 v18, v23, v25
	v_sub_f32_e32 v20, v18, v23
	v_ldexp_f32 v23, v21, 1
	v_mul_f32_e32 v21, v21, v22
	v_mul_f32_e32 v21, v21, v24
	v_add_f32_e32 v22, v23, v21
	v_sub_f32_e32 v23, v22, v23
	v_ldexp_f32 v17, v17, 1
	v_sub_f32_e32 v21, v21, v23
	v_add_f32_e32 v17, v17, v21
	v_add_f32_e32 v21, v22, v17
	v_sub_f32_e32 v22, v21, v22
	v_sub_f32_e32 v17, v17, v22
	v_add_f32_e32 v22, v18, v21
	v_sub_f32_e32 v23, v22, v18
	v_sub_f32_e32 v24, v22, v23
	;; [unrolled: 1-line block ×5, first 2 shown]
	v_add_f32_e32 v18, v21, v18
	v_add_f32_e32 v21, v20, v17
	v_sub_f32_e32 v23, v21, v20
	v_sub_f32_e32 v24, v21, v23
	;; [unrolled: 1-line block ×4, first 2 shown]
	v_add_f32_e32 v18, v21, v18
	v_add_f32_e32 v17, v17, v20
	v_add_f32_e32 v20, v22, v18
	v_sub_f32_e32 v21, v20, v22
	v_sub_f32_e32 v18, v18, v21
	v_add_f32_e32 v17, v17, v18
	v_add_f32_e32 v17, v20, v17
	v_cmp_neq_f32_e64 s[4:5], s30, v3
	v_cndmask_b32_e64 v17, v19, v17, s[4:5]
	s_mov_b32 s4, 0x33800000
	v_cmp_lt_f32_e64 s[4:5], |v3|, s4
	v_cndmask_b32_e64 v3, v17, v3, s[4:5]
	v_add_f32_e32 v3, v14, v3
.LBB109_126:
	s_or_b64 exec, exec, s[28:29]
	v_max_f32_e32 v14, v3, v3
	v_min_f32_e32 v17, v14, v29
	v_cmp_u_f32_e64 s[4:5], v3, v3
	v_max_f32_e32 v14, v14, v29
	v_cndmask_b32_e64 v17, v17, v3, s[4:5]
	v_cndmask_b32_e64 v14, v14, v3, s[4:5]
	;; [unrolled: 1-line block ×4, first 2 shown]
	s_movk_i32 s30, 0x1f8
	v_cmp_neq_f32_e64 s[4:5], v17, v14
	v_cmp_class_f32_e64 s[28:29], v17, s30
	s_or_b64 s[4:5], s[4:5], s[28:29]
	v_mov_b32_e32 v4, v3
	s_and_saveexec_b64 s[28:29], s[4:5]
	s_cbranch_execz .LBB109_128
; %bb.127:
	v_sub_f32_e32 v4, v17, v14
	s_mov_b32 s4, 0x3fb8aa3b
	v_mul_f32_e32 v17, 0x3fb8aa3b, v4
	v_fma_f32 v18, v4, s4, -v17
	v_rndne_f32_e32 v19, v17
	v_fmac_f32_e32 v18, 0x32a5705f, v4
	v_sub_f32_e32 v17, v17, v19
	v_add_f32_e32 v17, v17, v18
	v_exp_f32_e32 v17, v17
	v_cvt_i32_f32_e32 v18, v19
	s_mov_b32 s4, 0xc2ce8ed0
	v_cmp_ngt_f32_e64 s[4:5], s4, v4
	v_mov_b32_e32 v19, 0x7f800000
	v_ldexp_f32 v17, v17, v18
	v_cndmask_b32_e64 v17, 0, v17, s[4:5]
	s_mov_b32 s4, 0x42b17218
	v_cmp_nlt_f32_e64 s[4:5], s4, v4
	v_cndmask_b32_e64 v4, v19, v17, s[4:5]
	v_add_f32_e32 v20, 1.0, v4
	v_cvt_f64_f32_e32 v[17:18], v20
	v_add_f32_e32 v21, -1.0, v20
	v_sub_f32_e32 v22, v21, v20
	v_sub_f32_e32 v21, v4, v21
	v_frexp_exp_i32_f64_e32 v17, v[17:18]
	v_add_f32_e32 v18, 1.0, v22
	v_add_f32_e32 v18, v21, v18
	v_frexp_mant_f32_e32 v21, v20
	s_mov_b32 s4, 0x3f2aaaab
	v_cmp_gt_f32_e64 s[4:5], s4, v21
	s_mov_b32 s31, 0x7f800000
	v_subbrev_co_u32_e64 v17, s[4:5], 0, v17, s[4:5]
	v_sub_u32_e32 v21, 0, v17
	v_ldexp_f32 v20, v20, v21
	v_ldexp_f32 v18, v18, v21
	v_add_f32_e32 v21, -1.0, v20
	v_add_f32_e32 v24, 1.0, v20
	v_add_f32_e32 v22, 1.0, v21
	v_add_f32_e32 v25, -1.0, v24
	v_sub_f32_e32 v22, v20, v22
	v_sub_f32_e32 v20, v20, v25
	v_add_f32_e32 v22, v18, v22
	v_add_f32_e32 v18, v18, v20
	;; [unrolled: 1-line block ×3, first 2 shown]
	v_rcp_f32_e32 v25, v20
	v_add_f32_e32 v23, v21, v22
	v_sub_f32_e32 v21, v21, v23
	v_add_f32_e32 v21, v22, v21
	v_sub_f32_e32 v22, v24, v20
	v_add_f32_e32 v18, v18, v22
	v_mul_f32_e32 v22, v23, v25
	v_mul_f32_e32 v24, v20, v22
	v_fma_f32 v26, v22, v20, -v24
	v_fmac_f32_e32 v26, v22, v18
	v_add_f32_e32 v27, v24, v26
	v_sub_f32_e32 v28, v23, v27
	v_sub_f32_e32 v23, v23, v28
	;; [unrolled: 1-line block ×4, first 2 shown]
	v_add_f32_e32 v21, v21, v23
	v_sub_f32_e32 v23, v24, v26
	v_add_f32_e32 v21, v23, v21
	v_add_f32_e32 v23, v28, v21
	v_mul_f32_e32 v24, v25, v23
	v_mul_f32_e32 v26, v20, v24
	v_fma_f32 v20, v24, v20, -v26
	v_fmac_f32_e32 v20, v24, v18
	v_sub_f32_e32 v18, v28, v23
	v_add_f32_e32 v18, v21, v18
	v_add_f32_e32 v21, v26, v20
	v_sub_f32_e32 v27, v23, v21
	v_sub_f32_e32 v23, v23, v27
	;; [unrolled: 1-line block ×4, first 2 shown]
	v_add_f32_e32 v18, v18, v21
	v_sub_f32_e32 v20, v26, v20
	v_add_f32_e32 v18, v20, v18
	v_add_f32_e32 v20, v22, v24
	;; [unrolled: 1-line block ×3, first 2 shown]
	v_sub_f32_e32 v21, v20, v22
	v_mul_f32_e32 v18, v25, v18
	v_sub_f32_e32 v21, v24, v21
	v_add_f32_e32 v18, v21, v18
	v_cvt_f32_i32_e32 v17, v17
	v_add_f32_e32 v21, v20, v18
	v_mul_f32_e32 v22, v21, v21
	v_mov_b32_e32 v23, 0x3ecc95a3
	v_fmac_f32_e32 v23, 0x3e9b6dac, v22
	v_mov_b32_e32 v24, 0x3f2aaada
	v_fmac_f32_e32 v24, v22, v23
	s_mov_b32 s4, 0x3f317218
	v_mul_f32_e32 v23, 0x3f317218, v17
	v_fma_f32 v25, v17, s4, -v23
	v_fmac_f32_e32 v25, 0xb102e308, v17
	v_sub_f32_e32 v17, v21, v20
	v_sub_f32_e32 v17, v18, v17
	v_add_f32_e32 v18, v23, v25
	v_sub_f32_e32 v20, v18, v23
	v_ldexp_f32 v23, v21, 1
	v_mul_f32_e32 v21, v21, v22
	v_mul_f32_e32 v21, v21, v24
	v_add_f32_e32 v22, v23, v21
	v_sub_f32_e32 v23, v22, v23
	v_ldexp_f32 v17, v17, 1
	v_sub_f32_e32 v21, v21, v23
	v_add_f32_e32 v17, v17, v21
	v_add_f32_e32 v21, v22, v17
	v_sub_f32_e32 v22, v21, v22
	v_sub_f32_e32 v17, v17, v22
	v_add_f32_e32 v22, v18, v21
	v_sub_f32_e32 v23, v22, v18
	v_sub_f32_e32 v24, v22, v23
	v_sub_f32_e32 v20, v25, v20
	v_sub_f32_e32 v18, v18, v24
	v_sub_f32_e32 v21, v21, v23
	v_add_f32_e32 v18, v21, v18
	v_add_f32_e32 v21, v20, v17
	v_sub_f32_e32 v23, v21, v20
	v_sub_f32_e32 v24, v21, v23
	;; [unrolled: 1-line block ×4, first 2 shown]
	v_add_f32_e32 v18, v21, v18
	v_add_f32_e32 v17, v17, v20
	;; [unrolled: 1-line block ×3, first 2 shown]
	v_sub_f32_e32 v21, v20, v22
	v_sub_f32_e32 v18, v18, v21
	v_add_f32_e32 v17, v17, v18
	v_add_f32_e32 v17, v20, v17
	v_cmp_neq_f32_e64 s[4:5], s31, v4
	v_cndmask_b32_e64 v17, v19, v17, s[4:5]
	s_mov_b32 s4, 0x33800000
	v_cmp_lt_f32_e64 s[4:5], |v4|, s4
	v_cndmask_b32_e64 v4, v17, v4, s[4:5]
	v_add_f32_e32 v4, v14, v4
.LBB109_128:
	s_or_b64 exec, exec, s[28:29]
	v_max_f32_e32 v14, v4, v4
	v_min_f32_e32 v17, v14, v30
	v_cmp_u_f32_e64 s[4:5], v4, v4
	v_max_f32_e32 v14, v14, v30
	v_cndmask_b32_e64 v17, v17, v4, s[4:5]
	v_cndmask_b32_e64 v14, v14, v4, s[4:5]
	;; [unrolled: 1-line block ×4, first 2 shown]
	v_cmp_neq_f32_e64 s[4:5], v17, v14
	v_cmp_class_f32_e64 s[28:29], v17, s30
	s_or_b64 s[4:5], s[4:5], s[28:29]
	v_mov_b32_e32 v15, v4
	s_and_saveexec_b64 s[28:29], s[4:5]
	s_cbranch_execz .LBB109_130
; %bb.129:
	v_sub_f32_e32 v15, v17, v14
	s_mov_b32 s4, 0x3fb8aa3b
	v_mul_f32_e32 v17, 0x3fb8aa3b, v15
	v_fma_f32 v18, v15, s4, -v17
	v_rndne_f32_e32 v19, v17
	v_fmac_f32_e32 v18, 0x32a5705f, v15
	v_sub_f32_e32 v17, v17, v19
	v_add_f32_e32 v17, v17, v18
	v_exp_f32_e32 v17, v17
	v_cvt_i32_f32_e32 v18, v19
	s_mov_b32 s4, 0xc2ce8ed0
	v_cmp_ngt_f32_e64 s[4:5], s4, v15
	v_mov_b32_e32 v19, 0x7f800000
	v_ldexp_f32 v17, v17, v18
	v_cndmask_b32_e64 v17, 0, v17, s[4:5]
	s_mov_b32 s4, 0x42b17218
	v_cmp_nlt_f32_e64 s[4:5], s4, v15
	v_cndmask_b32_e64 v15, v19, v17, s[4:5]
	v_add_f32_e32 v20, 1.0, v15
	v_cvt_f64_f32_e32 v[17:18], v20
	v_add_f32_e32 v21, -1.0, v20
	v_sub_f32_e32 v22, v21, v20
	v_sub_f32_e32 v21, v15, v21
	v_frexp_exp_i32_f64_e32 v17, v[17:18]
	v_add_f32_e32 v18, 1.0, v22
	v_add_f32_e32 v18, v21, v18
	v_frexp_mant_f32_e32 v21, v20
	s_mov_b32 s4, 0x3f2aaaab
	v_cmp_gt_f32_e64 s[4:5], s4, v21
	s_mov_b32 s30, 0x7f800000
	v_subbrev_co_u32_e64 v17, s[4:5], 0, v17, s[4:5]
	v_sub_u32_e32 v21, 0, v17
	v_ldexp_f32 v20, v20, v21
	v_ldexp_f32 v18, v18, v21
	v_add_f32_e32 v21, -1.0, v20
	v_add_f32_e32 v24, 1.0, v20
	v_add_f32_e32 v22, 1.0, v21
	v_add_f32_e32 v25, -1.0, v24
	v_sub_f32_e32 v22, v20, v22
	v_sub_f32_e32 v20, v20, v25
	v_add_f32_e32 v22, v18, v22
	v_add_f32_e32 v18, v18, v20
	v_add_f32_e32 v20, v24, v18
	v_rcp_f32_e32 v25, v20
	v_add_f32_e32 v23, v21, v22
	v_sub_f32_e32 v21, v21, v23
	v_add_f32_e32 v21, v22, v21
	v_sub_f32_e32 v22, v24, v20
	v_add_f32_e32 v18, v18, v22
	v_mul_f32_e32 v22, v23, v25
	v_mul_f32_e32 v24, v20, v22
	v_fma_f32 v26, v22, v20, -v24
	v_fmac_f32_e32 v26, v22, v18
	v_add_f32_e32 v27, v24, v26
	v_sub_f32_e32 v28, v23, v27
	v_sub_f32_e32 v23, v23, v28
	;; [unrolled: 1-line block ×4, first 2 shown]
	v_add_f32_e32 v21, v21, v23
	v_sub_f32_e32 v23, v24, v26
	v_add_f32_e32 v21, v23, v21
	v_add_f32_e32 v23, v28, v21
	v_mul_f32_e32 v24, v25, v23
	v_mul_f32_e32 v26, v20, v24
	v_fma_f32 v20, v24, v20, -v26
	v_fmac_f32_e32 v20, v24, v18
	v_sub_f32_e32 v18, v28, v23
	v_add_f32_e32 v18, v21, v18
	v_add_f32_e32 v21, v26, v20
	v_sub_f32_e32 v27, v23, v21
	v_sub_f32_e32 v23, v23, v27
	;; [unrolled: 1-line block ×4, first 2 shown]
	v_add_f32_e32 v18, v18, v21
	v_sub_f32_e32 v20, v26, v20
	v_add_f32_e32 v18, v20, v18
	v_add_f32_e32 v20, v22, v24
	;; [unrolled: 1-line block ×3, first 2 shown]
	v_sub_f32_e32 v21, v20, v22
	v_mul_f32_e32 v18, v25, v18
	v_sub_f32_e32 v21, v24, v21
	v_add_f32_e32 v18, v21, v18
	v_cvt_f32_i32_e32 v17, v17
	v_add_f32_e32 v21, v20, v18
	v_mul_f32_e32 v22, v21, v21
	v_mov_b32_e32 v23, 0x3ecc95a3
	v_fmac_f32_e32 v23, 0x3e9b6dac, v22
	v_mov_b32_e32 v24, 0x3f2aaada
	v_fmac_f32_e32 v24, v22, v23
	s_mov_b32 s4, 0x3f317218
	v_mul_f32_e32 v23, 0x3f317218, v17
	v_fma_f32 v25, v17, s4, -v23
	v_fmac_f32_e32 v25, 0xb102e308, v17
	v_sub_f32_e32 v17, v21, v20
	v_sub_f32_e32 v17, v18, v17
	v_add_f32_e32 v18, v23, v25
	v_sub_f32_e32 v20, v18, v23
	v_ldexp_f32 v23, v21, 1
	v_mul_f32_e32 v21, v21, v22
	v_mul_f32_e32 v21, v21, v24
	v_add_f32_e32 v22, v23, v21
	v_sub_f32_e32 v23, v22, v23
	v_ldexp_f32 v17, v17, 1
	v_sub_f32_e32 v21, v21, v23
	v_add_f32_e32 v17, v17, v21
	v_add_f32_e32 v21, v22, v17
	v_sub_f32_e32 v22, v21, v22
	v_sub_f32_e32 v17, v17, v22
	v_add_f32_e32 v22, v18, v21
	v_sub_f32_e32 v23, v22, v18
	v_sub_f32_e32 v24, v22, v23
	v_sub_f32_e32 v20, v25, v20
	v_sub_f32_e32 v18, v18, v24
	v_sub_f32_e32 v21, v21, v23
	v_add_f32_e32 v18, v21, v18
	v_add_f32_e32 v21, v20, v17
	v_sub_f32_e32 v23, v21, v20
	v_sub_f32_e32 v24, v21, v23
	;; [unrolled: 1-line block ×4, first 2 shown]
	v_add_f32_e32 v18, v21, v18
	v_add_f32_e32 v17, v17, v20
	;; [unrolled: 1-line block ×3, first 2 shown]
	v_sub_f32_e32 v21, v20, v22
	v_sub_f32_e32 v18, v18, v21
	v_add_f32_e32 v17, v17, v18
	v_add_f32_e32 v17, v20, v17
	v_cmp_neq_f32_e64 s[4:5], s30, v15
	v_cndmask_b32_e64 v17, v19, v17, s[4:5]
	s_mov_b32 s4, 0x33800000
	v_cmp_lt_f32_e64 s[4:5], |v15|, s4
	v_cndmask_b32_e64 v15, v17, v15, s[4:5]
	v_add_f32_e32 v15, v14, v15
.LBB109_130:
	s_or_b64 exec, exec, s[28:29]
	v_add_u32_e32 v14, v16, v34
	s_waitcnt lgkmcnt(0)
	s_barrier
	ds_write2_b32 v14, v1, v0 offset1:1
	ds_write2_b32 v14, v2, v13 offset0:2 offset1:3
	ds_write2_b32 v14, v11, v12 offset0:4 offset1:5
	;; [unrolled: 1-line block ×6, first 2 shown]
	ds_write_b32 v14, v15 offset:56
	s_waitcnt lgkmcnt(0)
	s_barrier
	ds_read2st64_b32 v[14:15], v16 offset0:4 offset1:8
	ds_read2st64_b32 v[12:13], v16 offset0:12 offset1:16
	ds_read2st64_b32 v[10:11], v16 offset0:20 offset1:24
	ds_read2st64_b32 v[8:9], v16 offset0:28 offset1:32
	ds_read2st64_b32 v[6:7], v16 offset0:36 offset1:40
	ds_read2st64_b32 v[4:5], v16 offset0:44 offset1:48
	ds_read2st64_b32 v[0:1], v16 offset0:52 offset1:56
	v_mov_b32_e32 v3, s65
	v_add_co_u32_e64 v2, s[4:5], s64, v16
	v_addc_co_u32_e64 v3, s[4:5], 0, v3, s[4:5]
	s_and_saveexec_b64 s[4:5], vcc
	s_cbranch_execnz .LBB109_146
; %bb.131:
	s_or_b64 exec, exec, s[4:5]
	s_and_saveexec_b64 s[4:5], s[0:1]
	s_cbranch_execnz .LBB109_147
.LBB109_132:
	s_or_b64 exec, exec, s[4:5]
	s_and_saveexec_b64 s[0:1], s[2:3]
	s_cbranch_execnz .LBB109_148
.LBB109_133:
	s_or_b64 exec, exec, s[0:1]
	s_and_saveexec_b64 s[0:1], s[60:61]
	s_cbranch_execnz .LBB109_149
.LBB109_134:
	s_or_b64 exec, exec, s[0:1]
	s_and_saveexec_b64 s[0:1], s[6:7]
	s_cbranch_execnz .LBB109_150
.LBB109_135:
	s_or_b64 exec, exec, s[0:1]
	s_and_saveexec_b64 s[0:1], s[8:9]
	s_cbranch_execnz .LBB109_151
.LBB109_136:
	s_or_b64 exec, exec, s[0:1]
	s_and_saveexec_b64 s[0:1], s[10:11]
	s_cbranch_execnz .LBB109_152
.LBB109_137:
	s_or_b64 exec, exec, s[0:1]
	s_and_saveexec_b64 s[0:1], s[12:13]
	s_cbranch_execnz .LBB109_153
.LBB109_138:
	s_or_b64 exec, exec, s[0:1]
	s_and_saveexec_b64 s[0:1], s[14:15]
	s_cbranch_execnz .LBB109_154
.LBB109_139:
	s_or_b64 exec, exec, s[0:1]
	s_and_saveexec_b64 s[0:1], s[16:17]
	s_cbranch_execnz .LBB109_155
.LBB109_140:
	s_or_b64 exec, exec, s[0:1]
	s_and_saveexec_b64 s[0:1], s[18:19]
	s_cbranch_execnz .LBB109_156
.LBB109_141:
	s_or_b64 exec, exec, s[0:1]
	s_and_saveexec_b64 s[0:1], s[20:21]
	s_cbranch_execnz .LBB109_157
.LBB109_142:
	s_or_b64 exec, exec, s[0:1]
	s_and_saveexec_b64 s[0:1], s[22:23]
	s_cbranch_execnz .LBB109_158
.LBB109_143:
	s_or_b64 exec, exec, s[0:1]
	s_and_saveexec_b64 s[0:1], s[24:25]
	s_cbranch_execnz .LBB109_159
.LBB109_144:
	s_or_b64 exec, exec, s[0:1]
	s_and_saveexec_b64 s[0:1], s[26:27]
	s_cbranch_execnz .LBB109_160
.LBB109_145:
	s_endpgm
.LBB109_146:
	ds_read_b32 v16, v16
	s_waitcnt lgkmcnt(0)
	global_store_dword v[2:3], v16, off
	s_or_b64 exec, exec, s[4:5]
	s_and_saveexec_b64 s[4:5], s[0:1]
	s_cbranch_execz .LBB109_132
.LBB109_147:
	s_waitcnt lgkmcnt(6)
	global_store_dword v[2:3], v14, off offset:1024
	s_or_b64 exec, exec, s[4:5]
	s_and_saveexec_b64 s[0:1], s[2:3]
	s_cbranch_execz .LBB109_133
.LBB109_148:
	s_waitcnt lgkmcnt(6)
	global_store_dword v[2:3], v15, off offset:2048
	s_or_b64 exec, exec, s[0:1]
	s_and_saveexec_b64 s[0:1], s[60:61]
	s_cbranch_execz .LBB109_134
.LBB109_149:
	s_waitcnt lgkmcnt(5)
	global_store_dword v[2:3], v12, off offset:3072
	s_or_b64 exec, exec, s[0:1]
	s_and_saveexec_b64 s[0:1], s[6:7]
	s_cbranch_execz .LBB109_135
.LBB109_150:
	s_waitcnt lgkmcnt(6)
	v_add_co_u32_e32 v14, vcc, 0x1000, v2
	v_addc_co_u32_e32 v15, vcc, 0, v3, vcc
	s_waitcnt lgkmcnt(5)
	global_store_dword v[14:15], v13, off
	s_or_b64 exec, exec, s[0:1]
	s_and_saveexec_b64 s[0:1], s[8:9]
	s_cbranch_execz .LBB109_136
.LBB109_151:
	s_waitcnt lgkmcnt(5)
	v_add_co_u32_e32 v12, vcc, 0x1000, v2
	v_addc_co_u32_e32 v13, vcc, 0, v3, vcc
	s_waitcnt lgkmcnt(4)
	global_store_dword v[12:13], v10, off offset:1024
	s_or_b64 exec, exec, s[0:1]
	s_and_saveexec_b64 s[0:1], s[10:11]
	s_cbranch_execz .LBB109_137
.LBB109_152:
	s_waitcnt lgkmcnt(5)
	v_add_co_u32_e32 v12, vcc, 0x1000, v2
	v_addc_co_u32_e32 v13, vcc, 0, v3, vcc
	s_waitcnt lgkmcnt(4)
	global_store_dword v[12:13], v11, off offset:2048
	s_or_b64 exec, exec, s[0:1]
	s_and_saveexec_b64 s[0:1], s[12:13]
	s_cbranch_execz .LBB109_138
.LBB109_153:
	s_waitcnt lgkmcnt(4)
	v_add_co_u32_e32 v10, vcc, 0x1000, v2
	v_addc_co_u32_e32 v11, vcc, 0, v3, vcc
	s_waitcnt lgkmcnt(3)
	global_store_dword v[10:11], v8, off offset:3072
	s_or_b64 exec, exec, s[0:1]
	s_and_saveexec_b64 s[0:1], s[14:15]
	s_cbranch_execz .LBB109_139
.LBB109_154:
	s_waitcnt lgkmcnt(4)
	v_add_co_u32_e32 v10, vcc, 0x2000, v2
	v_addc_co_u32_e32 v11, vcc, 0, v3, vcc
	s_waitcnt lgkmcnt(3)
	global_store_dword v[10:11], v9, off
	s_or_b64 exec, exec, s[0:1]
	s_and_saveexec_b64 s[0:1], s[16:17]
	s_cbranch_execz .LBB109_140
.LBB109_155:
	s_waitcnt lgkmcnt(3)
	v_add_co_u32_e32 v8, vcc, 0x2000, v2
	v_addc_co_u32_e32 v9, vcc, 0, v3, vcc
	s_waitcnt lgkmcnt(2)
	global_store_dword v[8:9], v6, off offset:1024
	s_or_b64 exec, exec, s[0:1]
	s_and_saveexec_b64 s[0:1], s[18:19]
	s_cbranch_execz .LBB109_141
.LBB109_156:
	s_waitcnt lgkmcnt(3)
	v_add_co_u32_e32 v8, vcc, 0x2000, v2
	v_addc_co_u32_e32 v9, vcc, 0, v3, vcc
	s_waitcnt lgkmcnt(2)
	global_store_dword v[8:9], v7, off offset:2048
	s_or_b64 exec, exec, s[0:1]
	s_and_saveexec_b64 s[0:1], s[20:21]
	s_cbranch_execz .LBB109_142
.LBB109_157:
	s_waitcnt lgkmcnt(2)
	v_add_co_u32_e32 v6, vcc, 0x2000, v2
	v_addc_co_u32_e32 v7, vcc, 0, v3, vcc
	s_waitcnt lgkmcnt(1)
	global_store_dword v[6:7], v4, off offset:3072
	s_or_b64 exec, exec, s[0:1]
	s_and_saveexec_b64 s[0:1], s[22:23]
	s_cbranch_execz .LBB109_143
.LBB109_158:
	s_waitcnt lgkmcnt(2)
	v_add_co_u32_e32 v6, vcc, 0x3000, v2
	v_addc_co_u32_e32 v7, vcc, 0, v3, vcc
	s_waitcnt lgkmcnt(1)
	global_store_dword v[6:7], v5, off
	s_or_b64 exec, exec, s[0:1]
	s_and_saveexec_b64 s[0:1], s[24:25]
	s_cbranch_execz .LBB109_144
.LBB109_159:
	s_waitcnt lgkmcnt(1)
	v_add_co_u32_e32 v4, vcc, 0x3000, v2
	v_addc_co_u32_e32 v5, vcc, 0, v3, vcc
	s_waitcnt lgkmcnt(0)
	global_store_dword v[4:5], v0, off offset:1024
	s_or_b64 exec, exec, s[0:1]
	s_and_saveexec_b64 s[0:1], s[26:27]
	s_cbranch_execz .LBB109_145
.LBB109_160:
	v_add_co_u32_e32 v2, vcc, 0x3000, v2
	v_addc_co_u32_e32 v3, vcc, 0, v3, vcc
	s_waitcnt lgkmcnt(0)
	global_store_dword v[2:3], v1, off offset:2048
	s_endpgm
	.section	.rodata,"a",@progbits
	.p2align	6, 0x0
	.amdhsa_kernel _ZN7rocprim17ROCPRIM_400000_NS6detail17trampoline_kernelINS0_14default_configENS1_20scan_config_selectorIfEEZZNS1_9scan_implILNS1_25lookback_scan_determinismE0ELb0ELb0ES3_PKfPffZZZN2at6native31launch_logcumsumexp_cuda_kernelERKNSB_10TensorBaseESF_lENKUlvE_clEvENKUlvE0_clEvEUlffE_fEEDaPvRmT3_T4_T5_mT6_P12ihipStream_tbENKUlT_T0_E_clISt17integral_constantIbLb0EESW_EEDaSR_SS_EUlSR_E0_NS1_11comp_targetILNS1_3genE2ELNS1_11target_archE906ELNS1_3gpuE6ELNS1_3repE0EEENS1_30default_config_static_selectorELNS0_4arch9wavefront6targetE1EEEvT1_
		.amdhsa_group_segment_fixed_size 15360
		.amdhsa_private_segment_fixed_size 0
		.amdhsa_kernarg_size 32
		.amdhsa_user_sgpr_count 6
		.amdhsa_user_sgpr_private_segment_buffer 1
		.amdhsa_user_sgpr_dispatch_ptr 0
		.amdhsa_user_sgpr_queue_ptr 0
		.amdhsa_user_sgpr_kernarg_segment_ptr 1
		.amdhsa_user_sgpr_dispatch_id 0
		.amdhsa_user_sgpr_flat_scratch_init 0
		.amdhsa_user_sgpr_private_segment_size 0
		.amdhsa_uses_dynamic_stack 0
		.amdhsa_system_sgpr_private_segment_wavefront_offset 0
		.amdhsa_system_sgpr_workgroup_id_x 1
		.amdhsa_system_sgpr_workgroup_id_y 0
		.amdhsa_system_sgpr_workgroup_id_z 0
		.amdhsa_system_sgpr_workgroup_info 0
		.amdhsa_system_vgpr_workitem_id 0
		.amdhsa_next_free_vgpr 53
		.amdhsa_next_free_sgpr 98
		.amdhsa_reserve_vcc 1
		.amdhsa_reserve_flat_scratch 0
		.amdhsa_float_round_mode_32 0
		.amdhsa_float_round_mode_16_64 0
		.amdhsa_float_denorm_mode_32 3
		.amdhsa_float_denorm_mode_16_64 3
		.amdhsa_dx10_clamp 1
		.amdhsa_ieee_mode 1
		.amdhsa_fp16_overflow 0
		.amdhsa_exception_fp_ieee_invalid_op 0
		.amdhsa_exception_fp_denorm_src 0
		.amdhsa_exception_fp_ieee_div_zero 0
		.amdhsa_exception_fp_ieee_overflow 0
		.amdhsa_exception_fp_ieee_underflow 0
		.amdhsa_exception_fp_ieee_inexact 0
		.amdhsa_exception_int_div_zero 0
	.end_amdhsa_kernel
	.section	.text._ZN7rocprim17ROCPRIM_400000_NS6detail17trampoline_kernelINS0_14default_configENS1_20scan_config_selectorIfEEZZNS1_9scan_implILNS1_25lookback_scan_determinismE0ELb0ELb0ES3_PKfPffZZZN2at6native31launch_logcumsumexp_cuda_kernelERKNSB_10TensorBaseESF_lENKUlvE_clEvENKUlvE0_clEvEUlffE_fEEDaPvRmT3_T4_T5_mT6_P12ihipStream_tbENKUlT_T0_E_clISt17integral_constantIbLb0EESW_EEDaSR_SS_EUlSR_E0_NS1_11comp_targetILNS1_3genE2ELNS1_11target_archE906ELNS1_3gpuE6ELNS1_3repE0EEENS1_30default_config_static_selectorELNS0_4arch9wavefront6targetE1EEEvT1_,"axG",@progbits,_ZN7rocprim17ROCPRIM_400000_NS6detail17trampoline_kernelINS0_14default_configENS1_20scan_config_selectorIfEEZZNS1_9scan_implILNS1_25lookback_scan_determinismE0ELb0ELb0ES3_PKfPffZZZN2at6native31launch_logcumsumexp_cuda_kernelERKNSB_10TensorBaseESF_lENKUlvE_clEvENKUlvE0_clEvEUlffE_fEEDaPvRmT3_T4_T5_mT6_P12ihipStream_tbENKUlT_T0_E_clISt17integral_constantIbLb0EESW_EEDaSR_SS_EUlSR_E0_NS1_11comp_targetILNS1_3genE2ELNS1_11target_archE906ELNS1_3gpuE6ELNS1_3repE0EEENS1_30default_config_static_selectorELNS0_4arch9wavefront6targetE1EEEvT1_,comdat
.Lfunc_end109:
	.size	_ZN7rocprim17ROCPRIM_400000_NS6detail17trampoline_kernelINS0_14default_configENS1_20scan_config_selectorIfEEZZNS1_9scan_implILNS1_25lookback_scan_determinismE0ELb0ELb0ES3_PKfPffZZZN2at6native31launch_logcumsumexp_cuda_kernelERKNSB_10TensorBaseESF_lENKUlvE_clEvENKUlvE0_clEvEUlffE_fEEDaPvRmT3_T4_T5_mT6_P12ihipStream_tbENKUlT_T0_E_clISt17integral_constantIbLb0EESW_EEDaSR_SS_EUlSR_E0_NS1_11comp_targetILNS1_3genE2ELNS1_11target_archE906ELNS1_3gpuE6ELNS1_3repE0EEENS1_30default_config_static_selectorELNS0_4arch9wavefront6targetE1EEEvT1_, .Lfunc_end109-_ZN7rocprim17ROCPRIM_400000_NS6detail17trampoline_kernelINS0_14default_configENS1_20scan_config_selectorIfEEZZNS1_9scan_implILNS1_25lookback_scan_determinismE0ELb0ELb0ES3_PKfPffZZZN2at6native31launch_logcumsumexp_cuda_kernelERKNSB_10TensorBaseESF_lENKUlvE_clEvENKUlvE0_clEvEUlffE_fEEDaPvRmT3_T4_T5_mT6_P12ihipStream_tbENKUlT_T0_E_clISt17integral_constantIbLb0EESW_EEDaSR_SS_EUlSR_E0_NS1_11comp_targetILNS1_3genE2ELNS1_11target_archE906ELNS1_3gpuE6ELNS1_3repE0EEENS1_30default_config_static_selectorELNS0_4arch9wavefront6targetE1EEEvT1_
                                        ; -- End function
	.set _ZN7rocprim17ROCPRIM_400000_NS6detail17trampoline_kernelINS0_14default_configENS1_20scan_config_selectorIfEEZZNS1_9scan_implILNS1_25lookback_scan_determinismE0ELb0ELb0ES3_PKfPffZZZN2at6native31launch_logcumsumexp_cuda_kernelERKNSB_10TensorBaseESF_lENKUlvE_clEvENKUlvE0_clEvEUlffE_fEEDaPvRmT3_T4_T5_mT6_P12ihipStream_tbENKUlT_T0_E_clISt17integral_constantIbLb0EESW_EEDaSR_SS_EUlSR_E0_NS1_11comp_targetILNS1_3genE2ELNS1_11target_archE906ELNS1_3gpuE6ELNS1_3repE0EEENS1_30default_config_static_selectorELNS0_4arch9wavefront6targetE1EEEvT1_.num_vgpr, 53
	.set _ZN7rocprim17ROCPRIM_400000_NS6detail17trampoline_kernelINS0_14default_configENS1_20scan_config_selectorIfEEZZNS1_9scan_implILNS1_25lookback_scan_determinismE0ELb0ELb0ES3_PKfPffZZZN2at6native31launch_logcumsumexp_cuda_kernelERKNSB_10TensorBaseESF_lENKUlvE_clEvENKUlvE0_clEvEUlffE_fEEDaPvRmT3_T4_T5_mT6_P12ihipStream_tbENKUlT_T0_E_clISt17integral_constantIbLb0EESW_EEDaSR_SS_EUlSR_E0_NS1_11comp_targetILNS1_3genE2ELNS1_11target_archE906ELNS1_3gpuE6ELNS1_3repE0EEENS1_30default_config_static_selectorELNS0_4arch9wavefront6targetE1EEEvT1_.num_agpr, 0
	.set _ZN7rocprim17ROCPRIM_400000_NS6detail17trampoline_kernelINS0_14default_configENS1_20scan_config_selectorIfEEZZNS1_9scan_implILNS1_25lookback_scan_determinismE0ELb0ELb0ES3_PKfPffZZZN2at6native31launch_logcumsumexp_cuda_kernelERKNSB_10TensorBaseESF_lENKUlvE_clEvENKUlvE0_clEvEUlffE_fEEDaPvRmT3_T4_T5_mT6_P12ihipStream_tbENKUlT_T0_E_clISt17integral_constantIbLb0EESW_EEDaSR_SS_EUlSR_E0_NS1_11comp_targetILNS1_3genE2ELNS1_11target_archE906ELNS1_3gpuE6ELNS1_3repE0EEENS1_30default_config_static_selectorELNS0_4arch9wavefront6targetE1EEEvT1_.numbered_sgpr, 70
	.set _ZN7rocprim17ROCPRIM_400000_NS6detail17trampoline_kernelINS0_14default_configENS1_20scan_config_selectorIfEEZZNS1_9scan_implILNS1_25lookback_scan_determinismE0ELb0ELb0ES3_PKfPffZZZN2at6native31launch_logcumsumexp_cuda_kernelERKNSB_10TensorBaseESF_lENKUlvE_clEvENKUlvE0_clEvEUlffE_fEEDaPvRmT3_T4_T5_mT6_P12ihipStream_tbENKUlT_T0_E_clISt17integral_constantIbLb0EESW_EEDaSR_SS_EUlSR_E0_NS1_11comp_targetILNS1_3genE2ELNS1_11target_archE906ELNS1_3gpuE6ELNS1_3repE0EEENS1_30default_config_static_selectorELNS0_4arch9wavefront6targetE1EEEvT1_.num_named_barrier, 0
	.set _ZN7rocprim17ROCPRIM_400000_NS6detail17trampoline_kernelINS0_14default_configENS1_20scan_config_selectorIfEEZZNS1_9scan_implILNS1_25lookback_scan_determinismE0ELb0ELb0ES3_PKfPffZZZN2at6native31launch_logcumsumexp_cuda_kernelERKNSB_10TensorBaseESF_lENKUlvE_clEvENKUlvE0_clEvEUlffE_fEEDaPvRmT3_T4_T5_mT6_P12ihipStream_tbENKUlT_T0_E_clISt17integral_constantIbLb0EESW_EEDaSR_SS_EUlSR_E0_NS1_11comp_targetILNS1_3genE2ELNS1_11target_archE906ELNS1_3gpuE6ELNS1_3repE0EEENS1_30default_config_static_selectorELNS0_4arch9wavefront6targetE1EEEvT1_.private_seg_size, 0
	.set _ZN7rocprim17ROCPRIM_400000_NS6detail17trampoline_kernelINS0_14default_configENS1_20scan_config_selectorIfEEZZNS1_9scan_implILNS1_25lookback_scan_determinismE0ELb0ELb0ES3_PKfPffZZZN2at6native31launch_logcumsumexp_cuda_kernelERKNSB_10TensorBaseESF_lENKUlvE_clEvENKUlvE0_clEvEUlffE_fEEDaPvRmT3_T4_T5_mT6_P12ihipStream_tbENKUlT_T0_E_clISt17integral_constantIbLb0EESW_EEDaSR_SS_EUlSR_E0_NS1_11comp_targetILNS1_3genE2ELNS1_11target_archE906ELNS1_3gpuE6ELNS1_3repE0EEENS1_30default_config_static_selectorELNS0_4arch9wavefront6targetE1EEEvT1_.uses_vcc, 1
	.set _ZN7rocprim17ROCPRIM_400000_NS6detail17trampoline_kernelINS0_14default_configENS1_20scan_config_selectorIfEEZZNS1_9scan_implILNS1_25lookback_scan_determinismE0ELb0ELb0ES3_PKfPffZZZN2at6native31launch_logcumsumexp_cuda_kernelERKNSB_10TensorBaseESF_lENKUlvE_clEvENKUlvE0_clEvEUlffE_fEEDaPvRmT3_T4_T5_mT6_P12ihipStream_tbENKUlT_T0_E_clISt17integral_constantIbLb0EESW_EEDaSR_SS_EUlSR_E0_NS1_11comp_targetILNS1_3genE2ELNS1_11target_archE906ELNS1_3gpuE6ELNS1_3repE0EEENS1_30default_config_static_selectorELNS0_4arch9wavefront6targetE1EEEvT1_.uses_flat_scratch, 0
	.set _ZN7rocprim17ROCPRIM_400000_NS6detail17trampoline_kernelINS0_14default_configENS1_20scan_config_selectorIfEEZZNS1_9scan_implILNS1_25lookback_scan_determinismE0ELb0ELb0ES3_PKfPffZZZN2at6native31launch_logcumsumexp_cuda_kernelERKNSB_10TensorBaseESF_lENKUlvE_clEvENKUlvE0_clEvEUlffE_fEEDaPvRmT3_T4_T5_mT6_P12ihipStream_tbENKUlT_T0_E_clISt17integral_constantIbLb0EESW_EEDaSR_SS_EUlSR_E0_NS1_11comp_targetILNS1_3genE2ELNS1_11target_archE906ELNS1_3gpuE6ELNS1_3repE0EEENS1_30default_config_static_selectorELNS0_4arch9wavefront6targetE1EEEvT1_.has_dyn_sized_stack, 0
	.set _ZN7rocprim17ROCPRIM_400000_NS6detail17trampoline_kernelINS0_14default_configENS1_20scan_config_selectorIfEEZZNS1_9scan_implILNS1_25lookback_scan_determinismE0ELb0ELb0ES3_PKfPffZZZN2at6native31launch_logcumsumexp_cuda_kernelERKNSB_10TensorBaseESF_lENKUlvE_clEvENKUlvE0_clEvEUlffE_fEEDaPvRmT3_T4_T5_mT6_P12ihipStream_tbENKUlT_T0_E_clISt17integral_constantIbLb0EESW_EEDaSR_SS_EUlSR_E0_NS1_11comp_targetILNS1_3genE2ELNS1_11target_archE906ELNS1_3gpuE6ELNS1_3repE0EEENS1_30default_config_static_selectorELNS0_4arch9wavefront6targetE1EEEvT1_.has_recursion, 0
	.set _ZN7rocprim17ROCPRIM_400000_NS6detail17trampoline_kernelINS0_14default_configENS1_20scan_config_selectorIfEEZZNS1_9scan_implILNS1_25lookback_scan_determinismE0ELb0ELb0ES3_PKfPffZZZN2at6native31launch_logcumsumexp_cuda_kernelERKNSB_10TensorBaseESF_lENKUlvE_clEvENKUlvE0_clEvEUlffE_fEEDaPvRmT3_T4_T5_mT6_P12ihipStream_tbENKUlT_T0_E_clISt17integral_constantIbLb0EESW_EEDaSR_SS_EUlSR_E0_NS1_11comp_targetILNS1_3genE2ELNS1_11target_archE906ELNS1_3gpuE6ELNS1_3repE0EEENS1_30default_config_static_selectorELNS0_4arch9wavefront6targetE1EEEvT1_.has_indirect_call, 0
	.section	.AMDGPU.csdata,"",@progbits
; Kernel info:
; codeLenInByte = 31256
; TotalNumSgprs: 74
; NumVgprs: 53
; ScratchSize: 0
; MemoryBound: 0
; FloatMode: 240
; IeeeMode: 1
; LDSByteSize: 15360 bytes/workgroup (compile time only)
; SGPRBlocks: 12
; VGPRBlocks: 13
; NumSGPRsForWavesPerEU: 102
; NumVGPRsForWavesPerEU: 53
; Occupancy: 4
; WaveLimiterHint : 0
; COMPUTE_PGM_RSRC2:SCRATCH_EN: 0
; COMPUTE_PGM_RSRC2:USER_SGPR: 6
; COMPUTE_PGM_RSRC2:TRAP_HANDLER: 0
; COMPUTE_PGM_RSRC2:TGID_X_EN: 1
; COMPUTE_PGM_RSRC2:TGID_Y_EN: 0
; COMPUTE_PGM_RSRC2:TGID_Z_EN: 0
; COMPUTE_PGM_RSRC2:TIDIG_COMP_CNT: 0
	.section	.text._ZN7rocprim17ROCPRIM_400000_NS6detail17trampoline_kernelINS0_14default_configENS1_20scan_config_selectorIfEEZZNS1_9scan_implILNS1_25lookback_scan_determinismE0ELb0ELb0ES3_PKfPffZZZN2at6native31launch_logcumsumexp_cuda_kernelERKNSB_10TensorBaseESF_lENKUlvE_clEvENKUlvE0_clEvEUlffE_fEEDaPvRmT3_T4_T5_mT6_P12ihipStream_tbENKUlT_T0_E_clISt17integral_constantIbLb0EESW_EEDaSR_SS_EUlSR_E0_NS1_11comp_targetILNS1_3genE10ELNS1_11target_archE1201ELNS1_3gpuE5ELNS1_3repE0EEENS1_30default_config_static_selectorELNS0_4arch9wavefront6targetE1EEEvT1_,"axG",@progbits,_ZN7rocprim17ROCPRIM_400000_NS6detail17trampoline_kernelINS0_14default_configENS1_20scan_config_selectorIfEEZZNS1_9scan_implILNS1_25lookback_scan_determinismE0ELb0ELb0ES3_PKfPffZZZN2at6native31launch_logcumsumexp_cuda_kernelERKNSB_10TensorBaseESF_lENKUlvE_clEvENKUlvE0_clEvEUlffE_fEEDaPvRmT3_T4_T5_mT6_P12ihipStream_tbENKUlT_T0_E_clISt17integral_constantIbLb0EESW_EEDaSR_SS_EUlSR_E0_NS1_11comp_targetILNS1_3genE10ELNS1_11target_archE1201ELNS1_3gpuE5ELNS1_3repE0EEENS1_30default_config_static_selectorELNS0_4arch9wavefront6targetE1EEEvT1_,comdat
	.globl	_ZN7rocprim17ROCPRIM_400000_NS6detail17trampoline_kernelINS0_14default_configENS1_20scan_config_selectorIfEEZZNS1_9scan_implILNS1_25lookback_scan_determinismE0ELb0ELb0ES3_PKfPffZZZN2at6native31launch_logcumsumexp_cuda_kernelERKNSB_10TensorBaseESF_lENKUlvE_clEvENKUlvE0_clEvEUlffE_fEEDaPvRmT3_T4_T5_mT6_P12ihipStream_tbENKUlT_T0_E_clISt17integral_constantIbLb0EESW_EEDaSR_SS_EUlSR_E0_NS1_11comp_targetILNS1_3genE10ELNS1_11target_archE1201ELNS1_3gpuE5ELNS1_3repE0EEENS1_30default_config_static_selectorELNS0_4arch9wavefront6targetE1EEEvT1_ ; -- Begin function _ZN7rocprim17ROCPRIM_400000_NS6detail17trampoline_kernelINS0_14default_configENS1_20scan_config_selectorIfEEZZNS1_9scan_implILNS1_25lookback_scan_determinismE0ELb0ELb0ES3_PKfPffZZZN2at6native31launch_logcumsumexp_cuda_kernelERKNSB_10TensorBaseESF_lENKUlvE_clEvENKUlvE0_clEvEUlffE_fEEDaPvRmT3_T4_T5_mT6_P12ihipStream_tbENKUlT_T0_E_clISt17integral_constantIbLb0EESW_EEDaSR_SS_EUlSR_E0_NS1_11comp_targetILNS1_3genE10ELNS1_11target_archE1201ELNS1_3gpuE5ELNS1_3repE0EEENS1_30default_config_static_selectorELNS0_4arch9wavefront6targetE1EEEvT1_
	.p2align	8
	.type	_ZN7rocprim17ROCPRIM_400000_NS6detail17trampoline_kernelINS0_14default_configENS1_20scan_config_selectorIfEEZZNS1_9scan_implILNS1_25lookback_scan_determinismE0ELb0ELb0ES3_PKfPffZZZN2at6native31launch_logcumsumexp_cuda_kernelERKNSB_10TensorBaseESF_lENKUlvE_clEvENKUlvE0_clEvEUlffE_fEEDaPvRmT3_T4_T5_mT6_P12ihipStream_tbENKUlT_T0_E_clISt17integral_constantIbLb0EESW_EEDaSR_SS_EUlSR_E0_NS1_11comp_targetILNS1_3genE10ELNS1_11target_archE1201ELNS1_3gpuE5ELNS1_3repE0EEENS1_30default_config_static_selectorELNS0_4arch9wavefront6targetE1EEEvT1_,@function
_ZN7rocprim17ROCPRIM_400000_NS6detail17trampoline_kernelINS0_14default_configENS1_20scan_config_selectorIfEEZZNS1_9scan_implILNS1_25lookback_scan_determinismE0ELb0ELb0ES3_PKfPffZZZN2at6native31launch_logcumsumexp_cuda_kernelERKNSB_10TensorBaseESF_lENKUlvE_clEvENKUlvE0_clEvEUlffE_fEEDaPvRmT3_T4_T5_mT6_P12ihipStream_tbENKUlT_T0_E_clISt17integral_constantIbLb0EESW_EEDaSR_SS_EUlSR_E0_NS1_11comp_targetILNS1_3genE10ELNS1_11target_archE1201ELNS1_3gpuE5ELNS1_3repE0EEENS1_30default_config_static_selectorELNS0_4arch9wavefront6targetE1EEEvT1_: ; @_ZN7rocprim17ROCPRIM_400000_NS6detail17trampoline_kernelINS0_14default_configENS1_20scan_config_selectorIfEEZZNS1_9scan_implILNS1_25lookback_scan_determinismE0ELb0ELb0ES3_PKfPffZZZN2at6native31launch_logcumsumexp_cuda_kernelERKNSB_10TensorBaseESF_lENKUlvE_clEvENKUlvE0_clEvEUlffE_fEEDaPvRmT3_T4_T5_mT6_P12ihipStream_tbENKUlT_T0_E_clISt17integral_constantIbLb0EESW_EEDaSR_SS_EUlSR_E0_NS1_11comp_targetILNS1_3genE10ELNS1_11target_archE1201ELNS1_3gpuE5ELNS1_3repE0EEENS1_30default_config_static_selectorELNS0_4arch9wavefront6targetE1EEEvT1_
; %bb.0:
	.section	.rodata,"a",@progbits
	.p2align	6, 0x0
	.amdhsa_kernel _ZN7rocprim17ROCPRIM_400000_NS6detail17trampoline_kernelINS0_14default_configENS1_20scan_config_selectorIfEEZZNS1_9scan_implILNS1_25lookback_scan_determinismE0ELb0ELb0ES3_PKfPffZZZN2at6native31launch_logcumsumexp_cuda_kernelERKNSB_10TensorBaseESF_lENKUlvE_clEvENKUlvE0_clEvEUlffE_fEEDaPvRmT3_T4_T5_mT6_P12ihipStream_tbENKUlT_T0_E_clISt17integral_constantIbLb0EESW_EEDaSR_SS_EUlSR_E0_NS1_11comp_targetILNS1_3genE10ELNS1_11target_archE1201ELNS1_3gpuE5ELNS1_3repE0EEENS1_30default_config_static_selectorELNS0_4arch9wavefront6targetE1EEEvT1_
		.amdhsa_group_segment_fixed_size 0
		.amdhsa_private_segment_fixed_size 0
		.amdhsa_kernarg_size 32
		.amdhsa_user_sgpr_count 6
		.amdhsa_user_sgpr_private_segment_buffer 1
		.amdhsa_user_sgpr_dispatch_ptr 0
		.amdhsa_user_sgpr_queue_ptr 0
		.amdhsa_user_sgpr_kernarg_segment_ptr 1
		.amdhsa_user_sgpr_dispatch_id 0
		.amdhsa_user_sgpr_flat_scratch_init 0
		.amdhsa_user_sgpr_private_segment_size 0
		.amdhsa_uses_dynamic_stack 0
		.amdhsa_system_sgpr_private_segment_wavefront_offset 0
		.amdhsa_system_sgpr_workgroup_id_x 1
		.amdhsa_system_sgpr_workgroup_id_y 0
		.amdhsa_system_sgpr_workgroup_id_z 0
		.amdhsa_system_sgpr_workgroup_info 0
		.amdhsa_system_vgpr_workitem_id 0
		.amdhsa_next_free_vgpr 1
		.amdhsa_next_free_sgpr 0
		.amdhsa_reserve_vcc 0
		.amdhsa_reserve_flat_scratch 0
		.amdhsa_float_round_mode_32 0
		.amdhsa_float_round_mode_16_64 0
		.amdhsa_float_denorm_mode_32 3
		.amdhsa_float_denorm_mode_16_64 3
		.amdhsa_dx10_clamp 1
		.amdhsa_ieee_mode 1
		.amdhsa_fp16_overflow 0
		.amdhsa_exception_fp_ieee_invalid_op 0
		.amdhsa_exception_fp_denorm_src 0
		.amdhsa_exception_fp_ieee_div_zero 0
		.amdhsa_exception_fp_ieee_overflow 0
		.amdhsa_exception_fp_ieee_underflow 0
		.amdhsa_exception_fp_ieee_inexact 0
		.amdhsa_exception_int_div_zero 0
	.end_amdhsa_kernel
	.section	.text._ZN7rocprim17ROCPRIM_400000_NS6detail17trampoline_kernelINS0_14default_configENS1_20scan_config_selectorIfEEZZNS1_9scan_implILNS1_25lookback_scan_determinismE0ELb0ELb0ES3_PKfPffZZZN2at6native31launch_logcumsumexp_cuda_kernelERKNSB_10TensorBaseESF_lENKUlvE_clEvENKUlvE0_clEvEUlffE_fEEDaPvRmT3_T4_T5_mT6_P12ihipStream_tbENKUlT_T0_E_clISt17integral_constantIbLb0EESW_EEDaSR_SS_EUlSR_E0_NS1_11comp_targetILNS1_3genE10ELNS1_11target_archE1201ELNS1_3gpuE5ELNS1_3repE0EEENS1_30default_config_static_selectorELNS0_4arch9wavefront6targetE1EEEvT1_,"axG",@progbits,_ZN7rocprim17ROCPRIM_400000_NS6detail17trampoline_kernelINS0_14default_configENS1_20scan_config_selectorIfEEZZNS1_9scan_implILNS1_25lookback_scan_determinismE0ELb0ELb0ES3_PKfPffZZZN2at6native31launch_logcumsumexp_cuda_kernelERKNSB_10TensorBaseESF_lENKUlvE_clEvENKUlvE0_clEvEUlffE_fEEDaPvRmT3_T4_T5_mT6_P12ihipStream_tbENKUlT_T0_E_clISt17integral_constantIbLb0EESW_EEDaSR_SS_EUlSR_E0_NS1_11comp_targetILNS1_3genE10ELNS1_11target_archE1201ELNS1_3gpuE5ELNS1_3repE0EEENS1_30default_config_static_selectorELNS0_4arch9wavefront6targetE1EEEvT1_,comdat
.Lfunc_end110:
	.size	_ZN7rocprim17ROCPRIM_400000_NS6detail17trampoline_kernelINS0_14default_configENS1_20scan_config_selectorIfEEZZNS1_9scan_implILNS1_25lookback_scan_determinismE0ELb0ELb0ES3_PKfPffZZZN2at6native31launch_logcumsumexp_cuda_kernelERKNSB_10TensorBaseESF_lENKUlvE_clEvENKUlvE0_clEvEUlffE_fEEDaPvRmT3_T4_T5_mT6_P12ihipStream_tbENKUlT_T0_E_clISt17integral_constantIbLb0EESW_EEDaSR_SS_EUlSR_E0_NS1_11comp_targetILNS1_3genE10ELNS1_11target_archE1201ELNS1_3gpuE5ELNS1_3repE0EEENS1_30default_config_static_selectorELNS0_4arch9wavefront6targetE1EEEvT1_, .Lfunc_end110-_ZN7rocprim17ROCPRIM_400000_NS6detail17trampoline_kernelINS0_14default_configENS1_20scan_config_selectorIfEEZZNS1_9scan_implILNS1_25lookback_scan_determinismE0ELb0ELb0ES3_PKfPffZZZN2at6native31launch_logcumsumexp_cuda_kernelERKNSB_10TensorBaseESF_lENKUlvE_clEvENKUlvE0_clEvEUlffE_fEEDaPvRmT3_T4_T5_mT6_P12ihipStream_tbENKUlT_T0_E_clISt17integral_constantIbLb0EESW_EEDaSR_SS_EUlSR_E0_NS1_11comp_targetILNS1_3genE10ELNS1_11target_archE1201ELNS1_3gpuE5ELNS1_3repE0EEENS1_30default_config_static_selectorELNS0_4arch9wavefront6targetE1EEEvT1_
                                        ; -- End function
	.set _ZN7rocprim17ROCPRIM_400000_NS6detail17trampoline_kernelINS0_14default_configENS1_20scan_config_selectorIfEEZZNS1_9scan_implILNS1_25lookback_scan_determinismE0ELb0ELb0ES3_PKfPffZZZN2at6native31launch_logcumsumexp_cuda_kernelERKNSB_10TensorBaseESF_lENKUlvE_clEvENKUlvE0_clEvEUlffE_fEEDaPvRmT3_T4_T5_mT6_P12ihipStream_tbENKUlT_T0_E_clISt17integral_constantIbLb0EESW_EEDaSR_SS_EUlSR_E0_NS1_11comp_targetILNS1_3genE10ELNS1_11target_archE1201ELNS1_3gpuE5ELNS1_3repE0EEENS1_30default_config_static_selectorELNS0_4arch9wavefront6targetE1EEEvT1_.num_vgpr, 0
	.set _ZN7rocprim17ROCPRIM_400000_NS6detail17trampoline_kernelINS0_14default_configENS1_20scan_config_selectorIfEEZZNS1_9scan_implILNS1_25lookback_scan_determinismE0ELb0ELb0ES3_PKfPffZZZN2at6native31launch_logcumsumexp_cuda_kernelERKNSB_10TensorBaseESF_lENKUlvE_clEvENKUlvE0_clEvEUlffE_fEEDaPvRmT3_T4_T5_mT6_P12ihipStream_tbENKUlT_T0_E_clISt17integral_constantIbLb0EESW_EEDaSR_SS_EUlSR_E0_NS1_11comp_targetILNS1_3genE10ELNS1_11target_archE1201ELNS1_3gpuE5ELNS1_3repE0EEENS1_30default_config_static_selectorELNS0_4arch9wavefront6targetE1EEEvT1_.num_agpr, 0
	.set _ZN7rocprim17ROCPRIM_400000_NS6detail17trampoline_kernelINS0_14default_configENS1_20scan_config_selectorIfEEZZNS1_9scan_implILNS1_25lookback_scan_determinismE0ELb0ELb0ES3_PKfPffZZZN2at6native31launch_logcumsumexp_cuda_kernelERKNSB_10TensorBaseESF_lENKUlvE_clEvENKUlvE0_clEvEUlffE_fEEDaPvRmT3_T4_T5_mT6_P12ihipStream_tbENKUlT_T0_E_clISt17integral_constantIbLb0EESW_EEDaSR_SS_EUlSR_E0_NS1_11comp_targetILNS1_3genE10ELNS1_11target_archE1201ELNS1_3gpuE5ELNS1_3repE0EEENS1_30default_config_static_selectorELNS0_4arch9wavefront6targetE1EEEvT1_.numbered_sgpr, 0
	.set _ZN7rocprim17ROCPRIM_400000_NS6detail17trampoline_kernelINS0_14default_configENS1_20scan_config_selectorIfEEZZNS1_9scan_implILNS1_25lookback_scan_determinismE0ELb0ELb0ES3_PKfPffZZZN2at6native31launch_logcumsumexp_cuda_kernelERKNSB_10TensorBaseESF_lENKUlvE_clEvENKUlvE0_clEvEUlffE_fEEDaPvRmT3_T4_T5_mT6_P12ihipStream_tbENKUlT_T0_E_clISt17integral_constantIbLb0EESW_EEDaSR_SS_EUlSR_E0_NS1_11comp_targetILNS1_3genE10ELNS1_11target_archE1201ELNS1_3gpuE5ELNS1_3repE0EEENS1_30default_config_static_selectorELNS0_4arch9wavefront6targetE1EEEvT1_.num_named_barrier, 0
	.set _ZN7rocprim17ROCPRIM_400000_NS6detail17trampoline_kernelINS0_14default_configENS1_20scan_config_selectorIfEEZZNS1_9scan_implILNS1_25lookback_scan_determinismE0ELb0ELb0ES3_PKfPffZZZN2at6native31launch_logcumsumexp_cuda_kernelERKNSB_10TensorBaseESF_lENKUlvE_clEvENKUlvE0_clEvEUlffE_fEEDaPvRmT3_T4_T5_mT6_P12ihipStream_tbENKUlT_T0_E_clISt17integral_constantIbLb0EESW_EEDaSR_SS_EUlSR_E0_NS1_11comp_targetILNS1_3genE10ELNS1_11target_archE1201ELNS1_3gpuE5ELNS1_3repE0EEENS1_30default_config_static_selectorELNS0_4arch9wavefront6targetE1EEEvT1_.private_seg_size, 0
	.set _ZN7rocprim17ROCPRIM_400000_NS6detail17trampoline_kernelINS0_14default_configENS1_20scan_config_selectorIfEEZZNS1_9scan_implILNS1_25lookback_scan_determinismE0ELb0ELb0ES3_PKfPffZZZN2at6native31launch_logcumsumexp_cuda_kernelERKNSB_10TensorBaseESF_lENKUlvE_clEvENKUlvE0_clEvEUlffE_fEEDaPvRmT3_T4_T5_mT6_P12ihipStream_tbENKUlT_T0_E_clISt17integral_constantIbLb0EESW_EEDaSR_SS_EUlSR_E0_NS1_11comp_targetILNS1_3genE10ELNS1_11target_archE1201ELNS1_3gpuE5ELNS1_3repE0EEENS1_30default_config_static_selectorELNS0_4arch9wavefront6targetE1EEEvT1_.uses_vcc, 0
	.set _ZN7rocprim17ROCPRIM_400000_NS6detail17trampoline_kernelINS0_14default_configENS1_20scan_config_selectorIfEEZZNS1_9scan_implILNS1_25lookback_scan_determinismE0ELb0ELb0ES3_PKfPffZZZN2at6native31launch_logcumsumexp_cuda_kernelERKNSB_10TensorBaseESF_lENKUlvE_clEvENKUlvE0_clEvEUlffE_fEEDaPvRmT3_T4_T5_mT6_P12ihipStream_tbENKUlT_T0_E_clISt17integral_constantIbLb0EESW_EEDaSR_SS_EUlSR_E0_NS1_11comp_targetILNS1_3genE10ELNS1_11target_archE1201ELNS1_3gpuE5ELNS1_3repE0EEENS1_30default_config_static_selectorELNS0_4arch9wavefront6targetE1EEEvT1_.uses_flat_scratch, 0
	.set _ZN7rocprim17ROCPRIM_400000_NS6detail17trampoline_kernelINS0_14default_configENS1_20scan_config_selectorIfEEZZNS1_9scan_implILNS1_25lookback_scan_determinismE0ELb0ELb0ES3_PKfPffZZZN2at6native31launch_logcumsumexp_cuda_kernelERKNSB_10TensorBaseESF_lENKUlvE_clEvENKUlvE0_clEvEUlffE_fEEDaPvRmT3_T4_T5_mT6_P12ihipStream_tbENKUlT_T0_E_clISt17integral_constantIbLb0EESW_EEDaSR_SS_EUlSR_E0_NS1_11comp_targetILNS1_3genE10ELNS1_11target_archE1201ELNS1_3gpuE5ELNS1_3repE0EEENS1_30default_config_static_selectorELNS0_4arch9wavefront6targetE1EEEvT1_.has_dyn_sized_stack, 0
	.set _ZN7rocprim17ROCPRIM_400000_NS6detail17trampoline_kernelINS0_14default_configENS1_20scan_config_selectorIfEEZZNS1_9scan_implILNS1_25lookback_scan_determinismE0ELb0ELb0ES3_PKfPffZZZN2at6native31launch_logcumsumexp_cuda_kernelERKNSB_10TensorBaseESF_lENKUlvE_clEvENKUlvE0_clEvEUlffE_fEEDaPvRmT3_T4_T5_mT6_P12ihipStream_tbENKUlT_T0_E_clISt17integral_constantIbLb0EESW_EEDaSR_SS_EUlSR_E0_NS1_11comp_targetILNS1_3genE10ELNS1_11target_archE1201ELNS1_3gpuE5ELNS1_3repE0EEENS1_30default_config_static_selectorELNS0_4arch9wavefront6targetE1EEEvT1_.has_recursion, 0
	.set _ZN7rocprim17ROCPRIM_400000_NS6detail17trampoline_kernelINS0_14default_configENS1_20scan_config_selectorIfEEZZNS1_9scan_implILNS1_25lookback_scan_determinismE0ELb0ELb0ES3_PKfPffZZZN2at6native31launch_logcumsumexp_cuda_kernelERKNSB_10TensorBaseESF_lENKUlvE_clEvENKUlvE0_clEvEUlffE_fEEDaPvRmT3_T4_T5_mT6_P12ihipStream_tbENKUlT_T0_E_clISt17integral_constantIbLb0EESW_EEDaSR_SS_EUlSR_E0_NS1_11comp_targetILNS1_3genE10ELNS1_11target_archE1201ELNS1_3gpuE5ELNS1_3repE0EEENS1_30default_config_static_selectorELNS0_4arch9wavefront6targetE1EEEvT1_.has_indirect_call, 0
	.section	.AMDGPU.csdata,"",@progbits
; Kernel info:
; codeLenInByte = 0
; TotalNumSgprs: 4
; NumVgprs: 0
; ScratchSize: 0
; MemoryBound: 0
; FloatMode: 240
; IeeeMode: 1
; LDSByteSize: 0 bytes/workgroup (compile time only)
; SGPRBlocks: 0
; VGPRBlocks: 0
; NumSGPRsForWavesPerEU: 4
; NumVGPRsForWavesPerEU: 1
; Occupancy: 10
; WaveLimiterHint : 0
; COMPUTE_PGM_RSRC2:SCRATCH_EN: 0
; COMPUTE_PGM_RSRC2:USER_SGPR: 6
; COMPUTE_PGM_RSRC2:TRAP_HANDLER: 0
; COMPUTE_PGM_RSRC2:TGID_X_EN: 1
; COMPUTE_PGM_RSRC2:TGID_Y_EN: 0
; COMPUTE_PGM_RSRC2:TGID_Z_EN: 0
; COMPUTE_PGM_RSRC2:TIDIG_COMP_CNT: 0
	.section	.text._ZN7rocprim17ROCPRIM_400000_NS6detail17trampoline_kernelINS0_14default_configENS1_20scan_config_selectorIfEEZZNS1_9scan_implILNS1_25lookback_scan_determinismE0ELb0ELb0ES3_PKfPffZZZN2at6native31launch_logcumsumexp_cuda_kernelERKNSB_10TensorBaseESF_lENKUlvE_clEvENKUlvE0_clEvEUlffE_fEEDaPvRmT3_T4_T5_mT6_P12ihipStream_tbENKUlT_T0_E_clISt17integral_constantIbLb0EESW_EEDaSR_SS_EUlSR_E0_NS1_11comp_targetILNS1_3genE10ELNS1_11target_archE1200ELNS1_3gpuE4ELNS1_3repE0EEENS1_30default_config_static_selectorELNS0_4arch9wavefront6targetE1EEEvT1_,"axG",@progbits,_ZN7rocprim17ROCPRIM_400000_NS6detail17trampoline_kernelINS0_14default_configENS1_20scan_config_selectorIfEEZZNS1_9scan_implILNS1_25lookback_scan_determinismE0ELb0ELb0ES3_PKfPffZZZN2at6native31launch_logcumsumexp_cuda_kernelERKNSB_10TensorBaseESF_lENKUlvE_clEvENKUlvE0_clEvEUlffE_fEEDaPvRmT3_T4_T5_mT6_P12ihipStream_tbENKUlT_T0_E_clISt17integral_constantIbLb0EESW_EEDaSR_SS_EUlSR_E0_NS1_11comp_targetILNS1_3genE10ELNS1_11target_archE1200ELNS1_3gpuE4ELNS1_3repE0EEENS1_30default_config_static_selectorELNS0_4arch9wavefront6targetE1EEEvT1_,comdat
	.globl	_ZN7rocprim17ROCPRIM_400000_NS6detail17trampoline_kernelINS0_14default_configENS1_20scan_config_selectorIfEEZZNS1_9scan_implILNS1_25lookback_scan_determinismE0ELb0ELb0ES3_PKfPffZZZN2at6native31launch_logcumsumexp_cuda_kernelERKNSB_10TensorBaseESF_lENKUlvE_clEvENKUlvE0_clEvEUlffE_fEEDaPvRmT3_T4_T5_mT6_P12ihipStream_tbENKUlT_T0_E_clISt17integral_constantIbLb0EESW_EEDaSR_SS_EUlSR_E0_NS1_11comp_targetILNS1_3genE10ELNS1_11target_archE1200ELNS1_3gpuE4ELNS1_3repE0EEENS1_30default_config_static_selectorELNS0_4arch9wavefront6targetE1EEEvT1_ ; -- Begin function _ZN7rocprim17ROCPRIM_400000_NS6detail17trampoline_kernelINS0_14default_configENS1_20scan_config_selectorIfEEZZNS1_9scan_implILNS1_25lookback_scan_determinismE0ELb0ELb0ES3_PKfPffZZZN2at6native31launch_logcumsumexp_cuda_kernelERKNSB_10TensorBaseESF_lENKUlvE_clEvENKUlvE0_clEvEUlffE_fEEDaPvRmT3_T4_T5_mT6_P12ihipStream_tbENKUlT_T0_E_clISt17integral_constantIbLb0EESW_EEDaSR_SS_EUlSR_E0_NS1_11comp_targetILNS1_3genE10ELNS1_11target_archE1200ELNS1_3gpuE4ELNS1_3repE0EEENS1_30default_config_static_selectorELNS0_4arch9wavefront6targetE1EEEvT1_
	.p2align	8
	.type	_ZN7rocprim17ROCPRIM_400000_NS6detail17trampoline_kernelINS0_14default_configENS1_20scan_config_selectorIfEEZZNS1_9scan_implILNS1_25lookback_scan_determinismE0ELb0ELb0ES3_PKfPffZZZN2at6native31launch_logcumsumexp_cuda_kernelERKNSB_10TensorBaseESF_lENKUlvE_clEvENKUlvE0_clEvEUlffE_fEEDaPvRmT3_T4_T5_mT6_P12ihipStream_tbENKUlT_T0_E_clISt17integral_constantIbLb0EESW_EEDaSR_SS_EUlSR_E0_NS1_11comp_targetILNS1_3genE10ELNS1_11target_archE1200ELNS1_3gpuE4ELNS1_3repE0EEENS1_30default_config_static_selectorELNS0_4arch9wavefront6targetE1EEEvT1_,@function
_ZN7rocprim17ROCPRIM_400000_NS6detail17trampoline_kernelINS0_14default_configENS1_20scan_config_selectorIfEEZZNS1_9scan_implILNS1_25lookback_scan_determinismE0ELb0ELb0ES3_PKfPffZZZN2at6native31launch_logcumsumexp_cuda_kernelERKNSB_10TensorBaseESF_lENKUlvE_clEvENKUlvE0_clEvEUlffE_fEEDaPvRmT3_T4_T5_mT6_P12ihipStream_tbENKUlT_T0_E_clISt17integral_constantIbLb0EESW_EEDaSR_SS_EUlSR_E0_NS1_11comp_targetILNS1_3genE10ELNS1_11target_archE1200ELNS1_3gpuE4ELNS1_3repE0EEENS1_30default_config_static_selectorELNS0_4arch9wavefront6targetE1EEEvT1_: ; @_ZN7rocprim17ROCPRIM_400000_NS6detail17trampoline_kernelINS0_14default_configENS1_20scan_config_selectorIfEEZZNS1_9scan_implILNS1_25lookback_scan_determinismE0ELb0ELb0ES3_PKfPffZZZN2at6native31launch_logcumsumexp_cuda_kernelERKNSB_10TensorBaseESF_lENKUlvE_clEvENKUlvE0_clEvEUlffE_fEEDaPvRmT3_T4_T5_mT6_P12ihipStream_tbENKUlT_T0_E_clISt17integral_constantIbLb0EESW_EEDaSR_SS_EUlSR_E0_NS1_11comp_targetILNS1_3genE10ELNS1_11target_archE1200ELNS1_3gpuE4ELNS1_3repE0EEENS1_30default_config_static_selectorELNS0_4arch9wavefront6targetE1EEEvT1_
; %bb.0:
	.section	.rodata,"a",@progbits
	.p2align	6, 0x0
	.amdhsa_kernel _ZN7rocprim17ROCPRIM_400000_NS6detail17trampoline_kernelINS0_14default_configENS1_20scan_config_selectorIfEEZZNS1_9scan_implILNS1_25lookback_scan_determinismE0ELb0ELb0ES3_PKfPffZZZN2at6native31launch_logcumsumexp_cuda_kernelERKNSB_10TensorBaseESF_lENKUlvE_clEvENKUlvE0_clEvEUlffE_fEEDaPvRmT3_T4_T5_mT6_P12ihipStream_tbENKUlT_T0_E_clISt17integral_constantIbLb0EESW_EEDaSR_SS_EUlSR_E0_NS1_11comp_targetILNS1_3genE10ELNS1_11target_archE1200ELNS1_3gpuE4ELNS1_3repE0EEENS1_30default_config_static_selectorELNS0_4arch9wavefront6targetE1EEEvT1_
		.amdhsa_group_segment_fixed_size 0
		.amdhsa_private_segment_fixed_size 0
		.amdhsa_kernarg_size 32
		.amdhsa_user_sgpr_count 6
		.amdhsa_user_sgpr_private_segment_buffer 1
		.amdhsa_user_sgpr_dispatch_ptr 0
		.amdhsa_user_sgpr_queue_ptr 0
		.amdhsa_user_sgpr_kernarg_segment_ptr 1
		.amdhsa_user_sgpr_dispatch_id 0
		.amdhsa_user_sgpr_flat_scratch_init 0
		.amdhsa_user_sgpr_private_segment_size 0
		.amdhsa_uses_dynamic_stack 0
		.amdhsa_system_sgpr_private_segment_wavefront_offset 0
		.amdhsa_system_sgpr_workgroup_id_x 1
		.amdhsa_system_sgpr_workgroup_id_y 0
		.amdhsa_system_sgpr_workgroup_id_z 0
		.amdhsa_system_sgpr_workgroup_info 0
		.amdhsa_system_vgpr_workitem_id 0
		.amdhsa_next_free_vgpr 1
		.amdhsa_next_free_sgpr 0
		.amdhsa_reserve_vcc 0
		.amdhsa_reserve_flat_scratch 0
		.amdhsa_float_round_mode_32 0
		.amdhsa_float_round_mode_16_64 0
		.amdhsa_float_denorm_mode_32 3
		.amdhsa_float_denorm_mode_16_64 3
		.amdhsa_dx10_clamp 1
		.amdhsa_ieee_mode 1
		.amdhsa_fp16_overflow 0
		.amdhsa_exception_fp_ieee_invalid_op 0
		.amdhsa_exception_fp_denorm_src 0
		.amdhsa_exception_fp_ieee_div_zero 0
		.amdhsa_exception_fp_ieee_overflow 0
		.amdhsa_exception_fp_ieee_underflow 0
		.amdhsa_exception_fp_ieee_inexact 0
		.amdhsa_exception_int_div_zero 0
	.end_amdhsa_kernel
	.section	.text._ZN7rocprim17ROCPRIM_400000_NS6detail17trampoline_kernelINS0_14default_configENS1_20scan_config_selectorIfEEZZNS1_9scan_implILNS1_25lookback_scan_determinismE0ELb0ELb0ES3_PKfPffZZZN2at6native31launch_logcumsumexp_cuda_kernelERKNSB_10TensorBaseESF_lENKUlvE_clEvENKUlvE0_clEvEUlffE_fEEDaPvRmT3_T4_T5_mT6_P12ihipStream_tbENKUlT_T0_E_clISt17integral_constantIbLb0EESW_EEDaSR_SS_EUlSR_E0_NS1_11comp_targetILNS1_3genE10ELNS1_11target_archE1200ELNS1_3gpuE4ELNS1_3repE0EEENS1_30default_config_static_selectorELNS0_4arch9wavefront6targetE1EEEvT1_,"axG",@progbits,_ZN7rocprim17ROCPRIM_400000_NS6detail17trampoline_kernelINS0_14default_configENS1_20scan_config_selectorIfEEZZNS1_9scan_implILNS1_25lookback_scan_determinismE0ELb0ELb0ES3_PKfPffZZZN2at6native31launch_logcumsumexp_cuda_kernelERKNSB_10TensorBaseESF_lENKUlvE_clEvENKUlvE0_clEvEUlffE_fEEDaPvRmT3_T4_T5_mT6_P12ihipStream_tbENKUlT_T0_E_clISt17integral_constantIbLb0EESW_EEDaSR_SS_EUlSR_E0_NS1_11comp_targetILNS1_3genE10ELNS1_11target_archE1200ELNS1_3gpuE4ELNS1_3repE0EEENS1_30default_config_static_selectorELNS0_4arch9wavefront6targetE1EEEvT1_,comdat
.Lfunc_end111:
	.size	_ZN7rocprim17ROCPRIM_400000_NS6detail17trampoline_kernelINS0_14default_configENS1_20scan_config_selectorIfEEZZNS1_9scan_implILNS1_25lookback_scan_determinismE0ELb0ELb0ES3_PKfPffZZZN2at6native31launch_logcumsumexp_cuda_kernelERKNSB_10TensorBaseESF_lENKUlvE_clEvENKUlvE0_clEvEUlffE_fEEDaPvRmT3_T4_T5_mT6_P12ihipStream_tbENKUlT_T0_E_clISt17integral_constantIbLb0EESW_EEDaSR_SS_EUlSR_E0_NS1_11comp_targetILNS1_3genE10ELNS1_11target_archE1200ELNS1_3gpuE4ELNS1_3repE0EEENS1_30default_config_static_selectorELNS0_4arch9wavefront6targetE1EEEvT1_, .Lfunc_end111-_ZN7rocprim17ROCPRIM_400000_NS6detail17trampoline_kernelINS0_14default_configENS1_20scan_config_selectorIfEEZZNS1_9scan_implILNS1_25lookback_scan_determinismE0ELb0ELb0ES3_PKfPffZZZN2at6native31launch_logcumsumexp_cuda_kernelERKNSB_10TensorBaseESF_lENKUlvE_clEvENKUlvE0_clEvEUlffE_fEEDaPvRmT3_T4_T5_mT6_P12ihipStream_tbENKUlT_T0_E_clISt17integral_constantIbLb0EESW_EEDaSR_SS_EUlSR_E0_NS1_11comp_targetILNS1_3genE10ELNS1_11target_archE1200ELNS1_3gpuE4ELNS1_3repE0EEENS1_30default_config_static_selectorELNS0_4arch9wavefront6targetE1EEEvT1_
                                        ; -- End function
	.set _ZN7rocprim17ROCPRIM_400000_NS6detail17trampoline_kernelINS0_14default_configENS1_20scan_config_selectorIfEEZZNS1_9scan_implILNS1_25lookback_scan_determinismE0ELb0ELb0ES3_PKfPffZZZN2at6native31launch_logcumsumexp_cuda_kernelERKNSB_10TensorBaseESF_lENKUlvE_clEvENKUlvE0_clEvEUlffE_fEEDaPvRmT3_T4_T5_mT6_P12ihipStream_tbENKUlT_T0_E_clISt17integral_constantIbLb0EESW_EEDaSR_SS_EUlSR_E0_NS1_11comp_targetILNS1_3genE10ELNS1_11target_archE1200ELNS1_3gpuE4ELNS1_3repE0EEENS1_30default_config_static_selectorELNS0_4arch9wavefront6targetE1EEEvT1_.num_vgpr, 0
	.set _ZN7rocprim17ROCPRIM_400000_NS6detail17trampoline_kernelINS0_14default_configENS1_20scan_config_selectorIfEEZZNS1_9scan_implILNS1_25lookback_scan_determinismE0ELb0ELb0ES3_PKfPffZZZN2at6native31launch_logcumsumexp_cuda_kernelERKNSB_10TensorBaseESF_lENKUlvE_clEvENKUlvE0_clEvEUlffE_fEEDaPvRmT3_T4_T5_mT6_P12ihipStream_tbENKUlT_T0_E_clISt17integral_constantIbLb0EESW_EEDaSR_SS_EUlSR_E0_NS1_11comp_targetILNS1_3genE10ELNS1_11target_archE1200ELNS1_3gpuE4ELNS1_3repE0EEENS1_30default_config_static_selectorELNS0_4arch9wavefront6targetE1EEEvT1_.num_agpr, 0
	.set _ZN7rocprim17ROCPRIM_400000_NS6detail17trampoline_kernelINS0_14default_configENS1_20scan_config_selectorIfEEZZNS1_9scan_implILNS1_25lookback_scan_determinismE0ELb0ELb0ES3_PKfPffZZZN2at6native31launch_logcumsumexp_cuda_kernelERKNSB_10TensorBaseESF_lENKUlvE_clEvENKUlvE0_clEvEUlffE_fEEDaPvRmT3_T4_T5_mT6_P12ihipStream_tbENKUlT_T0_E_clISt17integral_constantIbLb0EESW_EEDaSR_SS_EUlSR_E0_NS1_11comp_targetILNS1_3genE10ELNS1_11target_archE1200ELNS1_3gpuE4ELNS1_3repE0EEENS1_30default_config_static_selectorELNS0_4arch9wavefront6targetE1EEEvT1_.numbered_sgpr, 0
	.set _ZN7rocprim17ROCPRIM_400000_NS6detail17trampoline_kernelINS0_14default_configENS1_20scan_config_selectorIfEEZZNS1_9scan_implILNS1_25lookback_scan_determinismE0ELb0ELb0ES3_PKfPffZZZN2at6native31launch_logcumsumexp_cuda_kernelERKNSB_10TensorBaseESF_lENKUlvE_clEvENKUlvE0_clEvEUlffE_fEEDaPvRmT3_T4_T5_mT6_P12ihipStream_tbENKUlT_T0_E_clISt17integral_constantIbLb0EESW_EEDaSR_SS_EUlSR_E0_NS1_11comp_targetILNS1_3genE10ELNS1_11target_archE1200ELNS1_3gpuE4ELNS1_3repE0EEENS1_30default_config_static_selectorELNS0_4arch9wavefront6targetE1EEEvT1_.num_named_barrier, 0
	.set _ZN7rocprim17ROCPRIM_400000_NS6detail17trampoline_kernelINS0_14default_configENS1_20scan_config_selectorIfEEZZNS1_9scan_implILNS1_25lookback_scan_determinismE0ELb0ELb0ES3_PKfPffZZZN2at6native31launch_logcumsumexp_cuda_kernelERKNSB_10TensorBaseESF_lENKUlvE_clEvENKUlvE0_clEvEUlffE_fEEDaPvRmT3_T4_T5_mT6_P12ihipStream_tbENKUlT_T0_E_clISt17integral_constantIbLb0EESW_EEDaSR_SS_EUlSR_E0_NS1_11comp_targetILNS1_3genE10ELNS1_11target_archE1200ELNS1_3gpuE4ELNS1_3repE0EEENS1_30default_config_static_selectorELNS0_4arch9wavefront6targetE1EEEvT1_.private_seg_size, 0
	.set _ZN7rocprim17ROCPRIM_400000_NS6detail17trampoline_kernelINS0_14default_configENS1_20scan_config_selectorIfEEZZNS1_9scan_implILNS1_25lookback_scan_determinismE0ELb0ELb0ES3_PKfPffZZZN2at6native31launch_logcumsumexp_cuda_kernelERKNSB_10TensorBaseESF_lENKUlvE_clEvENKUlvE0_clEvEUlffE_fEEDaPvRmT3_T4_T5_mT6_P12ihipStream_tbENKUlT_T0_E_clISt17integral_constantIbLb0EESW_EEDaSR_SS_EUlSR_E0_NS1_11comp_targetILNS1_3genE10ELNS1_11target_archE1200ELNS1_3gpuE4ELNS1_3repE0EEENS1_30default_config_static_selectorELNS0_4arch9wavefront6targetE1EEEvT1_.uses_vcc, 0
	.set _ZN7rocprim17ROCPRIM_400000_NS6detail17trampoline_kernelINS0_14default_configENS1_20scan_config_selectorIfEEZZNS1_9scan_implILNS1_25lookback_scan_determinismE0ELb0ELb0ES3_PKfPffZZZN2at6native31launch_logcumsumexp_cuda_kernelERKNSB_10TensorBaseESF_lENKUlvE_clEvENKUlvE0_clEvEUlffE_fEEDaPvRmT3_T4_T5_mT6_P12ihipStream_tbENKUlT_T0_E_clISt17integral_constantIbLb0EESW_EEDaSR_SS_EUlSR_E0_NS1_11comp_targetILNS1_3genE10ELNS1_11target_archE1200ELNS1_3gpuE4ELNS1_3repE0EEENS1_30default_config_static_selectorELNS0_4arch9wavefront6targetE1EEEvT1_.uses_flat_scratch, 0
	.set _ZN7rocprim17ROCPRIM_400000_NS6detail17trampoline_kernelINS0_14default_configENS1_20scan_config_selectorIfEEZZNS1_9scan_implILNS1_25lookback_scan_determinismE0ELb0ELb0ES3_PKfPffZZZN2at6native31launch_logcumsumexp_cuda_kernelERKNSB_10TensorBaseESF_lENKUlvE_clEvENKUlvE0_clEvEUlffE_fEEDaPvRmT3_T4_T5_mT6_P12ihipStream_tbENKUlT_T0_E_clISt17integral_constantIbLb0EESW_EEDaSR_SS_EUlSR_E0_NS1_11comp_targetILNS1_3genE10ELNS1_11target_archE1200ELNS1_3gpuE4ELNS1_3repE0EEENS1_30default_config_static_selectorELNS0_4arch9wavefront6targetE1EEEvT1_.has_dyn_sized_stack, 0
	.set _ZN7rocprim17ROCPRIM_400000_NS6detail17trampoline_kernelINS0_14default_configENS1_20scan_config_selectorIfEEZZNS1_9scan_implILNS1_25lookback_scan_determinismE0ELb0ELb0ES3_PKfPffZZZN2at6native31launch_logcumsumexp_cuda_kernelERKNSB_10TensorBaseESF_lENKUlvE_clEvENKUlvE0_clEvEUlffE_fEEDaPvRmT3_T4_T5_mT6_P12ihipStream_tbENKUlT_T0_E_clISt17integral_constantIbLb0EESW_EEDaSR_SS_EUlSR_E0_NS1_11comp_targetILNS1_3genE10ELNS1_11target_archE1200ELNS1_3gpuE4ELNS1_3repE0EEENS1_30default_config_static_selectorELNS0_4arch9wavefront6targetE1EEEvT1_.has_recursion, 0
	.set _ZN7rocprim17ROCPRIM_400000_NS6detail17trampoline_kernelINS0_14default_configENS1_20scan_config_selectorIfEEZZNS1_9scan_implILNS1_25lookback_scan_determinismE0ELb0ELb0ES3_PKfPffZZZN2at6native31launch_logcumsumexp_cuda_kernelERKNSB_10TensorBaseESF_lENKUlvE_clEvENKUlvE0_clEvEUlffE_fEEDaPvRmT3_T4_T5_mT6_P12ihipStream_tbENKUlT_T0_E_clISt17integral_constantIbLb0EESW_EEDaSR_SS_EUlSR_E0_NS1_11comp_targetILNS1_3genE10ELNS1_11target_archE1200ELNS1_3gpuE4ELNS1_3repE0EEENS1_30default_config_static_selectorELNS0_4arch9wavefront6targetE1EEEvT1_.has_indirect_call, 0
	.section	.AMDGPU.csdata,"",@progbits
; Kernel info:
; codeLenInByte = 0
; TotalNumSgprs: 4
; NumVgprs: 0
; ScratchSize: 0
; MemoryBound: 0
; FloatMode: 240
; IeeeMode: 1
; LDSByteSize: 0 bytes/workgroup (compile time only)
; SGPRBlocks: 0
; VGPRBlocks: 0
; NumSGPRsForWavesPerEU: 4
; NumVGPRsForWavesPerEU: 1
; Occupancy: 10
; WaveLimiterHint : 0
; COMPUTE_PGM_RSRC2:SCRATCH_EN: 0
; COMPUTE_PGM_RSRC2:USER_SGPR: 6
; COMPUTE_PGM_RSRC2:TRAP_HANDLER: 0
; COMPUTE_PGM_RSRC2:TGID_X_EN: 1
; COMPUTE_PGM_RSRC2:TGID_Y_EN: 0
; COMPUTE_PGM_RSRC2:TGID_Z_EN: 0
; COMPUTE_PGM_RSRC2:TIDIG_COMP_CNT: 0
	.section	.text._ZN7rocprim17ROCPRIM_400000_NS6detail17trampoline_kernelINS0_14default_configENS1_20scan_config_selectorIfEEZZNS1_9scan_implILNS1_25lookback_scan_determinismE0ELb0ELb0ES3_PKfPffZZZN2at6native31launch_logcumsumexp_cuda_kernelERKNSB_10TensorBaseESF_lENKUlvE_clEvENKUlvE0_clEvEUlffE_fEEDaPvRmT3_T4_T5_mT6_P12ihipStream_tbENKUlT_T0_E_clISt17integral_constantIbLb0EESW_EEDaSR_SS_EUlSR_E0_NS1_11comp_targetILNS1_3genE9ELNS1_11target_archE1100ELNS1_3gpuE3ELNS1_3repE0EEENS1_30default_config_static_selectorELNS0_4arch9wavefront6targetE1EEEvT1_,"axG",@progbits,_ZN7rocprim17ROCPRIM_400000_NS6detail17trampoline_kernelINS0_14default_configENS1_20scan_config_selectorIfEEZZNS1_9scan_implILNS1_25lookback_scan_determinismE0ELb0ELb0ES3_PKfPffZZZN2at6native31launch_logcumsumexp_cuda_kernelERKNSB_10TensorBaseESF_lENKUlvE_clEvENKUlvE0_clEvEUlffE_fEEDaPvRmT3_T4_T5_mT6_P12ihipStream_tbENKUlT_T0_E_clISt17integral_constantIbLb0EESW_EEDaSR_SS_EUlSR_E0_NS1_11comp_targetILNS1_3genE9ELNS1_11target_archE1100ELNS1_3gpuE3ELNS1_3repE0EEENS1_30default_config_static_selectorELNS0_4arch9wavefront6targetE1EEEvT1_,comdat
	.globl	_ZN7rocprim17ROCPRIM_400000_NS6detail17trampoline_kernelINS0_14default_configENS1_20scan_config_selectorIfEEZZNS1_9scan_implILNS1_25lookback_scan_determinismE0ELb0ELb0ES3_PKfPffZZZN2at6native31launch_logcumsumexp_cuda_kernelERKNSB_10TensorBaseESF_lENKUlvE_clEvENKUlvE0_clEvEUlffE_fEEDaPvRmT3_T4_T5_mT6_P12ihipStream_tbENKUlT_T0_E_clISt17integral_constantIbLb0EESW_EEDaSR_SS_EUlSR_E0_NS1_11comp_targetILNS1_3genE9ELNS1_11target_archE1100ELNS1_3gpuE3ELNS1_3repE0EEENS1_30default_config_static_selectorELNS0_4arch9wavefront6targetE1EEEvT1_ ; -- Begin function _ZN7rocprim17ROCPRIM_400000_NS6detail17trampoline_kernelINS0_14default_configENS1_20scan_config_selectorIfEEZZNS1_9scan_implILNS1_25lookback_scan_determinismE0ELb0ELb0ES3_PKfPffZZZN2at6native31launch_logcumsumexp_cuda_kernelERKNSB_10TensorBaseESF_lENKUlvE_clEvENKUlvE0_clEvEUlffE_fEEDaPvRmT3_T4_T5_mT6_P12ihipStream_tbENKUlT_T0_E_clISt17integral_constantIbLb0EESW_EEDaSR_SS_EUlSR_E0_NS1_11comp_targetILNS1_3genE9ELNS1_11target_archE1100ELNS1_3gpuE3ELNS1_3repE0EEENS1_30default_config_static_selectorELNS0_4arch9wavefront6targetE1EEEvT1_
	.p2align	8
	.type	_ZN7rocprim17ROCPRIM_400000_NS6detail17trampoline_kernelINS0_14default_configENS1_20scan_config_selectorIfEEZZNS1_9scan_implILNS1_25lookback_scan_determinismE0ELb0ELb0ES3_PKfPffZZZN2at6native31launch_logcumsumexp_cuda_kernelERKNSB_10TensorBaseESF_lENKUlvE_clEvENKUlvE0_clEvEUlffE_fEEDaPvRmT3_T4_T5_mT6_P12ihipStream_tbENKUlT_T0_E_clISt17integral_constantIbLb0EESW_EEDaSR_SS_EUlSR_E0_NS1_11comp_targetILNS1_3genE9ELNS1_11target_archE1100ELNS1_3gpuE3ELNS1_3repE0EEENS1_30default_config_static_selectorELNS0_4arch9wavefront6targetE1EEEvT1_,@function
_ZN7rocprim17ROCPRIM_400000_NS6detail17trampoline_kernelINS0_14default_configENS1_20scan_config_selectorIfEEZZNS1_9scan_implILNS1_25lookback_scan_determinismE0ELb0ELb0ES3_PKfPffZZZN2at6native31launch_logcumsumexp_cuda_kernelERKNSB_10TensorBaseESF_lENKUlvE_clEvENKUlvE0_clEvEUlffE_fEEDaPvRmT3_T4_T5_mT6_P12ihipStream_tbENKUlT_T0_E_clISt17integral_constantIbLb0EESW_EEDaSR_SS_EUlSR_E0_NS1_11comp_targetILNS1_3genE9ELNS1_11target_archE1100ELNS1_3gpuE3ELNS1_3repE0EEENS1_30default_config_static_selectorELNS0_4arch9wavefront6targetE1EEEvT1_: ; @_ZN7rocprim17ROCPRIM_400000_NS6detail17trampoline_kernelINS0_14default_configENS1_20scan_config_selectorIfEEZZNS1_9scan_implILNS1_25lookback_scan_determinismE0ELb0ELb0ES3_PKfPffZZZN2at6native31launch_logcumsumexp_cuda_kernelERKNSB_10TensorBaseESF_lENKUlvE_clEvENKUlvE0_clEvEUlffE_fEEDaPvRmT3_T4_T5_mT6_P12ihipStream_tbENKUlT_T0_E_clISt17integral_constantIbLb0EESW_EEDaSR_SS_EUlSR_E0_NS1_11comp_targetILNS1_3genE9ELNS1_11target_archE1100ELNS1_3gpuE3ELNS1_3repE0EEENS1_30default_config_static_selectorELNS0_4arch9wavefront6targetE1EEEvT1_
; %bb.0:
	.section	.rodata,"a",@progbits
	.p2align	6, 0x0
	.amdhsa_kernel _ZN7rocprim17ROCPRIM_400000_NS6detail17trampoline_kernelINS0_14default_configENS1_20scan_config_selectorIfEEZZNS1_9scan_implILNS1_25lookback_scan_determinismE0ELb0ELb0ES3_PKfPffZZZN2at6native31launch_logcumsumexp_cuda_kernelERKNSB_10TensorBaseESF_lENKUlvE_clEvENKUlvE0_clEvEUlffE_fEEDaPvRmT3_T4_T5_mT6_P12ihipStream_tbENKUlT_T0_E_clISt17integral_constantIbLb0EESW_EEDaSR_SS_EUlSR_E0_NS1_11comp_targetILNS1_3genE9ELNS1_11target_archE1100ELNS1_3gpuE3ELNS1_3repE0EEENS1_30default_config_static_selectorELNS0_4arch9wavefront6targetE1EEEvT1_
		.amdhsa_group_segment_fixed_size 0
		.amdhsa_private_segment_fixed_size 0
		.amdhsa_kernarg_size 32
		.amdhsa_user_sgpr_count 6
		.amdhsa_user_sgpr_private_segment_buffer 1
		.amdhsa_user_sgpr_dispatch_ptr 0
		.amdhsa_user_sgpr_queue_ptr 0
		.amdhsa_user_sgpr_kernarg_segment_ptr 1
		.amdhsa_user_sgpr_dispatch_id 0
		.amdhsa_user_sgpr_flat_scratch_init 0
		.amdhsa_user_sgpr_private_segment_size 0
		.amdhsa_uses_dynamic_stack 0
		.amdhsa_system_sgpr_private_segment_wavefront_offset 0
		.amdhsa_system_sgpr_workgroup_id_x 1
		.amdhsa_system_sgpr_workgroup_id_y 0
		.amdhsa_system_sgpr_workgroup_id_z 0
		.amdhsa_system_sgpr_workgroup_info 0
		.amdhsa_system_vgpr_workitem_id 0
		.amdhsa_next_free_vgpr 1
		.amdhsa_next_free_sgpr 0
		.amdhsa_reserve_vcc 0
		.amdhsa_reserve_flat_scratch 0
		.amdhsa_float_round_mode_32 0
		.amdhsa_float_round_mode_16_64 0
		.amdhsa_float_denorm_mode_32 3
		.amdhsa_float_denorm_mode_16_64 3
		.amdhsa_dx10_clamp 1
		.amdhsa_ieee_mode 1
		.amdhsa_fp16_overflow 0
		.amdhsa_exception_fp_ieee_invalid_op 0
		.amdhsa_exception_fp_denorm_src 0
		.amdhsa_exception_fp_ieee_div_zero 0
		.amdhsa_exception_fp_ieee_overflow 0
		.amdhsa_exception_fp_ieee_underflow 0
		.amdhsa_exception_fp_ieee_inexact 0
		.amdhsa_exception_int_div_zero 0
	.end_amdhsa_kernel
	.section	.text._ZN7rocprim17ROCPRIM_400000_NS6detail17trampoline_kernelINS0_14default_configENS1_20scan_config_selectorIfEEZZNS1_9scan_implILNS1_25lookback_scan_determinismE0ELb0ELb0ES3_PKfPffZZZN2at6native31launch_logcumsumexp_cuda_kernelERKNSB_10TensorBaseESF_lENKUlvE_clEvENKUlvE0_clEvEUlffE_fEEDaPvRmT3_T4_T5_mT6_P12ihipStream_tbENKUlT_T0_E_clISt17integral_constantIbLb0EESW_EEDaSR_SS_EUlSR_E0_NS1_11comp_targetILNS1_3genE9ELNS1_11target_archE1100ELNS1_3gpuE3ELNS1_3repE0EEENS1_30default_config_static_selectorELNS0_4arch9wavefront6targetE1EEEvT1_,"axG",@progbits,_ZN7rocprim17ROCPRIM_400000_NS6detail17trampoline_kernelINS0_14default_configENS1_20scan_config_selectorIfEEZZNS1_9scan_implILNS1_25lookback_scan_determinismE0ELb0ELb0ES3_PKfPffZZZN2at6native31launch_logcumsumexp_cuda_kernelERKNSB_10TensorBaseESF_lENKUlvE_clEvENKUlvE0_clEvEUlffE_fEEDaPvRmT3_T4_T5_mT6_P12ihipStream_tbENKUlT_T0_E_clISt17integral_constantIbLb0EESW_EEDaSR_SS_EUlSR_E0_NS1_11comp_targetILNS1_3genE9ELNS1_11target_archE1100ELNS1_3gpuE3ELNS1_3repE0EEENS1_30default_config_static_selectorELNS0_4arch9wavefront6targetE1EEEvT1_,comdat
.Lfunc_end112:
	.size	_ZN7rocprim17ROCPRIM_400000_NS6detail17trampoline_kernelINS0_14default_configENS1_20scan_config_selectorIfEEZZNS1_9scan_implILNS1_25lookback_scan_determinismE0ELb0ELb0ES3_PKfPffZZZN2at6native31launch_logcumsumexp_cuda_kernelERKNSB_10TensorBaseESF_lENKUlvE_clEvENKUlvE0_clEvEUlffE_fEEDaPvRmT3_T4_T5_mT6_P12ihipStream_tbENKUlT_T0_E_clISt17integral_constantIbLb0EESW_EEDaSR_SS_EUlSR_E0_NS1_11comp_targetILNS1_3genE9ELNS1_11target_archE1100ELNS1_3gpuE3ELNS1_3repE0EEENS1_30default_config_static_selectorELNS0_4arch9wavefront6targetE1EEEvT1_, .Lfunc_end112-_ZN7rocprim17ROCPRIM_400000_NS6detail17trampoline_kernelINS0_14default_configENS1_20scan_config_selectorIfEEZZNS1_9scan_implILNS1_25lookback_scan_determinismE0ELb0ELb0ES3_PKfPffZZZN2at6native31launch_logcumsumexp_cuda_kernelERKNSB_10TensorBaseESF_lENKUlvE_clEvENKUlvE0_clEvEUlffE_fEEDaPvRmT3_T4_T5_mT6_P12ihipStream_tbENKUlT_T0_E_clISt17integral_constantIbLb0EESW_EEDaSR_SS_EUlSR_E0_NS1_11comp_targetILNS1_3genE9ELNS1_11target_archE1100ELNS1_3gpuE3ELNS1_3repE0EEENS1_30default_config_static_selectorELNS0_4arch9wavefront6targetE1EEEvT1_
                                        ; -- End function
	.set _ZN7rocprim17ROCPRIM_400000_NS6detail17trampoline_kernelINS0_14default_configENS1_20scan_config_selectorIfEEZZNS1_9scan_implILNS1_25lookback_scan_determinismE0ELb0ELb0ES3_PKfPffZZZN2at6native31launch_logcumsumexp_cuda_kernelERKNSB_10TensorBaseESF_lENKUlvE_clEvENKUlvE0_clEvEUlffE_fEEDaPvRmT3_T4_T5_mT6_P12ihipStream_tbENKUlT_T0_E_clISt17integral_constantIbLb0EESW_EEDaSR_SS_EUlSR_E0_NS1_11comp_targetILNS1_3genE9ELNS1_11target_archE1100ELNS1_3gpuE3ELNS1_3repE0EEENS1_30default_config_static_selectorELNS0_4arch9wavefront6targetE1EEEvT1_.num_vgpr, 0
	.set _ZN7rocprim17ROCPRIM_400000_NS6detail17trampoline_kernelINS0_14default_configENS1_20scan_config_selectorIfEEZZNS1_9scan_implILNS1_25lookback_scan_determinismE0ELb0ELb0ES3_PKfPffZZZN2at6native31launch_logcumsumexp_cuda_kernelERKNSB_10TensorBaseESF_lENKUlvE_clEvENKUlvE0_clEvEUlffE_fEEDaPvRmT3_T4_T5_mT6_P12ihipStream_tbENKUlT_T0_E_clISt17integral_constantIbLb0EESW_EEDaSR_SS_EUlSR_E0_NS1_11comp_targetILNS1_3genE9ELNS1_11target_archE1100ELNS1_3gpuE3ELNS1_3repE0EEENS1_30default_config_static_selectorELNS0_4arch9wavefront6targetE1EEEvT1_.num_agpr, 0
	.set _ZN7rocprim17ROCPRIM_400000_NS6detail17trampoline_kernelINS0_14default_configENS1_20scan_config_selectorIfEEZZNS1_9scan_implILNS1_25lookback_scan_determinismE0ELb0ELb0ES3_PKfPffZZZN2at6native31launch_logcumsumexp_cuda_kernelERKNSB_10TensorBaseESF_lENKUlvE_clEvENKUlvE0_clEvEUlffE_fEEDaPvRmT3_T4_T5_mT6_P12ihipStream_tbENKUlT_T0_E_clISt17integral_constantIbLb0EESW_EEDaSR_SS_EUlSR_E0_NS1_11comp_targetILNS1_3genE9ELNS1_11target_archE1100ELNS1_3gpuE3ELNS1_3repE0EEENS1_30default_config_static_selectorELNS0_4arch9wavefront6targetE1EEEvT1_.numbered_sgpr, 0
	.set _ZN7rocprim17ROCPRIM_400000_NS6detail17trampoline_kernelINS0_14default_configENS1_20scan_config_selectorIfEEZZNS1_9scan_implILNS1_25lookback_scan_determinismE0ELb0ELb0ES3_PKfPffZZZN2at6native31launch_logcumsumexp_cuda_kernelERKNSB_10TensorBaseESF_lENKUlvE_clEvENKUlvE0_clEvEUlffE_fEEDaPvRmT3_T4_T5_mT6_P12ihipStream_tbENKUlT_T0_E_clISt17integral_constantIbLb0EESW_EEDaSR_SS_EUlSR_E0_NS1_11comp_targetILNS1_3genE9ELNS1_11target_archE1100ELNS1_3gpuE3ELNS1_3repE0EEENS1_30default_config_static_selectorELNS0_4arch9wavefront6targetE1EEEvT1_.num_named_barrier, 0
	.set _ZN7rocprim17ROCPRIM_400000_NS6detail17trampoline_kernelINS0_14default_configENS1_20scan_config_selectorIfEEZZNS1_9scan_implILNS1_25lookback_scan_determinismE0ELb0ELb0ES3_PKfPffZZZN2at6native31launch_logcumsumexp_cuda_kernelERKNSB_10TensorBaseESF_lENKUlvE_clEvENKUlvE0_clEvEUlffE_fEEDaPvRmT3_T4_T5_mT6_P12ihipStream_tbENKUlT_T0_E_clISt17integral_constantIbLb0EESW_EEDaSR_SS_EUlSR_E0_NS1_11comp_targetILNS1_3genE9ELNS1_11target_archE1100ELNS1_3gpuE3ELNS1_3repE0EEENS1_30default_config_static_selectorELNS0_4arch9wavefront6targetE1EEEvT1_.private_seg_size, 0
	.set _ZN7rocprim17ROCPRIM_400000_NS6detail17trampoline_kernelINS0_14default_configENS1_20scan_config_selectorIfEEZZNS1_9scan_implILNS1_25lookback_scan_determinismE0ELb0ELb0ES3_PKfPffZZZN2at6native31launch_logcumsumexp_cuda_kernelERKNSB_10TensorBaseESF_lENKUlvE_clEvENKUlvE0_clEvEUlffE_fEEDaPvRmT3_T4_T5_mT6_P12ihipStream_tbENKUlT_T0_E_clISt17integral_constantIbLb0EESW_EEDaSR_SS_EUlSR_E0_NS1_11comp_targetILNS1_3genE9ELNS1_11target_archE1100ELNS1_3gpuE3ELNS1_3repE0EEENS1_30default_config_static_selectorELNS0_4arch9wavefront6targetE1EEEvT1_.uses_vcc, 0
	.set _ZN7rocprim17ROCPRIM_400000_NS6detail17trampoline_kernelINS0_14default_configENS1_20scan_config_selectorIfEEZZNS1_9scan_implILNS1_25lookback_scan_determinismE0ELb0ELb0ES3_PKfPffZZZN2at6native31launch_logcumsumexp_cuda_kernelERKNSB_10TensorBaseESF_lENKUlvE_clEvENKUlvE0_clEvEUlffE_fEEDaPvRmT3_T4_T5_mT6_P12ihipStream_tbENKUlT_T0_E_clISt17integral_constantIbLb0EESW_EEDaSR_SS_EUlSR_E0_NS1_11comp_targetILNS1_3genE9ELNS1_11target_archE1100ELNS1_3gpuE3ELNS1_3repE0EEENS1_30default_config_static_selectorELNS0_4arch9wavefront6targetE1EEEvT1_.uses_flat_scratch, 0
	.set _ZN7rocprim17ROCPRIM_400000_NS6detail17trampoline_kernelINS0_14default_configENS1_20scan_config_selectorIfEEZZNS1_9scan_implILNS1_25lookback_scan_determinismE0ELb0ELb0ES3_PKfPffZZZN2at6native31launch_logcumsumexp_cuda_kernelERKNSB_10TensorBaseESF_lENKUlvE_clEvENKUlvE0_clEvEUlffE_fEEDaPvRmT3_T4_T5_mT6_P12ihipStream_tbENKUlT_T0_E_clISt17integral_constantIbLb0EESW_EEDaSR_SS_EUlSR_E0_NS1_11comp_targetILNS1_3genE9ELNS1_11target_archE1100ELNS1_3gpuE3ELNS1_3repE0EEENS1_30default_config_static_selectorELNS0_4arch9wavefront6targetE1EEEvT1_.has_dyn_sized_stack, 0
	.set _ZN7rocprim17ROCPRIM_400000_NS6detail17trampoline_kernelINS0_14default_configENS1_20scan_config_selectorIfEEZZNS1_9scan_implILNS1_25lookback_scan_determinismE0ELb0ELb0ES3_PKfPffZZZN2at6native31launch_logcumsumexp_cuda_kernelERKNSB_10TensorBaseESF_lENKUlvE_clEvENKUlvE0_clEvEUlffE_fEEDaPvRmT3_T4_T5_mT6_P12ihipStream_tbENKUlT_T0_E_clISt17integral_constantIbLb0EESW_EEDaSR_SS_EUlSR_E0_NS1_11comp_targetILNS1_3genE9ELNS1_11target_archE1100ELNS1_3gpuE3ELNS1_3repE0EEENS1_30default_config_static_selectorELNS0_4arch9wavefront6targetE1EEEvT1_.has_recursion, 0
	.set _ZN7rocprim17ROCPRIM_400000_NS6detail17trampoline_kernelINS0_14default_configENS1_20scan_config_selectorIfEEZZNS1_9scan_implILNS1_25lookback_scan_determinismE0ELb0ELb0ES3_PKfPffZZZN2at6native31launch_logcumsumexp_cuda_kernelERKNSB_10TensorBaseESF_lENKUlvE_clEvENKUlvE0_clEvEUlffE_fEEDaPvRmT3_T4_T5_mT6_P12ihipStream_tbENKUlT_T0_E_clISt17integral_constantIbLb0EESW_EEDaSR_SS_EUlSR_E0_NS1_11comp_targetILNS1_3genE9ELNS1_11target_archE1100ELNS1_3gpuE3ELNS1_3repE0EEENS1_30default_config_static_selectorELNS0_4arch9wavefront6targetE1EEEvT1_.has_indirect_call, 0
	.section	.AMDGPU.csdata,"",@progbits
; Kernel info:
; codeLenInByte = 0
; TotalNumSgprs: 4
; NumVgprs: 0
; ScratchSize: 0
; MemoryBound: 0
; FloatMode: 240
; IeeeMode: 1
; LDSByteSize: 0 bytes/workgroup (compile time only)
; SGPRBlocks: 0
; VGPRBlocks: 0
; NumSGPRsForWavesPerEU: 4
; NumVGPRsForWavesPerEU: 1
; Occupancy: 10
; WaveLimiterHint : 0
; COMPUTE_PGM_RSRC2:SCRATCH_EN: 0
; COMPUTE_PGM_RSRC2:USER_SGPR: 6
; COMPUTE_PGM_RSRC2:TRAP_HANDLER: 0
; COMPUTE_PGM_RSRC2:TGID_X_EN: 1
; COMPUTE_PGM_RSRC2:TGID_Y_EN: 0
; COMPUTE_PGM_RSRC2:TGID_Z_EN: 0
; COMPUTE_PGM_RSRC2:TIDIG_COMP_CNT: 0
	.section	.text._ZN7rocprim17ROCPRIM_400000_NS6detail17trampoline_kernelINS0_14default_configENS1_20scan_config_selectorIfEEZZNS1_9scan_implILNS1_25lookback_scan_determinismE0ELb0ELb0ES3_PKfPffZZZN2at6native31launch_logcumsumexp_cuda_kernelERKNSB_10TensorBaseESF_lENKUlvE_clEvENKUlvE0_clEvEUlffE_fEEDaPvRmT3_T4_T5_mT6_P12ihipStream_tbENKUlT_T0_E_clISt17integral_constantIbLb0EESW_EEDaSR_SS_EUlSR_E0_NS1_11comp_targetILNS1_3genE8ELNS1_11target_archE1030ELNS1_3gpuE2ELNS1_3repE0EEENS1_30default_config_static_selectorELNS0_4arch9wavefront6targetE1EEEvT1_,"axG",@progbits,_ZN7rocprim17ROCPRIM_400000_NS6detail17trampoline_kernelINS0_14default_configENS1_20scan_config_selectorIfEEZZNS1_9scan_implILNS1_25lookback_scan_determinismE0ELb0ELb0ES3_PKfPffZZZN2at6native31launch_logcumsumexp_cuda_kernelERKNSB_10TensorBaseESF_lENKUlvE_clEvENKUlvE0_clEvEUlffE_fEEDaPvRmT3_T4_T5_mT6_P12ihipStream_tbENKUlT_T0_E_clISt17integral_constantIbLb0EESW_EEDaSR_SS_EUlSR_E0_NS1_11comp_targetILNS1_3genE8ELNS1_11target_archE1030ELNS1_3gpuE2ELNS1_3repE0EEENS1_30default_config_static_selectorELNS0_4arch9wavefront6targetE1EEEvT1_,comdat
	.globl	_ZN7rocprim17ROCPRIM_400000_NS6detail17trampoline_kernelINS0_14default_configENS1_20scan_config_selectorIfEEZZNS1_9scan_implILNS1_25lookback_scan_determinismE0ELb0ELb0ES3_PKfPffZZZN2at6native31launch_logcumsumexp_cuda_kernelERKNSB_10TensorBaseESF_lENKUlvE_clEvENKUlvE0_clEvEUlffE_fEEDaPvRmT3_T4_T5_mT6_P12ihipStream_tbENKUlT_T0_E_clISt17integral_constantIbLb0EESW_EEDaSR_SS_EUlSR_E0_NS1_11comp_targetILNS1_3genE8ELNS1_11target_archE1030ELNS1_3gpuE2ELNS1_3repE0EEENS1_30default_config_static_selectorELNS0_4arch9wavefront6targetE1EEEvT1_ ; -- Begin function _ZN7rocprim17ROCPRIM_400000_NS6detail17trampoline_kernelINS0_14default_configENS1_20scan_config_selectorIfEEZZNS1_9scan_implILNS1_25lookback_scan_determinismE0ELb0ELb0ES3_PKfPffZZZN2at6native31launch_logcumsumexp_cuda_kernelERKNSB_10TensorBaseESF_lENKUlvE_clEvENKUlvE0_clEvEUlffE_fEEDaPvRmT3_T4_T5_mT6_P12ihipStream_tbENKUlT_T0_E_clISt17integral_constantIbLb0EESW_EEDaSR_SS_EUlSR_E0_NS1_11comp_targetILNS1_3genE8ELNS1_11target_archE1030ELNS1_3gpuE2ELNS1_3repE0EEENS1_30default_config_static_selectorELNS0_4arch9wavefront6targetE1EEEvT1_
	.p2align	8
	.type	_ZN7rocprim17ROCPRIM_400000_NS6detail17trampoline_kernelINS0_14default_configENS1_20scan_config_selectorIfEEZZNS1_9scan_implILNS1_25lookback_scan_determinismE0ELb0ELb0ES3_PKfPffZZZN2at6native31launch_logcumsumexp_cuda_kernelERKNSB_10TensorBaseESF_lENKUlvE_clEvENKUlvE0_clEvEUlffE_fEEDaPvRmT3_T4_T5_mT6_P12ihipStream_tbENKUlT_T0_E_clISt17integral_constantIbLb0EESW_EEDaSR_SS_EUlSR_E0_NS1_11comp_targetILNS1_3genE8ELNS1_11target_archE1030ELNS1_3gpuE2ELNS1_3repE0EEENS1_30default_config_static_selectorELNS0_4arch9wavefront6targetE1EEEvT1_,@function
_ZN7rocprim17ROCPRIM_400000_NS6detail17trampoline_kernelINS0_14default_configENS1_20scan_config_selectorIfEEZZNS1_9scan_implILNS1_25lookback_scan_determinismE0ELb0ELb0ES3_PKfPffZZZN2at6native31launch_logcumsumexp_cuda_kernelERKNSB_10TensorBaseESF_lENKUlvE_clEvENKUlvE0_clEvEUlffE_fEEDaPvRmT3_T4_T5_mT6_P12ihipStream_tbENKUlT_T0_E_clISt17integral_constantIbLb0EESW_EEDaSR_SS_EUlSR_E0_NS1_11comp_targetILNS1_3genE8ELNS1_11target_archE1030ELNS1_3gpuE2ELNS1_3repE0EEENS1_30default_config_static_selectorELNS0_4arch9wavefront6targetE1EEEvT1_: ; @_ZN7rocprim17ROCPRIM_400000_NS6detail17trampoline_kernelINS0_14default_configENS1_20scan_config_selectorIfEEZZNS1_9scan_implILNS1_25lookback_scan_determinismE0ELb0ELb0ES3_PKfPffZZZN2at6native31launch_logcumsumexp_cuda_kernelERKNSB_10TensorBaseESF_lENKUlvE_clEvENKUlvE0_clEvEUlffE_fEEDaPvRmT3_T4_T5_mT6_P12ihipStream_tbENKUlT_T0_E_clISt17integral_constantIbLb0EESW_EEDaSR_SS_EUlSR_E0_NS1_11comp_targetILNS1_3genE8ELNS1_11target_archE1030ELNS1_3gpuE2ELNS1_3repE0EEENS1_30default_config_static_selectorELNS0_4arch9wavefront6targetE1EEEvT1_
; %bb.0:
	.section	.rodata,"a",@progbits
	.p2align	6, 0x0
	.amdhsa_kernel _ZN7rocprim17ROCPRIM_400000_NS6detail17trampoline_kernelINS0_14default_configENS1_20scan_config_selectorIfEEZZNS1_9scan_implILNS1_25lookback_scan_determinismE0ELb0ELb0ES3_PKfPffZZZN2at6native31launch_logcumsumexp_cuda_kernelERKNSB_10TensorBaseESF_lENKUlvE_clEvENKUlvE0_clEvEUlffE_fEEDaPvRmT3_T4_T5_mT6_P12ihipStream_tbENKUlT_T0_E_clISt17integral_constantIbLb0EESW_EEDaSR_SS_EUlSR_E0_NS1_11comp_targetILNS1_3genE8ELNS1_11target_archE1030ELNS1_3gpuE2ELNS1_3repE0EEENS1_30default_config_static_selectorELNS0_4arch9wavefront6targetE1EEEvT1_
		.amdhsa_group_segment_fixed_size 0
		.amdhsa_private_segment_fixed_size 0
		.amdhsa_kernarg_size 32
		.amdhsa_user_sgpr_count 6
		.amdhsa_user_sgpr_private_segment_buffer 1
		.amdhsa_user_sgpr_dispatch_ptr 0
		.amdhsa_user_sgpr_queue_ptr 0
		.amdhsa_user_sgpr_kernarg_segment_ptr 1
		.amdhsa_user_sgpr_dispatch_id 0
		.amdhsa_user_sgpr_flat_scratch_init 0
		.amdhsa_user_sgpr_private_segment_size 0
		.amdhsa_uses_dynamic_stack 0
		.amdhsa_system_sgpr_private_segment_wavefront_offset 0
		.amdhsa_system_sgpr_workgroup_id_x 1
		.amdhsa_system_sgpr_workgroup_id_y 0
		.amdhsa_system_sgpr_workgroup_id_z 0
		.amdhsa_system_sgpr_workgroup_info 0
		.amdhsa_system_vgpr_workitem_id 0
		.amdhsa_next_free_vgpr 1
		.amdhsa_next_free_sgpr 0
		.amdhsa_reserve_vcc 0
		.amdhsa_reserve_flat_scratch 0
		.amdhsa_float_round_mode_32 0
		.amdhsa_float_round_mode_16_64 0
		.amdhsa_float_denorm_mode_32 3
		.amdhsa_float_denorm_mode_16_64 3
		.amdhsa_dx10_clamp 1
		.amdhsa_ieee_mode 1
		.amdhsa_fp16_overflow 0
		.amdhsa_exception_fp_ieee_invalid_op 0
		.amdhsa_exception_fp_denorm_src 0
		.amdhsa_exception_fp_ieee_div_zero 0
		.amdhsa_exception_fp_ieee_overflow 0
		.amdhsa_exception_fp_ieee_underflow 0
		.amdhsa_exception_fp_ieee_inexact 0
		.amdhsa_exception_int_div_zero 0
	.end_amdhsa_kernel
	.section	.text._ZN7rocprim17ROCPRIM_400000_NS6detail17trampoline_kernelINS0_14default_configENS1_20scan_config_selectorIfEEZZNS1_9scan_implILNS1_25lookback_scan_determinismE0ELb0ELb0ES3_PKfPffZZZN2at6native31launch_logcumsumexp_cuda_kernelERKNSB_10TensorBaseESF_lENKUlvE_clEvENKUlvE0_clEvEUlffE_fEEDaPvRmT3_T4_T5_mT6_P12ihipStream_tbENKUlT_T0_E_clISt17integral_constantIbLb0EESW_EEDaSR_SS_EUlSR_E0_NS1_11comp_targetILNS1_3genE8ELNS1_11target_archE1030ELNS1_3gpuE2ELNS1_3repE0EEENS1_30default_config_static_selectorELNS0_4arch9wavefront6targetE1EEEvT1_,"axG",@progbits,_ZN7rocprim17ROCPRIM_400000_NS6detail17trampoline_kernelINS0_14default_configENS1_20scan_config_selectorIfEEZZNS1_9scan_implILNS1_25lookback_scan_determinismE0ELb0ELb0ES3_PKfPffZZZN2at6native31launch_logcumsumexp_cuda_kernelERKNSB_10TensorBaseESF_lENKUlvE_clEvENKUlvE0_clEvEUlffE_fEEDaPvRmT3_T4_T5_mT6_P12ihipStream_tbENKUlT_T0_E_clISt17integral_constantIbLb0EESW_EEDaSR_SS_EUlSR_E0_NS1_11comp_targetILNS1_3genE8ELNS1_11target_archE1030ELNS1_3gpuE2ELNS1_3repE0EEENS1_30default_config_static_selectorELNS0_4arch9wavefront6targetE1EEEvT1_,comdat
.Lfunc_end113:
	.size	_ZN7rocprim17ROCPRIM_400000_NS6detail17trampoline_kernelINS0_14default_configENS1_20scan_config_selectorIfEEZZNS1_9scan_implILNS1_25lookback_scan_determinismE0ELb0ELb0ES3_PKfPffZZZN2at6native31launch_logcumsumexp_cuda_kernelERKNSB_10TensorBaseESF_lENKUlvE_clEvENKUlvE0_clEvEUlffE_fEEDaPvRmT3_T4_T5_mT6_P12ihipStream_tbENKUlT_T0_E_clISt17integral_constantIbLb0EESW_EEDaSR_SS_EUlSR_E0_NS1_11comp_targetILNS1_3genE8ELNS1_11target_archE1030ELNS1_3gpuE2ELNS1_3repE0EEENS1_30default_config_static_selectorELNS0_4arch9wavefront6targetE1EEEvT1_, .Lfunc_end113-_ZN7rocprim17ROCPRIM_400000_NS6detail17trampoline_kernelINS0_14default_configENS1_20scan_config_selectorIfEEZZNS1_9scan_implILNS1_25lookback_scan_determinismE0ELb0ELb0ES3_PKfPffZZZN2at6native31launch_logcumsumexp_cuda_kernelERKNSB_10TensorBaseESF_lENKUlvE_clEvENKUlvE0_clEvEUlffE_fEEDaPvRmT3_T4_T5_mT6_P12ihipStream_tbENKUlT_T0_E_clISt17integral_constantIbLb0EESW_EEDaSR_SS_EUlSR_E0_NS1_11comp_targetILNS1_3genE8ELNS1_11target_archE1030ELNS1_3gpuE2ELNS1_3repE0EEENS1_30default_config_static_selectorELNS0_4arch9wavefront6targetE1EEEvT1_
                                        ; -- End function
	.set _ZN7rocprim17ROCPRIM_400000_NS6detail17trampoline_kernelINS0_14default_configENS1_20scan_config_selectorIfEEZZNS1_9scan_implILNS1_25lookback_scan_determinismE0ELb0ELb0ES3_PKfPffZZZN2at6native31launch_logcumsumexp_cuda_kernelERKNSB_10TensorBaseESF_lENKUlvE_clEvENKUlvE0_clEvEUlffE_fEEDaPvRmT3_T4_T5_mT6_P12ihipStream_tbENKUlT_T0_E_clISt17integral_constantIbLb0EESW_EEDaSR_SS_EUlSR_E0_NS1_11comp_targetILNS1_3genE8ELNS1_11target_archE1030ELNS1_3gpuE2ELNS1_3repE0EEENS1_30default_config_static_selectorELNS0_4arch9wavefront6targetE1EEEvT1_.num_vgpr, 0
	.set _ZN7rocprim17ROCPRIM_400000_NS6detail17trampoline_kernelINS0_14default_configENS1_20scan_config_selectorIfEEZZNS1_9scan_implILNS1_25lookback_scan_determinismE0ELb0ELb0ES3_PKfPffZZZN2at6native31launch_logcumsumexp_cuda_kernelERKNSB_10TensorBaseESF_lENKUlvE_clEvENKUlvE0_clEvEUlffE_fEEDaPvRmT3_T4_T5_mT6_P12ihipStream_tbENKUlT_T0_E_clISt17integral_constantIbLb0EESW_EEDaSR_SS_EUlSR_E0_NS1_11comp_targetILNS1_3genE8ELNS1_11target_archE1030ELNS1_3gpuE2ELNS1_3repE0EEENS1_30default_config_static_selectorELNS0_4arch9wavefront6targetE1EEEvT1_.num_agpr, 0
	.set _ZN7rocprim17ROCPRIM_400000_NS6detail17trampoline_kernelINS0_14default_configENS1_20scan_config_selectorIfEEZZNS1_9scan_implILNS1_25lookback_scan_determinismE0ELb0ELb0ES3_PKfPffZZZN2at6native31launch_logcumsumexp_cuda_kernelERKNSB_10TensorBaseESF_lENKUlvE_clEvENKUlvE0_clEvEUlffE_fEEDaPvRmT3_T4_T5_mT6_P12ihipStream_tbENKUlT_T0_E_clISt17integral_constantIbLb0EESW_EEDaSR_SS_EUlSR_E0_NS1_11comp_targetILNS1_3genE8ELNS1_11target_archE1030ELNS1_3gpuE2ELNS1_3repE0EEENS1_30default_config_static_selectorELNS0_4arch9wavefront6targetE1EEEvT1_.numbered_sgpr, 0
	.set _ZN7rocprim17ROCPRIM_400000_NS6detail17trampoline_kernelINS0_14default_configENS1_20scan_config_selectorIfEEZZNS1_9scan_implILNS1_25lookback_scan_determinismE0ELb0ELb0ES3_PKfPffZZZN2at6native31launch_logcumsumexp_cuda_kernelERKNSB_10TensorBaseESF_lENKUlvE_clEvENKUlvE0_clEvEUlffE_fEEDaPvRmT3_T4_T5_mT6_P12ihipStream_tbENKUlT_T0_E_clISt17integral_constantIbLb0EESW_EEDaSR_SS_EUlSR_E0_NS1_11comp_targetILNS1_3genE8ELNS1_11target_archE1030ELNS1_3gpuE2ELNS1_3repE0EEENS1_30default_config_static_selectorELNS0_4arch9wavefront6targetE1EEEvT1_.num_named_barrier, 0
	.set _ZN7rocprim17ROCPRIM_400000_NS6detail17trampoline_kernelINS0_14default_configENS1_20scan_config_selectorIfEEZZNS1_9scan_implILNS1_25lookback_scan_determinismE0ELb0ELb0ES3_PKfPffZZZN2at6native31launch_logcumsumexp_cuda_kernelERKNSB_10TensorBaseESF_lENKUlvE_clEvENKUlvE0_clEvEUlffE_fEEDaPvRmT3_T4_T5_mT6_P12ihipStream_tbENKUlT_T0_E_clISt17integral_constantIbLb0EESW_EEDaSR_SS_EUlSR_E0_NS1_11comp_targetILNS1_3genE8ELNS1_11target_archE1030ELNS1_3gpuE2ELNS1_3repE0EEENS1_30default_config_static_selectorELNS0_4arch9wavefront6targetE1EEEvT1_.private_seg_size, 0
	.set _ZN7rocprim17ROCPRIM_400000_NS6detail17trampoline_kernelINS0_14default_configENS1_20scan_config_selectorIfEEZZNS1_9scan_implILNS1_25lookback_scan_determinismE0ELb0ELb0ES3_PKfPffZZZN2at6native31launch_logcumsumexp_cuda_kernelERKNSB_10TensorBaseESF_lENKUlvE_clEvENKUlvE0_clEvEUlffE_fEEDaPvRmT3_T4_T5_mT6_P12ihipStream_tbENKUlT_T0_E_clISt17integral_constantIbLb0EESW_EEDaSR_SS_EUlSR_E0_NS1_11comp_targetILNS1_3genE8ELNS1_11target_archE1030ELNS1_3gpuE2ELNS1_3repE0EEENS1_30default_config_static_selectorELNS0_4arch9wavefront6targetE1EEEvT1_.uses_vcc, 0
	.set _ZN7rocprim17ROCPRIM_400000_NS6detail17trampoline_kernelINS0_14default_configENS1_20scan_config_selectorIfEEZZNS1_9scan_implILNS1_25lookback_scan_determinismE0ELb0ELb0ES3_PKfPffZZZN2at6native31launch_logcumsumexp_cuda_kernelERKNSB_10TensorBaseESF_lENKUlvE_clEvENKUlvE0_clEvEUlffE_fEEDaPvRmT3_T4_T5_mT6_P12ihipStream_tbENKUlT_T0_E_clISt17integral_constantIbLb0EESW_EEDaSR_SS_EUlSR_E0_NS1_11comp_targetILNS1_3genE8ELNS1_11target_archE1030ELNS1_3gpuE2ELNS1_3repE0EEENS1_30default_config_static_selectorELNS0_4arch9wavefront6targetE1EEEvT1_.uses_flat_scratch, 0
	.set _ZN7rocprim17ROCPRIM_400000_NS6detail17trampoline_kernelINS0_14default_configENS1_20scan_config_selectorIfEEZZNS1_9scan_implILNS1_25lookback_scan_determinismE0ELb0ELb0ES3_PKfPffZZZN2at6native31launch_logcumsumexp_cuda_kernelERKNSB_10TensorBaseESF_lENKUlvE_clEvENKUlvE0_clEvEUlffE_fEEDaPvRmT3_T4_T5_mT6_P12ihipStream_tbENKUlT_T0_E_clISt17integral_constantIbLb0EESW_EEDaSR_SS_EUlSR_E0_NS1_11comp_targetILNS1_3genE8ELNS1_11target_archE1030ELNS1_3gpuE2ELNS1_3repE0EEENS1_30default_config_static_selectorELNS0_4arch9wavefront6targetE1EEEvT1_.has_dyn_sized_stack, 0
	.set _ZN7rocprim17ROCPRIM_400000_NS6detail17trampoline_kernelINS0_14default_configENS1_20scan_config_selectorIfEEZZNS1_9scan_implILNS1_25lookback_scan_determinismE0ELb0ELb0ES3_PKfPffZZZN2at6native31launch_logcumsumexp_cuda_kernelERKNSB_10TensorBaseESF_lENKUlvE_clEvENKUlvE0_clEvEUlffE_fEEDaPvRmT3_T4_T5_mT6_P12ihipStream_tbENKUlT_T0_E_clISt17integral_constantIbLb0EESW_EEDaSR_SS_EUlSR_E0_NS1_11comp_targetILNS1_3genE8ELNS1_11target_archE1030ELNS1_3gpuE2ELNS1_3repE0EEENS1_30default_config_static_selectorELNS0_4arch9wavefront6targetE1EEEvT1_.has_recursion, 0
	.set _ZN7rocprim17ROCPRIM_400000_NS6detail17trampoline_kernelINS0_14default_configENS1_20scan_config_selectorIfEEZZNS1_9scan_implILNS1_25lookback_scan_determinismE0ELb0ELb0ES3_PKfPffZZZN2at6native31launch_logcumsumexp_cuda_kernelERKNSB_10TensorBaseESF_lENKUlvE_clEvENKUlvE0_clEvEUlffE_fEEDaPvRmT3_T4_T5_mT6_P12ihipStream_tbENKUlT_T0_E_clISt17integral_constantIbLb0EESW_EEDaSR_SS_EUlSR_E0_NS1_11comp_targetILNS1_3genE8ELNS1_11target_archE1030ELNS1_3gpuE2ELNS1_3repE0EEENS1_30default_config_static_selectorELNS0_4arch9wavefront6targetE1EEEvT1_.has_indirect_call, 0
	.section	.AMDGPU.csdata,"",@progbits
; Kernel info:
; codeLenInByte = 0
; TotalNumSgprs: 4
; NumVgprs: 0
; ScratchSize: 0
; MemoryBound: 0
; FloatMode: 240
; IeeeMode: 1
; LDSByteSize: 0 bytes/workgroup (compile time only)
; SGPRBlocks: 0
; VGPRBlocks: 0
; NumSGPRsForWavesPerEU: 4
; NumVGPRsForWavesPerEU: 1
; Occupancy: 10
; WaveLimiterHint : 0
; COMPUTE_PGM_RSRC2:SCRATCH_EN: 0
; COMPUTE_PGM_RSRC2:USER_SGPR: 6
; COMPUTE_PGM_RSRC2:TRAP_HANDLER: 0
; COMPUTE_PGM_RSRC2:TGID_X_EN: 1
; COMPUTE_PGM_RSRC2:TGID_Y_EN: 0
; COMPUTE_PGM_RSRC2:TGID_Z_EN: 0
; COMPUTE_PGM_RSRC2:TIDIG_COMP_CNT: 0
	.section	.text._ZN7rocprim17ROCPRIM_400000_NS6detail31init_lookback_scan_state_kernelINS1_19lookback_scan_stateIfLb1ELb1EEENS1_16block_id_wrapperIjLb1EEEEEvT_jT0_jPNS7_10value_typeE,"axG",@progbits,_ZN7rocprim17ROCPRIM_400000_NS6detail31init_lookback_scan_state_kernelINS1_19lookback_scan_stateIfLb1ELb1EEENS1_16block_id_wrapperIjLb1EEEEEvT_jT0_jPNS7_10value_typeE,comdat
	.protected	_ZN7rocprim17ROCPRIM_400000_NS6detail31init_lookback_scan_state_kernelINS1_19lookback_scan_stateIfLb1ELb1EEENS1_16block_id_wrapperIjLb1EEEEEvT_jT0_jPNS7_10value_typeE ; -- Begin function _ZN7rocprim17ROCPRIM_400000_NS6detail31init_lookback_scan_state_kernelINS1_19lookback_scan_stateIfLb1ELb1EEENS1_16block_id_wrapperIjLb1EEEEEvT_jT0_jPNS7_10value_typeE
	.globl	_ZN7rocprim17ROCPRIM_400000_NS6detail31init_lookback_scan_state_kernelINS1_19lookback_scan_stateIfLb1ELb1EEENS1_16block_id_wrapperIjLb1EEEEEvT_jT0_jPNS7_10value_typeE
	.p2align	8
	.type	_ZN7rocprim17ROCPRIM_400000_NS6detail31init_lookback_scan_state_kernelINS1_19lookback_scan_stateIfLb1ELb1EEENS1_16block_id_wrapperIjLb1EEEEEvT_jT0_jPNS7_10value_typeE,@function
_ZN7rocprim17ROCPRIM_400000_NS6detail31init_lookback_scan_state_kernelINS1_19lookback_scan_stateIfLb1ELb1EEENS1_16block_id_wrapperIjLb1EEEEEvT_jT0_jPNS7_10value_typeE: ; @_ZN7rocprim17ROCPRIM_400000_NS6detail31init_lookback_scan_state_kernelINS1_19lookback_scan_stateIfLb1ELb1EEENS1_16block_id_wrapperIjLb1EEEEEvT_jT0_jPNS7_10value_typeE
; %bb.0:
	s_load_dword s7, s[4:5], 0x34
	s_load_dwordx2 s[2:3], s[4:5], 0x20
	s_load_dwordx2 s[0:1], s[4:5], 0x0
	s_load_dword s10, s[4:5], 0x8
	s_waitcnt lgkmcnt(0)
	s_and_b32 s7, s7, 0xffff
	s_mul_i32 s6, s6, s7
	s_cmp_eq_u64 s[2:3], 0
	v_add_u32_e32 v0, s6, v0
	s_cbranch_scc1 .LBB114_9
; %bb.1:
	s_load_dword s8, s[4:5], 0x18
	s_mov_b32 s9, 0
	s_waitcnt lgkmcnt(0)
	s_cmp_lt_u32 s8, s10
	s_cselect_b32 s6, s8, 0
	v_cmp_eq_u32_e32 vcc, s6, v0
	s_and_saveexec_b64 s[6:7], vcc
	s_cbranch_execz .LBB114_8
; %bb.2:
	s_add_i32 s8, s8, 64
	s_lshl_b64 s[8:9], s[8:9], 3
	s_add_u32 s8, s0, s8
	s_addc_u32 s9, s1, s9
	v_mov_b32_e32 v1, 0
	global_load_dwordx2 v[3:4], v1, s[8:9] glc
	s_waitcnt vmcnt(0)
	v_and_b32_e32 v2, 0xff, v4
	v_cmp_ne_u64_e32 vcc, 0, v[1:2]
	s_cbranch_vccnz .LBB114_7
; %bb.3:
	s_mov_b32 s11, 1
.LBB114_4:                              ; =>This Loop Header: Depth=1
                                        ;     Child Loop BB114_5 Depth 2
	s_mov_b32 s12, s11
.LBB114_5:                              ;   Parent Loop BB114_4 Depth=1
                                        ; =>  This Inner Loop Header: Depth=2
	s_add_i32 s12, s12, -1
	s_cmp_eq_u32 s12, 0
	s_sleep 1
	s_cbranch_scc0 .LBB114_5
; %bb.6:                                ;   in Loop: Header=BB114_4 Depth=1
	global_load_dwordx2 v[3:4], v1, s[8:9] glc
	s_cmp_lt_u32 s11, 32
	s_cselect_b64 s[12:13], -1, 0
	s_cmp_lg_u64 s[12:13], 0
	s_addc_u32 s11, s11, 0
	s_waitcnt vmcnt(0)
	v_and_b32_e32 v2, 0xff, v4
	v_cmp_ne_u64_e32 vcc, 0, v[1:2]
	s_cbranch_vccz .LBB114_4
.LBB114_7:
	v_mov_b32_e32 v1, 0
	global_store_dword v1, v3, s[2:3]
.LBB114_8:
	s_or_b64 exec, exec, s[6:7]
.LBB114_9:
	v_cmp_eq_u32_e32 vcc, 0, v0
	s_and_saveexec_b64 s[2:3], vcc
	s_cbranch_execnz .LBB114_13
; %bb.10:
	s_or_b64 exec, exec, s[2:3]
	v_cmp_gt_u32_e32 vcc, s10, v0
	s_and_saveexec_b64 s[2:3], vcc
	s_cbranch_execnz .LBB114_14
.LBB114_11:
	s_or_b64 exec, exec, s[2:3]
	v_cmp_gt_u32_e32 vcc, 64, v0
	s_and_saveexec_b64 s[2:3], vcc
	s_cbranch_execnz .LBB114_15
.LBB114_12:
	s_endpgm
.LBB114_13:
	s_load_dwordx2 s[4:5], s[4:5], 0x10
	v_mov_b32_e32 v1, 0
	s_waitcnt lgkmcnt(0)
	global_store_dword v1, v1, s[4:5]
	s_or_b64 exec, exec, s[2:3]
	v_cmp_gt_u32_e32 vcc, s10, v0
	s_and_saveexec_b64 s[2:3], vcc
	s_cbranch_execz .LBB114_11
.LBB114_14:
	v_add_u32_e32 v1, 64, v0
	v_mov_b32_e32 v2, 0
	v_lshlrev_b64 v[3:4], 3, v[1:2]
	v_mov_b32_e32 v1, s1
	v_add_co_u32_e32 v3, vcc, s0, v3
	v_addc_co_u32_e32 v4, vcc, v1, v4, vcc
	v_mov_b32_e32 v1, v2
	global_store_dwordx2 v[3:4], v[1:2], off
	s_or_b64 exec, exec, s[2:3]
	v_cmp_gt_u32_e32 vcc, 64, v0
	s_and_saveexec_b64 s[2:3], vcc
	s_cbranch_execz .LBB114_12
.LBB114_15:
	v_mov_b32_e32 v1, 0
	v_lshlrev_b64 v[2:3], 3, v[0:1]
	v_mov_b32_e32 v0, s1
	v_add_co_u32_e32 v2, vcc, s0, v2
	v_addc_co_u32_e32 v3, vcc, v0, v3, vcc
	v_mov_b32_e32 v5, 0xff
	v_mov_b32_e32 v4, v1
	global_store_dwordx2 v[2:3], v[4:5], off
	s_endpgm
	.section	.rodata,"a",@progbits
	.p2align	6, 0x0
	.amdhsa_kernel _ZN7rocprim17ROCPRIM_400000_NS6detail31init_lookback_scan_state_kernelINS1_19lookback_scan_stateIfLb1ELb1EEENS1_16block_id_wrapperIjLb1EEEEEvT_jT0_jPNS7_10value_typeE
		.amdhsa_group_segment_fixed_size 0
		.amdhsa_private_segment_fixed_size 0
		.amdhsa_kernarg_size 296
		.amdhsa_user_sgpr_count 6
		.amdhsa_user_sgpr_private_segment_buffer 1
		.amdhsa_user_sgpr_dispatch_ptr 0
		.amdhsa_user_sgpr_queue_ptr 0
		.amdhsa_user_sgpr_kernarg_segment_ptr 1
		.amdhsa_user_sgpr_dispatch_id 0
		.amdhsa_user_sgpr_flat_scratch_init 0
		.amdhsa_user_sgpr_private_segment_size 0
		.amdhsa_uses_dynamic_stack 0
		.amdhsa_system_sgpr_private_segment_wavefront_offset 0
		.amdhsa_system_sgpr_workgroup_id_x 1
		.amdhsa_system_sgpr_workgroup_id_y 0
		.amdhsa_system_sgpr_workgroup_id_z 0
		.amdhsa_system_sgpr_workgroup_info 0
		.amdhsa_system_vgpr_workitem_id 0
		.amdhsa_next_free_vgpr 6
		.amdhsa_next_free_sgpr 14
		.amdhsa_reserve_vcc 1
		.amdhsa_reserve_flat_scratch 0
		.amdhsa_float_round_mode_32 0
		.amdhsa_float_round_mode_16_64 0
		.amdhsa_float_denorm_mode_32 3
		.amdhsa_float_denorm_mode_16_64 3
		.amdhsa_dx10_clamp 1
		.amdhsa_ieee_mode 1
		.amdhsa_fp16_overflow 0
		.amdhsa_exception_fp_ieee_invalid_op 0
		.amdhsa_exception_fp_denorm_src 0
		.amdhsa_exception_fp_ieee_div_zero 0
		.amdhsa_exception_fp_ieee_overflow 0
		.amdhsa_exception_fp_ieee_underflow 0
		.amdhsa_exception_fp_ieee_inexact 0
		.amdhsa_exception_int_div_zero 0
	.end_amdhsa_kernel
	.section	.text._ZN7rocprim17ROCPRIM_400000_NS6detail31init_lookback_scan_state_kernelINS1_19lookback_scan_stateIfLb1ELb1EEENS1_16block_id_wrapperIjLb1EEEEEvT_jT0_jPNS7_10value_typeE,"axG",@progbits,_ZN7rocprim17ROCPRIM_400000_NS6detail31init_lookback_scan_state_kernelINS1_19lookback_scan_stateIfLb1ELb1EEENS1_16block_id_wrapperIjLb1EEEEEvT_jT0_jPNS7_10value_typeE,comdat
.Lfunc_end114:
	.size	_ZN7rocprim17ROCPRIM_400000_NS6detail31init_lookback_scan_state_kernelINS1_19lookback_scan_stateIfLb1ELb1EEENS1_16block_id_wrapperIjLb1EEEEEvT_jT0_jPNS7_10value_typeE, .Lfunc_end114-_ZN7rocprim17ROCPRIM_400000_NS6detail31init_lookback_scan_state_kernelINS1_19lookback_scan_stateIfLb1ELb1EEENS1_16block_id_wrapperIjLb1EEEEEvT_jT0_jPNS7_10value_typeE
                                        ; -- End function
	.set _ZN7rocprim17ROCPRIM_400000_NS6detail31init_lookback_scan_state_kernelINS1_19lookback_scan_stateIfLb1ELb1EEENS1_16block_id_wrapperIjLb1EEEEEvT_jT0_jPNS7_10value_typeE.num_vgpr, 6
	.set _ZN7rocprim17ROCPRIM_400000_NS6detail31init_lookback_scan_state_kernelINS1_19lookback_scan_stateIfLb1ELb1EEENS1_16block_id_wrapperIjLb1EEEEEvT_jT0_jPNS7_10value_typeE.num_agpr, 0
	.set _ZN7rocprim17ROCPRIM_400000_NS6detail31init_lookback_scan_state_kernelINS1_19lookback_scan_stateIfLb1ELb1EEENS1_16block_id_wrapperIjLb1EEEEEvT_jT0_jPNS7_10value_typeE.numbered_sgpr, 14
	.set _ZN7rocprim17ROCPRIM_400000_NS6detail31init_lookback_scan_state_kernelINS1_19lookback_scan_stateIfLb1ELb1EEENS1_16block_id_wrapperIjLb1EEEEEvT_jT0_jPNS7_10value_typeE.num_named_barrier, 0
	.set _ZN7rocprim17ROCPRIM_400000_NS6detail31init_lookback_scan_state_kernelINS1_19lookback_scan_stateIfLb1ELb1EEENS1_16block_id_wrapperIjLb1EEEEEvT_jT0_jPNS7_10value_typeE.private_seg_size, 0
	.set _ZN7rocprim17ROCPRIM_400000_NS6detail31init_lookback_scan_state_kernelINS1_19lookback_scan_stateIfLb1ELb1EEENS1_16block_id_wrapperIjLb1EEEEEvT_jT0_jPNS7_10value_typeE.uses_vcc, 1
	.set _ZN7rocprim17ROCPRIM_400000_NS6detail31init_lookback_scan_state_kernelINS1_19lookback_scan_stateIfLb1ELb1EEENS1_16block_id_wrapperIjLb1EEEEEvT_jT0_jPNS7_10value_typeE.uses_flat_scratch, 0
	.set _ZN7rocprim17ROCPRIM_400000_NS6detail31init_lookback_scan_state_kernelINS1_19lookback_scan_stateIfLb1ELb1EEENS1_16block_id_wrapperIjLb1EEEEEvT_jT0_jPNS7_10value_typeE.has_dyn_sized_stack, 0
	.set _ZN7rocprim17ROCPRIM_400000_NS6detail31init_lookback_scan_state_kernelINS1_19lookback_scan_stateIfLb1ELb1EEENS1_16block_id_wrapperIjLb1EEEEEvT_jT0_jPNS7_10value_typeE.has_recursion, 0
	.set _ZN7rocprim17ROCPRIM_400000_NS6detail31init_lookback_scan_state_kernelINS1_19lookback_scan_stateIfLb1ELb1EEENS1_16block_id_wrapperIjLb1EEEEEvT_jT0_jPNS7_10value_typeE.has_indirect_call, 0
	.section	.AMDGPU.csdata,"",@progbits
; Kernel info:
; codeLenInByte = 420
; TotalNumSgprs: 18
; NumVgprs: 6
; ScratchSize: 0
; MemoryBound: 0
; FloatMode: 240
; IeeeMode: 1
; LDSByteSize: 0 bytes/workgroup (compile time only)
; SGPRBlocks: 2
; VGPRBlocks: 1
; NumSGPRsForWavesPerEU: 18
; NumVGPRsForWavesPerEU: 6
; Occupancy: 10
; WaveLimiterHint : 0
; COMPUTE_PGM_RSRC2:SCRATCH_EN: 0
; COMPUTE_PGM_RSRC2:USER_SGPR: 6
; COMPUTE_PGM_RSRC2:TRAP_HANDLER: 0
; COMPUTE_PGM_RSRC2:TGID_X_EN: 1
; COMPUTE_PGM_RSRC2:TGID_Y_EN: 0
; COMPUTE_PGM_RSRC2:TGID_Z_EN: 0
; COMPUTE_PGM_RSRC2:TIDIG_COMP_CNT: 0
	.section	.text._ZN7rocprim17ROCPRIM_400000_NS6detail17trampoline_kernelINS0_14default_configENS1_20scan_config_selectorIfEEZZNS1_9scan_implILNS1_25lookback_scan_determinismE0ELb0ELb0ES3_PKfPffZZZN2at6native31launch_logcumsumexp_cuda_kernelERKNSB_10TensorBaseESF_lENKUlvE_clEvENKUlvE0_clEvEUlffE_fEEDaPvRmT3_T4_T5_mT6_P12ihipStream_tbENKUlT_T0_E_clISt17integral_constantIbLb1EESW_EEDaSR_SS_EUlSR_E_NS1_11comp_targetILNS1_3genE0ELNS1_11target_archE4294967295ELNS1_3gpuE0ELNS1_3repE0EEENS1_30default_config_static_selectorELNS0_4arch9wavefront6targetE1EEEvT1_,"axG",@progbits,_ZN7rocprim17ROCPRIM_400000_NS6detail17trampoline_kernelINS0_14default_configENS1_20scan_config_selectorIfEEZZNS1_9scan_implILNS1_25lookback_scan_determinismE0ELb0ELb0ES3_PKfPffZZZN2at6native31launch_logcumsumexp_cuda_kernelERKNSB_10TensorBaseESF_lENKUlvE_clEvENKUlvE0_clEvEUlffE_fEEDaPvRmT3_T4_T5_mT6_P12ihipStream_tbENKUlT_T0_E_clISt17integral_constantIbLb1EESW_EEDaSR_SS_EUlSR_E_NS1_11comp_targetILNS1_3genE0ELNS1_11target_archE4294967295ELNS1_3gpuE0ELNS1_3repE0EEENS1_30default_config_static_selectorELNS0_4arch9wavefront6targetE1EEEvT1_,comdat
	.globl	_ZN7rocprim17ROCPRIM_400000_NS6detail17trampoline_kernelINS0_14default_configENS1_20scan_config_selectorIfEEZZNS1_9scan_implILNS1_25lookback_scan_determinismE0ELb0ELb0ES3_PKfPffZZZN2at6native31launch_logcumsumexp_cuda_kernelERKNSB_10TensorBaseESF_lENKUlvE_clEvENKUlvE0_clEvEUlffE_fEEDaPvRmT3_T4_T5_mT6_P12ihipStream_tbENKUlT_T0_E_clISt17integral_constantIbLb1EESW_EEDaSR_SS_EUlSR_E_NS1_11comp_targetILNS1_3genE0ELNS1_11target_archE4294967295ELNS1_3gpuE0ELNS1_3repE0EEENS1_30default_config_static_selectorELNS0_4arch9wavefront6targetE1EEEvT1_ ; -- Begin function _ZN7rocprim17ROCPRIM_400000_NS6detail17trampoline_kernelINS0_14default_configENS1_20scan_config_selectorIfEEZZNS1_9scan_implILNS1_25lookback_scan_determinismE0ELb0ELb0ES3_PKfPffZZZN2at6native31launch_logcumsumexp_cuda_kernelERKNSB_10TensorBaseESF_lENKUlvE_clEvENKUlvE0_clEvEUlffE_fEEDaPvRmT3_T4_T5_mT6_P12ihipStream_tbENKUlT_T0_E_clISt17integral_constantIbLb1EESW_EEDaSR_SS_EUlSR_E_NS1_11comp_targetILNS1_3genE0ELNS1_11target_archE4294967295ELNS1_3gpuE0ELNS1_3repE0EEENS1_30default_config_static_selectorELNS0_4arch9wavefront6targetE1EEEvT1_
	.p2align	8
	.type	_ZN7rocprim17ROCPRIM_400000_NS6detail17trampoline_kernelINS0_14default_configENS1_20scan_config_selectorIfEEZZNS1_9scan_implILNS1_25lookback_scan_determinismE0ELb0ELb0ES3_PKfPffZZZN2at6native31launch_logcumsumexp_cuda_kernelERKNSB_10TensorBaseESF_lENKUlvE_clEvENKUlvE0_clEvEUlffE_fEEDaPvRmT3_T4_T5_mT6_P12ihipStream_tbENKUlT_T0_E_clISt17integral_constantIbLb1EESW_EEDaSR_SS_EUlSR_E_NS1_11comp_targetILNS1_3genE0ELNS1_11target_archE4294967295ELNS1_3gpuE0ELNS1_3repE0EEENS1_30default_config_static_selectorELNS0_4arch9wavefront6targetE1EEEvT1_,@function
_ZN7rocprim17ROCPRIM_400000_NS6detail17trampoline_kernelINS0_14default_configENS1_20scan_config_selectorIfEEZZNS1_9scan_implILNS1_25lookback_scan_determinismE0ELb0ELb0ES3_PKfPffZZZN2at6native31launch_logcumsumexp_cuda_kernelERKNSB_10TensorBaseESF_lENKUlvE_clEvENKUlvE0_clEvEUlffE_fEEDaPvRmT3_T4_T5_mT6_P12ihipStream_tbENKUlT_T0_E_clISt17integral_constantIbLb1EESW_EEDaSR_SS_EUlSR_E_NS1_11comp_targetILNS1_3genE0ELNS1_11target_archE4294967295ELNS1_3gpuE0ELNS1_3repE0EEENS1_30default_config_static_selectorELNS0_4arch9wavefront6targetE1EEEvT1_: ; @_ZN7rocprim17ROCPRIM_400000_NS6detail17trampoline_kernelINS0_14default_configENS1_20scan_config_selectorIfEEZZNS1_9scan_implILNS1_25lookback_scan_determinismE0ELb0ELb0ES3_PKfPffZZZN2at6native31launch_logcumsumexp_cuda_kernelERKNSB_10TensorBaseESF_lENKUlvE_clEvENKUlvE0_clEvEUlffE_fEEDaPvRmT3_T4_T5_mT6_P12ihipStream_tbENKUlT_T0_E_clISt17integral_constantIbLb1EESW_EEDaSR_SS_EUlSR_E_NS1_11comp_targetILNS1_3genE0ELNS1_11target_archE4294967295ELNS1_3gpuE0ELNS1_3repE0EEENS1_30default_config_static_selectorELNS0_4arch9wavefront6targetE1EEEvT1_
; %bb.0:
	.section	.rodata,"a",@progbits
	.p2align	6, 0x0
	.amdhsa_kernel _ZN7rocprim17ROCPRIM_400000_NS6detail17trampoline_kernelINS0_14default_configENS1_20scan_config_selectorIfEEZZNS1_9scan_implILNS1_25lookback_scan_determinismE0ELb0ELb0ES3_PKfPffZZZN2at6native31launch_logcumsumexp_cuda_kernelERKNSB_10TensorBaseESF_lENKUlvE_clEvENKUlvE0_clEvEUlffE_fEEDaPvRmT3_T4_T5_mT6_P12ihipStream_tbENKUlT_T0_E_clISt17integral_constantIbLb1EESW_EEDaSR_SS_EUlSR_E_NS1_11comp_targetILNS1_3genE0ELNS1_11target_archE4294967295ELNS1_3gpuE0ELNS1_3repE0EEENS1_30default_config_static_selectorELNS0_4arch9wavefront6targetE1EEEvT1_
		.amdhsa_group_segment_fixed_size 0
		.amdhsa_private_segment_fixed_size 0
		.amdhsa_kernarg_size 96
		.amdhsa_user_sgpr_count 6
		.amdhsa_user_sgpr_private_segment_buffer 1
		.amdhsa_user_sgpr_dispatch_ptr 0
		.amdhsa_user_sgpr_queue_ptr 0
		.amdhsa_user_sgpr_kernarg_segment_ptr 1
		.amdhsa_user_sgpr_dispatch_id 0
		.amdhsa_user_sgpr_flat_scratch_init 0
		.amdhsa_user_sgpr_private_segment_size 0
		.amdhsa_uses_dynamic_stack 0
		.amdhsa_system_sgpr_private_segment_wavefront_offset 0
		.amdhsa_system_sgpr_workgroup_id_x 1
		.amdhsa_system_sgpr_workgroup_id_y 0
		.amdhsa_system_sgpr_workgroup_id_z 0
		.amdhsa_system_sgpr_workgroup_info 0
		.amdhsa_system_vgpr_workitem_id 0
		.amdhsa_next_free_vgpr 1
		.amdhsa_next_free_sgpr 0
		.amdhsa_reserve_vcc 0
		.amdhsa_reserve_flat_scratch 0
		.amdhsa_float_round_mode_32 0
		.amdhsa_float_round_mode_16_64 0
		.amdhsa_float_denorm_mode_32 3
		.amdhsa_float_denorm_mode_16_64 3
		.amdhsa_dx10_clamp 1
		.amdhsa_ieee_mode 1
		.amdhsa_fp16_overflow 0
		.amdhsa_exception_fp_ieee_invalid_op 0
		.amdhsa_exception_fp_denorm_src 0
		.amdhsa_exception_fp_ieee_div_zero 0
		.amdhsa_exception_fp_ieee_overflow 0
		.amdhsa_exception_fp_ieee_underflow 0
		.amdhsa_exception_fp_ieee_inexact 0
		.amdhsa_exception_int_div_zero 0
	.end_amdhsa_kernel
	.section	.text._ZN7rocprim17ROCPRIM_400000_NS6detail17trampoline_kernelINS0_14default_configENS1_20scan_config_selectorIfEEZZNS1_9scan_implILNS1_25lookback_scan_determinismE0ELb0ELb0ES3_PKfPffZZZN2at6native31launch_logcumsumexp_cuda_kernelERKNSB_10TensorBaseESF_lENKUlvE_clEvENKUlvE0_clEvEUlffE_fEEDaPvRmT3_T4_T5_mT6_P12ihipStream_tbENKUlT_T0_E_clISt17integral_constantIbLb1EESW_EEDaSR_SS_EUlSR_E_NS1_11comp_targetILNS1_3genE0ELNS1_11target_archE4294967295ELNS1_3gpuE0ELNS1_3repE0EEENS1_30default_config_static_selectorELNS0_4arch9wavefront6targetE1EEEvT1_,"axG",@progbits,_ZN7rocprim17ROCPRIM_400000_NS6detail17trampoline_kernelINS0_14default_configENS1_20scan_config_selectorIfEEZZNS1_9scan_implILNS1_25lookback_scan_determinismE0ELb0ELb0ES3_PKfPffZZZN2at6native31launch_logcumsumexp_cuda_kernelERKNSB_10TensorBaseESF_lENKUlvE_clEvENKUlvE0_clEvEUlffE_fEEDaPvRmT3_T4_T5_mT6_P12ihipStream_tbENKUlT_T0_E_clISt17integral_constantIbLb1EESW_EEDaSR_SS_EUlSR_E_NS1_11comp_targetILNS1_3genE0ELNS1_11target_archE4294967295ELNS1_3gpuE0ELNS1_3repE0EEENS1_30default_config_static_selectorELNS0_4arch9wavefront6targetE1EEEvT1_,comdat
.Lfunc_end115:
	.size	_ZN7rocprim17ROCPRIM_400000_NS6detail17trampoline_kernelINS0_14default_configENS1_20scan_config_selectorIfEEZZNS1_9scan_implILNS1_25lookback_scan_determinismE0ELb0ELb0ES3_PKfPffZZZN2at6native31launch_logcumsumexp_cuda_kernelERKNSB_10TensorBaseESF_lENKUlvE_clEvENKUlvE0_clEvEUlffE_fEEDaPvRmT3_T4_T5_mT6_P12ihipStream_tbENKUlT_T0_E_clISt17integral_constantIbLb1EESW_EEDaSR_SS_EUlSR_E_NS1_11comp_targetILNS1_3genE0ELNS1_11target_archE4294967295ELNS1_3gpuE0ELNS1_3repE0EEENS1_30default_config_static_selectorELNS0_4arch9wavefront6targetE1EEEvT1_, .Lfunc_end115-_ZN7rocprim17ROCPRIM_400000_NS6detail17trampoline_kernelINS0_14default_configENS1_20scan_config_selectorIfEEZZNS1_9scan_implILNS1_25lookback_scan_determinismE0ELb0ELb0ES3_PKfPffZZZN2at6native31launch_logcumsumexp_cuda_kernelERKNSB_10TensorBaseESF_lENKUlvE_clEvENKUlvE0_clEvEUlffE_fEEDaPvRmT3_T4_T5_mT6_P12ihipStream_tbENKUlT_T0_E_clISt17integral_constantIbLb1EESW_EEDaSR_SS_EUlSR_E_NS1_11comp_targetILNS1_3genE0ELNS1_11target_archE4294967295ELNS1_3gpuE0ELNS1_3repE0EEENS1_30default_config_static_selectorELNS0_4arch9wavefront6targetE1EEEvT1_
                                        ; -- End function
	.set _ZN7rocprim17ROCPRIM_400000_NS6detail17trampoline_kernelINS0_14default_configENS1_20scan_config_selectorIfEEZZNS1_9scan_implILNS1_25lookback_scan_determinismE0ELb0ELb0ES3_PKfPffZZZN2at6native31launch_logcumsumexp_cuda_kernelERKNSB_10TensorBaseESF_lENKUlvE_clEvENKUlvE0_clEvEUlffE_fEEDaPvRmT3_T4_T5_mT6_P12ihipStream_tbENKUlT_T0_E_clISt17integral_constantIbLb1EESW_EEDaSR_SS_EUlSR_E_NS1_11comp_targetILNS1_3genE0ELNS1_11target_archE4294967295ELNS1_3gpuE0ELNS1_3repE0EEENS1_30default_config_static_selectorELNS0_4arch9wavefront6targetE1EEEvT1_.num_vgpr, 0
	.set _ZN7rocprim17ROCPRIM_400000_NS6detail17trampoline_kernelINS0_14default_configENS1_20scan_config_selectorIfEEZZNS1_9scan_implILNS1_25lookback_scan_determinismE0ELb0ELb0ES3_PKfPffZZZN2at6native31launch_logcumsumexp_cuda_kernelERKNSB_10TensorBaseESF_lENKUlvE_clEvENKUlvE0_clEvEUlffE_fEEDaPvRmT3_T4_T5_mT6_P12ihipStream_tbENKUlT_T0_E_clISt17integral_constantIbLb1EESW_EEDaSR_SS_EUlSR_E_NS1_11comp_targetILNS1_3genE0ELNS1_11target_archE4294967295ELNS1_3gpuE0ELNS1_3repE0EEENS1_30default_config_static_selectorELNS0_4arch9wavefront6targetE1EEEvT1_.num_agpr, 0
	.set _ZN7rocprim17ROCPRIM_400000_NS6detail17trampoline_kernelINS0_14default_configENS1_20scan_config_selectorIfEEZZNS1_9scan_implILNS1_25lookback_scan_determinismE0ELb0ELb0ES3_PKfPffZZZN2at6native31launch_logcumsumexp_cuda_kernelERKNSB_10TensorBaseESF_lENKUlvE_clEvENKUlvE0_clEvEUlffE_fEEDaPvRmT3_T4_T5_mT6_P12ihipStream_tbENKUlT_T0_E_clISt17integral_constantIbLb1EESW_EEDaSR_SS_EUlSR_E_NS1_11comp_targetILNS1_3genE0ELNS1_11target_archE4294967295ELNS1_3gpuE0ELNS1_3repE0EEENS1_30default_config_static_selectorELNS0_4arch9wavefront6targetE1EEEvT1_.numbered_sgpr, 0
	.set _ZN7rocprim17ROCPRIM_400000_NS6detail17trampoline_kernelINS0_14default_configENS1_20scan_config_selectorIfEEZZNS1_9scan_implILNS1_25lookback_scan_determinismE0ELb0ELb0ES3_PKfPffZZZN2at6native31launch_logcumsumexp_cuda_kernelERKNSB_10TensorBaseESF_lENKUlvE_clEvENKUlvE0_clEvEUlffE_fEEDaPvRmT3_T4_T5_mT6_P12ihipStream_tbENKUlT_T0_E_clISt17integral_constantIbLb1EESW_EEDaSR_SS_EUlSR_E_NS1_11comp_targetILNS1_3genE0ELNS1_11target_archE4294967295ELNS1_3gpuE0ELNS1_3repE0EEENS1_30default_config_static_selectorELNS0_4arch9wavefront6targetE1EEEvT1_.num_named_barrier, 0
	.set _ZN7rocprim17ROCPRIM_400000_NS6detail17trampoline_kernelINS0_14default_configENS1_20scan_config_selectorIfEEZZNS1_9scan_implILNS1_25lookback_scan_determinismE0ELb0ELb0ES3_PKfPffZZZN2at6native31launch_logcumsumexp_cuda_kernelERKNSB_10TensorBaseESF_lENKUlvE_clEvENKUlvE0_clEvEUlffE_fEEDaPvRmT3_T4_T5_mT6_P12ihipStream_tbENKUlT_T0_E_clISt17integral_constantIbLb1EESW_EEDaSR_SS_EUlSR_E_NS1_11comp_targetILNS1_3genE0ELNS1_11target_archE4294967295ELNS1_3gpuE0ELNS1_3repE0EEENS1_30default_config_static_selectorELNS0_4arch9wavefront6targetE1EEEvT1_.private_seg_size, 0
	.set _ZN7rocprim17ROCPRIM_400000_NS6detail17trampoline_kernelINS0_14default_configENS1_20scan_config_selectorIfEEZZNS1_9scan_implILNS1_25lookback_scan_determinismE0ELb0ELb0ES3_PKfPffZZZN2at6native31launch_logcumsumexp_cuda_kernelERKNSB_10TensorBaseESF_lENKUlvE_clEvENKUlvE0_clEvEUlffE_fEEDaPvRmT3_T4_T5_mT6_P12ihipStream_tbENKUlT_T0_E_clISt17integral_constantIbLb1EESW_EEDaSR_SS_EUlSR_E_NS1_11comp_targetILNS1_3genE0ELNS1_11target_archE4294967295ELNS1_3gpuE0ELNS1_3repE0EEENS1_30default_config_static_selectorELNS0_4arch9wavefront6targetE1EEEvT1_.uses_vcc, 0
	.set _ZN7rocprim17ROCPRIM_400000_NS6detail17trampoline_kernelINS0_14default_configENS1_20scan_config_selectorIfEEZZNS1_9scan_implILNS1_25lookback_scan_determinismE0ELb0ELb0ES3_PKfPffZZZN2at6native31launch_logcumsumexp_cuda_kernelERKNSB_10TensorBaseESF_lENKUlvE_clEvENKUlvE0_clEvEUlffE_fEEDaPvRmT3_T4_T5_mT6_P12ihipStream_tbENKUlT_T0_E_clISt17integral_constantIbLb1EESW_EEDaSR_SS_EUlSR_E_NS1_11comp_targetILNS1_3genE0ELNS1_11target_archE4294967295ELNS1_3gpuE0ELNS1_3repE0EEENS1_30default_config_static_selectorELNS0_4arch9wavefront6targetE1EEEvT1_.uses_flat_scratch, 0
	.set _ZN7rocprim17ROCPRIM_400000_NS6detail17trampoline_kernelINS0_14default_configENS1_20scan_config_selectorIfEEZZNS1_9scan_implILNS1_25lookback_scan_determinismE0ELb0ELb0ES3_PKfPffZZZN2at6native31launch_logcumsumexp_cuda_kernelERKNSB_10TensorBaseESF_lENKUlvE_clEvENKUlvE0_clEvEUlffE_fEEDaPvRmT3_T4_T5_mT6_P12ihipStream_tbENKUlT_T0_E_clISt17integral_constantIbLb1EESW_EEDaSR_SS_EUlSR_E_NS1_11comp_targetILNS1_3genE0ELNS1_11target_archE4294967295ELNS1_3gpuE0ELNS1_3repE0EEENS1_30default_config_static_selectorELNS0_4arch9wavefront6targetE1EEEvT1_.has_dyn_sized_stack, 0
	.set _ZN7rocprim17ROCPRIM_400000_NS6detail17trampoline_kernelINS0_14default_configENS1_20scan_config_selectorIfEEZZNS1_9scan_implILNS1_25lookback_scan_determinismE0ELb0ELb0ES3_PKfPffZZZN2at6native31launch_logcumsumexp_cuda_kernelERKNSB_10TensorBaseESF_lENKUlvE_clEvENKUlvE0_clEvEUlffE_fEEDaPvRmT3_T4_T5_mT6_P12ihipStream_tbENKUlT_T0_E_clISt17integral_constantIbLb1EESW_EEDaSR_SS_EUlSR_E_NS1_11comp_targetILNS1_3genE0ELNS1_11target_archE4294967295ELNS1_3gpuE0ELNS1_3repE0EEENS1_30default_config_static_selectorELNS0_4arch9wavefront6targetE1EEEvT1_.has_recursion, 0
	.set _ZN7rocprim17ROCPRIM_400000_NS6detail17trampoline_kernelINS0_14default_configENS1_20scan_config_selectorIfEEZZNS1_9scan_implILNS1_25lookback_scan_determinismE0ELb0ELb0ES3_PKfPffZZZN2at6native31launch_logcumsumexp_cuda_kernelERKNSB_10TensorBaseESF_lENKUlvE_clEvENKUlvE0_clEvEUlffE_fEEDaPvRmT3_T4_T5_mT6_P12ihipStream_tbENKUlT_T0_E_clISt17integral_constantIbLb1EESW_EEDaSR_SS_EUlSR_E_NS1_11comp_targetILNS1_3genE0ELNS1_11target_archE4294967295ELNS1_3gpuE0ELNS1_3repE0EEENS1_30default_config_static_selectorELNS0_4arch9wavefront6targetE1EEEvT1_.has_indirect_call, 0
	.section	.AMDGPU.csdata,"",@progbits
; Kernel info:
; codeLenInByte = 0
; TotalNumSgprs: 4
; NumVgprs: 0
; ScratchSize: 0
; MemoryBound: 0
; FloatMode: 240
; IeeeMode: 1
; LDSByteSize: 0 bytes/workgroup (compile time only)
; SGPRBlocks: 0
; VGPRBlocks: 0
; NumSGPRsForWavesPerEU: 4
; NumVGPRsForWavesPerEU: 1
; Occupancy: 10
; WaveLimiterHint : 0
; COMPUTE_PGM_RSRC2:SCRATCH_EN: 0
; COMPUTE_PGM_RSRC2:USER_SGPR: 6
; COMPUTE_PGM_RSRC2:TRAP_HANDLER: 0
; COMPUTE_PGM_RSRC2:TGID_X_EN: 1
; COMPUTE_PGM_RSRC2:TGID_Y_EN: 0
; COMPUTE_PGM_RSRC2:TGID_Z_EN: 0
; COMPUTE_PGM_RSRC2:TIDIG_COMP_CNT: 0
	.section	.text._ZN7rocprim17ROCPRIM_400000_NS6detail17trampoline_kernelINS0_14default_configENS1_20scan_config_selectorIfEEZZNS1_9scan_implILNS1_25lookback_scan_determinismE0ELb0ELb0ES3_PKfPffZZZN2at6native31launch_logcumsumexp_cuda_kernelERKNSB_10TensorBaseESF_lENKUlvE_clEvENKUlvE0_clEvEUlffE_fEEDaPvRmT3_T4_T5_mT6_P12ihipStream_tbENKUlT_T0_E_clISt17integral_constantIbLb1EESW_EEDaSR_SS_EUlSR_E_NS1_11comp_targetILNS1_3genE5ELNS1_11target_archE942ELNS1_3gpuE9ELNS1_3repE0EEENS1_30default_config_static_selectorELNS0_4arch9wavefront6targetE1EEEvT1_,"axG",@progbits,_ZN7rocprim17ROCPRIM_400000_NS6detail17trampoline_kernelINS0_14default_configENS1_20scan_config_selectorIfEEZZNS1_9scan_implILNS1_25lookback_scan_determinismE0ELb0ELb0ES3_PKfPffZZZN2at6native31launch_logcumsumexp_cuda_kernelERKNSB_10TensorBaseESF_lENKUlvE_clEvENKUlvE0_clEvEUlffE_fEEDaPvRmT3_T4_T5_mT6_P12ihipStream_tbENKUlT_T0_E_clISt17integral_constantIbLb1EESW_EEDaSR_SS_EUlSR_E_NS1_11comp_targetILNS1_3genE5ELNS1_11target_archE942ELNS1_3gpuE9ELNS1_3repE0EEENS1_30default_config_static_selectorELNS0_4arch9wavefront6targetE1EEEvT1_,comdat
	.globl	_ZN7rocprim17ROCPRIM_400000_NS6detail17trampoline_kernelINS0_14default_configENS1_20scan_config_selectorIfEEZZNS1_9scan_implILNS1_25lookback_scan_determinismE0ELb0ELb0ES3_PKfPffZZZN2at6native31launch_logcumsumexp_cuda_kernelERKNSB_10TensorBaseESF_lENKUlvE_clEvENKUlvE0_clEvEUlffE_fEEDaPvRmT3_T4_T5_mT6_P12ihipStream_tbENKUlT_T0_E_clISt17integral_constantIbLb1EESW_EEDaSR_SS_EUlSR_E_NS1_11comp_targetILNS1_3genE5ELNS1_11target_archE942ELNS1_3gpuE9ELNS1_3repE0EEENS1_30default_config_static_selectorELNS0_4arch9wavefront6targetE1EEEvT1_ ; -- Begin function _ZN7rocprim17ROCPRIM_400000_NS6detail17trampoline_kernelINS0_14default_configENS1_20scan_config_selectorIfEEZZNS1_9scan_implILNS1_25lookback_scan_determinismE0ELb0ELb0ES3_PKfPffZZZN2at6native31launch_logcumsumexp_cuda_kernelERKNSB_10TensorBaseESF_lENKUlvE_clEvENKUlvE0_clEvEUlffE_fEEDaPvRmT3_T4_T5_mT6_P12ihipStream_tbENKUlT_T0_E_clISt17integral_constantIbLb1EESW_EEDaSR_SS_EUlSR_E_NS1_11comp_targetILNS1_3genE5ELNS1_11target_archE942ELNS1_3gpuE9ELNS1_3repE0EEENS1_30default_config_static_selectorELNS0_4arch9wavefront6targetE1EEEvT1_
	.p2align	8
	.type	_ZN7rocprim17ROCPRIM_400000_NS6detail17trampoline_kernelINS0_14default_configENS1_20scan_config_selectorIfEEZZNS1_9scan_implILNS1_25lookback_scan_determinismE0ELb0ELb0ES3_PKfPffZZZN2at6native31launch_logcumsumexp_cuda_kernelERKNSB_10TensorBaseESF_lENKUlvE_clEvENKUlvE0_clEvEUlffE_fEEDaPvRmT3_T4_T5_mT6_P12ihipStream_tbENKUlT_T0_E_clISt17integral_constantIbLb1EESW_EEDaSR_SS_EUlSR_E_NS1_11comp_targetILNS1_3genE5ELNS1_11target_archE942ELNS1_3gpuE9ELNS1_3repE0EEENS1_30default_config_static_selectorELNS0_4arch9wavefront6targetE1EEEvT1_,@function
_ZN7rocprim17ROCPRIM_400000_NS6detail17trampoline_kernelINS0_14default_configENS1_20scan_config_selectorIfEEZZNS1_9scan_implILNS1_25lookback_scan_determinismE0ELb0ELb0ES3_PKfPffZZZN2at6native31launch_logcumsumexp_cuda_kernelERKNSB_10TensorBaseESF_lENKUlvE_clEvENKUlvE0_clEvEUlffE_fEEDaPvRmT3_T4_T5_mT6_P12ihipStream_tbENKUlT_T0_E_clISt17integral_constantIbLb1EESW_EEDaSR_SS_EUlSR_E_NS1_11comp_targetILNS1_3genE5ELNS1_11target_archE942ELNS1_3gpuE9ELNS1_3repE0EEENS1_30default_config_static_selectorELNS0_4arch9wavefront6targetE1EEEvT1_: ; @_ZN7rocprim17ROCPRIM_400000_NS6detail17trampoline_kernelINS0_14default_configENS1_20scan_config_selectorIfEEZZNS1_9scan_implILNS1_25lookback_scan_determinismE0ELb0ELb0ES3_PKfPffZZZN2at6native31launch_logcumsumexp_cuda_kernelERKNSB_10TensorBaseESF_lENKUlvE_clEvENKUlvE0_clEvEUlffE_fEEDaPvRmT3_T4_T5_mT6_P12ihipStream_tbENKUlT_T0_E_clISt17integral_constantIbLb1EESW_EEDaSR_SS_EUlSR_E_NS1_11comp_targetILNS1_3genE5ELNS1_11target_archE942ELNS1_3gpuE9ELNS1_3repE0EEENS1_30default_config_static_selectorELNS0_4arch9wavefront6targetE1EEEvT1_
; %bb.0:
	.section	.rodata,"a",@progbits
	.p2align	6, 0x0
	.amdhsa_kernel _ZN7rocprim17ROCPRIM_400000_NS6detail17trampoline_kernelINS0_14default_configENS1_20scan_config_selectorIfEEZZNS1_9scan_implILNS1_25lookback_scan_determinismE0ELb0ELb0ES3_PKfPffZZZN2at6native31launch_logcumsumexp_cuda_kernelERKNSB_10TensorBaseESF_lENKUlvE_clEvENKUlvE0_clEvEUlffE_fEEDaPvRmT3_T4_T5_mT6_P12ihipStream_tbENKUlT_T0_E_clISt17integral_constantIbLb1EESW_EEDaSR_SS_EUlSR_E_NS1_11comp_targetILNS1_3genE5ELNS1_11target_archE942ELNS1_3gpuE9ELNS1_3repE0EEENS1_30default_config_static_selectorELNS0_4arch9wavefront6targetE1EEEvT1_
		.amdhsa_group_segment_fixed_size 0
		.amdhsa_private_segment_fixed_size 0
		.amdhsa_kernarg_size 96
		.amdhsa_user_sgpr_count 6
		.amdhsa_user_sgpr_private_segment_buffer 1
		.amdhsa_user_sgpr_dispatch_ptr 0
		.amdhsa_user_sgpr_queue_ptr 0
		.amdhsa_user_sgpr_kernarg_segment_ptr 1
		.amdhsa_user_sgpr_dispatch_id 0
		.amdhsa_user_sgpr_flat_scratch_init 0
		.amdhsa_user_sgpr_private_segment_size 0
		.amdhsa_uses_dynamic_stack 0
		.amdhsa_system_sgpr_private_segment_wavefront_offset 0
		.amdhsa_system_sgpr_workgroup_id_x 1
		.amdhsa_system_sgpr_workgroup_id_y 0
		.amdhsa_system_sgpr_workgroup_id_z 0
		.amdhsa_system_sgpr_workgroup_info 0
		.amdhsa_system_vgpr_workitem_id 0
		.amdhsa_next_free_vgpr 1
		.amdhsa_next_free_sgpr 0
		.amdhsa_reserve_vcc 0
		.amdhsa_reserve_flat_scratch 0
		.amdhsa_float_round_mode_32 0
		.amdhsa_float_round_mode_16_64 0
		.amdhsa_float_denorm_mode_32 3
		.amdhsa_float_denorm_mode_16_64 3
		.amdhsa_dx10_clamp 1
		.amdhsa_ieee_mode 1
		.amdhsa_fp16_overflow 0
		.amdhsa_exception_fp_ieee_invalid_op 0
		.amdhsa_exception_fp_denorm_src 0
		.amdhsa_exception_fp_ieee_div_zero 0
		.amdhsa_exception_fp_ieee_overflow 0
		.amdhsa_exception_fp_ieee_underflow 0
		.amdhsa_exception_fp_ieee_inexact 0
		.amdhsa_exception_int_div_zero 0
	.end_amdhsa_kernel
	.section	.text._ZN7rocprim17ROCPRIM_400000_NS6detail17trampoline_kernelINS0_14default_configENS1_20scan_config_selectorIfEEZZNS1_9scan_implILNS1_25lookback_scan_determinismE0ELb0ELb0ES3_PKfPffZZZN2at6native31launch_logcumsumexp_cuda_kernelERKNSB_10TensorBaseESF_lENKUlvE_clEvENKUlvE0_clEvEUlffE_fEEDaPvRmT3_T4_T5_mT6_P12ihipStream_tbENKUlT_T0_E_clISt17integral_constantIbLb1EESW_EEDaSR_SS_EUlSR_E_NS1_11comp_targetILNS1_3genE5ELNS1_11target_archE942ELNS1_3gpuE9ELNS1_3repE0EEENS1_30default_config_static_selectorELNS0_4arch9wavefront6targetE1EEEvT1_,"axG",@progbits,_ZN7rocprim17ROCPRIM_400000_NS6detail17trampoline_kernelINS0_14default_configENS1_20scan_config_selectorIfEEZZNS1_9scan_implILNS1_25lookback_scan_determinismE0ELb0ELb0ES3_PKfPffZZZN2at6native31launch_logcumsumexp_cuda_kernelERKNSB_10TensorBaseESF_lENKUlvE_clEvENKUlvE0_clEvEUlffE_fEEDaPvRmT3_T4_T5_mT6_P12ihipStream_tbENKUlT_T0_E_clISt17integral_constantIbLb1EESW_EEDaSR_SS_EUlSR_E_NS1_11comp_targetILNS1_3genE5ELNS1_11target_archE942ELNS1_3gpuE9ELNS1_3repE0EEENS1_30default_config_static_selectorELNS0_4arch9wavefront6targetE1EEEvT1_,comdat
.Lfunc_end116:
	.size	_ZN7rocprim17ROCPRIM_400000_NS6detail17trampoline_kernelINS0_14default_configENS1_20scan_config_selectorIfEEZZNS1_9scan_implILNS1_25lookback_scan_determinismE0ELb0ELb0ES3_PKfPffZZZN2at6native31launch_logcumsumexp_cuda_kernelERKNSB_10TensorBaseESF_lENKUlvE_clEvENKUlvE0_clEvEUlffE_fEEDaPvRmT3_T4_T5_mT6_P12ihipStream_tbENKUlT_T0_E_clISt17integral_constantIbLb1EESW_EEDaSR_SS_EUlSR_E_NS1_11comp_targetILNS1_3genE5ELNS1_11target_archE942ELNS1_3gpuE9ELNS1_3repE0EEENS1_30default_config_static_selectorELNS0_4arch9wavefront6targetE1EEEvT1_, .Lfunc_end116-_ZN7rocprim17ROCPRIM_400000_NS6detail17trampoline_kernelINS0_14default_configENS1_20scan_config_selectorIfEEZZNS1_9scan_implILNS1_25lookback_scan_determinismE0ELb0ELb0ES3_PKfPffZZZN2at6native31launch_logcumsumexp_cuda_kernelERKNSB_10TensorBaseESF_lENKUlvE_clEvENKUlvE0_clEvEUlffE_fEEDaPvRmT3_T4_T5_mT6_P12ihipStream_tbENKUlT_T0_E_clISt17integral_constantIbLb1EESW_EEDaSR_SS_EUlSR_E_NS1_11comp_targetILNS1_3genE5ELNS1_11target_archE942ELNS1_3gpuE9ELNS1_3repE0EEENS1_30default_config_static_selectorELNS0_4arch9wavefront6targetE1EEEvT1_
                                        ; -- End function
	.set _ZN7rocprim17ROCPRIM_400000_NS6detail17trampoline_kernelINS0_14default_configENS1_20scan_config_selectorIfEEZZNS1_9scan_implILNS1_25lookback_scan_determinismE0ELb0ELb0ES3_PKfPffZZZN2at6native31launch_logcumsumexp_cuda_kernelERKNSB_10TensorBaseESF_lENKUlvE_clEvENKUlvE0_clEvEUlffE_fEEDaPvRmT3_T4_T5_mT6_P12ihipStream_tbENKUlT_T0_E_clISt17integral_constantIbLb1EESW_EEDaSR_SS_EUlSR_E_NS1_11comp_targetILNS1_3genE5ELNS1_11target_archE942ELNS1_3gpuE9ELNS1_3repE0EEENS1_30default_config_static_selectorELNS0_4arch9wavefront6targetE1EEEvT1_.num_vgpr, 0
	.set _ZN7rocprim17ROCPRIM_400000_NS6detail17trampoline_kernelINS0_14default_configENS1_20scan_config_selectorIfEEZZNS1_9scan_implILNS1_25lookback_scan_determinismE0ELb0ELb0ES3_PKfPffZZZN2at6native31launch_logcumsumexp_cuda_kernelERKNSB_10TensorBaseESF_lENKUlvE_clEvENKUlvE0_clEvEUlffE_fEEDaPvRmT3_T4_T5_mT6_P12ihipStream_tbENKUlT_T0_E_clISt17integral_constantIbLb1EESW_EEDaSR_SS_EUlSR_E_NS1_11comp_targetILNS1_3genE5ELNS1_11target_archE942ELNS1_3gpuE9ELNS1_3repE0EEENS1_30default_config_static_selectorELNS0_4arch9wavefront6targetE1EEEvT1_.num_agpr, 0
	.set _ZN7rocprim17ROCPRIM_400000_NS6detail17trampoline_kernelINS0_14default_configENS1_20scan_config_selectorIfEEZZNS1_9scan_implILNS1_25lookback_scan_determinismE0ELb0ELb0ES3_PKfPffZZZN2at6native31launch_logcumsumexp_cuda_kernelERKNSB_10TensorBaseESF_lENKUlvE_clEvENKUlvE0_clEvEUlffE_fEEDaPvRmT3_T4_T5_mT6_P12ihipStream_tbENKUlT_T0_E_clISt17integral_constantIbLb1EESW_EEDaSR_SS_EUlSR_E_NS1_11comp_targetILNS1_3genE5ELNS1_11target_archE942ELNS1_3gpuE9ELNS1_3repE0EEENS1_30default_config_static_selectorELNS0_4arch9wavefront6targetE1EEEvT1_.numbered_sgpr, 0
	.set _ZN7rocprim17ROCPRIM_400000_NS6detail17trampoline_kernelINS0_14default_configENS1_20scan_config_selectorIfEEZZNS1_9scan_implILNS1_25lookback_scan_determinismE0ELb0ELb0ES3_PKfPffZZZN2at6native31launch_logcumsumexp_cuda_kernelERKNSB_10TensorBaseESF_lENKUlvE_clEvENKUlvE0_clEvEUlffE_fEEDaPvRmT3_T4_T5_mT6_P12ihipStream_tbENKUlT_T0_E_clISt17integral_constantIbLb1EESW_EEDaSR_SS_EUlSR_E_NS1_11comp_targetILNS1_3genE5ELNS1_11target_archE942ELNS1_3gpuE9ELNS1_3repE0EEENS1_30default_config_static_selectorELNS0_4arch9wavefront6targetE1EEEvT1_.num_named_barrier, 0
	.set _ZN7rocprim17ROCPRIM_400000_NS6detail17trampoline_kernelINS0_14default_configENS1_20scan_config_selectorIfEEZZNS1_9scan_implILNS1_25lookback_scan_determinismE0ELb0ELb0ES3_PKfPffZZZN2at6native31launch_logcumsumexp_cuda_kernelERKNSB_10TensorBaseESF_lENKUlvE_clEvENKUlvE0_clEvEUlffE_fEEDaPvRmT3_T4_T5_mT6_P12ihipStream_tbENKUlT_T0_E_clISt17integral_constantIbLb1EESW_EEDaSR_SS_EUlSR_E_NS1_11comp_targetILNS1_3genE5ELNS1_11target_archE942ELNS1_3gpuE9ELNS1_3repE0EEENS1_30default_config_static_selectorELNS0_4arch9wavefront6targetE1EEEvT1_.private_seg_size, 0
	.set _ZN7rocprim17ROCPRIM_400000_NS6detail17trampoline_kernelINS0_14default_configENS1_20scan_config_selectorIfEEZZNS1_9scan_implILNS1_25lookback_scan_determinismE0ELb0ELb0ES3_PKfPffZZZN2at6native31launch_logcumsumexp_cuda_kernelERKNSB_10TensorBaseESF_lENKUlvE_clEvENKUlvE0_clEvEUlffE_fEEDaPvRmT3_T4_T5_mT6_P12ihipStream_tbENKUlT_T0_E_clISt17integral_constantIbLb1EESW_EEDaSR_SS_EUlSR_E_NS1_11comp_targetILNS1_3genE5ELNS1_11target_archE942ELNS1_3gpuE9ELNS1_3repE0EEENS1_30default_config_static_selectorELNS0_4arch9wavefront6targetE1EEEvT1_.uses_vcc, 0
	.set _ZN7rocprim17ROCPRIM_400000_NS6detail17trampoline_kernelINS0_14default_configENS1_20scan_config_selectorIfEEZZNS1_9scan_implILNS1_25lookback_scan_determinismE0ELb0ELb0ES3_PKfPffZZZN2at6native31launch_logcumsumexp_cuda_kernelERKNSB_10TensorBaseESF_lENKUlvE_clEvENKUlvE0_clEvEUlffE_fEEDaPvRmT3_T4_T5_mT6_P12ihipStream_tbENKUlT_T0_E_clISt17integral_constantIbLb1EESW_EEDaSR_SS_EUlSR_E_NS1_11comp_targetILNS1_3genE5ELNS1_11target_archE942ELNS1_3gpuE9ELNS1_3repE0EEENS1_30default_config_static_selectorELNS0_4arch9wavefront6targetE1EEEvT1_.uses_flat_scratch, 0
	.set _ZN7rocprim17ROCPRIM_400000_NS6detail17trampoline_kernelINS0_14default_configENS1_20scan_config_selectorIfEEZZNS1_9scan_implILNS1_25lookback_scan_determinismE0ELb0ELb0ES3_PKfPffZZZN2at6native31launch_logcumsumexp_cuda_kernelERKNSB_10TensorBaseESF_lENKUlvE_clEvENKUlvE0_clEvEUlffE_fEEDaPvRmT3_T4_T5_mT6_P12ihipStream_tbENKUlT_T0_E_clISt17integral_constantIbLb1EESW_EEDaSR_SS_EUlSR_E_NS1_11comp_targetILNS1_3genE5ELNS1_11target_archE942ELNS1_3gpuE9ELNS1_3repE0EEENS1_30default_config_static_selectorELNS0_4arch9wavefront6targetE1EEEvT1_.has_dyn_sized_stack, 0
	.set _ZN7rocprim17ROCPRIM_400000_NS6detail17trampoline_kernelINS0_14default_configENS1_20scan_config_selectorIfEEZZNS1_9scan_implILNS1_25lookback_scan_determinismE0ELb0ELb0ES3_PKfPffZZZN2at6native31launch_logcumsumexp_cuda_kernelERKNSB_10TensorBaseESF_lENKUlvE_clEvENKUlvE0_clEvEUlffE_fEEDaPvRmT3_T4_T5_mT6_P12ihipStream_tbENKUlT_T0_E_clISt17integral_constantIbLb1EESW_EEDaSR_SS_EUlSR_E_NS1_11comp_targetILNS1_3genE5ELNS1_11target_archE942ELNS1_3gpuE9ELNS1_3repE0EEENS1_30default_config_static_selectorELNS0_4arch9wavefront6targetE1EEEvT1_.has_recursion, 0
	.set _ZN7rocprim17ROCPRIM_400000_NS6detail17trampoline_kernelINS0_14default_configENS1_20scan_config_selectorIfEEZZNS1_9scan_implILNS1_25lookback_scan_determinismE0ELb0ELb0ES3_PKfPffZZZN2at6native31launch_logcumsumexp_cuda_kernelERKNSB_10TensorBaseESF_lENKUlvE_clEvENKUlvE0_clEvEUlffE_fEEDaPvRmT3_T4_T5_mT6_P12ihipStream_tbENKUlT_T0_E_clISt17integral_constantIbLb1EESW_EEDaSR_SS_EUlSR_E_NS1_11comp_targetILNS1_3genE5ELNS1_11target_archE942ELNS1_3gpuE9ELNS1_3repE0EEENS1_30default_config_static_selectorELNS0_4arch9wavefront6targetE1EEEvT1_.has_indirect_call, 0
	.section	.AMDGPU.csdata,"",@progbits
; Kernel info:
; codeLenInByte = 0
; TotalNumSgprs: 4
; NumVgprs: 0
; ScratchSize: 0
; MemoryBound: 0
; FloatMode: 240
; IeeeMode: 1
; LDSByteSize: 0 bytes/workgroup (compile time only)
; SGPRBlocks: 0
; VGPRBlocks: 0
; NumSGPRsForWavesPerEU: 4
; NumVGPRsForWavesPerEU: 1
; Occupancy: 10
; WaveLimiterHint : 0
; COMPUTE_PGM_RSRC2:SCRATCH_EN: 0
; COMPUTE_PGM_RSRC2:USER_SGPR: 6
; COMPUTE_PGM_RSRC2:TRAP_HANDLER: 0
; COMPUTE_PGM_RSRC2:TGID_X_EN: 1
; COMPUTE_PGM_RSRC2:TGID_Y_EN: 0
; COMPUTE_PGM_RSRC2:TGID_Z_EN: 0
; COMPUTE_PGM_RSRC2:TIDIG_COMP_CNT: 0
	.section	.text._ZN7rocprim17ROCPRIM_400000_NS6detail17trampoline_kernelINS0_14default_configENS1_20scan_config_selectorIfEEZZNS1_9scan_implILNS1_25lookback_scan_determinismE0ELb0ELb0ES3_PKfPffZZZN2at6native31launch_logcumsumexp_cuda_kernelERKNSB_10TensorBaseESF_lENKUlvE_clEvENKUlvE0_clEvEUlffE_fEEDaPvRmT3_T4_T5_mT6_P12ihipStream_tbENKUlT_T0_E_clISt17integral_constantIbLb1EESW_EEDaSR_SS_EUlSR_E_NS1_11comp_targetILNS1_3genE4ELNS1_11target_archE910ELNS1_3gpuE8ELNS1_3repE0EEENS1_30default_config_static_selectorELNS0_4arch9wavefront6targetE1EEEvT1_,"axG",@progbits,_ZN7rocprim17ROCPRIM_400000_NS6detail17trampoline_kernelINS0_14default_configENS1_20scan_config_selectorIfEEZZNS1_9scan_implILNS1_25lookback_scan_determinismE0ELb0ELb0ES3_PKfPffZZZN2at6native31launch_logcumsumexp_cuda_kernelERKNSB_10TensorBaseESF_lENKUlvE_clEvENKUlvE0_clEvEUlffE_fEEDaPvRmT3_T4_T5_mT6_P12ihipStream_tbENKUlT_T0_E_clISt17integral_constantIbLb1EESW_EEDaSR_SS_EUlSR_E_NS1_11comp_targetILNS1_3genE4ELNS1_11target_archE910ELNS1_3gpuE8ELNS1_3repE0EEENS1_30default_config_static_selectorELNS0_4arch9wavefront6targetE1EEEvT1_,comdat
	.globl	_ZN7rocprim17ROCPRIM_400000_NS6detail17trampoline_kernelINS0_14default_configENS1_20scan_config_selectorIfEEZZNS1_9scan_implILNS1_25lookback_scan_determinismE0ELb0ELb0ES3_PKfPffZZZN2at6native31launch_logcumsumexp_cuda_kernelERKNSB_10TensorBaseESF_lENKUlvE_clEvENKUlvE0_clEvEUlffE_fEEDaPvRmT3_T4_T5_mT6_P12ihipStream_tbENKUlT_T0_E_clISt17integral_constantIbLb1EESW_EEDaSR_SS_EUlSR_E_NS1_11comp_targetILNS1_3genE4ELNS1_11target_archE910ELNS1_3gpuE8ELNS1_3repE0EEENS1_30default_config_static_selectorELNS0_4arch9wavefront6targetE1EEEvT1_ ; -- Begin function _ZN7rocprim17ROCPRIM_400000_NS6detail17trampoline_kernelINS0_14default_configENS1_20scan_config_selectorIfEEZZNS1_9scan_implILNS1_25lookback_scan_determinismE0ELb0ELb0ES3_PKfPffZZZN2at6native31launch_logcumsumexp_cuda_kernelERKNSB_10TensorBaseESF_lENKUlvE_clEvENKUlvE0_clEvEUlffE_fEEDaPvRmT3_T4_T5_mT6_P12ihipStream_tbENKUlT_T0_E_clISt17integral_constantIbLb1EESW_EEDaSR_SS_EUlSR_E_NS1_11comp_targetILNS1_3genE4ELNS1_11target_archE910ELNS1_3gpuE8ELNS1_3repE0EEENS1_30default_config_static_selectorELNS0_4arch9wavefront6targetE1EEEvT1_
	.p2align	8
	.type	_ZN7rocprim17ROCPRIM_400000_NS6detail17trampoline_kernelINS0_14default_configENS1_20scan_config_selectorIfEEZZNS1_9scan_implILNS1_25lookback_scan_determinismE0ELb0ELb0ES3_PKfPffZZZN2at6native31launch_logcumsumexp_cuda_kernelERKNSB_10TensorBaseESF_lENKUlvE_clEvENKUlvE0_clEvEUlffE_fEEDaPvRmT3_T4_T5_mT6_P12ihipStream_tbENKUlT_T0_E_clISt17integral_constantIbLb1EESW_EEDaSR_SS_EUlSR_E_NS1_11comp_targetILNS1_3genE4ELNS1_11target_archE910ELNS1_3gpuE8ELNS1_3repE0EEENS1_30default_config_static_selectorELNS0_4arch9wavefront6targetE1EEEvT1_,@function
_ZN7rocprim17ROCPRIM_400000_NS6detail17trampoline_kernelINS0_14default_configENS1_20scan_config_selectorIfEEZZNS1_9scan_implILNS1_25lookback_scan_determinismE0ELb0ELb0ES3_PKfPffZZZN2at6native31launch_logcumsumexp_cuda_kernelERKNSB_10TensorBaseESF_lENKUlvE_clEvENKUlvE0_clEvEUlffE_fEEDaPvRmT3_T4_T5_mT6_P12ihipStream_tbENKUlT_T0_E_clISt17integral_constantIbLb1EESW_EEDaSR_SS_EUlSR_E_NS1_11comp_targetILNS1_3genE4ELNS1_11target_archE910ELNS1_3gpuE8ELNS1_3repE0EEENS1_30default_config_static_selectorELNS0_4arch9wavefront6targetE1EEEvT1_: ; @_ZN7rocprim17ROCPRIM_400000_NS6detail17trampoline_kernelINS0_14default_configENS1_20scan_config_selectorIfEEZZNS1_9scan_implILNS1_25lookback_scan_determinismE0ELb0ELb0ES3_PKfPffZZZN2at6native31launch_logcumsumexp_cuda_kernelERKNSB_10TensorBaseESF_lENKUlvE_clEvENKUlvE0_clEvEUlffE_fEEDaPvRmT3_T4_T5_mT6_P12ihipStream_tbENKUlT_T0_E_clISt17integral_constantIbLb1EESW_EEDaSR_SS_EUlSR_E_NS1_11comp_targetILNS1_3genE4ELNS1_11target_archE910ELNS1_3gpuE8ELNS1_3repE0EEENS1_30default_config_static_selectorELNS0_4arch9wavefront6targetE1EEEvT1_
; %bb.0:
	.section	.rodata,"a",@progbits
	.p2align	6, 0x0
	.amdhsa_kernel _ZN7rocprim17ROCPRIM_400000_NS6detail17trampoline_kernelINS0_14default_configENS1_20scan_config_selectorIfEEZZNS1_9scan_implILNS1_25lookback_scan_determinismE0ELb0ELb0ES3_PKfPffZZZN2at6native31launch_logcumsumexp_cuda_kernelERKNSB_10TensorBaseESF_lENKUlvE_clEvENKUlvE0_clEvEUlffE_fEEDaPvRmT3_T4_T5_mT6_P12ihipStream_tbENKUlT_T0_E_clISt17integral_constantIbLb1EESW_EEDaSR_SS_EUlSR_E_NS1_11comp_targetILNS1_3genE4ELNS1_11target_archE910ELNS1_3gpuE8ELNS1_3repE0EEENS1_30default_config_static_selectorELNS0_4arch9wavefront6targetE1EEEvT1_
		.amdhsa_group_segment_fixed_size 0
		.amdhsa_private_segment_fixed_size 0
		.amdhsa_kernarg_size 96
		.amdhsa_user_sgpr_count 6
		.amdhsa_user_sgpr_private_segment_buffer 1
		.amdhsa_user_sgpr_dispatch_ptr 0
		.amdhsa_user_sgpr_queue_ptr 0
		.amdhsa_user_sgpr_kernarg_segment_ptr 1
		.amdhsa_user_sgpr_dispatch_id 0
		.amdhsa_user_sgpr_flat_scratch_init 0
		.amdhsa_user_sgpr_private_segment_size 0
		.amdhsa_uses_dynamic_stack 0
		.amdhsa_system_sgpr_private_segment_wavefront_offset 0
		.amdhsa_system_sgpr_workgroup_id_x 1
		.amdhsa_system_sgpr_workgroup_id_y 0
		.amdhsa_system_sgpr_workgroup_id_z 0
		.amdhsa_system_sgpr_workgroup_info 0
		.amdhsa_system_vgpr_workitem_id 0
		.amdhsa_next_free_vgpr 1
		.amdhsa_next_free_sgpr 0
		.amdhsa_reserve_vcc 0
		.amdhsa_reserve_flat_scratch 0
		.amdhsa_float_round_mode_32 0
		.amdhsa_float_round_mode_16_64 0
		.amdhsa_float_denorm_mode_32 3
		.amdhsa_float_denorm_mode_16_64 3
		.amdhsa_dx10_clamp 1
		.amdhsa_ieee_mode 1
		.amdhsa_fp16_overflow 0
		.amdhsa_exception_fp_ieee_invalid_op 0
		.amdhsa_exception_fp_denorm_src 0
		.amdhsa_exception_fp_ieee_div_zero 0
		.amdhsa_exception_fp_ieee_overflow 0
		.amdhsa_exception_fp_ieee_underflow 0
		.amdhsa_exception_fp_ieee_inexact 0
		.amdhsa_exception_int_div_zero 0
	.end_amdhsa_kernel
	.section	.text._ZN7rocprim17ROCPRIM_400000_NS6detail17trampoline_kernelINS0_14default_configENS1_20scan_config_selectorIfEEZZNS1_9scan_implILNS1_25lookback_scan_determinismE0ELb0ELb0ES3_PKfPffZZZN2at6native31launch_logcumsumexp_cuda_kernelERKNSB_10TensorBaseESF_lENKUlvE_clEvENKUlvE0_clEvEUlffE_fEEDaPvRmT3_T4_T5_mT6_P12ihipStream_tbENKUlT_T0_E_clISt17integral_constantIbLb1EESW_EEDaSR_SS_EUlSR_E_NS1_11comp_targetILNS1_3genE4ELNS1_11target_archE910ELNS1_3gpuE8ELNS1_3repE0EEENS1_30default_config_static_selectorELNS0_4arch9wavefront6targetE1EEEvT1_,"axG",@progbits,_ZN7rocprim17ROCPRIM_400000_NS6detail17trampoline_kernelINS0_14default_configENS1_20scan_config_selectorIfEEZZNS1_9scan_implILNS1_25lookback_scan_determinismE0ELb0ELb0ES3_PKfPffZZZN2at6native31launch_logcumsumexp_cuda_kernelERKNSB_10TensorBaseESF_lENKUlvE_clEvENKUlvE0_clEvEUlffE_fEEDaPvRmT3_T4_T5_mT6_P12ihipStream_tbENKUlT_T0_E_clISt17integral_constantIbLb1EESW_EEDaSR_SS_EUlSR_E_NS1_11comp_targetILNS1_3genE4ELNS1_11target_archE910ELNS1_3gpuE8ELNS1_3repE0EEENS1_30default_config_static_selectorELNS0_4arch9wavefront6targetE1EEEvT1_,comdat
.Lfunc_end117:
	.size	_ZN7rocprim17ROCPRIM_400000_NS6detail17trampoline_kernelINS0_14default_configENS1_20scan_config_selectorIfEEZZNS1_9scan_implILNS1_25lookback_scan_determinismE0ELb0ELb0ES3_PKfPffZZZN2at6native31launch_logcumsumexp_cuda_kernelERKNSB_10TensorBaseESF_lENKUlvE_clEvENKUlvE0_clEvEUlffE_fEEDaPvRmT3_T4_T5_mT6_P12ihipStream_tbENKUlT_T0_E_clISt17integral_constantIbLb1EESW_EEDaSR_SS_EUlSR_E_NS1_11comp_targetILNS1_3genE4ELNS1_11target_archE910ELNS1_3gpuE8ELNS1_3repE0EEENS1_30default_config_static_selectorELNS0_4arch9wavefront6targetE1EEEvT1_, .Lfunc_end117-_ZN7rocprim17ROCPRIM_400000_NS6detail17trampoline_kernelINS0_14default_configENS1_20scan_config_selectorIfEEZZNS1_9scan_implILNS1_25lookback_scan_determinismE0ELb0ELb0ES3_PKfPffZZZN2at6native31launch_logcumsumexp_cuda_kernelERKNSB_10TensorBaseESF_lENKUlvE_clEvENKUlvE0_clEvEUlffE_fEEDaPvRmT3_T4_T5_mT6_P12ihipStream_tbENKUlT_T0_E_clISt17integral_constantIbLb1EESW_EEDaSR_SS_EUlSR_E_NS1_11comp_targetILNS1_3genE4ELNS1_11target_archE910ELNS1_3gpuE8ELNS1_3repE0EEENS1_30default_config_static_selectorELNS0_4arch9wavefront6targetE1EEEvT1_
                                        ; -- End function
	.set _ZN7rocprim17ROCPRIM_400000_NS6detail17trampoline_kernelINS0_14default_configENS1_20scan_config_selectorIfEEZZNS1_9scan_implILNS1_25lookback_scan_determinismE0ELb0ELb0ES3_PKfPffZZZN2at6native31launch_logcumsumexp_cuda_kernelERKNSB_10TensorBaseESF_lENKUlvE_clEvENKUlvE0_clEvEUlffE_fEEDaPvRmT3_T4_T5_mT6_P12ihipStream_tbENKUlT_T0_E_clISt17integral_constantIbLb1EESW_EEDaSR_SS_EUlSR_E_NS1_11comp_targetILNS1_3genE4ELNS1_11target_archE910ELNS1_3gpuE8ELNS1_3repE0EEENS1_30default_config_static_selectorELNS0_4arch9wavefront6targetE1EEEvT1_.num_vgpr, 0
	.set _ZN7rocprim17ROCPRIM_400000_NS6detail17trampoline_kernelINS0_14default_configENS1_20scan_config_selectorIfEEZZNS1_9scan_implILNS1_25lookback_scan_determinismE0ELb0ELb0ES3_PKfPffZZZN2at6native31launch_logcumsumexp_cuda_kernelERKNSB_10TensorBaseESF_lENKUlvE_clEvENKUlvE0_clEvEUlffE_fEEDaPvRmT3_T4_T5_mT6_P12ihipStream_tbENKUlT_T0_E_clISt17integral_constantIbLb1EESW_EEDaSR_SS_EUlSR_E_NS1_11comp_targetILNS1_3genE4ELNS1_11target_archE910ELNS1_3gpuE8ELNS1_3repE0EEENS1_30default_config_static_selectorELNS0_4arch9wavefront6targetE1EEEvT1_.num_agpr, 0
	.set _ZN7rocprim17ROCPRIM_400000_NS6detail17trampoline_kernelINS0_14default_configENS1_20scan_config_selectorIfEEZZNS1_9scan_implILNS1_25lookback_scan_determinismE0ELb0ELb0ES3_PKfPffZZZN2at6native31launch_logcumsumexp_cuda_kernelERKNSB_10TensorBaseESF_lENKUlvE_clEvENKUlvE0_clEvEUlffE_fEEDaPvRmT3_T4_T5_mT6_P12ihipStream_tbENKUlT_T0_E_clISt17integral_constantIbLb1EESW_EEDaSR_SS_EUlSR_E_NS1_11comp_targetILNS1_3genE4ELNS1_11target_archE910ELNS1_3gpuE8ELNS1_3repE0EEENS1_30default_config_static_selectorELNS0_4arch9wavefront6targetE1EEEvT1_.numbered_sgpr, 0
	.set _ZN7rocprim17ROCPRIM_400000_NS6detail17trampoline_kernelINS0_14default_configENS1_20scan_config_selectorIfEEZZNS1_9scan_implILNS1_25lookback_scan_determinismE0ELb0ELb0ES3_PKfPffZZZN2at6native31launch_logcumsumexp_cuda_kernelERKNSB_10TensorBaseESF_lENKUlvE_clEvENKUlvE0_clEvEUlffE_fEEDaPvRmT3_T4_T5_mT6_P12ihipStream_tbENKUlT_T0_E_clISt17integral_constantIbLb1EESW_EEDaSR_SS_EUlSR_E_NS1_11comp_targetILNS1_3genE4ELNS1_11target_archE910ELNS1_3gpuE8ELNS1_3repE0EEENS1_30default_config_static_selectorELNS0_4arch9wavefront6targetE1EEEvT1_.num_named_barrier, 0
	.set _ZN7rocprim17ROCPRIM_400000_NS6detail17trampoline_kernelINS0_14default_configENS1_20scan_config_selectorIfEEZZNS1_9scan_implILNS1_25lookback_scan_determinismE0ELb0ELb0ES3_PKfPffZZZN2at6native31launch_logcumsumexp_cuda_kernelERKNSB_10TensorBaseESF_lENKUlvE_clEvENKUlvE0_clEvEUlffE_fEEDaPvRmT3_T4_T5_mT6_P12ihipStream_tbENKUlT_T0_E_clISt17integral_constantIbLb1EESW_EEDaSR_SS_EUlSR_E_NS1_11comp_targetILNS1_3genE4ELNS1_11target_archE910ELNS1_3gpuE8ELNS1_3repE0EEENS1_30default_config_static_selectorELNS0_4arch9wavefront6targetE1EEEvT1_.private_seg_size, 0
	.set _ZN7rocprim17ROCPRIM_400000_NS6detail17trampoline_kernelINS0_14default_configENS1_20scan_config_selectorIfEEZZNS1_9scan_implILNS1_25lookback_scan_determinismE0ELb0ELb0ES3_PKfPffZZZN2at6native31launch_logcumsumexp_cuda_kernelERKNSB_10TensorBaseESF_lENKUlvE_clEvENKUlvE0_clEvEUlffE_fEEDaPvRmT3_T4_T5_mT6_P12ihipStream_tbENKUlT_T0_E_clISt17integral_constantIbLb1EESW_EEDaSR_SS_EUlSR_E_NS1_11comp_targetILNS1_3genE4ELNS1_11target_archE910ELNS1_3gpuE8ELNS1_3repE0EEENS1_30default_config_static_selectorELNS0_4arch9wavefront6targetE1EEEvT1_.uses_vcc, 0
	.set _ZN7rocprim17ROCPRIM_400000_NS6detail17trampoline_kernelINS0_14default_configENS1_20scan_config_selectorIfEEZZNS1_9scan_implILNS1_25lookback_scan_determinismE0ELb0ELb0ES3_PKfPffZZZN2at6native31launch_logcumsumexp_cuda_kernelERKNSB_10TensorBaseESF_lENKUlvE_clEvENKUlvE0_clEvEUlffE_fEEDaPvRmT3_T4_T5_mT6_P12ihipStream_tbENKUlT_T0_E_clISt17integral_constantIbLb1EESW_EEDaSR_SS_EUlSR_E_NS1_11comp_targetILNS1_3genE4ELNS1_11target_archE910ELNS1_3gpuE8ELNS1_3repE0EEENS1_30default_config_static_selectorELNS0_4arch9wavefront6targetE1EEEvT1_.uses_flat_scratch, 0
	.set _ZN7rocprim17ROCPRIM_400000_NS6detail17trampoline_kernelINS0_14default_configENS1_20scan_config_selectorIfEEZZNS1_9scan_implILNS1_25lookback_scan_determinismE0ELb0ELb0ES3_PKfPffZZZN2at6native31launch_logcumsumexp_cuda_kernelERKNSB_10TensorBaseESF_lENKUlvE_clEvENKUlvE0_clEvEUlffE_fEEDaPvRmT3_T4_T5_mT6_P12ihipStream_tbENKUlT_T0_E_clISt17integral_constantIbLb1EESW_EEDaSR_SS_EUlSR_E_NS1_11comp_targetILNS1_3genE4ELNS1_11target_archE910ELNS1_3gpuE8ELNS1_3repE0EEENS1_30default_config_static_selectorELNS0_4arch9wavefront6targetE1EEEvT1_.has_dyn_sized_stack, 0
	.set _ZN7rocprim17ROCPRIM_400000_NS6detail17trampoline_kernelINS0_14default_configENS1_20scan_config_selectorIfEEZZNS1_9scan_implILNS1_25lookback_scan_determinismE0ELb0ELb0ES3_PKfPffZZZN2at6native31launch_logcumsumexp_cuda_kernelERKNSB_10TensorBaseESF_lENKUlvE_clEvENKUlvE0_clEvEUlffE_fEEDaPvRmT3_T4_T5_mT6_P12ihipStream_tbENKUlT_T0_E_clISt17integral_constantIbLb1EESW_EEDaSR_SS_EUlSR_E_NS1_11comp_targetILNS1_3genE4ELNS1_11target_archE910ELNS1_3gpuE8ELNS1_3repE0EEENS1_30default_config_static_selectorELNS0_4arch9wavefront6targetE1EEEvT1_.has_recursion, 0
	.set _ZN7rocprim17ROCPRIM_400000_NS6detail17trampoline_kernelINS0_14default_configENS1_20scan_config_selectorIfEEZZNS1_9scan_implILNS1_25lookback_scan_determinismE0ELb0ELb0ES3_PKfPffZZZN2at6native31launch_logcumsumexp_cuda_kernelERKNSB_10TensorBaseESF_lENKUlvE_clEvENKUlvE0_clEvEUlffE_fEEDaPvRmT3_T4_T5_mT6_P12ihipStream_tbENKUlT_T0_E_clISt17integral_constantIbLb1EESW_EEDaSR_SS_EUlSR_E_NS1_11comp_targetILNS1_3genE4ELNS1_11target_archE910ELNS1_3gpuE8ELNS1_3repE0EEENS1_30default_config_static_selectorELNS0_4arch9wavefront6targetE1EEEvT1_.has_indirect_call, 0
	.section	.AMDGPU.csdata,"",@progbits
; Kernel info:
; codeLenInByte = 0
; TotalNumSgprs: 4
; NumVgprs: 0
; ScratchSize: 0
; MemoryBound: 0
; FloatMode: 240
; IeeeMode: 1
; LDSByteSize: 0 bytes/workgroup (compile time only)
; SGPRBlocks: 0
; VGPRBlocks: 0
; NumSGPRsForWavesPerEU: 4
; NumVGPRsForWavesPerEU: 1
; Occupancy: 10
; WaveLimiterHint : 0
; COMPUTE_PGM_RSRC2:SCRATCH_EN: 0
; COMPUTE_PGM_RSRC2:USER_SGPR: 6
; COMPUTE_PGM_RSRC2:TRAP_HANDLER: 0
; COMPUTE_PGM_RSRC2:TGID_X_EN: 1
; COMPUTE_PGM_RSRC2:TGID_Y_EN: 0
; COMPUTE_PGM_RSRC2:TGID_Z_EN: 0
; COMPUTE_PGM_RSRC2:TIDIG_COMP_CNT: 0
	.section	.text._ZN7rocprim17ROCPRIM_400000_NS6detail17trampoline_kernelINS0_14default_configENS1_20scan_config_selectorIfEEZZNS1_9scan_implILNS1_25lookback_scan_determinismE0ELb0ELb0ES3_PKfPffZZZN2at6native31launch_logcumsumexp_cuda_kernelERKNSB_10TensorBaseESF_lENKUlvE_clEvENKUlvE0_clEvEUlffE_fEEDaPvRmT3_T4_T5_mT6_P12ihipStream_tbENKUlT_T0_E_clISt17integral_constantIbLb1EESW_EEDaSR_SS_EUlSR_E_NS1_11comp_targetILNS1_3genE3ELNS1_11target_archE908ELNS1_3gpuE7ELNS1_3repE0EEENS1_30default_config_static_selectorELNS0_4arch9wavefront6targetE1EEEvT1_,"axG",@progbits,_ZN7rocprim17ROCPRIM_400000_NS6detail17trampoline_kernelINS0_14default_configENS1_20scan_config_selectorIfEEZZNS1_9scan_implILNS1_25lookback_scan_determinismE0ELb0ELb0ES3_PKfPffZZZN2at6native31launch_logcumsumexp_cuda_kernelERKNSB_10TensorBaseESF_lENKUlvE_clEvENKUlvE0_clEvEUlffE_fEEDaPvRmT3_T4_T5_mT6_P12ihipStream_tbENKUlT_T0_E_clISt17integral_constantIbLb1EESW_EEDaSR_SS_EUlSR_E_NS1_11comp_targetILNS1_3genE3ELNS1_11target_archE908ELNS1_3gpuE7ELNS1_3repE0EEENS1_30default_config_static_selectorELNS0_4arch9wavefront6targetE1EEEvT1_,comdat
	.globl	_ZN7rocprim17ROCPRIM_400000_NS6detail17trampoline_kernelINS0_14default_configENS1_20scan_config_selectorIfEEZZNS1_9scan_implILNS1_25lookback_scan_determinismE0ELb0ELb0ES3_PKfPffZZZN2at6native31launch_logcumsumexp_cuda_kernelERKNSB_10TensorBaseESF_lENKUlvE_clEvENKUlvE0_clEvEUlffE_fEEDaPvRmT3_T4_T5_mT6_P12ihipStream_tbENKUlT_T0_E_clISt17integral_constantIbLb1EESW_EEDaSR_SS_EUlSR_E_NS1_11comp_targetILNS1_3genE3ELNS1_11target_archE908ELNS1_3gpuE7ELNS1_3repE0EEENS1_30default_config_static_selectorELNS0_4arch9wavefront6targetE1EEEvT1_ ; -- Begin function _ZN7rocprim17ROCPRIM_400000_NS6detail17trampoline_kernelINS0_14default_configENS1_20scan_config_selectorIfEEZZNS1_9scan_implILNS1_25lookback_scan_determinismE0ELb0ELb0ES3_PKfPffZZZN2at6native31launch_logcumsumexp_cuda_kernelERKNSB_10TensorBaseESF_lENKUlvE_clEvENKUlvE0_clEvEUlffE_fEEDaPvRmT3_T4_T5_mT6_P12ihipStream_tbENKUlT_T0_E_clISt17integral_constantIbLb1EESW_EEDaSR_SS_EUlSR_E_NS1_11comp_targetILNS1_3genE3ELNS1_11target_archE908ELNS1_3gpuE7ELNS1_3repE0EEENS1_30default_config_static_selectorELNS0_4arch9wavefront6targetE1EEEvT1_
	.p2align	8
	.type	_ZN7rocprim17ROCPRIM_400000_NS6detail17trampoline_kernelINS0_14default_configENS1_20scan_config_selectorIfEEZZNS1_9scan_implILNS1_25lookback_scan_determinismE0ELb0ELb0ES3_PKfPffZZZN2at6native31launch_logcumsumexp_cuda_kernelERKNSB_10TensorBaseESF_lENKUlvE_clEvENKUlvE0_clEvEUlffE_fEEDaPvRmT3_T4_T5_mT6_P12ihipStream_tbENKUlT_T0_E_clISt17integral_constantIbLb1EESW_EEDaSR_SS_EUlSR_E_NS1_11comp_targetILNS1_3genE3ELNS1_11target_archE908ELNS1_3gpuE7ELNS1_3repE0EEENS1_30default_config_static_selectorELNS0_4arch9wavefront6targetE1EEEvT1_,@function
_ZN7rocprim17ROCPRIM_400000_NS6detail17trampoline_kernelINS0_14default_configENS1_20scan_config_selectorIfEEZZNS1_9scan_implILNS1_25lookback_scan_determinismE0ELb0ELb0ES3_PKfPffZZZN2at6native31launch_logcumsumexp_cuda_kernelERKNSB_10TensorBaseESF_lENKUlvE_clEvENKUlvE0_clEvEUlffE_fEEDaPvRmT3_T4_T5_mT6_P12ihipStream_tbENKUlT_T0_E_clISt17integral_constantIbLb1EESW_EEDaSR_SS_EUlSR_E_NS1_11comp_targetILNS1_3genE3ELNS1_11target_archE908ELNS1_3gpuE7ELNS1_3repE0EEENS1_30default_config_static_selectorELNS0_4arch9wavefront6targetE1EEEvT1_: ; @_ZN7rocprim17ROCPRIM_400000_NS6detail17trampoline_kernelINS0_14default_configENS1_20scan_config_selectorIfEEZZNS1_9scan_implILNS1_25lookback_scan_determinismE0ELb0ELb0ES3_PKfPffZZZN2at6native31launch_logcumsumexp_cuda_kernelERKNSB_10TensorBaseESF_lENKUlvE_clEvENKUlvE0_clEvEUlffE_fEEDaPvRmT3_T4_T5_mT6_P12ihipStream_tbENKUlT_T0_E_clISt17integral_constantIbLb1EESW_EEDaSR_SS_EUlSR_E_NS1_11comp_targetILNS1_3genE3ELNS1_11target_archE908ELNS1_3gpuE7ELNS1_3repE0EEENS1_30default_config_static_selectorELNS0_4arch9wavefront6targetE1EEEvT1_
; %bb.0:
	.section	.rodata,"a",@progbits
	.p2align	6, 0x0
	.amdhsa_kernel _ZN7rocprim17ROCPRIM_400000_NS6detail17trampoline_kernelINS0_14default_configENS1_20scan_config_selectorIfEEZZNS1_9scan_implILNS1_25lookback_scan_determinismE0ELb0ELb0ES3_PKfPffZZZN2at6native31launch_logcumsumexp_cuda_kernelERKNSB_10TensorBaseESF_lENKUlvE_clEvENKUlvE0_clEvEUlffE_fEEDaPvRmT3_T4_T5_mT6_P12ihipStream_tbENKUlT_T0_E_clISt17integral_constantIbLb1EESW_EEDaSR_SS_EUlSR_E_NS1_11comp_targetILNS1_3genE3ELNS1_11target_archE908ELNS1_3gpuE7ELNS1_3repE0EEENS1_30default_config_static_selectorELNS0_4arch9wavefront6targetE1EEEvT1_
		.amdhsa_group_segment_fixed_size 0
		.amdhsa_private_segment_fixed_size 0
		.amdhsa_kernarg_size 96
		.amdhsa_user_sgpr_count 6
		.amdhsa_user_sgpr_private_segment_buffer 1
		.amdhsa_user_sgpr_dispatch_ptr 0
		.amdhsa_user_sgpr_queue_ptr 0
		.amdhsa_user_sgpr_kernarg_segment_ptr 1
		.amdhsa_user_sgpr_dispatch_id 0
		.amdhsa_user_sgpr_flat_scratch_init 0
		.amdhsa_user_sgpr_private_segment_size 0
		.amdhsa_uses_dynamic_stack 0
		.amdhsa_system_sgpr_private_segment_wavefront_offset 0
		.amdhsa_system_sgpr_workgroup_id_x 1
		.amdhsa_system_sgpr_workgroup_id_y 0
		.amdhsa_system_sgpr_workgroup_id_z 0
		.amdhsa_system_sgpr_workgroup_info 0
		.amdhsa_system_vgpr_workitem_id 0
		.amdhsa_next_free_vgpr 1
		.amdhsa_next_free_sgpr 0
		.amdhsa_reserve_vcc 0
		.amdhsa_reserve_flat_scratch 0
		.amdhsa_float_round_mode_32 0
		.amdhsa_float_round_mode_16_64 0
		.amdhsa_float_denorm_mode_32 3
		.amdhsa_float_denorm_mode_16_64 3
		.amdhsa_dx10_clamp 1
		.amdhsa_ieee_mode 1
		.amdhsa_fp16_overflow 0
		.amdhsa_exception_fp_ieee_invalid_op 0
		.amdhsa_exception_fp_denorm_src 0
		.amdhsa_exception_fp_ieee_div_zero 0
		.amdhsa_exception_fp_ieee_overflow 0
		.amdhsa_exception_fp_ieee_underflow 0
		.amdhsa_exception_fp_ieee_inexact 0
		.amdhsa_exception_int_div_zero 0
	.end_amdhsa_kernel
	.section	.text._ZN7rocprim17ROCPRIM_400000_NS6detail17trampoline_kernelINS0_14default_configENS1_20scan_config_selectorIfEEZZNS1_9scan_implILNS1_25lookback_scan_determinismE0ELb0ELb0ES3_PKfPffZZZN2at6native31launch_logcumsumexp_cuda_kernelERKNSB_10TensorBaseESF_lENKUlvE_clEvENKUlvE0_clEvEUlffE_fEEDaPvRmT3_T4_T5_mT6_P12ihipStream_tbENKUlT_T0_E_clISt17integral_constantIbLb1EESW_EEDaSR_SS_EUlSR_E_NS1_11comp_targetILNS1_3genE3ELNS1_11target_archE908ELNS1_3gpuE7ELNS1_3repE0EEENS1_30default_config_static_selectorELNS0_4arch9wavefront6targetE1EEEvT1_,"axG",@progbits,_ZN7rocprim17ROCPRIM_400000_NS6detail17trampoline_kernelINS0_14default_configENS1_20scan_config_selectorIfEEZZNS1_9scan_implILNS1_25lookback_scan_determinismE0ELb0ELb0ES3_PKfPffZZZN2at6native31launch_logcumsumexp_cuda_kernelERKNSB_10TensorBaseESF_lENKUlvE_clEvENKUlvE0_clEvEUlffE_fEEDaPvRmT3_T4_T5_mT6_P12ihipStream_tbENKUlT_T0_E_clISt17integral_constantIbLb1EESW_EEDaSR_SS_EUlSR_E_NS1_11comp_targetILNS1_3genE3ELNS1_11target_archE908ELNS1_3gpuE7ELNS1_3repE0EEENS1_30default_config_static_selectorELNS0_4arch9wavefront6targetE1EEEvT1_,comdat
.Lfunc_end118:
	.size	_ZN7rocprim17ROCPRIM_400000_NS6detail17trampoline_kernelINS0_14default_configENS1_20scan_config_selectorIfEEZZNS1_9scan_implILNS1_25lookback_scan_determinismE0ELb0ELb0ES3_PKfPffZZZN2at6native31launch_logcumsumexp_cuda_kernelERKNSB_10TensorBaseESF_lENKUlvE_clEvENKUlvE0_clEvEUlffE_fEEDaPvRmT3_T4_T5_mT6_P12ihipStream_tbENKUlT_T0_E_clISt17integral_constantIbLb1EESW_EEDaSR_SS_EUlSR_E_NS1_11comp_targetILNS1_3genE3ELNS1_11target_archE908ELNS1_3gpuE7ELNS1_3repE0EEENS1_30default_config_static_selectorELNS0_4arch9wavefront6targetE1EEEvT1_, .Lfunc_end118-_ZN7rocprim17ROCPRIM_400000_NS6detail17trampoline_kernelINS0_14default_configENS1_20scan_config_selectorIfEEZZNS1_9scan_implILNS1_25lookback_scan_determinismE0ELb0ELb0ES3_PKfPffZZZN2at6native31launch_logcumsumexp_cuda_kernelERKNSB_10TensorBaseESF_lENKUlvE_clEvENKUlvE0_clEvEUlffE_fEEDaPvRmT3_T4_T5_mT6_P12ihipStream_tbENKUlT_T0_E_clISt17integral_constantIbLb1EESW_EEDaSR_SS_EUlSR_E_NS1_11comp_targetILNS1_3genE3ELNS1_11target_archE908ELNS1_3gpuE7ELNS1_3repE0EEENS1_30default_config_static_selectorELNS0_4arch9wavefront6targetE1EEEvT1_
                                        ; -- End function
	.set _ZN7rocprim17ROCPRIM_400000_NS6detail17trampoline_kernelINS0_14default_configENS1_20scan_config_selectorIfEEZZNS1_9scan_implILNS1_25lookback_scan_determinismE0ELb0ELb0ES3_PKfPffZZZN2at6native31launch_logcumsumexp_cuda_kernelERKNSB_10TensorBaseESF_lENKUlvE_clEvENKUlvE0_clEvEUlffE_fEEDaPvRmT3_T4_T5_mT6_P12ihipStream_tbENKUlT_T0_E_clISt17integral_constantIbLb1EESW_EEDaSR_SS_EUlSR_E_NS1_11comp_targetILNS1_3genE3ELNS1_11target_archE908ELNS1_3gpuE7ELNS1_3repE0EEENS1_30default_config_static_selectorELNS0_4arch9wavefront6targetE1EEEvT1_.num_vgpr, 0
	.set _ZN7rocprim17ROCPRIM_400000_NS6detail17trampoline_kernelINS0_14default_configENS1_20scan_config_selectorIfEEZZNS1_9scan_implILNS1_25lookback_scan_determinismE0ELb0ELb0ES3_PKfPffZZZN2at6native31launch_logcumsumexp_cuda_kernelERKNSB_10TensorBaseESF_lENKUlvE_clEvENKUlvE0_clEvEUlffE_fEEDaPvRmT3_T4_T5_mT6_P12ihipStream_tbENKUlT_T0_E_clISt17integral_constantIbLb1EESW_EEDaSR_SS_EUlSR_E_NS1_11comp_targetILNS1_3genE3ELNS1_11target_archE908ELNS1_3gpuE7ELNS1_3repE0EEENS1_30default_config_static_selectorELNS0_4arch9wavefront6targetE1EEEvT1_.num_agpr, 0
	.set _ZN7rocprim17ROCPRIM_400000_NS6detail17trampoline_kernelINS0_14default_configENS1_20scan_config_selectorIfEEZZNS1_9scan_implILNS1_25lookback_scan_determinismE0ELb0ELb0ES3_PKfPffZZZN2at6native31launch_logcumsumexp_cuda_kernelERKNSB_10TensorBaseESF_lENKUlvE_clEvENKUlvE0_clEvEUlffE_fEEDaPvRmT3_T4_T5_mT6_P12ihipStream_tbENKUlT_T0_E_clISt17integral_constantIbLb1EESW_EEDaSR_SS_EUlSR_E_NS1_11comp_targetILNS1_3genE3ELNS1_11target_archE908ELNS1_3gpuE7ELNS1_3repE0EEENS1_30default_config_static_selectorELNS0_4arch9wavefront6targetE1EEEvT1_.numbered_sgpr, 0
	.set _ZN7rocprim17ROCPRIM_400000_NS6detail17trampoline_kernelINS0_14default_configENS1_20scan_config_selectorIfEEZZNS1_9scan_implILNS1_25lookback_scan_determinismE0ELb0ELb0ES3_PKfPffZZZN2at6native31launch_logcumsumexp_cuda_kernelERKNSB_10TensorBaseESF_lENKUlvE_clEvENKUlvE0_clEvEUlffE_fEEDaPvRmT3_T4_T5_mT6_P12ihipStream_tbENKUlT_T0_E_clISt17integral_constantIbLb1EESW_EEDaSR_SS_EUlSR_E_NS1_11comp_targetILNS1_3genE3ELNS1_11target_archE908ELNS1_3gpuE7ELNS1_3repE0EEENS1_30default_config_static_selectorELNS0_4arch9wavefront6targetE1EEEvT1_.num_named_barrier, 0
	.set _ZN7rocprim17ROCPRIM_400000_NS6detail17trampoline_kernelINS0_14default_configENS1_20scan_config_selectorIfEEZZNS1_9scan_implILNS1_25lookback_scan_determinismE0ELb0ELb0ES3_PKfPffZZZN2at6native31launch_logcumsumexp_cuda_kernelERKNSB_10TensorBaseESF_lENKUlvE_clEvENKUlvE0_clEvEUlffE_fEEDaPvRmT3_T4_T5_mT6_P12ihipStream_tbENKUlT_T0_E_clISt17integral_constantIbLb1EESW_EEDaSR_SS_EUlSR_E_NS1_11comp_targetILNS1_3genE3ELNS1_11target_archE908ELNS1_3gpuE7ELNS1_3repE0EEENS1_30default_config_static_selectorELNS0_4arch9wavefront6targetE1EEEvT1_.private_seg_size, 0
	.set _ZN7rocprim17ROCPRIM_400000_NS6detail17trampoline_kernelINS0_14default_configENS1_20scan_config_selectorIfEEZZNS1_9scan_implILNS1_25lookback_scan_determinismE0ELb0ELb0ES3_PKfPffZZZN2at6native31launch_logcumsumexp_cuda_kernelERKNSB_10TensorBaseESF_lENKUlvE_clEvENKUlvE0_clEvEUlffE_fEEDaPvRmT3_T4_T5_mT6_P12ihipStream_tbENKUlT_T0_E_clISt17integral_constantIbLb1EESW_EEDaSR_SS_EUlSR_E_NS1_11comp_targetILNS1_3genE3ELNS1_11target_archE908ELNS1_3gpuE7ELNS1_3repE0EEENS1_30default_config_static_selectorELNS0_4arch9wavefront6targetE1EEEvT1_.uses_vcc, 0
	.set _ZN7rocprim17ROCPRIM_400000_NS6detail17trampoline_kernelINS0_14default_configENS1_20scan_config_selectorIfEEZZNS1_9scan_implILNS1_25lookback_scan_determinismE0ELb0ELb0ES3_PKfPffZZZN2at6native31launch_logcumsumexp_cuda_kernelERKNSB_10TensorBaseESF_lENKUlvE_clEvENKUlvE0_clEvEUlffE_fEEDaPvRmT3_T4_T5_mT6_P12ihipStream_tbENKUlT_T0_E_clISt17integral_constantIbLb1EESW_EEDaSR_SS_EUlSR_E_NS1_11comp_targetILNS1_3genE3ELNS1_11target_archE908ELNS1_3gpuE7ELNS1_3repE0EEENS1_30default_config_static_selectorELNS0_4arch9wavefront6targetE1EEEvT1_.uses_flat_scratch, 0
	.set _ZN7rocprim17ROCPRIM_400000_NS6detail17trampoline_kernelINS0_14default_configENS1_20scan_config_selectorIfEEZZNS1_9scan_implILNS1_25lookback_scan_determinismE0ELb0ELb0ES3_PKfPffZZZN2at6native31launch_logcumsumexp_cuda_kernelERKNSB_10TensorBaseESF_lENKUlvE_clEvENKUlvE0_clEvEUlffE_fEEDaPvRmT3_T4_T5_mT6_P12ihipStream_tbENKUlT_T0_E_clISt17integral_constantIbLb1EESW_EEDaSR_SS_EUlSR_E_NS1_11comp_targetILNS1_3genE3ELNS1_11target_archE908ELNS1_3gpuE7ELNS1_3repE0EEENS1_30default_config_static_selectorELNS0_4arch9wavefront6targetE1EEEvT1_.has_dyn_sized_stack, 0
	.set _ZN7rocprim17ROCPRIM_400000_NS6detail17trampoline_kernelINS0_14default_configENS1_20scan_config_selectorIfEEZZNS1_9scan_implILNS1_25lookback_scan_determinismE0ELb0ELb0ES3_PKfPffZZZN2at6native31launch_logcumsumexp_cuda_kernelERKNSB_10TensorBaseESF_lENKUlvE_clEvENKUlvE0_clEvEUlffE_fEEDaPvRmT3_T4_T5_mT6_P12ihipStream_tbENKUlT_T0_E_clISt17integral_constantIbLb1EESW_EEDaSR_SS_EUlSR_E_NS1_11comp_targetILNS1_3genE3ELNS1_11target_archE908ELNS1_3gpuE7ELNS1_3repE0EEENS1_30default_config_static_selectorELNS0_4arch9wavefront6targetE1EEEvT1_.has_recursion, 0
	.set _ZN7rocprim17ROCPRIM_400000_NS6detail17trampoline_kernelINS0_14default_configENS1_20scan_config_selectorIfEEZZNS1_9scan_implILNS1_25lookback_scan_determinismE0ELb0ELb0ES3_PKfPffZZZN2at6native31launch_logcumsumexp_cuda_kernelERKNSB_10TensorBaseESF_lENKUlvE_clEvENKUlvE0_clEvEUlffE_fEEDaPvRmT3_T4_T5_mT6_P12ihipStream_tbENKUlT_T0_E_clISt17integral_constantIbLb1EESW_EEDaSR_SS_EUlSR_E_NS1_11comp_targetILNS1_3genE3ELNS1_11target_archE908ELNS1_3gpuE7ELNS1_3repE0EEENS1_30default_config_static_selectorELNS0_4arch9wavefront6targetE1EEEvT1_.has_indirect_call, 0
	.section	.AMDGPU.csdata,"",@progbits
; Kernel info:
; codeLenInByte = 0
; TotalNumSgprs: 4
; NumVgprs: 0
; ScratchSize: 0
; MemoryBound: 0
; FloatMode: 240
; IeeeMode: 1
; LDSByteSize: 0 bytes/workgroup (compile time only)
; SGPRBlocks: 0
; VGPRBlocks: 0
; NumSGPRsForWavesPerEU: 4
; NumVGPRsForWavesPerEU: 1
; Occupancy: 10
; WaveLimiterHint : 0
; COMPUTE_PGM_RSRC2:SCRATCH_EN: 0
; COMPUTE_PGM_RSRC2:USER_SGPR: 6
; COMPUTE_PGM_RSRC2:TRAP_HANDLER: 0
; COMPUTE_PGM_RSRC2:TGID_X_EN: 1
; COMPUTE_PGM_RSRC2:TGID_Y_EN: 0
; COMPUTE_PGM_RSRC2:TGID_Z_EN: 0
; COMPUTE_PGM_RSRC2:TIDIG_COMP_CNT: 0
	.section	.text._ZN7rocprim17ROCPRIM_400000_NS6detail17trampoline_kernelINS0_14default_configENS1_20scan_config_selectorIfEEZZNS1_9scan_implILNS1_25lookback_scan_determinismE0ELb0ELb0ES3_PKfPffZZZN2at6native31launch_logcumsumexp_cuda_kernelERKNSB_10TensorBaseESF_lENKUlvE_clEvENKUlvE0_clEvEUlffE_fEEDaPvRmT3_T4_T5_mT6_P12ihipStream_tbENKUlT_T0_E_clISt17integral_constantIbLb1EESW_EEDaSR_SS_EUlSR_E_NS1_11comp_targetILNS1_3genE2ELNS1_11target_archE906ELNS1_3gpuE6ELNS1_3repE0EEENS1_30default_config_static_selectorELNS0_4arch9wavefront6targetE1EEEvT1_,"axG",@progbits,_ZN7rocprim17ROCPRIM_400000_NS6detail17trampoline_kernelINS0_14default_configENS1_20scan_config_selectorIfEEZZNS1_9scan_implILNS1_25lookback_scan_determinismE0ELb0ELb0ES3_PKfPffZZZN2at6native31launch_logcumsumexp_cuda_kernelERKNSB_10TensorBaseESF_lENKUlvE_clEvENKUlvE0_clEvEUlffE_fEEDaPvRmT3_T4_T5_mT6_P12ihipStream_tbENKUlT_T0_E_clISt17integral_constantIbLb1EESW_EEDaSR_SS_EUlSR_E_NS1_11comp_targetILNS1_3genE2ELNS1_11target_archE906ELNS1_3gpuE6ELNS1_3repE0EEENS1_30default_config_static_selectorELNS0_4arch9wavefront6targetE1EEEvT1_,comdat
	.globl	_ZN7rocprim17ROCPRIM_400000_NS6detail17trampoline_kernelINS0_14default_configENS1_20scan_config_selectorIfEEZZNS1_9scan_implILNS1_25lookback_scan_determinismE0ELb0ELb0ES3_PKfPffZZZN2at6native31launch_logcumsumexp_cuda_kernelERKNSB_10TensorBaseESF_lENKUlvE_clEvENKUlvE0_clEvEUlffE_fEEDaPvRmT3_T4_T5_mT6_P12ihipStream_tbENKUlT_T0_E_clISt17integral_constantIbLb1EESW_EEDaSR_SS_EUlSR_E_NS1_11comp_targetILNS1_3genE2ELNS1_11target_archE906ELNS1_3gpuE6ELNS1_3repE0EEENS1_30default_config_static_selectorELNS0_4arch9wavefront6targetE1EEEvT1_ ; -- Begin function _ZN7rocprim17ROCPRIM_400000_NS6detail17trampoline_kernelINS0_14default_configENS1_20scan_config_selectorIfEEZZNS1_9scan_implILNS1_25lookback_scan_determinismE0ELb0ELb0ES3_PKfPffZZZN2at6native31launch_logcumsumexp_cuda_kernelERKNSB_10TensorBaseESF_lENKUlvE_clEvENKUlvE0_clEvEUlffE_fEEDaPvRmT3_T4_T5_mT6_P12ihipStream_tbENKUlT_T0_E_clISt17integral_constantIbLb1EESW_EEDaSR_SS_EUlSR_E_NS1_11comp_targetILNS1_3genE2ELNS1_11target_archE906ELNS1_3gpuE6ELNS1_3repE0EEENS1_30default_config_static_selectorELNS0_4arch9wavefront6targetE1EEEvT1_
	.p2align	8
	.type	_ZN7rocprim17ROCPRIM_400000_NS6detail17trampoline_kernelINS0_14default_configENS1_20scan_config_selectorIfEEZZNS1_9scan_implILNS1_25lookback_scan_determinismE0ELb0ELb0ES3_PKfPffZZZN2at6native31launch_logcumsumexp_cuda_kernelERKNSB_10TensorBaseESF_lENKUlvE_clEvENKUlvE0_clEvEUlffE_fEEDaPvRmT3_T4_T5_mT6_P12ihipStream_tbENKUlT_T0_E_clISt17integral_constantIbLb1EESW_EEDaSR_SS_EUlSR_E_NS1_11comp_targetILNS1_3genE2ELNS1_11target_archE906ELNS1_3gpuE6ELNS1_3repE0EEENS1_30default_config_static_selectorELNS0_4arch9wavefront6targetE1EEEvT1_,@function
_ZN7rocprim17ROCPRIM_400000_NS6detail17trampoline_kernelINS0_14default_configENS1_20scan_config_selectorIfEEZZNS1_9scan_implILNS1_25lookback_scan_determinismE0ELb0ELb0ES3_PKfPffZZZN2at6native31launch_logcumsumexp_cuda_kernelERKNSB_10TensorBaseESF_lENKUlvE_clEvENKUlvE0_clEvEUlffE_fEEDaPvRmT3_T4_T5_mT6_P12ihipStream_tbENKUlT_T0_E_clISt17integral_constantIbLb1EESW_EEDaSR_SS_EUlSR_E_NS1_11comp_targetILNS1_3genE2ELNS1_11target_archE906ELNS1_3gpuE6ELNS1_3repE0EEENS1_30default_config_static_selectorELNS0_4arch9wavefront6targetE1EEEvT1_: ; @_ZN7rocprim17ROCPRIM_400000_NS6detail17trampoline_kernelINS0_14default_configENS1_20scan_config_selectorIfEEZZNS1_9scan_implILNS1_25lookback_scan_determinismE0ELb0ELb0ES3_PKfPffZZZN2at6native31launch_logcumsumexp_cuda_kernelERKNSB_10TensorBaseESF_lENKUlvE_clEvENKUlvE0_clEvEUlffE_fEEDaPvRmT3_T4_T5_mT6_P12ihipStream_tbENKUlT_T0_E_clISt17integral_constantIbLb1EESW_EEDaSR_SS_EUlSR_E_NS1_11comp_targetILNS1_3genE2ELNS1_11target_archE906ELNS1_3gpuE6ELNS1_3repE0EEENS1_30default_config_static_selectorELNS0_4arch9wavefront6targetE1EEEvT1_
; %bb.0:
	s_endpgm
	.section	.rodata,"a",@progbits
	.p2align	6, 0x0
	.amdhsa_kernel _ZN7rocprim17ROCPRIM_400000_NS6detail17trampoline_kernelINS0_14default_configENS1_20scan_config_selectorIfEEZZNS1_9scan_implILNS1_25lookback_scan_determinismE0ELb0ELb0ES3_PKfPffZZZN2at6native31launch_logcumsumexp_cuda_kernelERKNSB_10TensorBaseESF_lENKUlvE_clEvENKUlvE0_clEvEUlffE_fEEDaPvRmT3_T4_T5_mT6_P12ihipStream_tbENKUlT_T0_E_clISt17integral_constantIbLb1EESW_EEDaSR_SS_EUlSR_E_NS1_11comp_targetILNS1_3genE2ELNS1_11target_archE906ELNS1_3gpuE6ELNS1_3repE0EEENS1_30default_config_static_selectorELNS0_4arch9wavefront6targetE1EEEvT1_
		.amdhsa_group_segment_fixed_size 0
		.amdhsa_private_segment_fixed_size 0
		.amdhsa_kernarg_size 96
		.amdhsa_user_sgpr_count 6
		.amdhsa_user_sgpr_private_segment_buffer 1
		.amdhsa_user_sgpr_dispatch_ptr 0
		.amdhsa_user_sgpr_queue_ptr 0
		.amdhsa_user_sgpr_kernarg_segment_ptr 1
		.amdhsa_user_sgpr_dispatch_id 0
		.amdhsa_user_sgpr_flat_scratch_init 0
		.amdhsa_user_sgpr_private_segment_size 0
		.amdhsa_uses_dynamic_stack 0
		.amdhsa_system_sgpr_private_segment_wavefront_offset 0
		.amdhsa_system_sgpr_workgroup_id_x 1
		.amdhsa_system_sgpr_workgroup_id_y 0
		.amdhsa_system_sgpr_workgroup_id_z 0
		.amdhsa_system_sgpr_workgroup_info 0
		.amdhsa_system_vgpr_workitem_id 0
		.amdhsa_next_free_vgpr 1
		.amdhsa_next_free_sgpr 0
		.amdhsa_reserve_vcc 0
		.amdhsa_reserve_flat_scratch 0
		.amdhsa_float_round_mode_32 0
		.amdhsa_float_round_mode_16_64 0
		.amdhsa_float_denorm_mode_32 3
		.amdhsa_float_denorm_mode_16_64 3
		.amdhsa_dx10_clamp 1
		.amdhsa_ieee_mode 1
		.amdhsa_fp16_overflow 0
		.amdhsa_exception_fp_ieee_invalid_op 0
		.amdhsa_exception_fp_denorm_src 0
		.amdhsa_exception_fp_ieee_div_zero 0
		.amdhsa_exception_fp_ieee_overflow 0
		.amdhsa_exception_fp_ieee_underflow 0
		.amdhsa_exception_fp_ieee_inexact 0
		.amdhsa_exception_int_div_zero 0
	.end_amdhsa_kernel
	.section	.text._ZN7rocprim17ROCPRIM_400000_NS6detail17trampoline_kernelINS0_14default_configENS1_20scan_config_selectorIfEEZZNS1_9scan_implILNS1_25lookback_scan_determinismE0ELb0ELb0ES3_PKfPffZZZN2at6native31launch_logcumsumexp_cuda_kernelERKNSB_10TensorBaseESF_lENKUlvE_clEvENKUlvE0_clEvEUlffE_fEEDaPvRmT3_T4_T5_mT6_P12ihipStream_tbENKUlT_T0_E_clISt17integral_constantIbLb1EESW_EEDaSR_SS_EUlSR_E_NS1_11comp_targetILNS1_3genE2ELNS1_11target_archE906ELNS1_3gpuE6ELNS1_3repE0EEENS1_30default_config_static_selectorELNS0_4arch9wavefront6targetE1EEEvT1_,"axG",@progbits,_ZN7rocprim17ROCPRIM_400000_NS6detail17trampoline_kernelINS0_14default_configENS1_20scan_config_selectorIfEEZZNS1_9scan_implILNS1_25lookback_scan_determinismE0ELb0ELb0ES3_PKfPffZZZN2at6native31launch_logcumsumexp_cuda_kernelERKNSB_10TensorBaseESF_lENKUlvE_clEvENKUlvE0_clEvEUlffE_fEEDaPvRmT3_T4_T5_mT6_P12ihipStream_tbENKUlT_T0_E_clISt17integral_constantIbLb1EESW_EEDaSR_SS_EUlSR_E_NS1_11comp_targetILNS1_3genE2ELNS1_11target_archE906ELNS1_3gpuE6ELNS1_3repE0EEENS1_30default_config_static_selectorELNS0_4arch9wavefront6targetE1EEEvT1_,comdat
.Lfunc_end119:
	.size	_ZN7rocprim17ROCPRIM_400000_NS6detail17trampoline_kernelINS0_14default_configENS1_20scan_config_selectorIfEEZZNS1_9scan_implILNS1_25lookback_scan_determinismE0ELb0ELb0ES3_PKfPffZZZN2at6native31launch_logcumsumexp_cuda_kernelERKNSB_10TensorBaseESF_lENKUlvE_clEvENKUlvE0_clEvEUlffE_fEEDaPvRmT3_T4_T5_mT6_P12ihipStream_tbENKUlT_T0_E_clISt17integral_constantIbLb1EESW_EEDaSR_SS_EUlSR_E_NS1_11comp_targetILNS1_3genE2ELNS1_11target_archE906ELNS1_3gpuE6ELNS1_3repE0EEENS1_30default_config_static_selectorELNS0_4arch9wavefront6targetE1EEEvT1_, .Lfunc_end119-_ZN7rocprim17ROCPRIM_400000_NS6detail17trampoline_kernelINS0_14default_configENS1_20scan_config_selectorIfEEZZNS1_9scan_implILNS1_25lookback_scan_determinismE0ELb0ELb0ES3_PKfPffZZZN2at6native31launch_logcumsumexp_cuda_kernelERKNSB_10TensorBaseESF_lENKUlvE_clEvENKUlvE0_clEvEUlffE_fEEDaPvRmT3_T4_T5_mT6_P12ihipStream_tbENKUlT_T0_E_clISt17integral_constantIbLb1EESW_EEDaSR_SS_EUlSR_E_NS1_11comp_targetILNS1_3genE2ELNS1_11target_archE906ELNS1_3gpuE6ELNS1_3repE0EEENS1_30default_config_static_selectorELNS0_4arch9wavefront6targetE1EEEvT1_
                                        ; -- End function
	.set _ZN7rocprim17ROCPRIM_400000_NS6detail17trampoline_kernelINS0_14default_configENS1_20scan_config_selectorIfEEZZNS1_9scan_implILNS1_25lookback_scan_determinismE0ELb0ELb0ES3_PKfPffZZZN2at6native31launch_logcumsumexp_cuda_kernelERKNSB_10TensorBaseESF_lENKUlvE_clEvENKUlvE0_clEvEUlffE_fEEDaPvRmT3_T4_T5_mT6_P12ihipStream_tbENKUlT_T0_E_clISt17integral_constantIbLb1EESW_EEDaSR_SS_EUlSR_E_NS1_11comp_targetILNS1_3genE2ELNS1_11target_archE906ELNS1_3gpuE6ELNS1_3repE0EEENS1_30default_config_static_selectorELNS0_4arch9wavefront6targetE1EEEvT1_.num_vgpr, 0
	.set _ZN7rocprim17ROCPRIM_400000_NS6detail17trampoline_kernelINS0_14default_configENS1_20scan_config_selectorIfEEZZNS1_9scan_implILNS1_25lookback_scan_determinismE0ELb0ELb0ES3_PKfPffZZZN2at6native31launch_logcumsumexp_cuda_kernelERKNSB_10TensorBaseESF_lENKUlvE_clEvENKUlvE0_clEvEUlffE_fEEDaPvRmT3_T4_T5_mT6_P12ihipStream_tbENKUlT_T0_E_clISt17integral_constantIbLb1EESW_EEDaSR_SS_EUlSR_E_NS1_11comp_targetILNS1_3genE2ELNS1_11target_archE906ELNS1_3gpuE6ELNS1_3repE0EEENS1_30default_config_static_selectorELNS0_4arch9wavefront6targetE1EEEvT1_.num_agpr, 0
	.set _ZN7rocprim17ROCPRIM_400000_NS6detail17trampoline_kernelINS0_14default_configENS1_20scan_config_selectorIfEEZZNS1_9scan_implILNS1_25lookback_scan_determinismE0ELb0ELb0ES3_PKfPffZZZN2at6native31launch_logcumsumexp_cuda_kernelERKNSB_10TensorBaseESF_lENKUlvE_clEvENKUlvE0_clEvEUlffE_fEEDaPvRmT3_T4_T5_mT6_P12ihipStream_tbENKUlT_T0_E_clISt17integral_constantIbLb1EESW_EEDaSR_SS_EUlSR_E_NS1_11comp_targetILNS1_3genE2ELNS1_11target_archE906ELNS1_3gpuE6ELNS1_3repE0EEENS1_30default_config_static_selectorELNS0_4arch9wavefront6targetE1EEEvT1_.numbered_sgpr, 0
	.set _ZN7rocprim17ROCPRIM_400000_NS6detail17trampoline_kernelINS0_14default_configENS1_20scan_config_selectorIfEEZZNS1_9scan_implILNS1_25lookback_scan_determinismE0ELb0ELb0ES3_PKfPffZZZN2at6native31launch_logcumsumexp_cuda_kernelERKNSB_10TensorBaseESF_lENKUlvE_clEvENKUlvE0_clEvEUlffE_fEEDaPvRmT3_T4_T5_mT6_P12ihipStream_tbENKUlT_T0_E_clISt17integral_constantIbLb1EESW_EEDaSR_SS_EUlSR_E_NS1_11comp_targetILNS1_3genE2ELNS1_11target_archE906ELNS1_3gpuE6ELNS1_3repE0EEENS1_30default_config_static_selectorELNS0_4arch9wavefront6targetE1EEEvT1_.num_named_barrier, 0
	.set _ZN7rocprim17ROCPRIM_400000_NS6detail17trampoline_kernelINS0_14default_configENS1_20scan_config_selectorIfEEZZNS1_9scan_implILNS1_25lookback_scan_determinismE0ELb0ELb0ES3_PKfPffZZZN2at6native31launch_logcumsumexp_cuda_kernelERKNSB_10TensorBaseESF_lENKUlvE_clEvENKUlvE0_clEvEUlffE_fEEDaPvRmT3_T4_T5_mT6_P12ihipStream_tbENKUlT_T0_E_clISt17integral_constantIbLb1EESW_EEDaSR_SS_EUlSR_E_NS1_11comp_targetILNS1_3genE2ELNS1_11target_archE906ELNS1_3gpuE6ELNS1_3repE0EEENS1_30default_config_static_selectorELNS0_4arch9wavefront6targetE1EEEvT1_.private_seg_size, 0
	.set _ZN7rocprim17ROCPRIM_400000_NS6detail17trampoline_kernelINS0_14default_configENS1_20scan_config_selectorIfEEZZNS1_9scan_implILNS1_25lookback_scan_determinismE0ELb0ELb0ES3_PKfPffZZZN2at6native31launch_logcumsumexp_cuda_kernelERKNSB_10TensorBaseESF_lENKUlvE_clEvENKUlvE0_clEvEUlffE_fEEDaPvRmT3_T4_T5_mT6_P12ihipStream_tbENKUlT_T0_E_clISt17integral_constantIbLb1EESW_EEDaSR_SS_EUlSR_E_NS1_11comp_targetILNS1_3genE2ELNS1_11target_archE906ELNS1_3gpuE6ELNS1_3repE0EEENS1_30default_config_static_selectorELNS0_4arch9wavefront6targetE1EEEvT1_.uses_vcc, 0
	.set _ZN7rocprim17ROCPRIM_400000_NS6detail17trampoline_kernelINS0_14default_configENS1_20scan_config_selectorIfEEZZNS1_9scan_implILNS1_25lookback_scan_determinismE0ELb0ELb0ES3_PKfPffZZZN2at6native31launch_logcumsumexp_cuda_kernelERKNSB_10TensorBaseESF_lENKUlvE_clEvENKUlvE0_clEvEUlffE_fEEDaPvRmT3_T4_T5_mT6_P12ihipStream_tbENKUlT_T0_E_clISt17integral_constantIbLb1EESW_EEDaSR_SS_EUlSR_E_NS1_11comp_targetILNS1_3genE2ELNS1_11target_archE906ELNS1_3gpuE6ELNS1_3repE0EEENS1_30default_config_static_selectorELNS0_4arch9wavefront6targetE1EEEvT1_.uses_flat_scratch, 0
	.set _ZN7rocprim17ROCPRIM_400000_NS6detail17trampoline_kernelINS0_14default_configENS1_20scan_config_selectorIfEEZZNS1_9scan_implILNS1_25lookback_scan_determinismE0ELb0ELb0ES3_PKfPffZZZN2at6native31launch_logcumsumexp_cuda_kernelERKNSB_10TensorBaseESF_lENKUlvE_clEvENKUlvE0_clEvEUlffE_fEEDaPvRmT3_T4_T5_mT6_P12ihipStream_tbENKUlT_T0_E_clISt17integral_constantIbLb1EESW_EEDaSR_SS_EUlSR_E_NS1_11comp_targetILNS1_3genE2ELNS1_11target_archE906ELNS1_3gpuE6ELNS1_3repE0EEENS1_30default_config_static_selectorELNS0_4arch9wavefront6targetE1EEEvT1_.has_dyn_sized_stack, 0
	.set _ZN7rocprim17ROCPRIM_400000_NS6detail17trampoline_kernelINS0_14default_configENS1_20scan_config_selectorIfEEZZNS1_9scan_implILNS1_25lookback_scan_determinismE0ELb0ELb0ES3_PKfPffZZZN2at6native31launch_logcumsumexp_cuda_kernelERKNSB_10TensorBaseESF_lENKUlvE_clEvENKUlvE0_clEvEUlffE_fEEDaPvRmT3_T4_T5_mT6_P12ihipStream_tbENKUlT_T0_E_clISt17integral_constantIbLb1EESW_EEDaSR_SS_EUlSR_E_NS1_11comp_targetILNS1_3genE2ELNS1_11target_archE906ELNS1_3gpuE6ELNS1_3repE0EEENS1_30default_config_static_selectorELNS0_4arch9wavefront6targetE1EEEvT1_.has_recursion, 0
	.set _ZN7rocprim17ROCPRIM_400000_NS6detail17trampoline_kernelINS0_14default_configENS1_20scan_config_selectorIfEEZZNS1_9scan_implILNS1_25lookback_scan_determinismE0ELb0ELb0ES3_PKfPffZZZN2at6native31launch_logcumsumexp_cuda_kernelERKNSB_10TensorBaseESF_lENKUlvE_clEvENKUlvE0_clEvEUlffE_fEEDaPvRmT3_T4_T5_mT6_P12ihipStream_tbENKUlT_T0_E_clISt17integral_constantIbLb1EESW_EEDaSR_SS_EUlSR_E_NS1_11comp_targetILNS1_3genE2ELNS1_11target_archE906ELNS1_3gpuE6ELNS1_3repE0EEENS1_30default_config_static_selectorELNS0_4arch9wavefront6targetE1EEEvT1_.has_indirect_call, 0
	.section	.AMDGPU.csdata,"",@progbits
; Kernel info:
; codeLenInByte = 4
; TotalNumSgprs: 4
; NumVgprs: 0
; ScratchSize: 0
; MemoryBound: 0
; FloatMode: 240
; IeeeMode: 1
; LDSByteSize: 0 bytes/workgroup (compile time only)
; SGPRBlocks: 0
; VGPRBlocks: 0
; NumSGPRsForWavesPerEU: 4
; NumVGPRsForWavesPerEU: 1
; Occupancy: 10
; WaveLimiterHint : 0
; COMPUTE_PGM_RSRC2:SCRATCH_EN: 0
; COMPUTE_PGM_RSRC2:USER_SGPR: 6
; COMPUTE_PGM_RSRC2:TRAP_HANDLER: 0
; COMPUTE_PGM_RSRC2:TGID_X_EN: 1
; COMPUTE_PGM_RSRC2:TGID_Y_EN: 0
; COMPUTE_PGM_RSRC2:TGID_Z_EN: 0
; COMPUTE_PGM_RSRC2:TIDIG_COMP_CNT: 0
	.section	.text._ZN7rocprim17ROCPRIM_400000_NS6detail17trampoline_kernelINS0_14default_configENS1_20scan_config_selectorIfEEZZNS1_9scan_implILNS1_25lookback_scan_determinismE0ELb0ELb0ES3_PKfPffZZZN2at6native31launch_logcumsumexp_cuda_kernelERKNSB_10TensorBaseESF_lENKUlvE_clEvENKUlvE0_clEvEUlffE_fEEDaPvRmT3_T4_T5_mT6_P12ihipStream_tbENKUlT_T0_E_clISt17integral_constantIbLb1EESW_EEDaSR_SS_EUlSR_E_NS1_11comp_targetILNS1_3genE10ELNS1_11target_archE1201ELNS1_3gpuE5ELNS1_3repE0EEENS1_30default_config_static_selectorELNS0_4arch9wavefront6targetE1EEEvT1_,"axG",@progbits,_ZN7rocprim17ROCPRIM_400000_NS6detail17trampoline_kernelINS0_14default_configENS1_20scan_config_selectorIfEEZZNS1_9scan_implILNS1_25lookback_scan_determinismE0ELb0ELb0ES3_PKfPffZZZN2at6native31launch_logcumsumexp_cuda_kernelERKNSB_10TensorBaseESF_lENKUlvE_clEvENKUlvE0_clEvEUlffE_fEEDaPvRmT3_T4_T5_mT6_P12ihipStream_tbENKUlT_T0_E_clISt17integral_constantIbLb1EESW_EEDaSR_SS_EUlSR_E_NS1_11comp_targetILNS1_3genE10ELNS1_11target_archE1201ELNS1_3gpuE5ELNS1_3repE0EEENS1_30default_config_static_selectorELNS0_4arch9wavefront6targetE1EEEvT1_,comdat
	.globl	_ZN7rocprim17ROCPRIM_400000_NS6detail17trampoline_kernelINS0_14default_configENS1_20scan_config_selectorIfEEZZNS1_9scan_implILNS1_25lookback_scan_determinismE0ELb0ELb0ES3_PKfPffZZZN2at6native31launch_logcumsumexp_cuda_kernelERKNSB_10TensorBaseESF_lENKUlvE_clEvENKUlvE0_clEvEUlffE_fEEDaPvRmT3_T4_T5_mT6_P12ihipStream_tbENKUlT_T0_E_clISt17integral_constantIbLb1EESW_EEDaSR_SS_EUlSR_E_NS1_11comp_targetILNS1_3genE10ELNS1_11target_archE1201ELNS1_3gpuE5ELNS1_3repE0EEENS1_30default_config_static_selectorELNS0_4arch9wavefront6targetE1EEEvT1_ ; -- Begin function _ZN7rocprim17ROCPRIM_400000_NS6detail17trampoline_kernelINS0_14default_configENS1_20scan_config_selectorIfEEZZNS1_9scan_implILNS1_25lookback_scan_determinismE0ELb0ELb0ES3_PKfPffZZZN2at6native31launch_logcumsumexp_cuda_kernelERKNSB_10TensorBaseESF_lENKUlvE_clEvENKUlvE0_clEvEUlffE_fEEDaPvRmT3_T4_T5_mT6_P12ihipStream_tbENKUlT_T0_E_clISt17integral_constantIbLb1EESW_EEDaSR_SS_EUlSR_E_NS1_11comp_targetILNS1_3genE10ELNS1_11target_archE1201ELNS1_3gpuE5ELNS1_3repE0EEENS1_30default_config_static_selectorELNS0_4arch9wavefront6targetE1EEEvT1_
	.p2align	8
	.type	_ZN7rocprim17ROCPRIM_400000_NS6detail17trampoline_kernelINS0_14default_configENS1_20scan_config_selectorIfEEZZNS1_9scan_implILNS1_25lookback_scan_determinismE0ELb0ELb0ES3_PKfPffZZZN2at6native31launch_logcumsumexp_cuda_kernelERKNSB_10TensorBaseESF_lENKUlvE_clEvENKUlvE0_clEvEUlffE_fEEDaPvRmT3_T4_T5_mT6_P12ihipStream_tbENKUlT_T0_E_clISt17integral_constantIbLb1EESW_EEDaSR_SS_EUlSR_E_NS1_11comp_targetILNS1_3genE10ELNS1_11target_archE1201ELNS1_3gpuE5ELNS1_3repE0EEENS1_30default_config_static_selectorELNS0_4arch9wavefront6targetE1EEEvT1_,@function
_ZN7rocprim17ROCPRIM_400000_NS6detail17trampoline_kernelINS0_14default_configENS1_20scan_config_selectorIfEEZZNS1_9scan_implILNS1_25lookback_scan_determinismE0ELb0ELb0ES3_PKfPffZZZN2at6native31launch_logcumsumexp_cuda_kernelERKNSB_10TensorBaseESF_lENKUlvE_clEvENKUlvE0_clEvEUlffE_fEEDaPvRmT3_T4_T5_mT6_P12ihipStream_tbENKUlT_T0_E_clISt17integral_constantIbLb1EESW_EEDaSR_SS_EUlSR_E_NS1_11comp_targetILNS1_3genE10ELNS1_11target_archE1201ELNS1_3gpuE5ELNS1_3repE0EEENS1_30default_config_static_selectorELNS0_4arch9wavefront6targetE1EEEvT1_: ; @_ZN7rocprim17ROCPRIM_400000_NS6detail17trampoline_kernelINS0_14default_configENS1_20scan_config_selectorIfEEZZNS1_9scan_implILNS1_25lookback_scan_determinismE0ELb0ELb0ES3_PKfPffZZZN2at6native31launch_logcumsumexp_cuda_kernelERKNSB_10TensorBaseESF_lENKUlvE_clEvENKUlvE0_clEvEUlffE_fEEDaPvRmT3_T4_T5_mT6_P12ihipStream_tbENKUlT_T0_E_clISt17integral_constantIbLb1EESW_EEDaSR_SS_EUlSR_E_NS1_11comp_targetILNS1_3genE10ELNS1_11target_archE1201ELNS1_3gpuE5ELNS1_3repE0EEENS1_30default_config_static_selectorELNS0_4arch9wavefront6targetE1EEEvT1_
; %bb.0:
	.section	.rodata,"a",@progbits
	.p2align	6, 0x0
	.amdhsa_kernel _ZN7rocprim17ROCPRIM_400000_NS6detail17trampoline_kernelINS0_14default_configENS1_20scan_config_selectorIfEEZZNS1_9scan_implILNS1_25lookback_scan_determinismE0ELb0ELb0ES3_PKfPffZZZN2at6native31launch_logcumsumexp_cuda_kernelERKNSB_10TensorBaseESF_lENKUlvE_clEvENKUlvE0_clEvEUlffE_fEEDaPvRmT3_T4_T5_mT6_P12ihipStream_tbENKUlT_T0_E_clISt17integral_constantIbLb1EESW_EEDaSR_SS_EUlSR_E_NS1_11comp_targetILNS1_3genE10ELNS1_11target_archE1201ELNS1_3gpuE5ELNS1_3repE0EEENS1_30default_config_static_selectorELNS0_4arch9wavefront6targetE1EEEvT1_
		.amdhsa_group_segment_fixed_size 0
		.amdhsa_private_segment_fixed_size 0
		.amdhsa_kernarg_size 96
		.amdhsa_user_sgpr_count 6
		.amdhsa_user_sgpr_private_segment_buffer 1
		.amdhsa_user_sgpr_dispatch_ptr 0
		.amdhsa_user_sgpr_queue_ptr 0
		.amdhsa_user_sgpr_kernarg_segment_ptr 1
		.amdhsa_user_sgpr_dispatch_id 0
		.amdhsa_user_sgpr_flat_scratch_init 0
		.amdhsa_user_sgpr_private_segment_size 0
		.amdhsa_uses_dynamic_stack 0
		.amdhsa_system_sgpr_private_segment_wavefront_offset 0
		.amdhsa_system_sgpr_workgroup_id_x 1
		.amdhsa_system_sgpr_workgroup_id_y 0
		.amdhsa_system_sgpr_workgroup_id_z 0
		.amdhsa_system_sgpr_workgroup_info 0
		.amdhsa_system_vgpr_workitem_id 0
		.amdhsa_next_free_vgpr 1
		.amdhsa_next_free_sgpr 0
		.amdhsa_reserve_vcc 0
		.amdhsa_reserve_flat_scratch 0
		.amdhsa_float_round_mode_32 0
		.amdhsa_float_round_mode_16_64 0
		.amdhsa_float_denorm_mode_32 3
		.amdhsa_float_denorm_mode_16_64 3
		.amdhsa_dx10_clamp 1
		.amdhsa_ieee_mode 1
		.amdhsa_fp16_overflow 0
		.amdhsa_exception_fp_ieee_invalid_op 0
		.amdhsa_exception_fp_denorm_src 0
		.amdhsa_exception_fp_ieee_div_zero 0
		.amdhsa_exception_fp_ieee_overflow 0
		.amdhsa_exception_fp_ieee_underflow 0
		.amdhsa_exception_fp_ieee_inexact 0
		.amdhsa_exception_int_div_zero 0
	.end_amdhsa_kernel
	.section	.text._ZN7rocprim17ROCPRIM_400000_NS6detail17trampoline_kernelINS0_14default_configENS1_20scan_config_selectorIfEEZZNS1_9scan_implILNS1_25lookback_scan_determinismE0ELb0ELb0ES3_PKfPffZZZN2at6native31launch_logcumsumexp_cuda_kernelERKNSB_10TensorBaseESF_lENKUlvE_clEvENKUlvE0_clEvEUlffE_fEEDaPvRmT3_T4_T5_mT6_P12ihipStream_tbENKUlT_T0_E_clISt17integral_constantIbLb1EESW_EEDaSR_SS_EUlSR_E_NS1_11comp_targetILNS1_3genE10ELNS1_11target_archE1201ELNS1_3gpuE5ELNS1_3repE0EEENS1_30default_config_static_selectorELNS0_4arch9wavefront6targetE1EEEvT1_,"axG",@progbits,_ZN7rocprim17ROCPRIM_400000_NS6detail17trampoline_kernelINS0_14default_configENS1_20scan_config_selectorIfEEZZNS1_9scan_implILNS1_25lookback_scan_determinismE0ELb0ELb0ES3_PKfPffZZZN2at6native31launch_logcumsumexp_cuda_kernelERKNSB_10TensorBaseESF_lENKUlvE_clEvENKUlvE0_clEvEUlffE_fEEDaPvRmT3_T4_T5_mT6_P12ihipStream_tbENKUlT_T0_E_clISt17integral_constantIbLb1EESW_EEDaSR_SS_EUlSR_E_NS1_11comp_targetILNS1_3genE10ELNS1_11target_archE1201ELNS1_3gpuE5ELNS1_3repE0EEENS1_30default_config_static_selectorELNS0_4arch9wavefront6targetE1EEEvT1_,comdat
.Lfunc_end120:
	.size	_ZN7rocprim17ROCPRIM_400000_NS6detail17trampoline_kernelINS0_14default_configENS1_20scan_config_selectorIfEEZZNS1_9scan_implILNS1_25lookback_scan_determinismE0ELb0ELb0ES3_PKfPffZZZN2at6native31launch_logcumsumexp_cuda_kernelERKNSB_10TensorBaseESF_lENKUlvE_clEvENKUlvE0_clEvEUlffE_fEEDaPvRmT3_T4_T5_mT6_P12ihipStream_tbENKUlT_T0_E_clISt17integral_constantIbLb1EESW_EEDaSR_SS_EUlSR_E_NS1_11comp_targetILNS1_3genE10ELNS1_11target_archE1201ELNS1_3gpuE5ELNS1_3repE0EEENS1_30default_config_static_selectorELNS0_4arch9wavefront6targetE1EEEvT1_, .Lfunc_end120-_ZN7rocprim17ROCPRIM_400000_NS6detail17trampoline_kernelINS0_14default_configENS1_20scan_config_selectorIfEEZZNS1_9scan_implILNS1_25lookback_scan_determinismE0ELb0ELb0ES3_PKfPffZZZN2at6native31launch_logcumsumexp_cuda_kernelERKNSB_10TensorBaseESF_lENKUlvE_clEvENKUlvE0_clEvEUlffE_fEEDaPvRmT3_T4_T5_mT6_P12ihipStream_tbENKUlT_T0_E_clISt17integral_constantIbLb1EESW_EEDaSR_SS_EUlSR_E_NS1_11comp_targetILNS1_3genE10ELNS1_11target_archE1201ELNS1_3gpuE5ELNS1_3repE0EEENS1_30default_config_static_selectorELNS0_4arch9wavefront6targetE1EEEvT1_
                                        ; -- End function
	.set _ZN7rocprim17ROCPRIM_400000_NS6detail17trampoline_kernelINS0_14default_configENS1_20scan_config_selectorIfEEZZNS1_9scan_implILNS1_25lookback_scan_determinismE0ELb0ELb0ES3_PKfPffZZZN2at6native31launch_logcumsumexp_cuda_kernelERKNSB_10TensorBaseESF_lENKUlvE_clEvENKUlvE0_clEvEUlffE_fEEDaPvRmT3_T4_T5_mT6_P12ihipStream_tbENKUlT_T0_E_clISt17integral_constantIbLb1EESW_EEDaSR_SS_EUlSR_E_NS1_11comp_targetILNS1_3genE10ELNS1_11target_archE1201ELNS1_3gpuE5ELNS1_3repE0EEENS1_30default_config_static_selectorELNS0_4arch9wavefront6targetE1EEEvT1_.num_vgpr, 0
	.set _ZN7rocprim17ROCPRIM_400000_NS6detail17trampoline_kernelINS0_14default_configENS1_20scan_config_selectorIfEEZZNS1_9scan_implILNS1_25lookback_scan_determinismE0ELb0ELb0ES3_PKfPffZZZN2at6native31launch_logcumsumexp_cuda_kernelERKNSB_10TensorBaseESF_lENKUlvE_clEvENKUlvE0_clEvEUlffE_fEEDaPvRmT3_T4_T5_mT6_P12ihipStream_tbENKUlT_T0_E_clISt17integral_constantIbLb1EESW_EEDaSR_SS_EUlSR_E_NS1_11comp_targetILNS1_3genE10ELNS1_11target_archE1201ELNS1_3gpuE5ELNS1_3repE0EEENS1_30default_config_static_selectorELNS0_4arch9wavefront6targetE1EEEvT1_.num_agpr, 0
	.set _ZN7rocprim17ROCPRIM_400000_NS6detail17trampoline_kernelINS0_14default_configENS1_20scan_config_selectorIfEEZZNS1_9scan_implILNS1_25lookback_scan_determinismE0ELb0ELb0ES3_PKfPffZZZN2at6native31launch_logcumsumexp_cuda_kernelERKNSB_10TensorBaseESF_lENKUlvE_clEvENKUlvE0_clEvEUlffE_fEEDaPvRmT3_T4_T5_mT6_P12ihipStream_tbENKUlT_T0_E_clISt17integral_constantIbLb1EESW_EEDaSR_SS_EUlSR_E_NS1_11comp_targetILNS1_3genE10ELNS1_11target_archE1201ELNS1_3gpuE5ELNS1_3repE0EEENS1_30default_config_static_selectorELNS0_4arch9wavefront6targetE1EEEvT1_.numbered_sgpr, 0
	.set _ZN7rocprim17ROCPRIM_400000_NS6detail17trampoline_kernelINS0_14default_configENS1_20scan_config_selectorIfEEZZNS1_9scan_implILNS1_25lookback_scan_determinismE0ELb0ELb0ES3_PKfPffZZZN2at6native31launch_logcumsumexp_cuda_kernelERKNSB_10TensorBaseESF_lENKUlvE_clEvENKUlvE0_clEvEUlffE_fEEDaPvRmT3_T4_T5_mT6_P12ihipStream_tbENKUlT_T0_E_clISt17integral_constantIbLb1EESW_EEDaSR_SS_EUlSR_E_NS1_11comp_targetILNS1_3genE10ELNS1_11target_archE1201ELNS1_3gpuE5ELNS1_3repE0EEENS1_30default_config_static_selectorELNS0_4arch9wavefront6targetE1EEEvT1_.num_named_barrier, 0
	.set _ZN7rocprim17ROCPRIM_400000_NS6detail17trampoline_kernelINS0_14default_configENS1_20scan_config_selectorIfEEZZNS1_9scan_implILNS1_25lookback_scan_determinismE0ELb0ELb0ES3_PKfPffZZZN2at6native31launch_logcumsumexp_cuda_kernelERKNSB_10TensorBaseESF_lENKUlvE_clEvENKUlvE0_clEvEUlffE_fEEDaPvRmT3_T4_T5_mT6_P12ihipStream_tbENKUlT_T0_E_clISt17integral_constantIbLb1EESW_EEDaSR_SS_EUlSR_E_NS1_11comp_targetILNS1_3genE10ELNS1_11target_archE1201ELNS1_3gpuE5ELNS1_3repE0EEENS1_30default_config_static_selectorELNS0_4arch9wavefront6targetE1EEEvT1_.private_seg_size, 0
	.set _ZN7rocprim17ROCPRIM_400000_NS6detail17trampoline_kernelINS0_14default_configENS1_20scan_config_selectorIfEEZZNS1_9scan_implILNS1_25lookback_scan_determinismE0ELb0ELb0ES3_PKfPffZZZN2at6native31launch_logcumsumexp_cuda_kernelERKNSB_10TensorBaseESF_lENKUlvE_clEvENKUlvE0_clEvEUlffE_fEEDaPvRmT3_T4_T5_mT6_P12ihipStream_tbENKUlT_T0_E_clISt17integral_constantIbLb1EESW_EEDaSR_SS_EUlSR_E_NS1_11comp_targetILNS1_3genE10ELNS1_11target_archE1201ELNS1_3gpuE5ELNS1_3repE0EEENS1_30default_config_static_selectorELNS0_4arch9wavefront6targetE1EEEvT1_.uses_vcc, 0
	.set _ZN7rocprim17ROCPRIM_400000_NS6detail17trampoline_kernelINS0_14default_configENS1_20scan_config_selectorIfEEZZNS1_9scan_implILNS1_25lookback_scan_determinismE0ELb0ELb0ES3_PKfPffZZZN2at6native31launch_logcumsumexp_cuda_kernelERKNSB_10TensorBaseESF_lENKUlvE_clEvENKUlvE0_clEvEUlffE_fEEDaPvRmT3_T4_T5_mT6_P12ihipStream_tbENKUlT_T0_E_clISt17integral_constantIbLb1EESW_EEDaSR_SS_EUlSR_E_NS1_11comp_targetILNS1_3genE10ELNS1_11target_archE1201ELNS1_3gpuE5ELNS1_3repE0EEENS1_30default_config_static_selectorELNS0_4arch9wavefront6targetE1EEEvT1_.uses_flat_scratch, 0
	.set _ZN7rocprim17ROCPRIM_400000_NS6detail17trampoline_kernelINS0_14default_configENS1_20scan_config_selectorIfEEZZNS1_9scan_implILNS1_25lookback_scan_determinismE0ELb0ELb0ES3_PKfPffZZZN2at6native31launch_logcumsumexp_cuda_kernelERKNSB_10TensorBaseESF_lENKUlvE_clEvENKUlvE0_clEvEUlffE_fEEDaPvRmT3_T4_T5_mT6_P12ihipStream_tbENKUlT_T0_E_clISt17integral_constantIbLb1EESW_EEDaSR_SS_EUlSR_E_NS1_11comp_targetILNS1_3genE10ELNS1_11target_archE1201ELNS1_3gpuE5ELNS1_3repE0EEENS1_30default_config_static_selectorELNS0_4arch9wavefront6targetE1EEEvT1_.has_dyn_sized_stack, 0
	.set _ZN7rocprim17ROCPRIM_400000_NS6detail17trampoline_kernelINS0_14default_configENS1_20scan_config_selectorIfEEZZNS1_9scan_implILNS1_25lookback_scan_determinismE0ELb0ELb0ES3_PKfPffZZZN2at6native31launch_logcumsumexp_cuda_kernelERKNSB_10TensorBaseESF_lENKUlvE_clEvENKUlvE0_clEvEUlffE_fEEDaPvRmT3_T4_T5_mT6_P12ihipStream_tbENKUlT_T0_E_clISt17integral_constantIbLb1EESW_EEDaSR_SS_EUlSR_E_NS1_11comp_targetILNS1_3genE10ELNS1_11target_archE1201ELNS1_3gpuE5ELNS1_3repE0EEENS1_30default_config_static_selectorELNS0_4arch9wavefront6targetE1EEEvT1_.has_recursion, 0
	.set _ZN7rocprim17ROCPRIM_400000_NS6detail17trampoline_kernelINS0_14default_configENS1_20scan_config_selectorIfEEZZNS1_9scan_implILNS1_25lookback_scan_determinismE0ELb0ELb0ES3_PKfPffZZZN2at6native31launch_logcumsumexp_cuda_kernelERKNSB_10TensorBaseESF_lENKUlvE_clEvENKUlvE0_clEvEUlffE_fEEDaPvRmT3_T4_T5_mT6_P12ihipStream_tbENKUlT_T0_E_clISt17integral_constantIbLb1EESW_EEDaSR_SS_EUlSR_E_NS1_11comp_targetILNS1_3genE10ELNS1_11target_archE1201ELNS1_3gpuE5ELNS1_3repE0EEENS1_30default_config_static_selectorELNS0_4arch9wavefront6targetE1EEEvT1_.has_indirect_call, 0
	.section	.AMDGPU.csdata,"",@progbits
; Kernel info:
; codeLenInByte = 0
; TotalNumSgprs: 4
; NumVgprs: 0
; ScratchSize: 0
; MemoryBound: 0
; FloatMode: 240
; IeeeMode: 1
; LDSByteSize: 0 bytes/workgroup (compile time only)
; SGPRBlocks: 0
; VGPRBlocks: 0
; NumSGPRsForWavesPerEU: 4
; NumVGPRsForWavesPerEU: 1
; Occupancy: 10
; WaveLimiterHint : 0
; COMPUTE_PGM_RSRC2:SCRATCH_EN: 0
; COMPUTE_PGM_RSRC2:USER_SGPR: 6
; COMPUTE_PGM_RSRC2:TRAP_HANDLER: 0
; COMPUTE_PGM_RSRC2:TGID_X_EN: 1
; COMPUTE_PGM_RSRC2:TGID_Y_EN: 0
; COMPUTE_PGM_RSRC2:TGID_Z_EN: 0
; COMPUTE_PGM_RSRC2:TIDIG_COMP_CNT: 0
	.section	.text._ZN7rocprim17ROCPRIM_400000_NS6detail17trampoline_kernelINS0_14default_configENS1_20scan_config_selectorIfEEZZNS1_9scan_implILNS1_25lookback_scan_determinismE0ELb0ELb0ES3_PKfPffZZZN2at6native31launch_logcumsumexp_cuda_kernelERKNSB_10TensorBaseESF_lENKUlvE_clEvENKUlvE0_clEvEUlffE_fEEDaPvRmT3_T4_T5_mT6_P12ihipStream_tbENKUlT_T0_E_clISt17integral_constantIbLb1EESW_EEDaSR_SS_EUlSR_E_NS1_11comp_targetILNS1_3genE10ELNS1_11target_archE1200ELNS1_3gpuE4ELNS1_3repE0EEENS1_30default_config_static_selectorELNS0_4arch9wavefront6targetE1EEEvT1_,"axG",@progbits,_ZN7rocprim17ROCPRIM_400000_NS6detail17trampoline_kernelINS0_14default_configENS1_20scan_config_selectorIfEEZZNS1_9scan_implILNS1_25lookback_scan_determinismE0ELb0ELb0ES3_PKfPffZZZN2at6native31launch_logcumsumexp_cuda_kernelERKNSB_10TensorBaseESF_lENKUlvE_clEvENKUlvE0_clEvEUlffE_fEEDaPvRmT3_T4_T5_mT6_P12ihipStream_tbENKUlT_T0_E_clISt17integral_constantIbLb1EESW_EEDaSR_SS_EUlSR_E_NS1_11comp_targetILNS1_3genE10ELNS1_11target_archE1200ELNS1_3gpuE4ELNS1_3repE0EEENS1_30default_config_static_selectorELNS0_4arch9wavefront6targetE1EEEvT1_,comdat
	.globl	_ZN7rocprim17ROCPRIM_400000_NS6detail17trampoline_kernelINS0_14default_configENS1_20scan_config_selectorIfEEZZNS1_9scan_implILNS1_25lookback_scan_determinismE0ELb0ELb0ES3_PKfPffZZZN2at6native31launch_logcumsumexp_cuda_kernelERKNSB_10TensorBaseESF_lENKUlvE_clEvENKUlvE0_clEvEUlffE_fEEDaPvRmT3_T4_T5_mT6_P12ihipStream_tbENKUlT_T0_E_clISt17integral_constantIbLb1EESW_EEDaSR_SS_EUlSR_E_NS1_11comp_targetILNS1_3genE10ELNS1_11target_archE1200ELNS1_3gpuE4ELNS1_3repE0EEENS1_30default_config_static_selectorELNS0_4arch9wavefront6targetE1EEEvT1_ ; -- Begin function _ZN7rocprim17ROCPRIM_400000_NS6detail17trampoline_kernelINS0_14default_configENS1_20scan_config_selectorIfEEZZNS1_9scan_implILNS1_25lookback_scan_determinismE0ELb0ELb0ES3_PKfPffZZZN2at6native31launch_logcumsumexp_cuda_kernelERKNSB_10TensorBaseESF_lENKUlvE_clEvENKUlvE0_clEvEUlffE_fEEDaPvRmT3_T4_T5_mT6_P12ihipStream_tbENKUlT_T0_E_clISt17integral_constantIbLb1EESW_EEDaSR_SS_EUlSR_E_NS1_11comp_targetILNS1_3genE10ELNS1_11target_archE1200ELNS1_3gpuE4ELNS1_3repE0EEENS1_30default_config_static_selectorELNS0_4arch9wavefront6targetE1EEEvT1_
	.p2align	8
	.type	_ZN7rocprim17ROCPRIM_400000_NS6detail17trampoline_kernelINS0_14default_configENS1_20scan_config_selectorIfEEZZNS1_9scan_implILNS1_25lookback_scan_determinismE0ELb0ELb0ES3_PKfPffZZZN2at6native31launch_logcumsumexp_cuda_kernelERKNSB_10TensorBaseESF_lENKUlvE_clEvENKUlvE0_clEvEUlffE_fEEDaPvRmT3_T4_T5_mT6_P12ihipStream_tbENKUlT_T0_E_clISt17integral_constantIbLb1EESW_EEDaSR_SS_EUlSR_E_NS1_11comp_targetILNS1_3genE10ELNS1_11target_archE1200ELNS1_3gpuE4ELNS1_3repE0EEENS1_30default_config_static_selectorELNS0_4arch9wavefront6targetE1EEEvT1_,@function
_ZN7rocprim17ROCPRIM_400000_NS6detail17trampoline_kernelINS0_14default_configENS1_20scan_config_selectorIfEEZZNS1_9scan_implILNS1_25lookback_scan_determinismE0ELb0ELb0ES3_PKfPffZZZN2at6native31launch_logcumsumexp_cuda_kernelERKNSB_10TensorBaseESF_lENKUlvE_clEvENKUlvE0_clEvEUlffE_fEEDaPvRmT3_T4_T5_mT6_P12ihipStream_tbENKUlT_T0_E_clISt17integral_constantIbLb1EESW_EEDaSR_SS_EUlSR_E_NS1_11comp_targetILNS1_3genE10ELNS1_11target_archE1200ELNS1_3gpuE4ELNS1_3repE0EEENS1_30default_config_static_selectorELNS0_4arch9wavefront6targetE1EEEvT1_: ; @_ZN7rocprim17ROCPRIM_400000_NS6detail17trampoline_kernelINS0_14default_configENS1_20scan_config_selectorIfEEZZNS1_9scan_implILNS1_25lookback_scan_determinismE0ELb0ELb0ES3_PKfPffZZZN2at6native31launch_logcumsumexp_cuda_kernelERKNSB_10TensorBaseESF_lENKUlvE_clEvENKUlvE0_clEvEUlffE_fEEDaPvRmT3_T4_T5_mT6_P12ihipStream_tbENKUlT_T0_E_clISt17integral_constantIbLb1EESW_EEDaSR_SS_EUlSR_E_NS1_11comp_targetILNS1_3genE10ELNS1_11target_archE1200ELNS1_3gpuE4ELNS1_3repE0EEENS1_30default_config_static_selectorELNS0_4arch9wavefront6targetE1EEEvT1_
; %bb.0:
	.section	.rodata,"a",@progbits
	.p2align	6, 0x0
	.amdhsa_kernel _ZN7rocprim17ROCPRIM_400000_NS6detail17trampoline_kernelINS0_14default_configENS1_20scan_config_selectorIfEEZZNS1_9scan_implILNS1_25lookback_scan_determinismE0ELb0ELb0ES3_PKfPffZZZN2at6native31launch_logcumsumexp_cuda_kernelERKNSB_10TensorBaseESF_lENKUlvE_clEvENKUlvE0_clEvEUlffE_fEEDaPvRmT3_T4_T5_mT6_P12ihipStream_tbENKUlT_T0_E_clISt17integral_constantIbLb1EESW_EEDaSR_SS_EUlSR_E_NS1_11comp_targetILNS1_3genE10ELNS1_11target_archE1200ELNS1_3gpuE4ELNS1_3repE0EEENS1_30default_config_static_selectorELNS0_4arch9wavefront6targetE1EEEvT1_
		.amdhsa_group_segment_fixed_size 0
		.amdhsa_private_segment_fixed_size 0
		.amdhsa_kernarg_size 96
		.amdhsa_user_sgpr_count 6
		.amdhsa_user_sgpr_private_segment_buffer 1
		.amdhsa_user_sgpr_dispatch_ptr 0
		.amdhsa_user_sgpr_queue_ptr 0
		.amdhsa_user_sgpr_kernarg_segment_ptr 1
		.amdhsa_user_sgpr_dispatch_id 0
		.amdhsa_user_sgpr_flat_scratch_init 0
		.amdhsa_user_sgpr_private_segment_size 0
		.amdhsa_uses_dynamic_stack 0
		.amdhsa_system_sgpr_private_segment_wavefront_offset 0
		.amdhsa_system_sgpr_workgroup_id_x 1
		.amdhsa_system_sgpr_workgroup_id_y 0
		.amdhsa_system_sgpr_workgroup_id_z 0
		.amdhsa_system_sgpr_workgroup_info 0
		.amdhsa_system_vgpr_workitem_id 0
		.amdhsa_next_free_vgpr 1
		.amdhsa_next_free_sgpr 0
		.amdhsa_reserve_vcc 0
		.amdhsa_reserve_flat_scratch 0
		.amdhsa_float_round_mode_32 0
		.amdhsa_float_round_mode_16_64 0
		.amdhsa_float_denorm_mode_32 3
		.amdhsa_float_denorm_mode_16_64 3
		.amdhsa_dx10_clamp 1
		.amdhsa_ieee_mode 1
		.amdhsa_fp16_overflow 0
		.amdhsa_exception_fp_ieee_invalid_op 0
		.amdhsa_exception_fp_denorm_src 0
		.amdhsa_exception_fp_ieee_div_zero 0
		.amdhsa_exception_fp_ieee_overflow 0
		.amdhsa_exception_fp_ieee_underflow 0
		.amdhsa_exception_fp_ieee_inexact 0
		.amdhsa_exception_int_div_zero 0
	.end_amdhsa_kernel
	.section	.text._ZN7rocprim17ROCPRIM_400000_NS6detail17trampoline_kernelINS0_14default_configENS1_20scan_config_selectorIfEEZZNS1_9scan_implILNS1_25lookback_scan_determinismE0ELb0ELb0ES3_PKfPffZZZN2at6native31launch_logcumsumexp_cuda_kernelERKNSB_10TensorBaseESF_lENKUlvE_clEvENKUlvE0_clEvEUlffE_fEEDaPvRmT3_T4_T5_mT6_P12ihipStream_tbENKUlT_T0_E_clISt17integral_constantIbLb1EESW_EEDaSR_SS_EUlSR_E_NS1_11comp_targetILNS1_3genE10ELNS1_11target_archE1200ELNS1_3gpuE4ELNS1_3repE0EEENS1_30default_config_static_selectorELNS0_4arch9wavefront6targetE1EEEvT1_,"axG",@progbits,_ZN7rocprim17ROCPRIM_400000_NS6detail17trampoline_kernelINS0_14default_configENS1_20scan_config_selectorIfEEZZNS1_9scan_implILNS1_25lookback_scan_determinismE0ELb0ELb0ES3_PKfPffZZZN2at6native31launch_logcumsumexp_cuda_kernelERKNSB_10TensorBaseESF_lENKUlvE_clEvENKUlvE0_clEvEUlffE_fEEDaPvRmT3_T4_T5_mT6_P12ihipStream_tbENKUlT_T0_E_clISt17integral_constantIbLb1EESW_EEDaSR_SS_EUlSR_E_NS1_11comp_targetILNS1_3genE10ELNS1_11target_archE1200ELNS1_3gpuE4ELNS1_3repE0EEENS1_30default_config_static_selectorELNS0_4arch9wavefront6targetE1EEEvT1_,comdat
.Lfunc_end121:
	.size	_ZN7rocprim17ROCPRIM_400000_NS6detail17trampoline_kernelINS0_14default_configENS1_20scan_config_selectorIfEEZZNS1_9scan_implILNS1_25lookback_scan_determinismE0ELb0ELb0ES3_PKfPffZZZN2at6native31launch_logcumsumexp_cuda_kernelERKNSB_10TensorBaseESF_lENKUlvE_clEvENKUlvE0_clEvEUlffE_fEEDaPvRmT3_T4_T5_mT6_P12ihipStream_tbENKUlT_T0_E_clISt17integral_constantIbLb1EESW_EEDaSR_SS_EUlSR_E_NS1_11comp_targetILNS1_3genE10ELNS1_11target_archE1200ELNS1_3gpuE4ELNS1_3repE0EEENS1_30default_config_static_selectorELNS0_4arch9wavefront6targetE1EEEvT1_, .Lfunc_end121-_ZN7rocprim17ROCPRIM_400000_NS6detail17trampoline_kernelINS0_14default_configENS1_20scan_config_selectorIfEEZZNS1_9scan_implILNS1_25lookback_scan_determinismE0ELb0ELb0ES3_PKfPffZZZN2at6native31launch_logcumsumexp_cuda_kernelERKNSB_10TensorBaseESF_lENKUlvE_clEvENKUlvE0_clEvEUlffE_fEEDaPvRmT3_T4_T5_mT6_P12ihipStream_tbENKUlT_T0_E_clISt17integral_constantIbLb1EESW_EEDaSR_SS_EUlSR_E_NS1_11comp_targetILNS1_3genE10ELNS1_11target_archE1200ELNS1_3gpuE4ELNS1_3repE0EEENS1_30default_config_static_selectorELNS0_4arch9wavefront6targetE1EEEvT1_
                                        ; -- End function
	.set _ZN7rocprim17ROCPRIM_400000_NS6detail17trampoline_kernelINS0_14default_configENS1_20scan_config_selectorIfEEZZNS1_9scan_implILNS1_25lookback_scan_determinismE0ELb0ELb0ES3_PKfPffZZZN2at6native31launch_logcumsumexp_cuda_kernelERKNSB_10TensorBaseESF_lENKUlvE_clEvENKUlvE0_clEvEUlffE_fEEDaPvRmT3_T4_T5_mT6_P12ihipStream_tbENKUlT_T0_E_clISt17integral_constantIbLb1EESW_EEDaSR_SS_EUlSR_E_NS1_11comp_targetILNS1_3genE10ELNS1_11target_archE1200ELNS1_3gpuE4ELNS1_3repE0EEENS1_30default_config_static_selectorELNS0_4arch9wavefront6targetE1EEEvT1_.num_vgpr, 0
	.set _ZN7rocprim17ROCPRIM_400000_NS6detail17trampoline_kernelINS0_14default_configENS1_20scan_config_selectorIfEEZZNS1_9scan_implILNS1_25lookback_scan_determinismE0ELb0ELb0ES3_PKfPffZZZN2at6native31launch_logcumsumexp_cuda_kernelERKNSB_10TensorBaseESF_lENKUlvE_clEvENKUlvE0_clEvEUlffE_fEEDaPvRmT3_T4_T5_mT6_P12ihipStream_tbENKUlT_T0_E_clISt17integral_constantIbLb1EESW_EEDaSR_SS_EUlSR_E_NS1_11comp_targetILNS1_3genE10ELNS1_11target_archE1200ELNS1_3gpuE4ELNS1_3repE0EEENS1_30default_config_static_selectorELNS0_4arch9wavefront6targetE1EEEvT1_.num_agpr, 0
	.set _ZN7rocprim17ROCPRIM_400000_NS6detail17trampoline_kernelINS0_14default_configENS1_20scan_config_selectorIfEEZZNS1_9scan_implILNS1_25lookback_scan_determinismE0ELb0ELb0ES3_PKfPffZZZN2at6native31launch_logcumsumexp_cuda_kernelERKNSB_10TensorBaseESF_lENKUlvE_clEvENKUlvE0_clEvEUlffE_fEEDaPvRmT3_T4_T5_mT6_P12ihipStream_tbENKUlT_T0_E_clISt17integral_constantIbLb1EESW_EEDaSR_SS_EUlSR_E_NS1_11comp_targetILNS1_3genE10ELNS1_11target_archE1200ELNS1_3gpuE4ELNS1_3repE0EEENS1_30default_config_static_selectorELNS0_4arch9wavefront6targetE1EEEvT1_.numbered_sgpr, 0
	.set _ZN7rocprim17ROCPRIM_400000_NS6detail17trampoline_kernelINS0_14default_configENS1_20scan_config_selectorIfEEZZNS1_9scan_implILNS1_25lookback_scan_determinismE0ELb0ELb0ES3_PKfPffZZZN2at6native31launch_logcumsumexp_cuda_kernelERKNSB_10TensorBaseESF_lENKUlvE_clEvENKUlvE0_clEvEUlffE_fEEDaPvRmT3_T4_T5_mT6_P12ihipStream_tbENKUlT_T0_E_clISt17integral_constantIbLb1EESW_EEDaSR_SS_EUlSR_E_NS1_11comp_targetILNS1_3genE10ELNS1_11target_archE1200ELNS1_3gpuE4ELNS1_3repE0EEENS1_30default_config_static_selectorELNS0_4arch9wavefront6targetE1EEEvT1_.num_named_barrier, 0
	.set _ZN7rocprim17ROCPRIM_400000_NS6detail17trampoline_kernelINS0_14default_configENS1_20scan_config_selectorIfEEZZNS1_9scan_implILNS1_25lookback_scan_determinismE0ELb0ELb0ES3_PKfPffZZZN2at6native31launch_logcumsumexp_cuda_kernelERKNSB_10TensorBaseESF_lENKUlvE_clEvENKUlvE0_clEvEUlffE_fEEDaPvRmT3_T4_T5_mT6_P12ihipStream_tbENKUlT_T0_E_clISt17integral_constantIbLb1EESW_EEDaSR_SS_EUlSR_E_NS1_11comp_targetILNS1_3genE10ELNS1_11target_archE1200ELNS1_3gpuE4ELNS1_3repE0EEENS1_30default_config_static_selectorELNS0_4arch9wavefront6targetE1EEEvT1_.private_seg_size, 0
	.set _ZN7rocprim17ROCPRIM_400000_NS6detail17trampoline_kernelINS0_14default_configENS1_20scan_config_selectorIfEEZZNS1_9scan_implILNS1_25lookback_scan_determinismE0ELb0ELb0ES3_PKfPffZZZN2at6native31launch_logcumsumexp_cuda_kernelERKNSB_10TensorBaseESF_lENKUlvE_clEvENKUlvE0_clEvEUlffE_fEEDaPvRmT3_T4_T5_mT6_P12ihipStream_tbENKUlT_T0_E_clISt17integral_constantIbLb1EESW_EEDaSR_SS_EUlSR_E_NS1_11comp_targetILNS1_3genE10ELNS1_11target_archE1200ELNS1_3gpuE4ELNS1_3repE0EEENS1_30default_config_static_selectorELNS0_4arch9wavefront6targetE1EEEvT1_.uses_vcc, 0
	.set _ZN7rocprim17ROCPRIM_400000_NS6detail17trampoline_kernelINS0_14default_configENS1_20scan_config_selectorIfEEZZNS1_9scan_implILNS1_25lookback_scan_determinismE0ELb0ELb0ES3_PKfPffZZZN2at6native31launch_logcumsumexp_cuda_kernelERKNSB_10TensorBaseESF_lENKUlvE_clEvENKUlvE0_clEvEUlffE_fEEDaPvRmT3_T4_T5_mT6_P12ihipStream_tbENKUlT_T0_E_clISt17integral_constantIbLb1EESW_EEDaSR_SS_EUlSR_E_NS1_11comp_targetILNS1_3genE10ELNS1_11target_archE1200ELNS1_3gpuE4ELNS1_3repE0EEENS1_30default_config_static_selectorELNS0_4arch9wavefront6targetE1EEEvT1_.uses_flat_scratch, 0
	.set _ZN7rocprim17ROCPRIM_400000_NS6detail17trampoline_kernelINS0_14default_configENS1_20scan_config_selectorIfEEZZNS1_9scan_implILNS1_25lookback_scan_determinismE0ELb0ELb0ES3_PKfPffZZZN2at6native31launch_logcumsumexp_cuda_kernelERKNSB_10TensorBaseESF_lENKUlvE_clEvENKUlvE0_clEvEUlffE_fEEDaPvRmT3_T4_T5_mT6_P12ihipStream_tbENKUlT_T0_E_clISt17integral_constantIbLb1EESW_EEDaSR_SS_EUlSR_E_NS1_11comp_targetILNS1_3genE10ELNS1_11target_archE1200ELNS1_3gpuE4ELNS1_3repE0EEENS1_30default_config_static_selectorELNS0_4arch9wavefront6targetE1EEEvT1_.has_dyn_sized_stack, 0
	.set _ZN7rocprim17ROCPRIM_400000_NS6detail17trampoline_kernelINS0_14default_configENS1_20scan_config_selectorIfEEZZNS1_9scan_implILNS1_25lookback_scan_determinismE0ELb0ELb0ES3_PKfPffZZZN2at6native31launch_logcumsumexp_cuda_kernelERKNSB_10TensorBaseESF_lENKUlvE_clEvENKUlvE0_clEvEUlffE_fEEDaPvRmT3_T4_T5_mT6_P12ihipStream_tbENKUlT_T0_E_clISt17integral_constantIbLb1EESW_EEDaSR_SS_EUlSR_E_NS1_11comp_targetILNS1_3genE10ELNS1_11target_archE1200ELNS1_3gpuE4ELNS1_3repE0EEENS1_30default_config_static_selectorELNS0_4arch9wavefront6targetE1EEEvT1_.has_recursion, 0
	.set _ZN7rocprim17ROCPRIM_400000_NS6detail17trampoline_kernelINS0_14default_configENS1_20scan_config_selectorIfEEZZNS1_9scan_implILNS1_25lookback_scan_determinismE0ELb0ELb0ES3_PKfPffZZZN2at6native31launch_logcumsumexp_cuda_kernelERKNSB_10TensorBaseESF_lENKUlvE_clEvENKUlvE0_clEvEUlffE_fEEDaPvRmT3_T4_T5_mT6_P12ihipStream_tbENKUlT_T0_E_clISt17integral_constantIbLb1EESW_EEDaSR_SS_EUlSR_E_NS1_11comp_targetILNS1_3genE10ELNS1_11target_archE1200ELNS1_3gpuE4ELNS1_3repE0EEENS1_30default_config_static_selectorELNS0_4arch9wavefront6targetE1EEEvT1_.has_indirect_call, 0
	.section	.AMDGPU.csdata,"",@progbits
; Kernel info:
; codeLenInByte = 0
; TotalNumSgprs: 4
; NumVgprs: 0
; ScratchSize: 0
; MemoryBound: 0
; FloatMode: 240
; IeeeMode: 1
; LDSByteSize: 0 bytes/workgroup (compile time only)
; SGPRBlocks: 0
; VGPRBlocks: 0
; NumSGPRsForWavesPerEU: 4
; NumVGPRsForWavesPerEU: 1
; Occupancy: 10
; WaveLimiterHint : 0
; COMPUTE_PGM_RSRC2:SCRATCH_EN: 0
; COMPUTE_PGM_RSRC2:USER_SGPR: 6
; COMPUTE_PGM_RSRC2:TRAP_HANDLER: 0
; COMPUTE_PGM_RSRC2:TGID_X_EN: 1
; COMPUTE_PGM_RSRC2:TGID_Y_EN: 0
; COMPUTE_PGM_RSRC2:TGID_Z_EN: 0
; COMPUTE_PGM_RSRC2:TIDIG_COMP_CNT: 0
	.section	.text._ZN7rocprim17ROCPRIM_400000_NS6detail17trampoline_kernelINS0_14default_configENS1_20scan_config_selectorIfEEZZNS1_9scan_implILNS1_25lookback_scan_determinismE0ELb0ELb0ES3_PKfPffZZZN2at6native31launch_logcumsumexp_cuda_kernelERKNSB_10TensorBaseESF_lENKUlvE_clEvENKUlvE0_clEvEUlffE_fEEDaPvRmT3_T4_T5_mT6_P12ihipStream_tbENKUlT_T0_E_clISt17integral_constantIbLb1EESW_EEDaSR_SS_EUlSR_E_NS1_11comp_targetILNS1_3genE9ELNS1_11target_archE1100ELNS1_3gpuE3ELNS1_3repE0EEENS1_30default_config_static_selectorELNS0_4arch9wavefront6targetE1EEEvT1_,"axG",@progbits,_ZN7rocprim17ROCPRIM_400000_NS6detail17trampoline_kernelINS0_14default_configENS1_20scan_config_selectorIfEEZZNS1_9scan_implILNS1_25lookback_scan_determinismE0ELb0ELb0ES3_PKfPffZZZN2at6native31launch_logcumsumexp_cuda_kernelERKNSB_10TensorBaseESF_lENKUlvE_clEvENKUlvE0_clEvEUlffE_fEEDaPvRmT3_T4_T5_mT6_P12ihipStream_tbENKUlT_T0_E_clISt17integral_constantIbLb1EESW_EEDaSR_SS_EUlSR_E_NS1_11comp_targetILNS1_3genE9ELNS1_11target_archE1100ELNS1_3gpuE3ELNS1_3repE0EEENS1_30default_config_static_selectorELNS0_4arch9wavefront6targetE1EEEvT1_,comdat
	.globl	_ZN7rocprim17ROCPRIM_400000_NS6detail17trampoline_kernelINS0_14default_configENS1_20scan_config_selectorIfEEZZNS1_9scan_implILNS1_25lookback_scan_determinismE0ELb0ELb0ES3_PKfPffZZZN2at6native31launch_logcumsumexp_cuda_kernelERKNSB_10TensorBaseESF_lENKUlvE_clEvENKUlvE0_clEvEUlffE_fEEDaPvRmT3_T4_T5_mT6_P12ihipStream_tbENKUlT_T0_E_clISt17integral_constantIbLb1EESW_EEDaSR_SS_EUlSR_E_NS1_11comp_targetILNS1_3genE9ELNS1_11target_archE1100ELNS1_3gpuE3ELNS1_3repE0EEENS1_30default_config_static_selectorELNS0_4arch9wavefront6targetE1EEEvT1_ ; -- Begin function _ZN7rocprim17ROCPRIM_400000_NS6detail17trampoline_kernelINS0_14default_configENS1_20scan_config_selectorIfEEZZNS1_9scan_implILNS1_25lookback_scan_determinismE0ELb0ELb0ES3_PKfPffZZZN2at6native31launch_logcumsumexp_cuda_kernelERKNSB_10TensorBaseESF_lENKUlvE_clEvENKUlvE0_clEvEUlffE_fEEDaPvRmT3_T4_T5_mT6_P12ihipStream_tbENKUlT_T0_E_clISt17integral_constantIbLb1EESW_EEDaSR_SS_EUlSR_E_NS1_11comp_targetILNS1_3genE9ELNS1_11target_archE1100ELNS1_3gpuE3ELNS1_3repE0EEENS1_30default_config_static_selectorELNS0_4arch9wavefront6targetE1EEEvT1_
	.p2align	8
	.type	_ZN7rocprim17ROCPRIM_400000_NS6detail17trampoline_kernelINS0_14default_configENS1_20scan_config_selectorIfEEZZNS1_9scan_implILNS1_25lookback_scan_determinismE0ELb0ELb0ES3_PKfPffZZZN2at6native31launch_logcumsumexp_cuda_kernelERKNSB_10TensorBaseESF_lENKUlvE_clEvENKUlvE0_clEvEUlffE_fEEDaPvRmT3_T4_T5_mT6_P12ihipStream_tbENKUlT_T0_E_clISt17integral_constantIbLb1EESW_EEDaSR_SS_EUlSR_E_NS1_11comp_targetILNS1_3genE9ELNS1_11target_archE1100ELNS1_3gpuE3ELNS1_3repE0EEENS1_30default_config_static_selectorELNS0_4arch9wavefront6targetE1EEEvT1_,@function
_ZN7rocprim17ROCPRIM_400000_NS6detail17trampoline_kernelINS0_14default_configENS1_20scan_config_selectorIfEEZZNS1_9scan_implILNS1_25lookback_scan_determinismE0ELb0ELb0ES3_PKfPffZZZN2at6native31launch_logcumsumexp_cuda_kernelERKNSB_10TensorBaseESF_lENKUlvE_clEvENKUlvE0_clEvEUlffE_fEEDaPvRmT3_T4_T5_mT6_P12ihipStream_tbENKUlT_T0_E_clISt17integral_constantIbLb1EESW_EEDaSR_SS_EUlSR_E_NS1_11comp_targetILNS1_3genE9ELNS1_11target_archE1100ELNS1_3gpuE3ELNS1_3repE0EEENS1_30default_config_static_selectorELNS0_4arch9wavefront6targetE1EEEvT1_: ; @_ZN7rocprim17ROCPRIM_400000_NS6detail17trampoline_kernelINS0_14default_configENS1_20scan_config_selectorIfEEZZNS1_9scan_implILNS1_25lookback_scan_determinismE0ELb0ELb0ES3_PKfPffZZZN2at6native31launch_logcumsumexp_cuda_kernelERKNSB_10TensorBaseESF_lENKUlvE_clEvENKUlvE0_clEvEUlffE_fEEDaPvRmT3_T4_T5_mT6_P12ihipStream_tbENKUlT_T0_E_clISt17integral_constantIbLb1EESW_EEDaSR_SS_EUlSR_E_NS1_11comp_targetILNS1_3genE9ELNS1_11target_archE1100ELNS1_3gpuE3ELNS1_3repE0EEENS1_30default_config_static_selectorELNS0_4arch9wavefront6targetE1EEEvT1_
; %bb.0:
	.section	.rodata,"a",@progbits
	.p2align	6, 0x0
	.amdhsa_kernel _ZN7rocprim17ROCPRIM_400000_NS6detail17trampoline_kernelINS0_14default_configENS1_20scan_config_selectorIfEEZZNS1_9scan_implILNS1_25lookback_scan_determinismE0ELb0ELb0ES3_PKfPffZZZN2at6native31launch_logcumsumexp_cuda_kernelERKNSB_10TensorBaseESF_lENKUlvE_clEvENKUlvE0_clEvEUlffE_fEEDaPvRmT3_T4_T5_mT6_P12ihipStream_tbENKUlT_T0_E_clISt17integral_constantIbLb1EESW_EEDaSR_SS_EUlSR_E_NS1_11comp_targetILNS1_3genE9ELNS1_11target_archE1100ELNS1_3gpuE3ELNS1_3repE0EEENS1_30default_config_static_selectorELNS0_4arch9wavefront6targetE1EEEvT1_
		.amdhsa_group_segment_fixed_size 0
		.amdhsa_private_segment_fixed_size 0
		.amdhsa_kernarg_size 96
		.amdhsa_user_sgpr_count 6
		.amdhsa_user_sgpr_private_segment_buffer 1
		.amdhsa_user_sgpr_dispatch_ptr 0
		.amdhsa_user_sgpr_queue_ptr 0
		.amdhsa_user_sgpr_kernarg_segment_ptr 1
		.amdhsa_user_sgpr_dispatch_id 0
		.amdhsa_user_sgpr_flat_scratch_init 0
		.amdhsa_user_sgpr_private_segment_size 0
		.amdhsa_uses_dynamic_stack 0
		.amdhsa_system_sgpr_private_segment_wavefront_offset 0
		.amdhsa_system_sgpr_workgroup_id_x 1
		.amdhsa_system_sgpr_workgroup_id_y 0
		.amdhsa_system_sgpr_workgroup_id_z 0
		.amdhsa_system_sgpr_workgroup_info 0
		.amdhsa_system_vgpr_workitem_id 0
		.amdhsa_next_free_vgpr 1
		.amdhsa_next_free_sgpr 0
		.amdhsa_reserve_vcc 0
		.amdhsa_reserve_flat_scratch 0
		.amdhsa_float_round_mode_32 0
		.amdhsa_float_round_mode_16_64 0
		.amdhsa_float_denorm_mode_32 3
		.amdhsa_float_denorm_mode_16_64 3
		.amdhsa_dx10_clamp 1
		.amdhsa_ieee_mode 1
		.amdhsa_fp16_overflow 0
		.amdhsa_exception_fp_ieee_invalid_op 0
		.amdhsa_exception_fp_denorm_src 0
		.amdhsa_exception_fp_ieee_div_zero 0
		.amdhsa_exception_fp_ieee_overflow 0
		.amdhsa_exception_fp_ieee_underflow 0
		.amdhsa_exception_fp_ieee_inexact 0
		.amdhsa_exception_int_div_zero 0
	.end_amdhsa_kernel
	.section	.text._ZN7rocprim17ROCPRIM_400000_NS6detail17trampoline_kernelINS0_14default_configENS1_20scan_config_selectorIfEEZZNS1_9scan_implILNS1_25lookback_scan_determinismE0ELb0ELb0ES3_PKfPffZZZN2at6native31launch_logcumsumexp_cuda_kernelERKNSB_10TensorBaseESF_lENKUlvE_clEvENKUlvE0_clEvEUlffE_fEEDaPvRmT3_T4_T5_mT6_P12ihipStream_tbENKUlT_T0_E_clISt17integral_constantIbLb1EESW_EEDaSR_SS_EUlSR_E_NS1_11comp_targetILNS1_3genE9ELNS1_11target_archE1100ELNS1_3gpuE3ELNS1_3repE0EEENS1_30default_config_static_selectorELNS0_4arch9wavefront6targetE1EEEvT1_,"axG",@progbits,_ZN7rocprim17ROCPRIM_400000_NS6detail17trampoline_kernelINS0_14default_configENS1_20scan_config_selectorIfEEZZNS1_9scan_implILNS1_25lookback_scan_determinismE0ELb0ELb0ES3_PKfPffZZZN2at6native31launch_logcumsumexp_cuda_kernelERKNSB_10TensorBaseESF_lENKUlvE_clEvENKUlvE0_clEvEUlffE_fEEDaPvRmT3_T4_T5_mT6_P12ihipStream_tbENKUlT_T0_E_clISt17integral_constantIbLb1EESW_EEDaSR_SS_EUlSR_E_NS1_11comp_targetILNS1_3genE9ELNS1_11target_archE1100ELNS1_3gpuE3ELNS1_3repE0EEENS1_30default_config_static_selectorELNS0_4arch9wavefront6targetE1EEEvT1_,comdat
.Lfunc_end122:
	.size	_ZN7rocprim17ROCPRIM_400000_NS6detail17trampoline_kernelINS0_14default_configENS1_20scan_config_selectorIfEEZZNS1_9scan_implILNS1_25lookback_scan_determinismE0ELb0ELb0ES3_PKfPffZZZN2at6native31launch_logcumsumexp_cuda_kernelERKNSB_10TensorBaseESF_lENKUlvE_clEvENKUlvE0_clEvEUlffE_fEEDaPvRmT3_T4_T5_mT6_P12ihipStream_tbENKUlT_T0_E_clISt17integral_constantIbLb1EESW_EEDaSR_SS_EUlSR_E_NS1_11comp_targetILNS1_3genE9ELNS1_11target_archE1100ELNS1_3gpuE3ELNS1_3repE0EEENS1_30default_config_static_selectorELNS0_4arch9wavefront6targetE1EEEvT1_, .Lfunc_end122-_ZN7rocprim17ROCPRIM_400000_NS6detail17trampoline_kernelINS0_14default_configENS1_20scan_config_selectorIfEEZZNS1_9scan_implILNS1_25lookback_scan_determinismE0ELb0ELb0ES3_PKfPffZZZN2at6native31launch_logcumsumexp_cuda_kernelERKNSB_10TensorBaseESF_lENKUlvE_clEvENKUlvE0_clEvEUlffE_fEEDaPvRmT3_T4_T5_mT6_P12ihipStream_tbENKUlT_T0_E_clISt17integral_constantIbLb1EESW_EEDaSR_SS_EUlSR_E_NS1_11comp_targetILNS1_3genE9ELNS1_11target_archE1100ELNS1_3gpuE3ELNS1_3repE0EEENS1_30default_config_static_selectorELNS0_4arch9wavefront6targetE1EEEvT1_
                                        ; -- End function
	.set _ZN7rocprim17ROCPRIM_400000_NS6detail17trampoline_kernelINS0_14default_configENS1_20scan_config_selectorIfEEZZNS1_9scan_implILNS1_25lookback_scan_determinismE0ELb0ELb0ES3_PKfPffZZZN2at6native31launch_logcumsumexp_cuda_kernelERKNSB_10TensorBaseESF_lENKUlvE_clEvENKUlvE0_clEvEUlffE_fEEDaPvRmT3_T4_T5_mT6_P12ihipStream_tbENKUlT_T0_E_clISt17integral_constantIbLb1EESW_EEDaSR_SS_EUlSR_E_NS1_11comp_targetILNS1_3genE9ELNS1_11target_archE1100ELNS1_3gpuE3ELNS1_3repE0EEENS1_30default_config_static_selectorELNS0_4arch9wavefront6targetE1EEEvT1_.num_vgpr, 0
	.set _ZN7rocprim17ROCPRIM_400000_NS6detail17trampoline_kernelINS0_14default_configENS1_20scan_config_selectorIfEEZZNS1_9scan_implILNS1_25lookback_scan_determinismE0ELb0ELb0ES3_PKfPffZZZN2at6native31launch_logcumsumexp_cuda_kernelERKNSB_10TensorBaseESF_lENKUlvE_clEvENKUlvE0_clEvEUlffE_fEEDaPvRmT3_T4_T5_mT6_P12ihipStream_tbENKUlT_T0_E_clISt17integral_constantIbLb1EESW_EEDaSR_SS_EUlSR_E_NS1_11comp_targetILNS1_3genE9ELNS1_11target_archE1100ELNS1_3gpuE3ELNS1_3repE0EEENS1_30default_config_static_selectorELNS0_4arch9wavefront6targetE1EEEvT1_.num_agpr, 0
	.set _ZN7rocprim17ROCPRIM_400000_NS6detail17trampoline_kernelINS0_14default_configENS1_20scan_config_selectorIfEEZZNS1_9scan_implILNS1_25lookback_scan_determinismE0ELb0ELb0ES3_PKfPffZZZN2at6native31launch_logcumsumexp_cuda_kernelERKNSB_10TensorBaseESF_lENKUlvE_clEvENKUlvE0_clEvEUlffE_fEEDaPvRmT3_T4_T5_mT6_P12ihipStream_tbENKUlT_T0_E_clISt17integral_constantIbLb1EESW_EEDaSR_SS_EUlSR_E_NS1_11comp_targetILNS1_3genE9ELNS1_11target_archE1100ELNS1_3gpuE3ELNS1_3repE0EEENS1_30default_config_static_selectorELNS0_4arch9wavefront6targetE1EEEvT1_.numbered_sgpr, 0
	.set _ZN7rocprim17ROCPRIM_400000_NS6detail17trampoline_kernelINS0_14default_configENS1_20scan_config_selectorIfEEZZNS1_9scan_implILNS1_25lookback_scan_determinismE0ELb0ELb0ES3_PKfPffZZZN2at6native31launch_logcumsumexp_cuda_kernelERKNSB_10TensorBaseESF_lENKUlvE_clEvENKUlvE0_clEvEUlffE_fEEDaPvRmT3_T4_T5_mT6_P12ihipStream_tbENKUlT_T0_E_clISt17integral_constantIbLb1EESW_EEDaSR_SS_EUlSR_E_NS1_11comp_targetILNS1_3genE9ELNS1_11target_archE1100ELNS1_3gpuE3ELNS1_3repE0EEENS1_30default_config_static_selectorELNS0_4arch9wavefront6targetE1EEEvT1_.num_named_barrier, 0
	.set _ZN7rocprim17ROCPRIM_400000_NS6detail17trampoline_kernelINS0_14default_configENS1_20scan_config_selectorIfEEZZNS1_9scan_implILNS1_25lookback_scan_determinismE0ELb0ELb0ES3_PKfPffZZZN2at6native31launch_logcumsumexp_cuda_kernelERKNSB_10TensorBaseESF_lENKUlvE_clEvENKUlvE0_clEvEUlffE_fEEDaPvRmT3_T4_T5_mT6_P12ihipStream_tbENKUlT_T0_E_clISt17integral_constantIbLb1EESW_EEDaSR_SS_EUlSR_E_NS1_11comp_targetILNS1_3genE9ELNS1_11target_archE1100ELNS1_3gpuE3ELNS1_3repE0EEENS1_30default_config_static_selectorELNS0_4arch9wavefront6targetE1EEEvT1_.private_seg_size, 0
	.set _ZN7rocprim17ROCPRIM_400000_NS6detail17trampoline_kernelINS0_14default_configENS1_20scan_config_selectorIfEEZZNS1_9scan_implILNS1_25lookback_scan_determinismE0ELb0ELb0ES3_PKfPffZZZN2at6native31launch_logcumsumexp_cuda_kernelERKNSB_10TensorBaseESF_lENKUlvE_clEvENKUlvE0_clEvEUlffE_fEEDaPvRmT3_T4_T5_mT6_P12ihipStream_tbENKUlT_T0_E_clISt17integral_constantIbLb1EESW_EEDaSR_SS_EUlSR_E_NS1_11comp_targetILNS1_3genE9ELNS1_11target_archE1100ELNS1_3gpuE3ELNS1_3repE0EEENS1_30default_config_static_selectorELNS0_4arch9wavefront6targetE1EEEvT1_.uses_vcc, 0
	.set _ZN7rocprim17ROCPRIM_400000_NS6detail17trampoline_kernelINS0_14default_configENS1_20scan_config_selectorIfEEZZNS1_9scan_implILNS1_25lookback_scan_determinismE0ELb0ELb0ES3_PKfPffZZZN2at6native31launch_logcumsumexp_cuda_kernelERKNSB_10TensorBaseESF_lENKUlvE_clEvENKUlvE0_clEvEUlffE_fEEDaPvRmT3_T4_T5_mT6_P12ihipStream_tbENKUlT_T0_E_clISt17integral_constantIbLb1EESW_EEDaSR_SS_EUlSR_E_NS1_11comp_targetILNS1_3genE9ELNS1_11target_archE1100ELNS1_3gpuE3ELNS1_3repE0EEENS1_30default_config_static_selectorELNS0_4arch9wavefront6targetE1EEEvT1_.uses_flat_scratch, 0
	.set _ZN7rocprim17ROCPRIM_400000_NS6detail17trampoline_kernelINS0_14default_configENS1_20scan_config_selectorIfEEZZNS1_9scan_implILNS1_25lookback_scan_determinismE0ELb0ELb0ES3_PKfPffZZZN2at6native31launch_logcumsumexp_cuda_kernelERKNSB_10TensorBaseESF_lENKUlvE_clEvENKUlvE0_clEvEUlffE_fEEDaPvRmT3_T4_T5_mT6_P12ihipStream_tbENKUlT_T0_E_clISt17integral_constantIbLb1EESW_EEDaSR_SS_EUlSR_E_NS1_11comp_targetILNS1_3genE9ELNS1_11target_archE1100ELNS1_3gpuE3ELNS1_3repE0EEENS1_30default_config_static_selectorELNS0_4arch9wavefront6targetE1EEEvT1_.has_dyn_sized_stack, 0
	.set _ZN7rocprim17ROCPRIM_400000_NS6detail17trampoline_kernelINS0_14default_configENS1_20scan_config_selectorIfEEZZNS1_9scan_implILNS1_25lookback_scan_determinismE0ELb0ELb0ES3_PKfPffZZZN2at6native31launch_logcumsumexp_cuda_kernelERKNSB_10TensorBaseESF_lENKUlvE_clEvENKUlvE0_clEvEUlffE_fEEDaPvRmT3_T4_T5_mT6_P12ihipStream_tbENKUlT_T0_E_clISt17integral_constantIbLb1EESW_EEDaSR_SS_EUlSR_E_NS1_11comp_targetILNS1_3genE9ELNS1_11target_archE1100ELNS1_3gpuE3ELNS1_3repE0EEENS1_30default_config_static_selectorELNS0_4arch9wavefront6targetE1EEEvT1_.has_recursion, 0
	.set _ZN7rocprim17ROCPRIM_400000_NS6detail17trampoline_kernelINS0_14default_configENS1_20scan_config_selectorIfEEZZNS1_9scan_implILNS1_25lookback_scan_determinismE0ELb0ELb0ES3_PKfPffZZZN2at6native31launch_logcumsumexp_cuda_kernelERKNSB_10TensorBaseESF_lENKUlvE_clEvENKUlvE0_clEvEUlffE_fEEDaPvRmT3_T4_T5_mT6_P12ihipStream_tbENKUlT_T0_E_clISt17integral_constantIbLb1EESW_EEDaSR_SS_EUlSR_E_NS1_11comp_targetILNS1_3genE9ELNS1_11target_archE1100ELNS1_3gpuE3ELNS1_3repE0EEENS1_30default_config_static_selectorELNS0_4arch9wavefront6targetE1EEEvT1_.has_indirect_call, 0
	.section	.AMDGPU.csdata,"",@progbits
; Kernel info:
; codeLenInByte = 0
; TotalNumSgprs: 4
; NumVgprs: 0
; ScratchSize: 0
; MemoryBound: 0
; FloatMode: 240
; IeeeMode: 1
; LDSByteSize: 0 bytes/workgroup (compile time only)
; SGPRBlocks: 0
; VGPRBlocks: 0
; NumSGPRsForWavesPerEU: 4
; NumVGPRsForWavesPerEU: 1
; Occupancy: 10
; WaveLimiterHint : 0
; COMPUTE_PGM_RSRC2:SCRATCH_EN: 0
; COMPUTE_PGM_RSRC2:USER_SGPR: 6
; COMPUTE_PGM_RSRC2:TRAP_HANDLER: 0
; COMPUTE_PGM_RSRC2:TGID_X_EN: 1
; COMPUTE_PGM_RSRC2:TGID_Y_EN: 0
; COMPUTE_PGM_RSRC2:TGID_Z_EN: 0
; COMPUTE_PGM_RSRC2:TIDIG_COMP_CNT: 0
	.section	.text._ZN7rocprim17ROCPRIM_400000_NS6detail17trampoline_kernelINS0_14default_configENS1_20scan_config_selectorIfEEZZNS1_9scan_implILNS1_25lookback_scan_determinismE0ELb0ELb0ES3_PKfPffZZZN2at6native31launch_logcumsumexp_cuda_kernelERKNSB_10TensorBaseESF_lENKUlvE_clEvENKUlvE0_clEvEUlffE_fEEDaPvRmT3_T4_T5_mT6_P12ihipStream_tbENKUlT_T0_E_clISt17integral_constantIbLb1EESW_EEDaSR_SS_EUlSR_E_NS1_11comp_targetILNS1_3genE8ELNS1_11target_archE1030ELNS1_3gpuE2ELNS1_3repE0EEENS1_30default_config_static_selectorELNS0_4arch9wavefront6targetE1EEEvT1_,"axG",@progbits,_ZN7rocprim17ROCPRIM_400000_NS6detail17trampoline_kernelINS0_14default_configENS1_20scan_config_selectorIfEEZZNS1_9scan_implILNS1_25lookback_scan_determinismE0ELb0ELb0ES3_PKfPffZZZN2at6native31launch_logcumsumexp_cuda_kernelERKNSB_10TensorBaseESF_lENKUlvE_clEvENKUlvE0_clEvEUlffE_fEEDaPvRmT3_T4_T5_mT6_P12ihipStream_tbENKUlT_T0_E_clISt17integral_constantIbLb1EESW_EEDaSR_SS_EUlSR_E_NS1_11comp_targetILNS1_3genE8ELNS1_11target_archE1030ELNS1_3gpuE2ELNS1_3repE0EEENS1_30default_config_static_selectorELNS0_4arch9wavefront6targetE1EEEvT1_,comdat
	.globl	_ZN7rocprim17ROCPRIM_400000_NS6detail17trampoline_kernelINS0_14default_configENS1_20scan_config_selectorIfEEZZNS1_9scan_implILNS1_25lookback_scan_determinismE0ELb0ELb0ES3_PKfPffZZZN2at6native31launch_logcumsumexp_cuda_kernelERKNSB_10TensorBaseESF_lENKUlvE_clEvENKUlvE0_clEvEUlffE_fEEDaPvRmT3_T4_T5_mT6_P12ihipStream_tbENKUlT_T0_E_clISt17integral_constantIbLb1EESW_EEDaSR_SS_EUlSR_E_NS1_11comp_targetILNS1_3genE8ELNS1_11target_archE1030ELNS1_3gpuE2ELNS1_3repE0EEENS1_30default_config_static_selectorELNS0_4arch9wavefront6targetE1EEEvT1_ ; -- Begin function _ZN7rocprim17ROCPRIM_400000_NS6detail17trampoline_kernelINS0_14default_configENS1_20scan_config_selectorIfEEZZNS1_9scan_implILNS1_25lookback_scan_determinismE0ELb0ELb0ES3_PKfPffZZZN2at6native31launch_logcumsumexp_cuda_kernelERKNSB_10TensorBaseESF_lENKUlvE_clEvENKUlvE0_clEvEUlffE_fEEDaPvRmT3_T4_T5_mT6_P12ihipStream_tbENKUlT_T0_E_clISt17integral_constantIbLb1EESW_EEDaSR_SS_EUlSR_E_NS1_11comp_targetILNS1_3genE8ELNS1_11target_archE1030ELNS1_3gpuE2ELNS1_3repE0EEENS1_30default_config_static_selectorELNS0_4arch9wavefront6targetE1EEEvT1_
	.p2align	8
	.type	_ZN7rocprim17ROCPRIM_400000_NS6detail17trampoline_kernelINS0_14default_configENS1_20scan_config_selectorIfEEZZNS1_9scan_implILNS1_25lookback_scan_determinismE0ELb0ELb0ES3_PKfPffZZZN2at6native31launch_logcumsumexp_cuda_kernelERKNSB_10TensorBaseESF_lENKUlvE_clEvENKUlvE0_clEvEUlffE_fEEDaPvRmT3_T4_T5_mT6_P12ihipStream_tbENKUlT_T0_E_clISt17integral_constantIbLb1EESW_EEDaSR_SS_EUlSR_E_NS1_11comp_targetILNS1_3genE8ELNS1_11target_archE1030ELNS1_3gpuE2ELNS1_3repE0EEENS1_30default_config_static_selectorELNS0_4arch9wavefront6targetE1EEEvT1_,@function
_ZN7rocprim17ROCPRIM_400000_NS6detail17trampoline_kernelINS0_14default_configENS1_20scan_config_selectorIfEEZZNS1_9scan_implILNS1_25lookback_scan_determinismE0ELb0ELb0ES3_PKfPffZZZN2at6native31launch_logcumsumexp_cuda_kernelERKNSB_10TensorBaseESF_lENKUlvE_clEvENKUlvE0_clEvEUlffE_fEEDaPvRmT3_T4_T5_mT6_P12ihipStream_tbENKUlT_T0_E_clISt17integral_constantIbLb1EESW_EEDaSR_SS_EUlSR_E_NS1_11comp_targetILNS1_3genE8ELNS1_11target_archE1030ELNS1_3gpuE2ELNS1_3repE0EEENS1_30default_config_static_selectorELNS0_4arch9wavefront6targetE1EEEvT1_: ; @_ZN7rocprim17ROCPRIM_400000_NS6detail17trampoline_kernelINS0_14default_configENS1_20scan_config_selectorIfEEZZNS1_9scan_implILNS1_25lookback_scan_determinismE0ELb0ELb0ES3_PKfPffZZZN2at6native31launch_logcumsumexp_cuda_kernelERKNSB_10TensorBaseESF_lENKUlvE_clEvENKUlvE0_clEvEUlffE_fEEDaPvRmT3_T4_T5_mT6_P12ihipStream_tbENKUlT_T0_E_clISt17integral_constantIbLb1EESW_EEDaSR_SS_EUlSR_E_NS1_11comp_targetILNS1_3genE8ELNS1_11target_archE1030ELNS1_3gpuE2ELNS1_3repE0EEENS1_30default_config_static_selectorELNS0_4arch9wavefront6targetE1EEEvT1_
; %bb.0:
	.section	.rodata,"a",@progbits
	.p2align	6, 0x0
	.amdhsa_kernel _ZN7rocprim17ROCPRIM_400000_NS6detail17trampoline_kernelINS0_14default_configENS1_20scan_config_selectorIfEEZZNS1_9scan_implILNS1_25lookback_scan_determinismE0ELb0ELb0ES3_PKfPffZZZN2at6native31launch_logcumsumexp_cuda_kernelERKNSB_10TensorBaseESF_lENKUlvE_clEvENKUlvE0_clEvEUlffE_fEEDaPvRmT3_T4_T5_mT6_P12ihipStream_tbENKUlT_T0_E_clISt17integral_constantIbLb1EESW_EEDaSR_SS_EUlSR_E_NS1_11comp_targetILNS1_3genE8ELNS1_11target_archE1030ELNS1_3gpuE2ELNS1_3repE0EEENS1_30default_config_static_selectorELNS0_4arch9wavefront6targetE1EEEvT1_
		.amdhsa_group_segment_fixed_size 0
		.amdhsa_private_segment_fixed_size 0
		.amdhsa_kernarg_size 96
		.amdhsa_user_sgpr_count 6
		.amdhsa_user_sgpr_private_segment_buffer 1
		.amdhsa_user_sgpr_dispatch_ptr 0
		.amdhsa_user_sgpr_queue_ptr 0
		.amdhsa_user_sgpr_kernarg_segment_ptr 1
		.amdhsa_user_sgpr_dispatch_id 0
		.amdhsa_user_sgpr_flat_scratch_init 0
		.amdhsa_user_sgpr_private_segment_size 0
		.amdhsa_uses_dynamic_stack 0
		.amdhsa_system_sgpr_private_segment_wavefront_offset 0
		.amdhsa_system_sgpr_workgroup_id_x 1
		.amdhsa_system_sgpr_workgroup_id_y 0
		.amdhsa_system_sgpr_workgroup_id_z 0
		.amdhsa_system_sgpr_workgroup_info 0
		.amdhsa_system_vgpr_workitem_id 0
		.amdhsa_next_free_vgpr 1
		.amdhsa_next_free_sgpr 0
		.amdhsa_reserve_vcc 0
		.amdhsa_reserve_flat_scratch 0
		.amdhsa_float_round_mode_32 0
		.amdhsa_float_round_mode_16_64 0
		.amdhsa_float_denorm_mode_32 3
		.amdhsa_float_denorm_mode_16_64 3
		.amdhsa_dx10_clamp 1
		.amdhsa_ieee_mode 1
		.amdhsa_fp16_overflow 0
		.amdhsa_exception_fp_ieee_invalid_op 0
		.amdhsa_exception_fp_denorm_src 0
		.amdhsa_exception_fp_ieee_div_zero 0
		.amdhsa_exception_fp_ieee_overflow 0
		.amdhsa_exception_fp_ieee_underflow 0
		.amdhsa_exception_fp_ieee_inexact 0
		.amdhsa_exception_int_div_zero 0
	.end_amdhsa_kernel
	.section	.text._ZN7rocprim17ROCPRIM_400000_NS6detail17trampoline_kernelINS0_14default_configENS1_20scan_config_selectorIfEEZZNS1_9scan_implILNS1_25lookback_scan_determinismE0ELb0ELb0ES3_PKfPffZZZN2at6native31launch_logcumsumexp_cuda_kernelERKNSB_10TensorBaseESF_lENKUlvE_clEvENKUlvE0_clEvEUlffE_fEEDaPvRmT3_T4_T5_mT6_P12ihipStream_tbENKUlT_T0_E_clISt17integral_constantIbLb1EESW_EEDaSR_SS_EUlSR_E_NS1_11comp_targetILNS1_3genE8ELNS1_11target_archE1030ELNS1_3gpuE2ELNS1_3repE0EEENS1_30default_config_static_selectorELNS0_4arch9wavefront6targetE1EEEvT1_,"axG",@progbits,_ZN7rocprim17ROCPRIM_400000_NS6detail17trampoline_kernelINS0_14default_configENS1_20scan_config_selectorIfEEZZNS1_9scan_implILNS1_25lookback_scan_determinismE0ELb0ELb0ES3_PKfPffZZZN2at6native31launch_logcumsumexp_cuda_kernelERKNSB_10TensorBaseESF_lENKUlvE_clEvENKUlvE0_clEvEUlffE_fEEDaPvRmT3_T4_T5_mT6_P12ihipStream_tbENKUlT_T0_E_clISt17integral_constantIbLb1EESW_EEDaSR_SS_EUlSR_E_NS1_11comp_targetILNS1_3genE8ELNS1_11target_archE1030ELNS1_3gpuE2ELNS1_3repE0EEENS1_30default_config_static_selectorELNS0_4arch9wavefront6targetE1EEEvT1_,comdat
.Lfunc_end123:
	.size	_ZN7rocprim17ROCPRIM_400000_NS6detail17trampoline_kernelINS0_14default_configENS1_20scan_config_selectorIfEEZZNS1_9scan_implILNS1_25lookback_scan_determinismE0ELb0ELb0ES3_PKfPffZZZN2at6native31launch_logcumsumexp_cuda_kernelERKNSB_10TensorBaseESF_lENKUlvE_clEvENKUlvE0_clEvEUlffE_fEEDaPvRmT3_T4_T5_mT6_P12ihipStream_tbENKUlT_T0_E_clISt17integral_constantIbLb1EESW_EEDaSR_SS_EUlSR_E_NS1_11comp_targetILNS1_3genE8ELNS1_11target_archE1030ELNS1_3gpuE2ELNS1_3repE0EEENS1_30default_config_static_selectorELNS0_4arch9wavefront6targetE1EEEvT1_, .Lfunc_end123-_ZN7rocprim17ROCPRIM_400000_NS6detail17trampoline_kernelINS0_14default_configENS1_20scan_config_selectorIfEEZZNS1_9scan_implILNS1_25lookback_scan_determinismE0ELb0ELb0ES3_PKfPffZZZN2at6native31launch_logcumsumexp_cuda_kernelERKNSB_10TensorBaseESF_lENKUlvE_clEvENKUlvE0_clEvEUlffE_fEEDaPvRmT3_T4_T5_mT6_P12ihipStream_tbENKUlT_T0_E_clISt17integral_constantIbLb1EESW_EEDaSR_SS_EUlSR_E_NS1_11comp_targetILNS1_3genE8ELNS1_11target_archE1030ELNS1_3gpuE2ELNS1_3repE0EEENS1_30default_config_static_selectorELNS0_4arch9wavefront6targetE1EEEvT1_
                                        ; -- End function
	.set _ZN7rocprim17ROCPRIM_400000_NS6detail17trampoline_kernelINS0_14default_configENS1_20scan_config_selectorIfEEZZNS1_9scan_implILNS1_25lookback_scan_determinismE0ELb0ELb0ES3_PKfPffZZZN2at6native31launch_logcumsumexp_cuda_kernelERKNSB_10TensorBaseESF_lENKUlvE_clEvENKUlvE0_clEvEUlffE_fEEDaPvRmT3_T4_T5_mT6_P12ihipStream_tbENKUlT_T0_E_clISt17integral_constantIbLb1EESW_EEDaSR_SS_EUlSR_E_NS1_11comp_targetILNS1_3genE8ELNS1_11target_archE1030ELNS1_3gpuE2ELNS1_3repE0EEENS1_30default_config_static_selectorELNS0_4arch9wavefront6targetE1EEEvT1_.num_vgpr, 0
	.set _ZN7rocprim17ROCPRIM_400000_NS6detail17trampoline_kernelINS0_14default_configENS1_20scan_config_selectorIfEEZZNS1_9scan_implILNS1_25lookback_scan_determinismE0ELb0ELb0ES3_PKfPffZZZN2at6native31launch_logcumsumexp_cuda_kernelERKNSB_10TensorBaseESF_lENKUlvE_clEvENKUlvE0_clEvEUlffE_fEEDaPvRmT3_T4_T5_mT6_P12ihipStream_tbENKUlT_T0_E_clISt17integral_constantIbLb1EESW_EEDaSR_SS_EUlSR_E_NS1_11comp_targetILNS1_3genE8ELNS1_11target_archE1030ELNS1_3gpuE2ELNS1_3repE0EEENS1_30default_config_static_selectorELNS0_4arch9wavefront6targetE1EEEvT1_.num_agpr, 0
	.set _ZN7rocprim17ROCPRIM_400000_NS6detail17trampoline_kernelINS0_14default_configENS1_20scan_config_selectorIfEEZZNS1_9scan_implILNS1_25lookback_scan_determinismE0ELb0ELb0ES3_PKfPffZZZN2at6native31launch_logcumsumexp_cuda_kernelERKNSB_10TensorBaseESF_lENKUlvE_clEvENKUlvE0_clEvEUlffE_fEEDaPvRmT3_T4_T5_mT6_P12ihipStream_tbENKUlT_T0_E_clISt17integral_constantIbLb1EESW_EEDaSR_SS_EUlSR_E_NS1_11comp_targetILNS1_3genE8ELNS1_11target_archE1030ELNS1_3gpuE2ELNS1_3repE0EEENS1_30default_config_static_selectorELNS0_4arch9wavefront6targetE1EEEvT1_.numbered_sgpr, 0
	.set _ZN7rocprim17ROCPRIM_400000_NS6detail17trampoline_kernelINS0_14default_configENS1_20scan_config_selectorIfEEZZNS1_9scan_implILNS1_25lookback_scan_determinismE0ELb0ELb0ES3_PKfPffZZZN2at6native31launch_logcumsumexp_cuda_kernelERKNSB_10TensorBaseESF_lENKUlvE_clEvENKUlvE0_clEvEUlffE_fEEDaPvRmT3_T4_T5_mT6_P12ihipStream_tbENKUlT_T0_E_clISt17integral_constantIbLb1EESW_EEDaSR_SS_EUlSR_E_NS1_11comp_targetILNS1_3genE8ELNS1_11target_archE1030ELNS1_3gpuE2ELNS1_3repE0EEENS1_30default_config_static_selectorELNS0_4arch9wavefront6targetE1EEEvT1_.num_named_barrier, 0
	.set _ZN7rocprim17ROCPRIM_400000_NS6detail17trampoline_kernelINS0_14default_configENS1_20scan_config_selectorIfEEZZNS1_9scan_implILNS1_25lookback_scan_determinismE0ELb0ELb0ES3_PKfPffZZZN2at6native31launch_logcumsumexp_cuda_kernelERKNSB_10TensorBaseESF_lENKUlvE_clEvENKUlvE0_clEvEUlffE_fEEDaPvRmT3_T4_T5_mT6_P12ihipStream_tbENKUlT_T0_E_clISt17integral_constantIbLb1EESW_EEDaSR_SS_EUlSR_E_NS1_11comp_targetILNS1_3genE8ELNS1_11target_archE1030ELNS1_3gpuE2ELNS1_3repE0EEENS1_30default_config_static_selectorELNS0_4arch9wavefront6targetE1EEEvT1_.private_seg_size, 0
	.set _ZN7rocprim17ROCPRIM_400000_NS6detail17trampoline_kernelINS0_14default_configENS1_20scan_config_selectorIfEEZZNS1_9scan_implILNS1_25lookback_scan_determinismE0ELb0ELb0ES3_PKfPffZZZN2at6native31launch_logcumsumexp_cuda_kernelERKNSB_10TensorBaseESF_lENKUlvE_clEvENKUlvE0_clEvEUlffE_fEEDaPvRmT3_T4_T5_mT6_P12ihipStream_tbENKUlT_T0_E_clISt17integral_constantIbLb1EESW_EEDaSR_SS_EUlSR_E_NS1_11comp_targetILNS1_3genE8ELNS1_11target_archE1030ELNS1_3gpuE2ELNS1_3repE0EEENS1_30default_config_static_selectorELNS0_4arch9wavefront6targetE1EEEvT1_.uses_vcc, 0
	.set _ZN7rocprim17ROCPRIM_400000_NS6detail17trampoline_kernelINS0_14default_configENS1_20scan_config_selectorIfEEZZNS1_9scan_implILNS1_25lookback_scan_determinismE0ELb0ELb0ES3_PKfPffZZZN2at6native31launch_logcumsumexp_cuda_kernelERKNSB_10TensorBaseESF_lENKUlvE_clEvENKUlvE0_clEvEUlffE_fEEDaPvRmT3_T4_T5_mT6_P12ihipStream_tbENKUlT_T0_E_clISt17integral_constantIbLb1EESW_EEDaSR_SS_EUlSR_E_NS1_11comp_targetILNS1_3genE8ELNS1_11target_archE1030ELNS1_3gpuE2ELNS1_3repE0EEENS1_30default_config_static_selectorELNS0_4arch9wavefront6targetE1EEEvT1_.uses_flat_scratch, 0
	.set _ZN7rocprim17ROCPRIM_400000_NS6detail17trampoline_kernelINS0_14default_configENS1_20scan_config_selectorIfEEZZNS1_9scan_implILNS1_25lookback_scan_determinismE0ELb0ELb0ES3_PKfPffZZZN2at6native31launch_logcumsumexp_cuda_kernelERKNSB_10TensorBaseESF_lENKUlvE_clEvENKUlvE0_clEvEUlffE_fEEDaPvRmT3_T4_T5_mT6_P12ihipStream_tbENKUlT_T0_E_clISt17integral_constantIbLb1EESW_EEDaSR_SS_EUlSR_E_NS1_11comp_targetILNS1_3genE8ELNS1_11target_archE1030ELNS1_3gpuE2ELNS1_3repE0EEENS1_30default_config_static_selectorELNS0_4arch9wavefront6targetE1EEEvT1_.has_dyn_sized_stack, 0
	.set _ZN7rocprim17ROCPRIM_400000_NS6detail17trampoline_kernelINS0_14default_configENS1_20scan_config_selectorIfEEZZNS1_9scan_implILNS1_25lookback_scan_determinismE0ELb0ELb0ES3_PKfPffZZZN2at6native31launch_logcumsumexp_cuda_kernelERKNSB_10TensorBaseESF_lENKUlvE_clEvENKUlvE0_clEvEUlffE_fEEDaPvRmT3_T4_T5_mT6_P12ihipStream_tbENKUlT_T0_E_clISt17integral_constantIbLb1EESW_EEDaSR_SS_EUlSR_E_NS1_11comp_targetILNS1_3genE8ELNS1_11target_archE1030ELNS1_3gpuE2ELNS1_3repE0EEENS1_30default_config_static_selectorELNS0_4arch9wavefront6targetE1EEEvT1_.has_recursion, 0
	.set _ZN7rocprim17ROCPRIM_400000_NS6detail17trampoline_kernelINS0_14default_configENS1_20scan_config_selectorIfEEZZNS1_9scan_implILNS1_25lookback_scan_determinismE0ELb0ELb0ES3_PKfPffZZZN2at6native31launch_logcumsumexp_cuda_kernelERKNSB_10TensorBaseESF_lENKUlvE_clEvENKUlvE0_clEvEUlffE_fEEDaPvRmT3_T4_T5_mT6_P12ihipStream_tbENKUlT_T0_E_clISt17integral_constantIbLb1EESW_EEDaSR_SS_EUlSR_E_NS1_11comp_targetILNS1_3genE8ELNS1_11target_archE1030ELNS1_3gpuE2ELNS1_3repE0EEENS1_30default_config_static_selectorELNS0_4arch9wavefront6targetE1EEEvT1_.has_indirect_call, 0
	.section	.AMDGPU.csdata,"",@progbits
; Kernel info:
; codeLenInByte = 0
; TotalNumSgprs: 4
; NumVgprs: 0
; ScratchSize: 0
; MemoryBound: 0
; FloatMode: 240
; IeeeMode: 1
; LDSByteSize: 0 bytes/workgroup (compile time only)
; SGPRBlocks: 0
; VGPRBlocks: 0
; NumSGPRsForWavesPerEU: 4
; NumVGPRsForWavesPerEU: 1
; Occupancy: 10
; WaveLimiterHint : 0
; COMPUTE_PGM_RSRC2:SCRATCH_EN: 0
; COMPUTE_PGM_RSRC2:USER_SGPR: 6
; COMPUTE_PGM_RSRC2:TRAP_HANDLER: 0
; COMPUTE_PGM_RSRC2:TGID_X_EN: 1
; COMPUTE_PGM_RSRC2:TGID_Y_EN: 0
; COMPUTE_PGM_RSRC2:TGID_Z_EN: 0
; COMPUTE_PGM_RSRC2:TIDIG_COMP_CNT: 0
	.section	.text._ZN7rocprim17ROCPRIM_400000_NS6detail17trampoline_kernelINS0_14default_configENS1_20scan_config_selectorIfEEZZNS1_9scan_implILNS1_25lookback_scan_determinismE0ELb0ELb0ES3_PKfPffZZZN2at6native31launch_logcumsumexp_cuda_kernelERKNSB_10TensorBaseESF_lENKUlvE_clEvENKUlvE0_clEvEUlffE_fEEDaPvRmT3_T4_T5_mT6_P12ihipStream_tbENKUlT_T0_E_clISt17integral_constantIbLb1EESW_EEDaSR_SS_EUlSR_E0_NS1_11comp_targetILNS1_3genE0ELNS1_11target_archE4294967295ELNS1_3gpuE0ELNS1_3repE0EEENS1_30default_config_static_selectorELNS0_4arch9wavefront6targetE1EEEvT1_,"axG",@progbits,_ZN7rocprim17ROCPRIM_400000_NS6detail17trampoline_kernelINS0_14default_configENS1_20scan_config_selectorIfEEZZNS1_9scan_implILNS1_25lookback_scan_determinismE0ELb0ELb0ES3_PKfPffZZZN2at6native31launch_logcumsumexp_cuda_kernelERKNSB_10TensorBaseESF_lENKUlvE_clEvENKUlvE0_clEvEUlffE_fEEDaPvRmT3_T4_T5_mT6_P12ihipStream_tbENKUlT_T0_E_clISt17integral_constantIbLb1EESW_EEDaSR_SS_EUlSR_E0_NS1_11comp_targetILNS1_3genE0ELNS1_11target_archE4294967295ELNS1_3gpuE0ELNS1_3repE0EEENS1_30default_config_static_selectorELNS0_4arch9wavefront6targetE1EEEvT1_,comdat
	.globl	_ZN7rocprim17ROCPRIM_400000_NS6detail17trampoline_kernelINS0_14default_configENS1_20scan_config_selectorIfEEZZNS1_9scan_implILNS1_25lookback_scan_determinismE0ELb0ELb0ES3_PKfPffZZZN2at6native31launch_logcumsumexp_cuda_kernelERKNSB_10TensorBaseESF_lENKUlvE_clEvENKUlvE0_clEvEUlffE_fEEDaPvRmT3_T4_T5_mT6_P12ihipStream_tbENKUlT_T0_E_clISt17integral_constantIbLb1EESW_EEDaSR_SS_EUlSR_E0_NS1_11comp_targetILNS1_3genE0ELNS1_11target_archE4294967295ELNS1_3gpuE0ELNS1_3repE0EEENS1_30default_config_static_selectorELNS0_4arch9wavefront6targetE1EEEvT1_ ; -- Begin function _ZN7rocprim17ROCPRIM_400000_NS6detail17trampoline_kernelINS0_14default_configENS1_20scan_config_selectorIfEEZZNS1_9scan_implILNS1_25lookback_scan_determinismE0ELb0ELb0ES3_PKfPffZZZN2at6native31launch_logcumsumexp_cuda_kernelERKNSB_10TensorBaseESF_lENKUlvE_clEvENKUlvE0_clEvEUlffE_fEEDaPvRmT3_T4_T5_mT6_P12ihipStream_tbENKUlT_T0_E_clISt17integral_constantIbLb1EESW_EEDaSR_SS_EUlSR_E0_NS1_11comp_targetILNS1_3genE0ELNS1_11target_archE4294967295ELNS1_3gpuE0ELNS1_3repE0EEENS1_30default_config_static_selectorELNS0_4arch9wavefront6targetE1EEEvT1_
	.p2align	8
	.type	_ZN7rocprim17ROCPRIM_400000_NS6detail17trampoline_kernelINS0_14default_configENS1_20scan_config_selectorIfEEZZNS1_9scan_implILNS1_25lookback_scan_determinismE0ELb0ELb0ES3_PKfPffZZZN2at6native31launch_logcumsumexp_cuda_kernelERKNSB_10TensorBaseESF_lENKUlvE_clEvENKUlvE0_clEvEUlffE_fEEDaPvRmT3_T4_T5_mT6_P12ihipStream_tbENKUlT_T0_E_clISt17integral_constantIbLb1EESW_EEDaSR_SS_EUlSR_E0_NS1_11comp_targetILNS1_3genE0ELNS1_11target_archE4294967295ELNS1_3gpuE0ELNS1_3repE0EEENS1_30default_config_static_selectorELNS0_4arch9wavefront6targetE1EEEvT1_,@function
_ZN7rocprim17ROCPRIM_400000_NS6detail17trampoline_kernelINS0_14default_configENS1_20scan_config_selectorIfEEZZNS1_9scan_implILNS1_25lookback_scan_determinismE0ELb0ELb0ES3_PKfPffZZZN2at6native31launch_logcumsumexp_cuda_kernelERKNSB_10TensorBaseESF_lENKUlvE_clEvENKUlvE0_clEvEUlffE_fEEDaPvRmT3_T4_T5_mT6_P12ihipStream_tbENKUlT_T0_E_clISt17integral_constantIbLb1EESW_EEDaSR_SS_EUlSR_E0_NS1_11comp_targetILNS1_3genE0ELNS1_11target_archE4294967295ELNS1_3gpuE0ELNS1_3repE0EEENS1_30default_config_static_selectorELNS0_4arch9wavefront6targetE1EEEvT1_: ; @_ZN7rocprim17ROCPRIM_400000_NS6detail17trampoline_kernelINS0_14default_configENS1_20scan_config_selectorIfEEZZNS1_9scan_implILNS1_25lookback_scan_determinismE0ELb0ELb0ES3_PKfPffZZZN2at6native31launch_logcumsumexp_cuda_kernelERKNSB_10TensorBaseESF_lENKUlvE_clEvENKUlvE0_clEvEUlffE_fEEDaPvRmT3_T4_T5_mT6_P12ihipStream_tbENKUlT_T0_E_clISt17integral_constantIbLb1EESW_EEDaSR_SS_EUlSR_E0_NS1_11comp_targetILNS1_3genE0ELNS1_11target_archE4294967295ELNS1_3gpuE0ELNS1_3repE0EEENS1_30default_config_static_selectorELNS0_4arch9wavefront6targetE1EEEvT1_
; %bb.0:
	.section	.rodata,"a",@progbits
	.p2align	6, 0x0
	.amdhsa_kernel _ZN7rocprim17ROCPRIM_400000_NS6detail17trampoline_kernelINS0_14default_configENS1_20scan_config_selectorIfEEZZNS1_9scan_implILNS1_25lookback_scan_determinismE0ELb0ELb0ES3_PKfPffZZZN2at6native31launch_logcumsumexp_cuda_kernelERKNSB_10TensorBaseESF_lENKUlvE_clEvENKUlvE0_clEvEUlffE_fEEDaPvRmT3_T4_T5_mT6_P12ihipStream_tbENKUlT_T0_E_clISt17integral_constantIbLb1EESW_EEDaSR_SS_EUlSR_E0_NS1_11comp_targetILNS1_3genE0ELNS1_11target_archE4294967295ELNS1_3gpuE0ELNS1_3repE0EEENS1_30default_config_static_selectorELNS0_4arch9wavefront6targetE1EEEvT1_
		.amdhsa_group_segment_fixed_size 0
		.amdhsa_private_segment_fixed_size 0
		.amdhsa_kernarg_size 32
		.amdhsa_user_sgpr_count 6
		.amdhsa_user_sgpr_private_segment_buffer 1
		.amdhsa_user_sgpr_dispatch_ptr 0
		.amdhsa_user_sgpr_queue_ptr 0
		.amdhsa_user_sgpr_kernarg_segment_ptr 1
		.amdhsa_user_sgpr_dispatch_id 0
		.amdhsa_user_sgpr_flat_scratch_init 0
		.amdhsa_user_sgpr_private_segment_size 0
		.amdhsa_uses_dynamic_stack 0
		.amdhsa_system_sgpr_private_segment_wavefront_offset 0
		.amdhsa_system_sgpr_workgroup_id_x 1
		.amdhsa_system_sgpr_workgroup_id_y 0
		.amdhsa_system_sgpr_workgroup_id_z 0
		.amdhsa_system_sgpr_workgroup_info 0
		.amdhsa_system_vgpr_workitem_id 0
		.amdhsa_next_free_vgpr 1
		.amdhsa_next_free_sgpr 0
		.amdhsa_reserve_vcc 0
		.amdhsa_reserve_flat_scratch 0
		.amdhsa_float_round_mode_32 0
		.amdhsa_float_round_mode_16_64 0
		.amdhsa_float_denorm_mode_32 3
		.amdhsa_float_denorm_mode_16_64 3
		.amdhsa_dx10_clamp 1
		.amdhsa_ieee_mode 1
		.amdhsa_fp16_overflow 0
		.amdhsa_exception_fp_ieee_invalid_op 0
		.amdhsa_exception_fp_denorm_src 0
		.amdhsa_exception_fp_ieee_div_zero 0
		.amdhsa_exception_fp_ieee_overflow 0
		.amdhsa_exception_fp_ieee_underflow 0
		.amdhsa_exception_fp_ieee_inexact 0
		.amdhsa_exception_int_div_zero 0
	.end_amdhsa_kernel
	.section	.text._ZN7rocprim17ROCPRIM_400000_NS6detail17trampoline_kernelINS0_14default_configENS1_20scan_config_selectorIfEEZZNS1_9scan_implILNS1_25lookback_scan_determinismE0ELb0ELb0ES3_PKfPffZZZN2at6native31launch_logcumsumexp_cuda_kernelERKNSB_10TensorBaseESF_lENKUlvE_clEvENKUlvE0_clEvEUlffE_fEEDaPvRmT3_T4_T5_mT6_P12ihipStream_tbENKUlT_T0_E_clISt17integral_constantIbLb1EESW_EEDaSR_SS_EUlSR_E0_NS1_11comp_targetILNS1_3genE0ELNS1_11target_archE4294967295ELNS1_3gpuE0ELNS1_3repE0EEENS1_30default_config_static_selectorELNS0_4arch9wavefront6targetE1EEEvT1_,"axG",@progbits,_ZN7rocprim17ROCPRIM_400000_NS6detail17trampoline_kernelINS0_14default_configENS1_20scan_config_selectorIfEEZZNS1_9scan_implILNS1_25lookback_scan_determinismE0ELb0ELb0ES3_PKfPffZZZN2at6native31launch_logcumsumexp_cuda_kernelERKNSB_10TensorBaseESF_lENKUlvE_clEvENKUlvE0_clEvEUlffE_fEEDaPvRmT3_T4_T5_mT6_P12ihipStream_tbENKUlT_T0_E_clISt17integral_constantIbLb1EESW_EEDaSR_SS_EUlSR_E0_NS1_11comp_targetILNS1_3genE0ELNS1_11target_archE4294967295ELNS1_3gpuE0ELNS1_3repE0EEENS1_30default_config_static_selectorELNS0_4arch9wavefront6targetE1EEEvT1_,comdat
.Lfunc_end124:
	.size	_ZN7rocprim17ROCPRIM_400000_NS6detail17trampoline_kernelINS0_14default_configENS1_20scan_config_selectorIfEEZZNS1_9scan_implILNS1_25lookback_scan_determinismE0ELb0ELb0ES3_PKfPffZZZN2at6native31launch_logcumsumexp_cuda_kernelERKNSB_10TensorBaseESF_lENKUlvE_clEvENKUlvE0_clEvEUlffE_fEEDaPvRmT3_T4_T5_mT6_P12ihipStream_tbENKUlT_T0_E_clISt17integral_constantIbLb1EESW_EEDaSR_SS_EUlSR_E0_NS1_11comp_targetILNS1_3genE0ELNS1_11target_archE4294967295ELNS1_3gpuE0ELNS1_3repE0EEENS1_30default_config_static_selectorELNS0_4arch9wavefront6targetE1EEEvT1_, .Lfunc_end124-_ZN7rocprim17ROCPRIM_400000_NS6detail17trampoline_kernelINS0_14default_configENS1_20scan_config_selectorIfEEZZNS1_9scan_implILNS1_25lookback_scan_determinismE0ELb0ELb0ES3_PKfPffZZZN2at6native31launch_logcumsumexp_cuda_kernelERKNSB_10TensorBaseESF_lENKUlvE_clEvENKUlvE0_clEvEUlffE_fEEDaPvRmT3_T4_T5_mT6_P12ihipStream_tbENKUlT_T0_E_clISt17integral_constantIbLb1EESW_EEDaSR_SS_EUlSR_E0_NS1_11comp_targetILNS1_3genE0ELNS1_11target_archE4294967295ELNS1_3gpuE0ELNS1_3repE0EEENS1_30default_config_static_selectorELNS0_4arch9wavefront6targetE1EEEvT1_
                                        ; -- End function
	.set _ZN7rocprim17ROCPRIM_400000_NS6detail17trampoline_kernelINS0_14default_configENS1_20scan_config_selectorIfEEZZNS1_9scan_implILNS1_25lookback_scan_determinismE0ELb0ELb0ES3_PKfPffZZZN2at6native31launch_logcumsumexp_cuda_kernelERKNSB_10TensorBaseESF_lENKUlvE_clEvENKUlvE0_clEvEUlffE_fEEDaPvRmT3_T4_T5_mT6_P12ihipStream_tbENKUlT_T0_E_clISt17integral_constantIbLb1EESW_EEDaSR_SS_EUlSR_E0_NS1_11comp_targetILNS1_3genE0ELNS1_11target_archE4294967295ELNS1_3gpuE0ELNS1_3repE0EEENS1_30default_config_static_selectorELNS0_4arch9wavefront6targetE1EEEvT1_.num_vgpr, 0
	.set _ZN7rocprim17ROCPRIM_400000_NS6detail17trampoline_kernelINS0_14default_configENS1_20scan_config_selectorIfEEZZNS1_9scan_implILNS1_25lookback_scan_determinismE0ELb0ELb0ES3_PKfPffZZZN2at6native31launch_logcumsumexp_cuda_kernelERKNSB_10TensorBaseESF_lENKUlvE_clEvENKUlvE0_clEvEUlffE_fEEDaPvRmT3_T4_T5_mT6_P12ihipStream_tbENKUlT_T0_E_clISt17integral_constantIbLb1EESW_EEDaSR_SS_EUlSR_E0_NS1_11comp_targetILNS1_3genE0ELNS1_11target_archE4294967295ELNS1_3gpuE0ELNS1_3repE0EEENS1_30default_config_static_selectorELNS0_4arch9wavefront6targetE1EEEvT1_.num_agpr, 0
	.set _ZN7rocprim17ROCPRIM_400000_NS6detail17trampoline_kernelINS0_14default_configENS1_20scan_config_selectorIfEEZZNS1_9scan_implILNS1_25lookback_scan_determinismE0ELb0ELb0ES3_PKfPffZZZN2at6native31launch_logcumsumexp_cuda_kernelERKNSB_10TensorBaseESF_lENKUlvE_clEvENKUlvE0_clEvEUlffE_fEEDaPvRmT3_T4_T5_mT6_P12ihipStream_tbENKUlT_T0_E_clISt17integral_constantIbLb1EESW_EEDaSR_SS_EUlSR_E0_NS1_11comp_targetILNS1_3genE0ELNS1_11target_archE4294967295ELNS1_3gpuE0ELNS1_3repE0EEENS1_30default_config_static_selectorELNS0_4arch9wavefront6targetE1EEEvT1_.numbered_sgpr, 0
	.set _ZN7rocprim17ROCPRIM_400000_NS6detail17trampoline_kernelINS0_14default_configENS1_20scan_config_selectorIfEEZZNS1_9scan_implILNS1_25lookback_scan_determinismE0ELb0ELb0ES3_PKfPffZZZN2at6native31launch_logcumsumexp_cuda_kernelERKNSB_10TensorBaseESF_lENKUlvE_clEvENKUlvE0_clEvEUlffE_fEEDaPvRmT3_T4_T5_mT6_P12ihipStream_tbENKUlT_T0_E_clISt17integral_constantIbLb1EESW_EEDaSR_SS_EUlSR_E0_NS1_11comp_targetILNS1_3genE0ELNS1_11target_archE4294967295ELNS1_3gpuE0ELNS1_3repE0EEENS1_30default_config_static_selectorELNS0_4arch9wavefront6targetE1EEEvT1_.num_named_barrier, 0
	.set _ZN7rocprim17ROCPRIM_400000_NS6detail17trampoline_kernelINS0_14default_configENS1_20scan_config_selectorIfEEZZNS1_9scan_implILNS1_25lookback_scan_determinismE0ELb0ELb0ES3_PKfPffZZZN2at6native31launch_logcumsumexp_cuda_kernelERKNSB_10TensorBaseESF_lENKUlvE_clEvENKUlvE0_clEvEUlffE_fEEDaPvRmT3_T4_T5_mT6_P12ihipStream_tbENKUlT_T0_E_clISt17integral_constantIbLb1EESW_EEDaSR_SS_EUlSR_E0_NS1_11comp_targetILNS1_3genE0ELNS1_11target_archE4294967295ELNS1_3gpuE0ELNS1_3repE0EEENS1_30default_config_static_selectorELNS0_4arch9wavefront6targetE1EEEvT1_.private_seg_size, 0
	.set _ZN7rocprim17ROCPRIM_400000_NS6detail17trampoline_kernelINS0_14default_configENS1_20scan_config_selectorIfEEZZNS1_9scan_implILNS1_25lookback_scan_determinismE0ELb0ELb0ES3_PKfPffZZZN2at6native31launch_logcumsumexp_cuda_kernelERKNSB_10TensorBaseESF_lENKUlvE_clEvENKUlvE0_clEvEUlffE_fEEDaPvRmT3_T4_T5_mT6_P12ihipStream_tbENKUlT_T0_E_clISt17integral_constantIbLb1EESW_EEDaSR_SS_EUlSR_E0_NS1_11comp_targetILNS1_3genE0ELNS1_11target_archE4294967295ELNS1_3gpuE0ELNS1_3repE0EEENS1_30default_config_static_selectorELNS0_4arch9wavefront6targetE1EEEvT1_.uses_vcc, 0
	.set _ZN7rocprim17ROCPRIM_400000_NS6detail17trampoline_kernelINS0_14default_configENS1_20scan_config_selectorIfEEZZNS1_9scan_implILNS1_25lookback_scan_determinismE0ELb0ELb0ES3_PKfPffZZZN2at6native31launch_logcumsumexp_cuda_kernelERKNSB_10TensorBaseESF_lENKUlvE_clEvENKUlvE0_clEvEUlffE_fEEDaPvRmT3_T4_T5_mT6_P12ihipStream_tbENKUlT_T0_E_clISt17integral_constantIbLb1EESW_EEDaSR_SS_EUlSR_E0_NS1_11comp_targetILNS1_3genE0ELNS1_11target_archE4294967295ELNS1_3gpuE0ELNS1_3repE0EEENS1_30default_config_static_selectorELNS0_4arch9wavefront6targetE1EEEvT1_.uses_flat_scratch, 0
	.set _ZN7rocprim17ROCPRIM_400000_NS6detail17trampoline_kernelINS0_14default_configENS1_20scan_config_selectorIfEEZZNS1_9scan_implILNS1_25lookback_scan_determinismE0ELb0ELb0ES3_PKfPffZZZN2at6native31launch_logcumsumexp_cuda_kernelERKNSB_10TensorBaseESF_lENKUlvE_clEvENKUlvE0_clEvEUlffE_fEEDaPvRmT3_T4_T5_mT6_P12ihipStream_tbENKUlT_T0_E_clISt17integral_constantIbLb1EESW_EEDaSR_SS_EUlSR_E0_NS1_11comp_targetILNS1_3genE0ELNS1_11target_archE4294967295ELNS1_3gpuE0ELNS1_3repE0EEENS1_30default_config_static_selectorELNS0_4arch9wavefront6targetE1EEEvT1_.has_dyn_sized_stack, 0
	.set _ZN7rocprim17ROCPRIM_400000_NS6detail17trampoline_kernelINS0_14default_configENS1_20scan_config_selectorIfEEZZNS1_9scan_implILNS1_25lookback_scan_determinismE0ELb0ELb0ES3_PKfPffZZZN2at6native31launch_logcumsumexp_cuda_kernelERKNSB_10TensorBaseESF_lENKUlvE_clEvENKUlvE0_clEvEUlffE_fEEDaPvRmT3_T4_T5_mT6_P12ihipStream_tbENKUlT_T0_E_clISt17integral_constantIbLb1EESW_EEDaSR_SS_EUlSR_E0_NS1_11comp_targetILNS1_3genE0ELNS1_11target_archE4294967295ELNS1_3gpuE0ELNS1_3repE0EEENS1_30default_config_static_selectorELNS0_4arch9wavefront6targetE1EEEvT1_.has_recursion, 0
	.set _ZN7rocprim17ROCPRIM_400000_NS6detail17trampoline_kernelINS0_14default_configENS1_20scan_config_selectorIfEEZZNS1_9scan_implILNS1_25lookback_scan_determinismE0ELb0ELb0ES3_PKfPffZZZN2at6native31launch_logcumsumexp_cuda_kernelERKNSB_10TensorBaseESF_lENKUlvE_clEvENKUlvE0_clEvEUlffE_fEEDaPvRmT3_T4_T5_mT6_P12ihipStream_tbENKUlT_T0_E_clISt17integral_constantIbLb1EESW_EEDaSR_SS_EUlSR_E0_NS1_11comp_targetILNS1_3genE0ELNS1_11target_archE4294967295ELNS1_3gpuE0ELNS1_3repE0EEENS1_30default_config_static_selectorELNS0_4arch9wavefront6targetE1EEEvT1_.has_indirect_call, 0
	.section	.AMDGPU.csdata,"",@progbits
; Kernel info:
; codeLenInByte = 0
; TotalNumSgprs: 4
; NumVgprs: 0
; ScratchSize: 0
; MemoryBound: 0
; FloatMode: 240
; IeeeMode: 1
; LDSByteSize: 0 bytes/workgroup (compile time only)
; SGPRBlocks: 0
; VGPRBlocks: 0
; NumSGPRsForWavesPerEU: 4
; NumVGPRsForWavesPerEU: 1
; Occupancy: 10
; WaveLimiterHint : 0
; COMPUTE_PGM_RSRC2:SCRATCH_EN: 0
; COMPUTE_PGM_RSRC2:USER_SGPR: 6
; COMPUTE_PGM_RSRC2:TRAP_HANDLER: 0
; COMPUTE_PGM_RSRC2:TGID_X_EN: 1
; COMPUTE_PGM_RSRC2:TGID_Y_EN: 0
; COMPUTE_PGM_RSRC2:TGID_Z_EN: 0
; COMPUTE_PGM_RSRC2:TIDIG_COMP_CNT: 0
	.section	.text._ZN7rocprim17ROCPRIM_400000_NS6detail17trampoline_kernelINS0_14default_configENS1_20scan_config_selectorIfEEZZNS1_9scan_implILNS1_25lookback_scan_determinismE0ELb0ELb0ES3_PKfPffZZZN2at6native31launch_logcumsumexp_cuda_kernelERKNSB_10TensorBaseESF_lENKUlvE_clEvENKUlvE0_clEvEUlffE_fEEDaPvRmT3_T4_T5_mT6_P12ihipStream_tbENKUlT_T0_E_clISt17integral_constantIbLb1EESW_EEDaSR_SS_EUlSR_E0_NS1_11comp_targetILNS1_3genE5ELNS1_11target_archE942ELNS1_3gpuE9ELNS1_3repE0EEENS1_30default_config_static_selectorELNS0_4arch9wavefront6targetE1EEEvT1_,"axG",@progbits,_ZN7rocprim17ROCPRIM_400000_NS6detail17trampoline_kernelINS0_14default_configENS1_20scan_config_selectorIfEEZZNS1_9scan_implILNS1_25lookback_scan_determinismE0ELb0ELb0ES3_PKfPffZZZN2at6native31launch_logcumsumexp_cuda_kernelERKNSB_10TensorBaseESF_lENKUlvE_clEvENKUlvE0_clEvEUlffE_fEEDaPvRmT3_T4_T5_mT6_P12ihipStream_tbENKUlT_T0_E_clISt17integral_constantIbLb1EESW_EEDaSR_SS_EUlSR_E0_NS1_11comp_targetILNS1_3genE5ELNS1_11target_archE942ELNS1_3gpuE9ELNS1_3repE0EEENS1_30default_config_static_selectorELNS0_4arch9wavefront6targetE1EEEvT1_,comdat
	.globl	_ZN7rocprim17ROCPRIM_400000_NS6detail17trampoline_kernelINS0_14default_configENS1_20scan_config_selectorIfEEZZNS1_9scan_implILNS1_25lookback_scan_determinismE0ELb0ELb0ES3_PKfPffZZZN2at6native31launch_logcumsumexp_cuda_kernelERKNSB_10TensorBaseESF_lENKUlvE_clEvENKUlvE0_clEvEUlffE_fEEDaPvRmT3_T4_T5_mT6_P12ihipStream_tbENKUlT_T0_E_clISt17integral_constantIbLb1EESW_EEDaSR_SS_EUlSR_E0_NS1_11comp_targetILNS1_3genE5ELNS1_11target_archE942ELNS1_3gpuE9ELNS1_3repE0EEENS1_30default_config_static_selectorELNS0_4arch9wavefront6targetE1EEEvT1_ ; -- Begin function _ZN7rocprim17ROCPRIM_400000_NS6detail17trampoline_kernelINS0_14default_configENS1_20scan_config_selectorIfEEZZNS1_9scan_implILNS1_25lookback_scan_determinismE0ELb0ELb0ES3_PKfPffZZZN2at6native31launch_logcumsumexp_cuda_kernelERKNSB_10TensorBaseESF_lENKUlvE_clEvENKUlvE0_clEvEUlffE_fEEDaPvRmT3_T4_T5_mT6_P12ihipStream_tbENKUlT_T0_E_clISt17integral_constantIbLb1EESW_EEDaSR_SS_EUlSR_E0_NS1_11comp_targetILNS1_3genE5ELNS1_11target_archE942ELNS1_3gpuE9ELNS1_3repE0EEENS1_30default_config_static_selectorELNS0_4arch9wavefront6targetE1EEEvT1_
	.p2align	8
	.type	_ZN7rocprim17ROCPRIM_400000_NS6detail17trampoline_kernelINS0_14default_configENS1_20scan_config_selectorIfEEZZNS1_9scan_implILNS1_25lookback_scan_determinismE0ELb0ELb0ES3_PKfPffZZZN2at6native31launch_logcumsumexp_cuda_kernelERKNSB_10TensorBaseESF_lENKUlvE_clEvENKUlvE0_clEvEUlffE_fEEDaPvRmT3_T4_T5_mT6_P12ihipStream_tbENKUlT_T0_E_clISt17integral_constantIbLb1EESW_EEDaSR_SS_EUlSR_E0_NS1_11comp_targetILNS1_3genE5ELNS1_11target_archE942ELNS1_3gpuE9ELNS1_3repE0EEENS1_30default_config_static_selectorELNS0_4arch9wavefront6targetE1EEEvT1_,@function
_ZN7rocprim17ROCPRIM_400000_NS6detail17trampoline_kernelINS0_14default_configENS1_20scan_config_selectorIfEEZZNS1_9scan_implILNS1_25lookback_scan_determinismE0ELb0ELb0ES3_PKfPffZZZN2at6native31launch_logcumsumexp_cuda_kernelERKNSB_10TensorBaseESF_lENKUlvE_clEvENKUlvE0_clEvEUlffE_fEEDaPvRmT3_T4_T5_mT6_P12ihipStream_tbENKUlT_T0_E_clISt17integral_constantIbLb1EESW_EEDaSR_SS_EUlSR_E0_NS1_11comp_targetILNS1_3genE5ELNS1_11target_archE942ELNS1_3gpuE9ELNS1_3repE0EEENS1_30default_config_static_selectorELNS0_4arch9wavefront6targetE1EEEvT1_: ; @_ZN7rocprim17ROCPRIM_400000_NS6detail17trampoline_kernelINS0_14default_configENS1_20scan_config_selectorIfEEZZNS1_9scan_implILNS1_25lookback_scan_determinismE0ELb0ELb0ES3_PKfPffZZZN2at6native31launch_logcumsumexp_cuda_kernelERKNSB_10TensorBaseESF_lENKUlvE_clEvENKUlvE0_clEvEUlffE_fEEDaPvRmT3_T4_T5_mT6_P12ihipStream_tbENKUlT_T0_E_clISt17integral_constantIbLb1EESW_EEDaSR_SS_EUlSR_E0_NS1_11comp_targetILNS1_3genE5ELNS1_11target_archE942ELNS1_3gpuE9ELNS1_3repE0EEENS1_30default_config_static_selectorELNS0_4arch9wavefront6targetE1EEEvT1_
; %bb.0:
	.section	.rodata,"a",@progbits
	.p2align	6, 0x0
	.amdhsa_kernel _ZN7rocprim17ROCPRIM_400000_NS6detail17trampoline_kernelINS0_14default_configENS1_20scan_config_selectorIfEEZZNS1_9scan_implILNS1_25lookback_scan_determinismE0ELb0ELb0ES3_PKfPffZZZN2at6native31launch_logcumsumexp_cuda_kernelERKNSB_10TensorBaseESF_lENKUlvE_clEvENKUlvE0_clEvEUlffE_fEEDaPvRmT3_T4_T5_mT6_P12ihipStream_tbENKUlT_T0_E_clISt17integral_constantIbLb1EESW_EEDaSR_SS_EUlSR_E0_NS1_11comp_targetILNS1_3genE5ELNS1_11target_archE942ELNS1_3gpuE9ELNS1_3repE0EEENS1_30default_config_static_selectorELNS0_4arch9wavefront6targetE1EEEvT1_
		.amdhsa_group_segment_fixed_size 0
		.amdhsa_private_segment_fixed_size 0
		.amdhsa_kernarg_size 32
		.amdhsa_user_sgpr_count 6
		.amdhsa_user_sgpr_private_segment_buffer 1
		.amdhsa_user_sgpr_dispatch_ptr 0
		.amdhsa_user_sgpr_queue_ptr 0
		.amdhsa_user_sgpr_kernarg_segment_ptr 1
		.amdhsa_user_sgpr_dispatch_id 0
		.amdhsa_user_sgpr_flat_scratch_init 0
		.amdhsa_user_sgpr_private_segment_size 0
		.amdhsa_uses_dynamic_stack 0
		.amdhsa_system_sgpr_private_segment_wavefront_offset 0
		.amdhsa_system_sgpr_workgroup_id_x 1
		.amdhsa_system_sgpr_workgroup_id_y 0
		.amdhsa_system_sgpr_workgroup_id_z 0
		.amdhsa_system_sgpr_workgroup_info 0
		.amdhsa_system_vgpr_workitem_id 0
		.amdhsa_next_free_vgpr 1
		.amdhsa_next_free_sgpr 0
		.amdhsa_reserve_vcc 0
		.amdhsa_reserve_flat_scratch 0
		.amdhsa_float_round_mode_32 0
		.amdhsa_float_round_mode_16_64 0
		.amdhsa_float_denorm_mode_32 3
		.amdhsa_float_denorm_mode_16_64 3
		.amdhsa_dx10_clamp 1
		.amdhsa_ieee_mode 1
		.amdhsa_fp16_overflow 0
		.amdhsa_exception_fp_ieee_invalid_op 0
		.amdhsa_exception_fp_denorm_src 0
		.amdhsa_exception_fp_ieee_div_zero 0
		.amdhsa_exception_fp_ieee_overflow 0
		.amdhsa_exception_fp_ieee_underflow 0
		.amdhsa_exception_fp_ieee_inexact 0
		.amdhsa_exception_int_div_zero 0
	.end_amdhsa_kernel
	.section	.text._ZN7rocprim17ROCPRIM_400000_NS6detail17trampoline_kernelINS0_14default_configENS1_20scan_config_selectorIfEEZZNS1_9scan_implILNS1_25lookback_scan_determinismE0ELb0ELb0ES3_PKfPffZZZN2at6native31launch_logcumsumexp_cuda_kernelERKNSB_10TensorBaseESF_lENKUlvE_clEvENKUlvE0_clEvEUlffE_fEEDaPvRmT3_T4_T5_mT6_P12ihipStream_tbENKUlT_T0_E_clISt17integral_constantIbLb1EESW_EEDaSR_SS_EUlSR_E0_NS1_11comp_targetILNS1_3genE5ELNS1_11target_archE942ELNS1_3gpuE9ELNS1_3repE0EEENS1_30default_config_static_selectorELNS0_4arch9wavefront6targetE1EEEvT1_,"axG",@progbits,_ZN7rocprim17ROCPRIM_400000_NS6detail17trampoline_kernelINS0_14default_configENS1_20scan_config_selectorIfEEZZNS1_9scan_implILNS1_25lookback_scan_determinismE0ELb0ELb0ES3_PKfPffZZZN2at6native31launch_logcumsumexp_cuda_kernelERKNSB_10TensorBaseESF_lENKUlvE_clEvENKUlvE0_clEvEUlffE_fEEDaPvRmT3_T4_T5_mT6_P12ihipStream_tbENKUlT_T0_E_clISt17integral_constantIbLb1EESW_EEDaSR_SS_EUlSR_E0_NS1_11comp_targetILNS1_3genE5ELNS1_11target_archE942ELNS1_3gpuE9ELNS1_3repE0EEENS1_30default_config_static_selectorELNS0_4arch9wavefront6targetE1EEEvT1_,comdat
.Lfunc_end125:
	.size	_ZN7rocprim17ROCPRIM_400000_NS6detail17trampoline_kernelINS0_14default_configENS1_20scan_config_selectorIfEEZZNS1_9scan_implILNS1_25lookback_scan_determinismE0ELb0ELb0ES3_PKfPffZZZN2at6native31launch_logcumsumexp_cuda_kernelERKNSB_10TensorBaseESF_lENKUlvE_clEvENKUlvE0_clEvEUlffE_fEEDaPvRmT3_T4_T5_mT6_P12ihipStream_tbENKUlT_T0_E_clISt17integral_constantIbLb1EESW_EEDaSR_SS_EUlSR_E0_NS1_11comp_targetILNS1_3genE5ELNS1_11target_archE942ELNS1_3gpuE9ELNS1_3repE0EEENS1_30default_config_static_selectorELNS0_4arch9wavefront6targetE1EEEvT1_, .Lfunc_end125-_ZN7rocprim17ROCPRIM_400000_NS6detail17trampoline_kernelINS0_14default_configENS1_20scan_config_selectorIfEEZZNS1_9scan_implILNS1_25lookback_scan_determinismE0ELb0ELb0ES3_PKfPffZZZN2at6native31launch_logcumsumexp_cuda_kernelERKNSB_10TensorBaseESF_lENKUlvE_clEvENKUlvE0_clEvEUlffE_fEEDaPvRmT3_T4_T5_mT6_P12ihipStream_tbENKUlT_T0_E_clISt17integral_constantIbLb1EESW_EEDaSR_SS_EUlSR_E0_NS1_11comp_targetILNS1_3genE5ELNS1_11target_archE942ELNS1_3gpuE9ELNS1_3repE0EEENS1_30default_config_static_selectorELNS0_4arch9wavefront6targetE1EEEvT1_
                                        ; -- End function
	.set _ZN7rocprim17ROCPRIM_400000_NS6detail17trampoline_kernelINS0_14default_configENS1_20scan_config_selectorIfEEZZNS1_9scan_implILNS1_25lookback_scan_determinismE0ELb0ELb0ES3_PKfPffZZZN2at6native31launch_logcumsumexp_cuda_kernelERKNSB_10TensorBaseESF_lENKUlvE_clEvENKUlvE0_clEvEUlffE_fEEDaPvRmT3_T4_T5_mT6_P12ihipStream_tbENKUlT_T0_E_clISt17integral_constantIbLb1EESW_EEDaSR_SS_EUlSR_E0_NS1_11comp_targetILNS1_3genE5ELNS1_11target_archE942ELNS1_3gpuE9ELNS1_3repE0EEENS1_30default_config_static_selectorELNS0_4arch9wavefront6targetE1EEEvT1_.num_vgpr, 0
	.set _ZN7rocprim17ROCPRIM_400000_NS6detail17trampoline_kernelINS0_14default_configENS1_20scan_config_selectorIfEEZZNS1_9scan_implILNS1_25lookback_scan_determinismE0ELb0ELb0ES3_PKfPffZZZN2at6native31launch_logcumsumexp_cuda_kernelERKNSB_10TensorBaseESF_lENKUlvE_clEvENKUlvE0_clEvEUlffE_fEEDaPvRmT3_T4_T5_mT6_P12ihipStream_tbENKUlT_T0_E_clISt17integral_constantIbLb1EESW_EEDaSR_SS_EUlSR_E0_NS1_11comp_targetILNS1_3genE5ELNS1_11target_archE942ELNS1_3gpuE9ELNS1_3repE0EEENS1_30default_config_static_selectorELNS0_4arch9wavefront6targetE1EEEvT1_.num_agpr, 0
	.set _ZN7rocprim17ROCPRIM_400000_NS6detail17trampoline_kernelINS0_14default_configENS1_20scan_config_selectorIfEEZZNS1_9scan_implILNS1_25lookback_scan_determinismE0ELb0ELb0ES3_PKfPffZZZN2at6native31launch_logcumsumexp_cuda_kernelERKNSB_10TensorBaseESF_lENKUlvE_clEvENKUlvE0_clEvEUlffE_fEEDaPvRmT3_T4_T5_mT6_P12ihipStream_tbENKUlT_T0_E_clISt17integral_constantIbLb1EESW_EEDaSR_SS_EUlSR_E0_NS1_11comp_targetILNS1_3genE5ELNS1_11target_archE942ELNS1_3gpuE9ELNS1_3repE0EEENS1_30default_config_static_selectorELNS0_4arch9wavefront6targetE1EEEvT1_.numbered_sgpr, 0
	.set _ZN7rocprim17ROCPRIM_400000_NS6detail17trampoline_kernelINS0_14default_configENS1_20scan_config_selectorIfEEZZNS1_9scan_implILNS1_25lookback_scan_determinismE0ELb0ELb0ES3_PKfPffZZZN2at6native31launch_logcumsumexp_cuda_kernelERKNSB_10TensorBaseESF_lENKUlvE_clEvENKUlvE0_clEvEUlffE_fEEDaPvRmT3_T4_T5_mT6_P12ihipStream_tbENKUlT_T0_E_clISt17integral_constantIbLb1EESW_EEDaSR_SS_EUlSR_E0_NS1_11comp_targetILNS1_3genE5ELNS1_11target_archE942ELNS1_3gpuE9ELNS1_3repE0EEENS1_30default_config_static_selectorELNS0_4arch9wavefront6targetE1EEEvT1_.num_named_barrier, 0
	.set _ZN7rocprim17ROCPRIM_400000_NS6detail17trampoline_kernelINS0_14default_configENS1_20scan_config_selectorIfEEZZNS1_9scan_implILNS1_25lookback_scan_determinismE0ELb0ELb0ES3_PKfPffZZZN2at6native31launch_logcumsumexp_cuda_kernelERKNSB_10TensorBaseESF_lENKUlvE_clEvENKUlvE0_clEvEUlffE_fEEDaPvRmT3_T4_T5_mT6_P12ihipStream_tbENKUlT_T0_E_clISt17integral_constantIbLb1EESW_EEDaSR_SS_EUlSR_E0_NS1_11comp_targetILNS1_3genE5ELNS1_11target_archE942ELNS1_3gpuE9ELNS1_3repE0EEENS1_30default_config_static_selectorELNS0_4arch9wavefront6targetE1EEEvT1_.private_seg_size, 0
	.set _ZN7rocprim17ROCPRIM_400000_NS6detail17trampoline_kernelINS0_14default_configENS1_20scan_config_selectorIfEEZZNS1_9scan_implILNS1_25lookback_scan_determinismE0ELb0ELb0ES3_PKfPffZZZN2at6native31launch_logcumsumexp_cuda_kernelERKNSB_10TensorBaseESF_lENKUlvE_clEvENKUlvE0_clEvEUlffE_fEEDaPvRmT3_T4_T5_mT6_P12ihipStream_tbENKUlT_T0_E_clISt17integral_constantIbLb1EESW_EEDaSR_SS_EUlSR_E0_NS1_11comp_targetILNS1_3genE5ELNS1_11target_archE942ELNS1_3gpuE9ELNS1_3repE0EEENS1_30default_config_static_selectorELNS0_4arch9wavefront6targetE1EEEvT1_.uses_vcc, 0
	.set _ZN7rocprim17ROCPRIM_400000_NS6detail17trampoline_kernelINS0_14default_configENS1_20scan_config_selectorIfEEZZNS1_9scan_implILNS1_25lookback_scan_determinismE0ELb0ELb0ES3_PKfPffZZZN2at6native31launch_logcumsumexp_cuda_kernelERKNSB_10TensorBaseESF_lENKUlvE_clEvENKUlvE0_clEvEUlffE_fEEDaPvRmT3_T4_T5_mT6_P12ihipStream_tbENKUlT_T0_E_clISt17integral_constantIbLb1EESW_EEDaSR_SS_EUlSR_E0_NS1_11comp_targetILNS1_3genE5ELNS1_11target_archE942ELNS1_3gpuE9ELNS1_3repE0EEENS1_30default_config_static_selectorELNS0_4arch9wavefront6targetE1EEEvT1_.uses_flat_scratch, 0
	.set _ZN7rocprim17ROCPRIM_400000_NS6detail17trampoline_kernelINS0_14default_configENS1_20scan_config_selectorIfEEZZNS1_9scan_implILNS1_25lookback_scan_determinismE0ELb0ELb0ES3_PKfPffZZZN2at6native31launch_logcumsumexp_cuda_kernelERKNSB_10TensorBaseESF_lENKUlvE_clEvENKUlvE0_clEvEUlffE_fEEDaPvRmT3_T4_T5_mT6_P12ihipStream_tbENKUlT_T0_E_clISt17integral_constantIbLb1EESW_EEDaSR_SS_EUlSR_E0_NS1_11comp_targetILNS1_3genE5ELNS1_11target_archE942ELNS1_3gpuE9ELNS1_3repE0EEENS1_30default_config_static_selectorELNS0_4arch9wavefront6targetE1EEEvT1_.has_dyn_sized_stack, 0
	.set _ZN7rocprim17ROCPRIM_400000_NS6detail17trampoline_kernelINS0_14default_configENS1_20scan_config_selectorIfEEZZNS1_9scan_implILNS1_25lookback_scan_determinismE0ELb0ELb0ES3_PKfPffZZZN2at6native31launch_logcumsumexp_cuda_kernelERKNSB_10TensorBaseESF_lENKUlvE_clEvENKUlvE0_clEvEUlffE_fEEDaPvRmT3_T4_T5_mT6_P12ihipStream_tbENKUlT_T0_E_clISt17integral_constantIbLb1EESW_EEDaSR_SS_EUlSR_E0_NS1_11comp_targetILNS1_3genE5ELNS1_11target_archE942ELNS1_3gpuE9ELNS1_3repE0EEENS1_30default_config_static_selectorELNS0_4arch9wavefront6targetE1EEEvT1_.has_recursion, 0
	.set _ZN7rocprim17ROCPRIM_400000_NS6detail17trampoline_kernelINS0_14default_configENS1_20scan_config_selectorIfEEZZNS1_9scan_implILNS1_25lookback_scan_determinismE0ELb0ELb0ES3_PKfPffZZZN2at6native31launch_logcumsumexp_cuda_kernelERKNSB_10TensorBaseESF_lENKUlvE_clEvENKUlvE0_clEvEUlffE_fEEDaPvRmT3_T4_T5_mT6_P12ihipStream_tbENKUlT_T0_E_clISt17integral_constantIbLb1EESW_EEDaSR_SS_EUlSR_E0_NS1_11comp_targetILNS1_3genE5ELNS1_11target_archE942ELNS1_3gpuE9ELNS1_3repE0EEENS1_30default_config_static_selectorELNS0_4arch9wavefront6targetE1EEEvT1_.has_indirect_call, 0
	.section	.AMDGPU.csdata,"",@progbits
; Kernel info:
; codeLenInByte = 0
; TotalNumSgprs: 4
; NumVgprs: 0
; ScratchSize: 0
; MemoryBound: 0
; FloatMode: 240
; IeeeMode: 1
; LDSByteSize: 0 bytes/workgroup (compile time only)
; SGPRBlocks: 0
; VGPRBlocks: 0
; NumSGPRsForWavesPerEU: 4
; NumVGPRsForWavesPerEU: 1
; Occupancy: 10
; WaveLimiterHint : 0
; COMPUTE_PGM_RSRC2:SCRATCH_EN: 0
; COMPUTE_PGM_RSRC2:USER_SGPR: 6
; COMPUTE_PGM_RSRC2:TRAP_HANDLER: 0
; COMPUTE_PGM_RSRC2:TGID_X_EN: 1
; COMPUTE_PGM_RSRC2:TGID_Y_EN: 0
; COMPUTE_PGM_RSRC2:TGID_Z_EN: 0
; COMPUTE_PGM_RSRC2:TIDIG_COMP_CNT: 0
	.section	.text._ZN7rocprim17ROCPRIM_400000_NS6detail17trampoline_kernelINS0_14default_configENS1_20scan_config_selectorIfEEZZNS1_9scan_implILNS1_25lookback_scan_determinismE0ELb0ELb0ES3_PKfPffZZZN2at6native31launch_logcumsumexp_cuda_kernelERKNSB_10TensorBaseESF_lENKUlvE_clEvENKUlvE0_clEvEUlffE_fEEDaPvRmT3_T4_T5_mT6_P12ihipStream_tbENKUlT_T0_E_clISt17integral_constantIbLb1EESW_EEDaSR_SS_EUlSR_E0_NS1_11comp_targetILNS1_3genE4ELNS1_11target_archE910ELNS1_3gpuE8ELNS1_3repE0EEENS1_30default_config_static_selectorELNS0_4arch9wavefront6targetE1EEEvT1_,"axG",@progbits,_ZN7rocprim17ROCPRIM_400000_NS6detail17trampoline_kernelINS0_14default_configENS1_20scan_config_selectorIfEEZZNS1_9scan_implILNS1_25lookback_scan_determinismE0ELb0ELb0ES3_PKfPffZZZN2at6native31launch_logcumsumexp_cuda_kernelERKNSB_10TensorBaseESF_lENKUlvE_clEvENKUlvE0_clEvEUlffE_fEEDaPvRmT3_T4_T5_mT6_P12ihipStream_tbENKUlT_T0_E_clISt17integral_constantIbLb1EESW_EEDaSR_SS_EUlSR_E0_NS1_11comp_targetILNS1_3genE4ELNS1_11target_archE910ELNS1_3gpuE8ELNS1_3repE0EEENS1_30default_config_static_selectorELNS0_4arch9wavefront6targetE1EEEvT1_,comdat
	.globl	_ZN7rocprim17ROCPRIM_400000_NS6detail17trampoline_kernelINS0_14default_configENS1_20scan_config_selectorIfEEZZNS1_9scan_implILNS1_25lookback_scan_determinismE0ELb0ELb0ES3_PKfPffZZZN2at6native31launch_logcumsumexp_cuda_kernelERKNSB_10TensorBaseESF_lENKUlvE_clEvENKUlvE0_clEvEUlffE_fEEDaPvRmT3_T4_T5_mT6_P12ihipStream_tbENKUlT_T0_E_clISt17integral_constantIbLb1EESW_EEDaSR_SS_EUlSR_E0_NS1_11comp_targetILNS1_3genE4ELNS1_11target_archE910ELNS1_3gpuE8ELNS1_3repE0EEENS1_30default_config_static_selectorELNS0_4arch9wavefront6targetE1EEEvT1_ ; -- Begin function _ZN7rocprim17ROCPRIM_400000_NS6detail17trampoline_kernelINS0_14default_configENS1_20scan_config_selectorIfEEZZNS1_9scan_implILNS1_25lookback_scan_determinismE0ELb0ELb0ES3_PKfPffZZZN2at6native31launch_logcumsumexp_cuda_kernelERKNSB_10TensorBaseESF_lENKUlvE_clEvENKUlvE0_clEvEUlffE_fEEDaPvRmT3_T4_T5_mT6_P12ihipStream_tbENKUlT_T0_E_clISt17integral_constantIbLb1EESW_EEDaSR_SS_EUlSR_E0_NS1_11comp_targetILNS1_3genE4ELNS1_11target_archE910ELNS1_3gpuE8ELNS1_3repE0EEENS1_30default_config_static_selectorELNS0_4arch9wavefront6targetE1EEEvT1_
	.p2align	8
	.type	_ZN7rocprim17ROCPRIM_400000_NS6detail17trampoline_kernelINS0_14default_configENS1_20scan_config_selectorIfEEZZNS1_9scan_implILNS1_25lookback_scan_determinismE0ELb0ELb0ES3_PKfPffZZZN2at6native31launch_logcumsumexp_cuda_kernelERKNSB_10TensorBaseESF_lENKUlvE_clEvENKUlvE0_clEvEUlffE_fEEDaPvRmT3_T4_T5_mT6_P12ihipStream_tbENKUlT_T0_E_clISt17integral_constantIbLb1EESW_EEDaSR_SS_EUlSR_E0_NS1_11comp_targetILNS1_3genE4ELNS1_11target_archE910ELNS1_3gpuE8ELNS1_3repE0EEENS1_30default_config_static_selectorELNS0_4arch9wavefront6targetE1EEEvT1_,@function
_ZN7rocprim17ROCPRIM_400000_NS6detail17trampoline_kernelINS0_14default_configENS1_20scan_config_selectorIfEEZZNS1_9scan_implILNS1_25lookback_scan_determinismE0ELb0ELb0ES3_PKfPffZZZN2at6native31launch_logcumsumexp_cuda_kernelERKNSB_10TensorBaseESF_lENKUlvE_clEvENKUlvE0_clEvEUlffE_fEEDaPvRmT3_T4_T5_mT6_P12ihipStream_tbENKUlT_T0_E_clISt17integral_constantIbLb1EESW_EEDaSR_SS_EUlSR_E0_NS1_11comp_targetILNS1_3genE4ELNS1_11target_archE910ELNS1_3gpuE8ELNS1_3repE0EEENS1_30default_config_static_selectorELNS0_4arch9wavefront6targetE1EEEvT1_: ; @_ZN7rocprim17ROCPRIM_400000_NS6detail17trampoline_kernelINS0_14default_configENS1_20scan_config_selectorIfEEZZNS1_9scan_implILNS1_25lookback_scan_determinismE0ELb0ELb0ES3_PKfPffZZZN2at6native31launch_logcumsumexp_cuda_kernelERKNSB_10TensorBaseESF_lENKUlvE_clEvENKUlvE0_clEvEUlffE_fEEDaPvRmT3_T4_T5_mT6_P12ihipStream_tbENKUlT_T0_E_clISt17integral_constantIbLb1EESW_EEDaSR_SS_EUlSR_E0_NS1_11comp_targetILNS1_3genE4ELNS1_11target_archE910ELNS1_3gpuE8ELNS1_3repE0EEENS1_30default_config_static_selectorELNS0_4arch9wavefront6targetE1EEEvT1_
; %bb.0:
	.section	.rodata,"a",@progbits
	.p2align	6, 0x0
	.amdhsa_kernel _ZN7rocprim17ROCPRIM_400000_NS6detail17trampoline_kernelINS0_14default_configENS1_20scan_config_selectorIfEEZZNS1_9scan_implILNS1_25lookback_scan_determinismE0ELb0ELb0ES3_PKfPffZZZN2at6native31launch_logcumsumexp_cuda_kernelERKNSB_10TensorBaseESF_lENKUlvE_clEvENKUlvE0_clEvEUlffE_fEEDaPvRmT3_T4_T5_mT6_P12ihipStream_tbENKUlT_T0_E_clISt17integral_constantIbLb1EESW_EEDaSR_SS_EUlSR_E0_NS1_11comp_targetILNS1_3genE4ELNS1_11target_archE910ELNS1_3gpuE8ELNS1_3repE0EEENS1_30default_config_static_selectorELNS0_4arch9wavefront6targetE1EEEvT1_
		.amdhsa_group_segment_fixed_size 0
		.amdhsa_private_segment_fixed_size 0
		.amdhsa_kernarg_size 32
		.amdhsa_user_sgpr_count 6
		.amdhsa_user_sgpr_private_segment_buffer 1
		.amdhsa_user_sgpr_dispatch_ptr 0
		.amdhsa_user_sgpr_queue_ptr 0
		.amdhsa_user_sgpr_kernarg_segment_ptr 1
		.amdhsa_user_sgpr_dispatch_id 0
		.amdhsa_user_sgpr_flat_scratch_init 0
		.amdhsa_user_sgpr_private_segment_size 0
		.amdhsa_uses_dynamic_stack 0
		.amdhsa_system_sgpr_private_segment_wavefront_offset 0
		.amdhsa_system_sgpr_workgroup_id_x 1
		.amdhsa_system_sgpr_workgroup_id_y 0
		.amdhsa_system_sgpr_workgroup_id_z 0
		.amdhsa_system_sgpr_workgroup_info 0
		.amdhsa_system_vgpr_workitem_id 0
		.amdhsa_next_free_vgpr 1
		.amdhsa_next_free_sgpr 0
		.amdhsa_reserve_vcc 0
		.amdhsa_reserve_flat_scratch 0
		.amdhsa_float_round_mode_32 0
		.amdhsa_float_round_mode_16_64 0
		.amdhsa_float_denorm_mode_32 3
		.amdhsa_float_denorm_mode_16_64 3
		.amdhsa_dx10_clamp 1
		.amdhsa_ieee_mode 1
		.amdhsa_fp16_overflow 0
		.amdhsa_exception_fp_ieee_invalid_op 0
		.amdhsa_exception_fp_denorm_src 0
		.amdhsa_exception_fp_ieee_div_zero 0
		.amdhsa_exception_fp_ieee_overflow 0
		.amdhsa_exception_fp_ieee_underflow 0
		.amdhsa_exception_fp_ieee_inexact 0
		.amdhsa_exception_int_div_zero 0
	.end_amdhsa_kernel
	.section	.text._ZN7rocprim17ROCPRIM_400000_NS6detail17trampoline_kernelINS0_14default_configENS1_20scan_config_selectorIfEEZZNS1_9scan_implILNS1_25lookback_scan_determinismE0ELb0ELb0ES3_PKfPffZZZN2at6native31launch_logcumsumexp_cuda_kernelERKNSB_10TensorBaseESF_lENKUlvE_clEvENKUlvE0_clEvEUlffE_fEEDaPvRmT3_T4_T5_mT6_P12ihipStream_tbENKUlT_T0_E_clISt17integral_constantIbLb1EESW_EEDaSR_SS_EUlSR_E0_NS1_11comp_targetILNS1_3genE4ELNS1_11target_archE910ELNS1_3gpuE8ELNS1_3repE0EEENS1_30default_config_static_selectorELNS0_4arch9wavefront6targetE1EEEvT1_,"axG",@progbits,_ZN7rocprim17ROCPRIM_400000_NS6detail17trampoline_kernelINS0_14default_configENS1_20scan_config_selectorIfEEZZNS1_9scan_implILNS1_25lookback_scan_determinismE0ELb0ELb0ES3_PKfPffZZZN2at6native31launch_logcumsumexp_cuda_kernelERKNSB_10TensorBaseESF_lENKUlvE_clEvENKUlvE0_clEvEUlffE_fEEDaPvRmT3_T4_T5_mT6_P12ihipStream_tbENKUlT_T0_E_clISt17integral_constantIbLb1EESW_EEDaSR_SS_EUlSR_E0_NS1_11comp_targetILNS1_3genE4ELNS1_11target_archE910ELNS1_3gpuE8ELNS1_3repE0EEENS1_30default_config_static_selectorELNS0_4arch9wavefront6targetE1EEEvT1_,comdat
.Lfunc_end126:
	.size	_ZN7rocprim17ROCPRIM_400000_NS6detail17trampoline_kernelINS0_14default_configENS1_20scan_config_selectorIfEEZZNS1_9scan_implILNS1_25lookback_scan_determinismE0ELb0ELb0ES3_PKfPffZZZN2at6native31launch_logcumsumexp_cuda_kernelERKNSB_10TensorBaseESF_lENKUlvE_clEvENKUlvE0_clEvEUlffE_fEEDaPvRmT3_T4_T5_mT6_P12ihipStream_tbENKUlT_T0_E_clISt17integral_constantIbLb1EESW_EEDaSR_SS_EUlSR_E0_NS1_11comp_targetILNS1_3genE4ELNS1_11target_archE910ELNS1_3gpuE8ELNS1_3repE0EEENS1_30default_config_static_selectorELNS0_4arch9wavefront6targetE1EEEvT1_, .Lfunc_end126-_ZN7rocprim17ROCPRIM_400000_NS6detail17trampoline_kernelINS0_14default_configENS1_20scan_config_selectorIfEEZZNS1_9scan_implILNS1_25lookback_scan_determinismE0ELb0ELb0ES3_PKfPffZZZN2at6native31launch_logcumsumexp_cuda_kernelERKNSB_10TensorBaseESF_lENKUlvE_clEvENKUlvE0_clEvEUlffE_fEEDaPvRmT3_T4_T5_mT6_P12ihipStream_tbENKUlT_T0_E_clISt17integral_constantIbLb1EESW_EEDaSR_SS_EUlSR_E0_NS1_11comp_targetILNS1_3genE4ELNS1_11target_archE910ELNS1_3gpuE8ELNS1_3repE0EEENS1_30default_config_static_selectorELNS0_4arch9wavefront6targetE1EEEvT1_
                                        ; -- End function
	.set _ZN7rocprim17ROCPRIM_400000_NS6detail17trampoline_kernelINS0_14default_configENS1_20scan_config_selectorIfEEZZNS1_9scan_implILNS1_25lookback_scan_determinismE0ELb0ELb0ES3_PKfPffZZZN2at6native31launch_logcumsumexp_cuda_kernelERKNSB_10TensorBaseESF_lENKUlvE_clEvENKUlvE0_clEvEUlffE_fEEDaPvRmT3_T4_T5_mT6_P12ihipStream_tbENKUlT_T0_E_clISt17integral_constantIbLb1EESW_EEDaSR_SS_EUlSR_E0_NS1_11comp_targetILNS1_3genE4ELNS1_11target_archE910ELNS1_3gpuE8ELNS1_3repE0EEENS1_30default_config_static_selectorELNS0_4arch9wavefront6targetE1EEEvT1_.num_vgpr, 0
	.set _ZN7rocprim17ROCPRIM_400000_NS6detail17trampoline_kernelINS0_14default_configENS1_20scan_config_selectorIfEEZZNS1_9scan_implILNS1_25lookback_scan_determinismE0ELb0ELb0ES3_PKfPffZZZN2at6native31launch_logcumsumexp_cuda_kernelERKNSB_10TensorBaseESF_lENKUlvE_clEvENKUlvE0_clEvEUlffE_fEEDaPvRmT3_T4_T5_mT6_P12ihipStream_tbENKUlT_T0_E_clISt17integral_constantIbLb1EESW_EEDaSR_SS_EUlSR_E0_NS1_11comp_targetILNS1_3genE4ELNS1_11target_archE910ELNS1_3gpuE8ELNS1_3repE0EEENS1_30default_config_static_selectorELNS0_4arch9wavefront6targetE1EEEvT1_.num_agpr, 0
	.set _ZN7rocprim17ROCPRIM_400000_NS6detail17trampoline_kernelINS0_14default_configENS1_20scan_config_selectorIfEEZZNS1_9scan_implILNS1_25lookback_scan_determinismE0ELb0ELb0ES3_PKfPffZZZN2at6native31launch_logcumsumexp_cuda_kernelERKNSB_10TensorBaseESF_lENKUlvE_clEvENKUlvE0_clEvEUlffE_fEEDaPvRmT3_T4_T5_mT6_P12ihipStream_tbENKUlT_T0_E_clISt17integral_constantIbLb1EESW_EEDaSR_SS_EUlSR_E0_NS1_11comp_targetILNS1_3genE4ELNS1_11target_archE910ELNS1_3gpuE8ELNS1_3repE0EEENS1_30default_config_static_selectorELNS0_4arch9wavefront6targetE1EEEvT1_.numbered_sgpr, 0
	.set _ZN7rocprim17ROCPRIM_400000_NS6detail17trampoline_kernelINS0_14default_configENS1_20scan_config_selectorIfEEZZNS1_9scan_implILNS1_25lookback_scan_determinismE0ELb0ELb0ES3_PKfPffZZZN2at6native31launch_logcumsumexp_cuda_kernelERKNSB_10TensorBaseESF_lENKUlvE_clEvENKUlvE0_clEvEUlffE_fEEDaPvRmT3_T4_T5_mT6_P12ihipStream_tbENKUlT_T0_E_clISt17integral_constantIbLb1EESW_EEDaSR_SS_EUlSR_E0_NS1_11comp_targetILNS1_3genE4ELNS1_11target_archE910ELNS1_3gpuE8ELNS1_3repE0EEENS1_30default_config_static_selectorELNS0_4arch9wavefront6targetE1EEEvT1_.num_named_barrier, 0
	.set _ZN7rocprim17ROCPRIM_400000_NS6detail17trampoline_kernelINS0_14default_configENS1_20scan_config_selectorIfEEZZNS1_9scan_implILNS1_25lookback_scan_determinismE0ELb0ELb0ES3_PKfPffZZZN2at6native31launch_logcumsumexp_cuda_kernelERKNSB_10TensorBaseESF_lENKUlvE_clEvENKUlvE0_clEvEUlffE_fEEDaPvRmT3_T4_T5_mT6_P12ihipStream_tbENKUlT_T0_E_clISt17integral_constantIbLb1EESW_EEDaSR_SS_EUlSR_E0_NS1_11comp_targetILNS1_3genE4ELNS1_11target_archE910ELNS1_3gpuE8ELNS1_3repE0EEENS1_30default_config_static_selectorELNS0_4arch9wavefront6targetE1EEEvT1_.private_seg_size, 0
	.set _ZN7rocprim17ROCPRIM_400000_NS6detail17trampoline_kernelINS0_14default_configENS1_20scan_config_selectorIfEEZZNS1_9scan_implILNS1_25lookback_scan_determinismE0ELb0ELb0ES3_PKfPffZZZN2at6native31launch_logcumsumexp_cuda_kernelERKNSB_10TensorBaseESF_lENKUlvE_clEvENKUlvE0_clEvEUlffE_fEEDaPvRmT3_T4_T5_mT6_P12ihipStream_tbENKUlT_T0_E_clISt17integral_constantIbLb1EESW_EEDaSR_SS_EUlSR_E0_NS1_11comp_targetILNS1_3genE4ELNS1_11target_archE910ELNS1_3gpuE8ELNS1_3repE0EEENS1_30default_config_static_selectorELNS0_4arch9wavefront6targetE1EEEvT1_.uses_vcc, 0
	.set _ZN7rocprim17ROCPRIM_400000_NS6detail17trampoline_kernelINS0_14default_configENS1_20scan_config_selectorIfEEZZNS1_9scan_implILNS1_25lookback_scan_determinismE0ELb0ELb0ES3_PKfPffZZZN2at6native31launch_logcumsumexp_cuda_kernelERKNSB_10TensorBaseESF_lENKUlvE_clEvENKUlvE0_clEvEUlffE_fEEDaPvRmT3_T4_T5_mT6_P12ihipStream_tbENKUlT_T0_E_clISt17integral_constantIbLb1EESW_EEDaSR_SS_EUlSR_E0_NS1_11comp_targetILNS1_3genE4ELNS1_11target_archE910ELNS1_3gpuE8ELNS1_3repE0EEENS1_30default_config_static_selectorELNS0_4arch9wavefront6targetE1EEEvT1_.uses_flat_scratch, 0
	.set _ZN7rocprim17ROCPRIM_400000_NS6detail17trampoline_kernelINS0_14default_configENS1_20scan_config_selectorIfEEZZNS1_9scan_implILNS1_25lookback_scan_determinismE0ELb0ELb0ES3_PKfPffZZZN2at6native31launch_logcumsumexp_cuda_kernelERKNSB_10TensorBaseESF_lENKUlvE_clEvENKUlvE0_clEvEUlffE_fEEDaPvRmT3_T4_T5_mT6_P12ihipStream_tbENKUlT_T0_E_clISt17integral_constantIbLb1EESW_EEDaSR_SS_EUlSR_E0_NS1_11comp_targetILNS1_3genE4ELNS1_11target_archE910ELNS1_3gpuE8ELNS1_3repE0EEENS1_30default_config_static_selectorELNS0_4arch9wavefront6targetE1EEEvT1_.has_dyn_sized_stack, 0
	.set _ZN7rocprim17ROCPRIM_400000_NS6detail17trampoline_kernelINS0_14default_configENS1_20scan_config_selectorIfEEZZNS1_9scan_implILNS1_25lookback_scan_determinismE0ELb0ELb0ES3_PKfPffZZZN2at6native31launch_logcumsumexp_cuda_kernelERKNSB_10TensorBaseESF_lENKUlvE_clEvENKUlvE0_clEvEUlffE_fEEDaPvRmT3_T4_T5_mT6_P12ihipStream_tbENKUlT_T0_E_clISt17integral_constantIbLb1EESW_EEDaSR_SS_EUlSR_E0_NS1_11comp_targetILNS1_3genE4ELNS1_11target_archE910ELNS1_3gpuE8ELNS1_3repE0EEENS1_30default_config_static_selectorELNS0_4arch9wavefront6targetE1EEEvT1_.has_recursion, 0
	.set _ZN7rocprim17ROCPRIM_400000_NS6detail17trampoline_kernelINS0_14default_configENS1_20scan_config_selectorIfEEZZNS1_9scan_implILNS1_25lookback_scan_determinismE0ELb0ELb0ES3_PKfPffZZZN2at6native31launch_logcumsumexp_cuda_kernelERKNSB_10TensorBaseESF_lENKUlvE_clEvENKUlvE0_clEvEUlffE_fEEDaPvRmT3_T4_T5_mT6_P12ihipStream_tbENKUlT_T0_E_clISt17integral_constantIbLb1EESW_EEDaSR_SS_EUlSR_E0_NS1_11comp_targetILNS1_3genE4ELNS1_11target_archE910ELNS1_3gpuE8ELNS1_3repE0EEENS1_30default_config_static_selectorELNS0_4arch9wavefront6targetE1EEEvT1_.has_indirect_call, 0
	.section	.AMDGPU.csdata,"",@progbits
; Kernel info:
; codeLenInByte = 0
; TotalNumSgprs: 4
; NumVgprs: 0
; ScratchSize: 0
; MemoryBound: 0
; FloatMode: 240
; IeeeMode: 1
; LDSByteSize: 0 bytes/workgroup (compile time only)
; SGPRBlocks: 0
; VGPRBlocks: 0
; NumSGPRsForWavesPerEU: 4
; NumVGPRsForWavesPerEU: 1
; Occupancy: 10
; WaveLimiterHint : 0
; COMPUTE_PGM_RSRC2:SCRATCH_EN: 0
; COMPUTE_PGM_RSRC2:USER_SGPR: 6
; COMPUTE_PGM_RSRC2:TRAP_HANDLER: 0
; COMPUTE_PGM_RSRC2:TGID_X_EN: 1
; COMPUTE_PGM_RSRC2:TGID_Y_EN: 0
; COMPUTE_PGM_RSRC2:TGID_Z_EN: 0
; COMPUTE_PGM_RSRC2:TIDIG_COMP_CNT: 0
	.section	.text._ZN7rocprim17ROCPRIM_400000_NS6detail17trampoline_kernelINS0_14default_configENS1_20scan_config_selectorIfEEZZNS1_9scan_implILNS1_25lookback_scan_determinismE0ELb0ELb0ES3_PKfPffZZZN2at6native31launch_logcumsumexp_cuda_kernelERKNSB_10TensorBaseESF_lENKUlvE_clEvENKUlvE0_clEvEUlffE_fEEDaPvRmT3_T4_T5_mT6_P12ihipStream_tbENKUlT_T0_E_clISt17integral_constantIbLb1EESW_EEDaSR_SS_EUlSR_E0_NS1_11comp_targetILNS1_3genE3ELNS1_11target_archE908ELNS1_3gpuE7ELNS1_3repE0EEENS1_30default_config_static_selectorELNS0_4arch9wavefront6targetE1EEEvT1_,"axG",@progbits,_ZN7rocprim17ROCPRIM_400000_NS6detail17trampoline_kernelINS0_14default_configENS1_20scan_config_selectorIfEEZZNS1_9scan_implILNS1_25lookback_scan_determinismE0ELb0ELb0ES3_PKfPffZZZN2at6native31launch_logcumsumexp_cuda_kernelERKNSB_10TensorBaseESF_lENKUlvE_clEvENKUlvE0_clEvEUlffE_fEEDaPvRmT3_T4_T5_mT6_P12ihipStream_tbENKUlT_T0_E_clISt17integral_constantIbLb1EESW_EEDaSR_SS_EUlSR_E0_NS1_11comp_targetILNS1_3genE3ELNS1_11target_archE908ELNS1_3gpuE7ELNS1_3repE0EEENS1_30default_config_static_selectorELNS0_4arch9wavefront6targetE1EEEvT1_,comdat
	.globl	_ZN7rocprim17ROCPRIM_400000_NS6detail17trampoline_kernelINS0_14default_configENS1_20scan_config_selectorIfEEZZNS1_9scan_implILNS1_25lookback_scan_determinismE0ELb0ELb0ES3_PKfPffZZZN2at6native31launch_logcumsumexp_cuda_kernelERKNSB_10TensorBaseESF_lENKUlvE_clEvENKUlvE0_clEvEUlffE_fEEDaPvRmT3_T4_T5_mT6_P12ihipStream_tbENKUlT_T0_E_clISt17integral_constantIbLb1EESW_EEDaSR_SS_EUlSR_E0_NS1_11comp_targetILNS1_3genE3ELNS1_11target_archE908ELNS1_3gpuE7ELNS1_3repE0EEENS1_30default_config_static_selectorELNS0_4arch9wavefront6targetE1EEEvT1_ ; -- Begin function _ZN7rocprim17ROCPRIM_400000_NS6detail17trampoline_kernelINS0_14default_configENS1_20scan_config_selectorIfEEZZNS1_9scan_implILNS1_25lookback_scan_determinismE0ELb0ELb0ES3_PKfPffZZZN2at6native31launch_logcumsumexp_cuda_kernelERKNSB_10TensorBaseESF_lENKUlvE_clEvENKUlvE0_clEvEUlffE_fEEDaPvRmT3_T4_T5_mT6_P12ihipStream_tbENKUlT_T0_E_clISt17integral_constantIbLb1EESW_EEDaSR_SS_EUlSR_E0_NS1_11comp_targetILNS1_3genE3ELNS1_11target_archE908ELNS1_3gpuE7ELNS1_3repE0EEENS1_30default_config_static_selectorELNS0_4arch9wavefront6targetE1EEEvT1_
	.p2align	8
	.type	_ZN7rocprim17ROCPRIM_400000_NS6detail17trampoline_kernelINS0_14default_configENS1_20scan_config_selectorIfEEZZNS1_9scan_implILNS1_25lookback_scan_determinismE0ELb0ELb0ES3_PKfPffZZZN2at6native31launch_logcumsumexp_cuda_kernelERKNSB_10TensorBaseESF_lENKUlvE_clEvENKUlvE0_clEvEUlffE_fEEDaPvRmT3_T4_T5_mT6_P12ihipStream_tbENKUlT_T0_E_clISt17integral_constantIbLb1EESW_EEDaSR_SS_EUlSR_E0_NS1_11comp_targetILNS1_3genE3ELNS1_11target_archE908ELNS1_3gpuE7ELNS1_3repE0EEENS1_30default_config_static_selectorELNS0_4arch9wavefront6targetE1EEEvT1_,@function
_ZN7rocprim17ROCPRIM_400000_NS6detail17trampoline_kernelINS0_14default_configENS1_20scan_config_selectorIfEEZZNS1_9scan_implILNS1_25lookback_scan_determinismE0ELb0ELb0ES3_PKfPffZZZN2at6native31launch_logcumsumexp_cuda_kernelERKNSB_10TensorBaseESF_lENKUlvE_clEvENKUlvE0_clEvEUlffE_fEEDaPvRmT3_T4_T5_mT6_P12ihipStream_tbENKUlT_T0_E_clISt17integral_constantIbLb1EESW_EEDaSR_SS_EUlSR_E0_NS1_11comp_targetILNS1_3genE3ELNS1_11target_archE908ELNS1_3gpuE7ELNS1_3repE0EEENS1_30default_config_static_selectorELNS0_4arch9wavefront6targetE1EEEvT1_: ; @_ZN7rocprim17ROCPRIM_400000_NS6detail17trampoline_kernelINS0_14default_configENS1_20scan_config_selectorIfEEZZNS1_9scan_implILNS1_25lookback_scan_determinismE0ELb0ELb0ES3_PKfPffZZZN2at6native31launch_logcumsumexp_cuda_kernelERKNSB_10TensorBaseESF_lENKUlvE_clEvENKUlvE0_clEvEUlffE_fEEDaPvRmT3_T4_T5_mT6_P12ihipStream_tbENKUlT_T0_E_clISt17integral_constantIbLb1EESW_EEDaSR_SS_EUlSR_E0_NS1_11comp_targetILNS1_3genE3ELNS1_11target_archE908ELNS1_3gpuE7ELNS1_3repE0EEENS1_30default_config_static_selectorELNS0_4arch9wavefront6targetE1EEEvT1_
; %bb.0:
	.section	.rodata,"a",@progbits
	.p2align	6, 0x0
	.amdhsa_kernel _ZN7rocprim17ROCPRIM_400000_NS6detail17trampoline_kernelINS0_14default_configENS1_20scan_config_selectorIfEEZZNS1_9scan_implILNS1_25lookback_scan_determinismE0ELb0ELb0ES3_PKfPffZZZN2at6native31launch_logcumsumexp_cuda_kernelERKNSB_10TensorBaseESF_lENKUlvE_clEvENKUlvE0_clEvEUlffE_fEEDaPvRmT3_T4_T5_mT6_P12ihipStream_tbENKUlT_T0_E_clISt17integral_constantIbLb1EESW_EEDaSR_SS_EUlSR_E0_NS1_11comp_targetILNS1_3genE3ELNS1_11target_archE908ELNS1_3gpuE7ELNS1_3repE0EEENS1_30default_config_static_selectorELNS0_4arch9wavefront6targetE1EEEvT1_
		.amdhsa_group_segment_fixed_size 0
		.amdhsa_private_segment_fixed_size 0
		.amdhsa_kernarg_size 32
		.amdhsa_user_sgpr_count 6
		.amdhsa_user_sgpr_private_segment_buffer 1
		.amdhsa_user_sgpr_dispatch_ptr 0
		.amdhsa_user_sgpr_queue_ptr 0
		.amdhsa_user_sgpr_kernarg_segment_ptr 1
		.amdhsa_user_sgpr_dispatch_id 0
		.amdhsa_user_sgpr_flat_scratch_init 0
		.amdhsa_user_sgpr_private_segment_size 0
		.amdhsa_uses_dynamic_stack 0
		.amdhsa_system_sgpr_private_segment_wavefront_offset 0
		.amdhsa_system_sgpr_workgroup_id_x 1
		.amdhsa_system_sgpr_workgroup_id_y 0
		.amdhsa_system_sgpr_workgroup_id_z 0
		.amdhsa_system_sgpr_workgroup_info 0
		.amdhsa_system_vgpr_workitem_id 0
		.amdhsa_next_free_vgpr 1
		.amdhsa_next_free_sgpr 0
		.amdhsa_reserve_vcc 0
		.amdhsa_reserve_flat_scratch 0
		.amdhsa_float_round_mode_32 0
		.amdhsa_float_round_mode_16_64 0
		.amdhsa_float_denorm_mode_32 3
		.amdhsa_float_denorm_mode_16_64 3
		.amdhsa_dx10_clamp 1
		.amdhsa_ieee_mode 1
		.amdhsa_fp16_overflow 0
		.amdhsa_exception_fp_ieee_invalid_op 0
		.amdhsa_exception_fp_denorm_src 0
		.amdhsa_exception_fp_ieee_div_zero 0
		.amdhsa_exception_fp_ieee_overflow 0
		.amdhsa_exception_fp_ieee_underflow 0
		.amdhsa_exception_fp_ieee_inexact 0
		.amdhsa_exception_int_div_zero 0
	.end_amdhsa_kernel
	.section	.text._ZN7rocprim17ROCPRIM_400000_NS6detail17trampoline_kernelINS0_14default_configENS1_20scan_config_selectorIfEEZZNS1_9scan_implILNS1_25lookback_scan_determinismE0ELb0ELb0ES3_PKfPffZZZN2at6native31launch_logcumsumexp_cuda_kernelERKNSB_10TensorBaseESF_lENKUlvE_clEvENKUlvE0_clEvEUlffE_fEEDaPvRmT3_T4_T5_mT6_P12ihipStream_tbENKUlT_T0_E_clISt17integral_constantIbLb1EESW_EEDaSR_SS_EUlSR_E0_NS1_11comp_targetILNS1_3genE3ELNS1_11target_archE908ELNS1_3gpuE7ELNS1_3repE0EEENS1_30default_config_static_selectorELNS0_4arch9wavefront6targetE1EEEvT1_,"axG",@progbits,_ZN7rocprim17ROCPRIM_400000_NS6detail17trampoline_kernelINS0_14default_configENS1_20scan_config_selectorIfEEZZNS1_9scan_implILNS1_25lookback_scan_determinismE0ELb0ELb0ES3_PKfPffZZZN2at6native31launch_logcumsumexp_cuda_kernelERKNSB_10TensorBaseESF_lENKUlvE_clEvENKUlvE0_clEvEUlffE_fEEDaPvRmT3_T4_T5_mT6_P12ihipStream_tbENKUlT_T0_E_clISt17integral_constantIbLb1EESW_EEDaSR_SS_EUlSR_E0_NS1_11comp_targetILNS1_3genE3ELNS1_11target_archE908ELNS1_3gpuE7ELNS1_3repE0EEENS1_30default_config_static_selectorELNS0_4arch9wavefront6targetE1EEEvT1_,comdat
.Lfunc_end127:
	.size	_ZN7rocprim17ROCPRIM_400000_NS6detail17trampoline_kernelINS0_14default_configENS1_20scan_config_selectorIfEEZZNS1_9scan_implILNS1_25lookback_scan_determinismE0ELb0ELb0ES3_PKfPffZZZN2at6native31launch_logcumsumexp_cuda_kernelERKNSB_10TensorBaseESF_lENKUlvE_clEvENKUlvE0_clEvEUlffE_fEEDaPvRmT3_T4_T5_mT6_P12ihipStream_tbENKUlT_T0_E_clISt17integral_constantIbLb1EESW_EEDaSR_SS_EUlSR_E0_NS1_11comp_targetILNS1_3genE3ELNS1_11target_archE908ELNS1_3gpuE7ELNS1_3repE0EEENS1_30default_config_static_selectorELNS0_4arch9wavefront6targetE1EEEvT1_, .Lfunc_end127-_ZN7rocprim17ROCPRIM_400000_NS6detail17trampoline_kernelINS0_14default_configENS1_20scan_config_selectorIfEEZZNS1_9scan_implILNS1_25lookback_scan_determinismE0ELb0ELb0ES3_PKfPffZZZN2at6native31launch_logcumsumexp_cuda_kernelERKNSB_10TensorBaseESF_lENKUlvE_clEvENKUlvE0_clEvEUlffE_fEEDaPvRmT3_T4_T5_mT6_P12ihipStream_tbENKUlT_T0_E_clISt17integral_constantIbLb1EESW_EEDaSR_SS_EUlSR_E0_NS1_11comp_targetILNS1_3genE3ELNS1_11target_archE908ELNS1_3gpuE7ELNS1_3repE0EEENS1_30default_config_static_selectorELNS0_4arch9wavefront6targetE1EEEvT1_
                                        ; -- End function
	.set _ZN7rocprim17ROCPRIM_400000_NS6detail17trampoline_kernelINS0_14default_configENS1_20scan_config_selectorIfEEZZNS1_9scan_implILNS1_25lookback_scan_determinismE0ELb0ELb0ES3_PKfPffZZZN2at6native31launch_logcumsumexp_cuda_kernelERKNSB_10TensorBaseESF_lENKUlvE_clEvENKUlvE0_clEvEUlffE_fEEDaPvRmT3_T4_T5_mT6_P12ihipStream_tbENKUlT_T0_E_clISt17integral_constantIbLb1EESW_EEDaSR_SS_EUlSR_E0_NS1_11comp_targetILNS1_3genE3ELNS1_11target_archE908ELNS1_3gpuE7ELNS1_3repE0EEENS1_30default_config_static_selectorELNS0_4arch9wavefront6targetE1EEEvT1_.num_vgpr, 0
	.set _ZN7rocprim17ROCPRIM_400000_NS6detail17trampoline_kernelINS0_14default_configENS1_20scan_config_selectorIfEEZZNS1_9scan_implILNS1_25lookback_scan_determinismE0ELb0ELb0ES3_PKfPffZZZN2at6native31launch_logcumsumexp_cuda_kernelERKNSB_10TensorBaseESF_lENKUlvE_clEvENKUlvE0_clEvEUlffE_fEEDaPvRmT3_T4_T5_mT6_P12ihipStream_tbENKUlT_T0_E_clISt17integral_constantIbLb1EESW_EEDaSR_SS_EUlSR_E0_NS1_11comp_targetILNS1_3genE3ELNS1_11target_archE908ELNS1_3gpuE7ELNS1_3repE0EEENS1_30default_config_static_selectorELNS0_4arch9wavefront6targetE1EEEvT1_.num_agpr, 0
	.set _ZN7rocprim17ROCPRIM_400000_NS6detail17trampoline_kernelINS0_14default_configENS1_20scan_config_selectorIfEEZZNS1_9scan_implILNS1_25lookback_scan_determinismE0ELb0ELb0ES3_PKfPffZZZN2at6native31launch_logcumsumexp_cuda_kernelERKNSB_10TensorBaseESF_lENKUlvE_clEvENKUlvE0_clEvEUlffE_fEEDaPvRmT3_T4_T5_mT6_P12ihipStream_tbENKUlT_T0_E_clISt17integral_constantIbLb1EESW_EEDaSR_SS_EUlSR_E0_NS1_11comp_targetILNS1_3genE3ELNS1_11target_archE908ELNS1_3gpuE7ELNS1_3repE0EEENS1_30default_config_static_selectorELNS0_4arch9wavefront6targetE1EEEvT1_.numbered_sgpr, 0
	.set _ZN7rocprim17ROCPRIM_400000_NS6detail17trampoline_kernelINS0_14default_configENS1_20scan_config_selectorIfEEZZNS1_9scan_implILNS1_25lookback_scan_determinismE0ELb0ELb0ES3_PKfPffZZZN2at6native31launch_logcumsumexp_cuda_kernelERKNSB_10TensorBaseESF_lENKUlvE_clEvENKUlvE0_clEvEUlffE_fEEDaPvRmT3_T4_T5_mT6_P12ihipStream_tbENKUlT_T0_E_clISt17integral_constantIbLb1EESW_EEDaSR_SS_EUlSR_E0_NS1_11comp_targetILNS1_3genE3ELNS1_11target_archE908ELNS1_3gpuE7ELNS1_3repE0EEENS1_30default_config_static_selectorELNS0_4arch9wavefront6targetE1EEEvT1_.num_named_barrier, 0
	.set _ZN7rocprim17ROCPRIM_400000_NS6detail17trampoline_kernelINS0_14default_configENS1_20scan_config_selectorIfEEZZNS1_9scan_implILNS1_25lookback_scan_determinismE0ELb0ELb0ES3_PKfPffZZZN2at6native31launch_logcumsumexp_cuda_kernelERKNSB_10TensorBaseESF_lENKUlvE_clEvENKUlvE0_clEvEUlffE_fEEDaPvRmT3_T4_T5_mT6_P12ihipStream_tbENKUlT_T0_E_clISt17integral_constantIbLb1EESW_EEDaSR_SS_EUlSR_E0_NS1_11comp_targetILNS1_3genE3ELNS1_11target_archE908ELNS1_3gpuE7ELNS1_3repE0EEENS1_30default_config_static_selectorELNS0_4arch9wavefront6targetE1EEEvT1_.private_seg_size, 0
	.set _ZN7rocprim17ROCPRIM_400000_NS6detail17trampoline_kernelINS0_14default_configENS1_20scan_config_selectorIfEEZZNS1_9scan_implILNS1_25lookback_scan_determinismE0ELb0ELb0ES3_PKfPffZZZN2at6native31launch_logcumsumexp_cuda_kernelERKNSB_10TensorBaseESF_lENKUlvE_clEvENKUlvE0_clEvEUlffE_fEEDaPvRmT3_T4_T5_mT6_P12ihipStream_tbENKUlT_T0_E_clISt17integral_constantIbLb1EESW_EEDaSR_SS_EUlSR_E0_NS1_11comp_targetILNS1_3genE3ELNS1_11target_archE908ELNS1_3gpuE7ELNS1_3repE0EEENS1_30default_config_static_selectorELNS0_4arch9wavefront6targetE1EEEvT1_.uses_vcc, 0
	.set _ZN7rocprim17ROCPRIM_400000_NS6detail17trampoline_kernelINS0_14default_configENS1_20scan_config_selectorIfEEZZNS1_9scan_implILNS1_25lookback_scan_determinismE0ELb0ELb0ES3_PKfPffZZZN2at6native31launch_logcumsumexp_cuda_kernelERKNSB_10TensorBaseESF_lENKUlvE_clEvENKUlvE0_clEvEUlffE_fEEDaPvRmT3_T4_T5_mT6_P12ihipStream_tbENKUlT_T0_E_clISt17integral_constantIbLb1EESW_EEDaSR_SS_EUlSR_E0_NS1_11comp_targetILNS1_3genE3ELNS1_11target_archE908ELNS1_3gpuE7ELNS1_3repE0EEENS1_30default_config_static_selectorELNS0_4arch9wavefront6targetE1EEEvT1_.uses_flat_scratch, 0
	.set _ZN7rocprim17ROCPRIM_400000_NS6detail17trampoline_kernelINS0_14default_configENS1_20scan_config_selectorIfEEZZNS1_9scan_implILNS1_25lookback_scan_determinismE0ELb0ELb0ES3_PKfPffZZZN2at6native31launch_logcumsumexp_cuda_kernelERKNSB_10TensorBaseESF_lENKUlvE_clEvENKUlvE0_clEvEUlffE_fEEDaPvRmT3_T4_T5_mT6_P12ihipStream_tbENKUlT_T0_E_clISt17integral_constantIbLb1EESW_EEDaSR_SS_EUlSR_E0_NS1_11comp_targetILNS1_3genE3ELNS1_11target_archE908ELNS1_3gpuE7ELNS1_3repE0EEENS1_30default_config_static_selectorELNS0_4arch9wavefront6targetE1EEEvT1_.has_dyn_sized_stack, 0
	.set _ZN7rocprim17ROCPRIM_400000_NS6detail17trampoline_kernelINS0_14default_configENS1_20scan_config_selectorIfEEZZNS1_9scan_implILNS1_25lookback_scan_determinismE0ELb0ELb0ES3_PKfPffZZZN2at6native31launch_logcumsumexp_cuda_kernelERKNSB_10TensorBaseESF_lENKUlvE_clEvENKUlvE0_clEvEUlffE_fEEDaPvRmT3_T4_T5_mT6_P12ihipStream_tbENKUlT_T0_E_clISt17integral_constantIbLb1EESW_EEDaSR_SS_EUlSR_E0_NS1_11comp_targetILNS1_3genE3ELNS1_11target_archE908ELNS1_3gpuE7ELNS1_3repE0EEENS1_30default_config_static_selectorELNS0_4arch9wavefront6targetE1EEEvT1_.has_recursion, 0
	.set _ZN7rocprim17ROCPRIM_400000_NS6detail17trampoline_kernelINS0_14default_configENS1_20scan_config_selectorIfEEZZNS1_9scan_implILNS1_25lookback_scan_determinismE0ELb0ELb0ES3_PKfPffZZZN2at6native31launch_logcumsumexp_cuda_kernelERKNSB_10TensorBaseESF_lENKUlvE_clEvENKUlvE0_clEvEUlffE_fEEDaPvRmT3_T4_T5_mT6_P12ihipStream_tbENKUlT_T0_E_clISt17integral_constantIbLb1EESW_EEDaSR_SS_EUlSR_E0_NS1_11comp_targetILNS1_3genE3ELNS1_11target_archE908ELNS1_3gpuE7ELNS1_3repE0EEENS1_30default_config_static_selectorELNS0_4arch9wavefront6targetE1EEEvT1_.has_indirect_call, 0
	.section	.AMDGPU.csdata,"",@progbits
; Kernel info:
; codeLenInByte = 0
; TotalNumSgprs: 4
; NumVgprs: 0
; ScratchSize: 0
; MemoryBound: 0
; FloatMode: 240
; IeeeMode: 1
; LDSByteSize: 0 bytes/workgroup (compile time only)
; SGPRBlocks: 0
; VGPRBlocks: 0
; NumSGPRsForWavesPerEU: 4
; NumVGPRsForWavesPerEU: 1
; Occupancy: 10
; WaveLimiterHint : 0
; COMPUTE_PGM_RSRC2:SCRATCH_EN: 0
; COMPUTE_PGM_RSRC2:USER_SGPR: 6
; COMPUTE_PGM_RSRC2:TRAP_HANDLER: 0
; COMPUTE_PGM_RSRC2:TGID_X_EN: 1
; COMPUTE_PGM_RSRC2:TGID_Y_EN: 0
; COMPUTE_PGM_RSRC2:TGID_Z_EN: 0
; COMPUTE_PGM_RSRC2:TIDIG_COMP_CNT: 0
	.section	.text._ZN7rocprim17ROCPRIM_400000_NS6detail17trampoline_kernelINS0_14default_configENS1_20scan_config_selectorIfEEZZNS1_9scan_implILNS1_25lookback_scan_determinismE0ELb0ELb0ES3_PKfPffZZZN2at6native31launch_logcumsumexp_cuda_kernelERKNSB_10TensorBaseESF_lENKUlvE_clEvENKUlvE0_clEvEUlffE_fEEDaPvRmT3_T4_T5_mT6_P12ihipStream_tbENKUlT_T0_E_clISt17integral_constantIbLb1EESW_EEDaSR_SS_EUlSR_E0_NS1_11comp_targetILNS1_3genE2ELNS1_11target_archE906ELNS1_3gpuE6ELNS1_3repE0EEENS1_30default_config_static_selectorELNS0_4arch9wavefront6targetE1EEEvT1_,"axG",@progbits,_ZN7rocprim17ROCPRIM_400000_NS6detail17trampoline_kernelINS0_14default_configENS1_20scan_config_selectorIfEEZZNS1_9scan_implILNS1_25lookback_scan_determinismE0ELb0ELb0ES3_PKfPffZZZN2at6native31launch_logcumsumexp_cuda_kernelERKNSB_10TensorBaseESF_lENKUlvE_clEvENKUlvE0_clEvEUlffE_fEEDaPvRmT3_T4_T5_mT6_P12ihipStream_tbENKUlT_T0_E_clISt17integral_constantIbLb1EESW_EEDaSR_SS_EUlSR_E0_NS1_11comp_targetILNS1_3genE2ELNS1_11target_archE906ELNS1_3gpuE6ELNS1_3repE0EEENS1_30default_config_static_selectorELNS0_4arch9wavefront6targetE1EEEvT1_,comdat
	.globl	_ZN7rocprim17ROCPRIM_400000_NS6detail17trampoline_kernelINS0_14default_configENS1_20scan_config_selectorIfEEZZNS1_9scan_implILNS1_25lookback_scan_determinismE0ELb0ELb0ES3_PKfPffZZZN2at6native31launch_logcumsumexp_cuda_kernelERKNSB_10TensorBaseESF_lENKUlvE_clEvENKUlvE0_clEvEUlffE_fEEDaPvRmT3_T4_T5_mT6_P12ihipStream_tbENKUlT_T0_E_clISt17integral_constantIbLb1EESW_EEDaSR_SS_EUlSR_E0_NS1_11comp_targetILNS1_3genE2ELNS1_11target_archE906ELNS1_3gpuE6ELNS1_3repE0EEENS1_30default_config_static_selectorELNS0_4arch9wavefront6targetE1EEEvT1_ ; -- Begin function _ZN7rocprim17ROCPRIM_400000_NS6detail17trampoline_kernelINS0_14default_configENS1_20scan_config_selectorIfEEZZNS1_9scan_implILNS1_25lookback_scan_determinismE0ELb0ELb0ES3_PKfPffZZZN2at6native31launch_logcumsumexp_cuda_kernelERKNSB_10TensorBaseESF_lENKUlvE_clEvENKUlvE0_clEvEUlffE_fEEDaPvRmT3_T4_T5_mT6_P12ihipStream_tbENKUlT_T0_E_clISt17integral_constantIbLb1EESW_EEDaSR_SS_EUlSR_E0_NS1_11comp_targetILNS1_3genE2ELNS1_11target_archE906ELNS1_3gpuE6ELNS1_3repE0EEENS1_30default_config_static_selectorELNS0_4arch9wavefront6targetE1EEEvT1_
	.p2align	8
	.type	_ZN7rocprim17ROCPRIM_400000_NS6detail17trampoline_kernelINS0_14default_configENS1_20scan_config_selectorIfEEZZNS1_9scan_implILNS1_25lookback_scan_determinismE0ELb0ELb0ES3_PKfPffZZZN2at6native31launch_logcumsumexp_cuda_kernelERKNSB_10TensorBaseESF_lENKUlvE_clEvENKUlvE0_clEvEUlffE_fEEDaPvRmT3_T4_T5_mT6_P12ihipStream_tbENKUlT_T0_E_clISt17integral_constantIbLb1EESW_EEDaSR_SS_EUlSR_E0_NS1_11comp_targetILNS1_3genE2ELNS1_11target_archE906ELNS1_3gpuE6ELNS1_3repE0EEENS1_30default_config_static_selectorELNS0_4arch9wavefront6targetE1EEEvT1_,@function
_ZN7rocprim17ROCPRIM_400000_NS6detail17trampoline_kernelINS0_14default_configENS1_20scan_config_selectorIfEEZZNS1_9scan_implILNS1_25lookback_scan_determinismE0ELb0ELb0ES3_PKfPffZZZN2at6native31launch_logcumsumexp_cuda_kernelERKNSB_10TensorBaseESF_lENKUlvE_clEvENKUlvE0_clEvEUlffE_fEEDaPvRmT3_T4_T5_mT6_P12ihipStream_tbENKUlT_T0_E_clISt17integral_constantIbLb1EESW_EEDaSR_SS_EUlSR_E0_NS1_11comp_targetILNS1_3genE2ELNS1_11target_archE906ELNS1_3gpuE6ELNS1_3repE0EEENS1_30default_config_static_selectorELNS0_4arch9wavefront6targetE1EEEvT1_: ; @_ZN7rocprim17ROCPRIM_400000_NS6detail17trampoline_kernelINS0_14default_configENS1_20scan_config_selectorIfEEZZNS1_9scan_implILNS1_25lookback_scan_determinismE0ELb0ELb0ES3_PKfPffZZZN2at6native31launch_logcumsumexp_cuda_kernelERKNSB_10TensorBaseESF_lENKUlvE_clEvENKUlvE0_clEvEUlffE_fEEDaPvRmT3_T4_T5_mT6_P12ihipStream_tbENKUlT_T0_E_clISt17integral_constantIbLb1EESW_EEDaSR_SS_EUlSR_E0_NS1_11comp_targetILNS1_3genE2ELNS1_11target_archE906ELNS1_3gpuE6ELNS1_3repE0EEENS1_30default_config_static_selectorELNS0_4arch9wavefront6targetE1EEEvT1_
; %bb.0:
	s_load_dwordx4 s[28:31], s[4:5], 0x0
	v_lshlrev_b32_e32 v16, 2, v0
	s_waitcnt lgkmcnt(0)
	s_load_dword s31, s[28:29], 0x0
	v_cmp_gt_u32_e32 vcc, s30, v0
	s_waitcnt lgkmcnt(0)
	v_mov_b32_e32 v1, s31
	s_and_saveexec_b64 s[0:1], vcc
	s_cbranch_execz .LBB128_2
; %bb.1:
	global_load_dword v1, v16, s[28:29]
.LBB128_2:
	s_or_b64 exec, exec, s[0:1]
	v_or_b32_e32 v2, 0x100, v0
	v_cmp_gt_u32_e64 s[0:1], s30, v2
	v_mov_b32_e32 v2, s31
	s_and_saveexec_b64 s[2:3], s[0:1]
	s_cbranch_execz .LBB128_4
; %bb.3:
	global_load_dword v2, v16, s[28:29] offset:1024
.LBB128_4:
	s_or_b64 exec, exec, s[2:3]
	v_or_b32_e32 v3, 0x200, v0
	v_cmp_gt_u32_e64 s[2:3], s30, v3
	v_mov_b32_e32 v3, s31
	s_and_saveexec_b64 s[6:7], s[2:3]
	s_cbranch_execz .LBB128_6
; %bb.5:
	global_load_dword v3, v16, s[28:29] offset:2048
.LBB128_6:
	;; [unrolled: 9-line block ×3, first 2 shown]
	s_or_b64 exec, exec, s[6:7]
	v_or_b32_e32 v6, 0x400, v0
	v_cmp_gt_u32_e64 s[6:7], s30, v6
	v_mov_b32_e32 v5, s31
	s_and_saveexec_b64 s[8:9], s[6:7]
	s_cbranch_execz .LBB128_10
; %bb.9:
	v_lshlrev_b32_e32 v5, 2, v6
	global_load_dword v5, v5, s[28:29]
.LBB128_10:
	s_or_b64 exec, exec, s[8:9]
	v_or_b32_e32 v7, 0x500, v0
	v_cmp_gt_u32_e64 s[8:9], s30, v7
	v_mov_b32_e32 v6, s31
	s_and_saveexec_b64 s[10:11], s[8:9]
	s_cbranch_execz .LBB128_12
; %bb.11:
	v_lshlrev_b32_e32 v6, 2, v7
	global_load_dword v6, v6, s[28:29]
.LBB128_12:
	;; [unrolled: 10-line block ×11, first 2 shown]
	s_or_b64 exec, exec, s[30:31]
	s_waitcnt vmcnt(0)
	ds_write2st64_b32 v16, v1, v2 offset1:4
	ds_write2st64_b32 v16, v3, v4 offset0:8 offset1:12
	ds_write2st64_b32 v16, v5, v6 offset0:16 offset1:20
	;; [unrolled: 1-line block ×6, first 2 shown]
	ds_write_b32 v16, v15 offset:14336
	v_mad_u32_u24 v15, v0, 56, v16
	s_waitcnt lgkmcnt(0)
	s_barrier
	ds_read2_b32 v[1:2], v15 offset1:1
	ds_read2_b32 v[13:14], v15 offset0:2 offset1:3
	ds_read2_b32 v[11:12], v15 offset0:4 offset1:5
	;; [unrolled: 1-line block ×6, first 2 shown]
	ds_read_b32 v15, v15 offset:56
	s_waitcnt lgkmcnt(7)
	v_max_f32_e32 v23, v2, v2
	v_max_f32_e32 v32, v1, v1
	v_min_f32_e32 v31, v32, v23
	v_cmp_u_f32_e64 s[58:59], v1, v1
	v_cndmask_b32_e64 v17, v31, v1, s[58:59]
	v_cmp_u_f32_e64 s[28:29], v2, v2
	v_max_f32_e32 v33, v32, v23
	v_cndmask_b32_e64 v18, v17, v2, s[28:29]
	v_cndmask_b32_e64 v17, v33, v1, s[58:59]
	;; [unrolled: 1-line block ×3, first 2 shown]
	s_movk_i32 s33, 0x1f8
	v_cmp_neq_f32_e64 s[30:31], v18, v17
	v_cmp_class_f32_e64 s[34:35], v18, s33
	s_or_b64 s[30:31], s[30:31], s[34:35]
	v_mov_b32_e32 v36, v1
	s_waitcnt lgkmcnt(0)
	s_barrier
	s_and_saveexec_b64 s[34:35], s[30:31]
	s_cbranch_execz .LBB128_32
; %bb.31:
	v_sub_f32_e32 v18, v18, v17
	s_mov_b32 s30, 0x3fb8aa3b
	v_mul_f32_e32 v19, 0x3fb8aa3b, v18
	v_fma_f32 v20, v18, s30, -v19
	v_rndne_f32_e32 v21, v19
	v_fmac_f32_e32 v20, 0x32a5705f, v18
	v_sub_f32_e32 v19, v19, v21
	v_add_f32_e32 v19, v19, v20
	v_exp_f32_e32 v19, v19
	v_cvt_i32_f32_e32 v20, v21
	s_mov_b32 s30, 0xc2ce8ed0
	v_cmp_ngt_f32_e64 s[30:31], s30, v18
	s_mov_b32 s36, 0x7f800000
	v_ldexp_f32 v19, v19, v20
	v_cndmask_b32_e64 v19, 0, v19, s[30:31]
	s_mov_b32 s30, 0x42b17218
	v_mov_b32_e32 v20, 0x7f800000
	v_cmp_nlt_f32_e64 s[30:31], s30, v18
	v_cndmask_b32_e64 v21, v20, v19, s[30:31]
	v_add_f32_e32 v22, 1.0, v21
	v_cvt_f64_f32_e32 v[18:19], v22
	v_add_f32_e32 v24, -1.0, v22
	v_sub_f32_e32 v25, v24, v22
	v_sub_f32_e32 v24, v21, v24
	v_frexp_exp_i32_f64_e32 v18, v[18:19]
	v_add_f32_e32 v19, 1.0, v25
	v_add_f32_e32 v19, v24, v19
	v_frexp_mant_f32_e32 v24, v22
	s_mov_b32 s30, 0x3f2aaaab
	v_cmp_gt_f32_e64 s[30:31], s30, v24
	v_subbrev_co_u32_e64 v18, s[30:31], 0, v18, s[30:31]
	v_sub_u32_e32 v24, 0, v18
	v_ldexp_f32 v22, v22, v24
	v_ldexp_f32 v19, v19, v24
	v_add_f32_e32 v24, -1.0, v22
	v_add_f32_e32 v27, 1.0, v22
	v_add_f32_e32 v25, 1.0, v24
	v_add_f32_e32 v28, -1.0, v27
	v_sub_f32_e32 v25, v22, v25
	v_sub_f32_e32 v22, v22, v28
	v_add_f32_e32 v25, v19, v25
	v_add_f32_e32 v19, v19, v22
	;; [unrolled: 1-line block ×3, first 2 shown]
	v_rcp_f32_e32 v28, v22
	v_add_f32_e32 v26, v24, v25
	v_sub_f32_e32 v24, v24, v26
	v_add_f32_e32 v24, v25, v24
	v_sub_f32_e32 v25, v27, v22
	v_add_f32_e32 v19, v19, v25
	v_mul_f32_e32 v25, v26, v28
	v_mul_f32_e32 v27, v22, v25
	v_fma_f32 v29, v25, v22, -v27
	v_fmac_f32_e32 v29, v25, v19
	v_add_f32_e32 v30, v27, v29
	v_sub_f32_e32 v34, v26, v30
	v_sub_f32_e32 v26, v26, v34
	;; [unrolled: 1-line block ×4, first 2 shown]
	v_add_f32_e32 v24, v24, v26
	v_sub_f32_e32 v26, v27, v29
	v_add_f32_e32 v24, v26, v24
	v_add_f32_e32 v26, v34, v24
	v_mul_f32_e32 v27, v28, v26
	v_mul_f32_e32 v29, v22, v27
	v_fma_f32 v22, v27, v22, -v29
	v_fmac_f32_e32 v22, v27, v19
	v_sub_f32_e32 v19, v34, v26
	v_add_f32_e32 v19, v24, v19
	v_add_f32_e32 v24, v29, v22
	v_sub_f32_e32 v30, v26, v24
	v_sub_f32_e32 v26, v26, v30
	;; [unrolled: 1-line block ×4, first 2 shown]
	v_add_f32_e32 v19, v19, v24
	v_sub_f32_e32 v22, v29, v22
	v_add_f32_e32 v19, v22, v19
	v_add_f32_e32 v22, v25, v27
	;; [unrolled: 1-line block ×3, first 2 shown]
	v_sub_f32_e32 v24, v22, v25
	v_mul_f32_e32 v19, v28, v19
	v_sub_f32_e32 v24, v27, v24
	v_add_f32_e32 v19, v24, v19
	v_cvt_f32_i32_e32 v18, v18
	v_add_f32_e32 v24, v22, v19
	v_mul_f32_e32 v25, v24, v24
	v_mov_b32_e32 v26, 0x3ecc95a3
	v_fmac_f32_e32 v26, 0x3e9b6dac, v25
	v_mov_b32_e32 v27, 0x3f2aaada
	v_fmac_f32_e32 v27, v25, v26
	s_mov_b32 s30, 0x3f317218
	v_mul_f32_e32 v26, 0x3f317218, v18
	v_fma_f32 v28, v18, s30, -v26
	v_fmac_f32_e32 v28, 0xb102e308, v18
	v_sub_f32_e32 v18, v24, v22
	v_sub_f32_e32 v18, v19, v18
	v_add_f32_e32 v19, v26, v28
	v_sub_f32_e32 v22, v19, v26
	v_ldexp_f32 v26, v24, 1
	v_mul_f32_e32 v24, v24, v25
	v_mul_f32_e32 v24, v24, v27
	v_add_f32_e32 v25, v26, v24
	v_sub_f32_e32 v26, v25, v26
	v_ldexp_f32 v18, v18, 1
	v_sub_f32_e32 v24, v24, v26
	v_add_f32_e32 v18, v18, v24
	v_add_f32_e32 v24, v25, v18
	v_sub_f32_e32 v25, v24, v25
	v_sub_f32_e32 v18, v18, v25
	v_add_f32_e32 v25, v19, v24
	v_sub_f32_e32 v26, v25, v19
	v_sub_f32_e32 v27, v25, v26
	;; [unrolled: 1-line block ×5, first 2 shown]
	v_add_f32_e32 v19, v24, v19
	v_add_f32_e32 v24, v22, v18
	v_sub_f32_e32 v26, v24, v22
	v_sub_f32_e32 v27, v24, v26
	;; [unrolled: 1-line block ×4, first 2 shown]
	v_add_f32_e32 v19, v24, v19
	v_add_f32_e32 v18, v18, v22
	;; [unrolled: 1-line block ×3, first 2 shown]
	v_sub_f32_e32 v24, v22, v25
	v_sub_f32_e32 v19, v19, v24
	v_add_f32_e32 v18, v18, v19
	v_add_f32_e32 v18, v22, v18
	v_cmp_neq_f32_e64 s[30:31], s36, v21
	v_cndmask_b32_e64 v18, v20, v18, s[30:31]
	s_mov_b32 s30, 0x33800000
	v_cmp_lt_f32_e64 s[30:31], |v21|, s30
	v_cndmask_b32_e64 v18, v18, v21, s[30:31]
	v_add_f32_e32 v36, v17, v18
.LBB128_32:
	s_or_b64 exec, exec, s[34:35]
	v_max_f32_e32 v18, v36, v36
	v_max_f32_e32 v17, v13, v13
	v_min_f32_e32 v19, v18, v17
	v_cmp_u_f32_e64 s[34:35], v36, v36
	v_max_f32_e32 v18, v18, v17
	v_cndmask_b32_e64 v19, v19, v36, s[34:35]
	v_cmp_u_f32_e64 s[30:31], v13, v13
	v_cndmask_b32_e64 v18, v18, v36, s[34:35]
	v_cndmask_b32_e64 v19, v19, v13, s[30:31]
	v_cndmask_b32_e64 v18, v18, v13, s[30:31]
	v_cmp_neq_f32_e64 s[34:35], v19, v18
	v_cmp_class_f32_e64 s[36:37], v19, s33
	s_or_b64 s[34:35], s[34:35], s[36:37]
	s_and_saveexec_b64 s[36:37], s[34:35]
	s_cbranch_execz .LBB128_34
; %bb.33:
	v_sub_f32_e32 v19, v19, v18
	s_mov_b32 s33, 0x3fb8aa3b
	v_mul_f32_e32 v20, 0x3fb8aa3b, v19
	v_fma_f32 v21, v19, s33, -v20
	v_rndne_f32_e32 v22, v20
	v_fmac_f32_e32 v21, 0x32a5705f, v19
	v_sub_f32_e32 v20, v20, v22
	v_add_f32_e32 v20, v20, v21
	v_exp_f32_e32 v20, v20
	v_cvt_i32_f32_e32 v21, v22
	s_mov_b32 s33, 0xc2ce8ed0
	v_cmp_ngt_f32_e64 s[34:35], s33, v19
	s_mov_b32 s33, 0x42b17218
	v_ldexp_f32 v20, v20, v21
	v_cndmask_b32_e64 v20, 0, v20, s[34:35]
	v_mov_b32_e32 v21, 0x7f800000
	v_cmp_nlt_f32_e64 s[34:35], s33, v19
	v_cndmask_b32_e64 v22, v21, v20, s[34:35]
	v_add_f32_e32 v24, 1.0, v22
	v_cvt_f64_f32_e32 v[19:20], v24
	v_add_f32_e32 v25, -1.0, v24
	v_sub_f32_e32 v26, v25, v24
	v_sub_f32_e32 v25, v22, v25
	v_frexp_exp_i32_f64_e32 v19, v[19:20]
	v_add_f32_e32 v20, 1.0, v26
	v_add_f32_e32 v20, v25, v20
	v_frexp_mant_f32_e32 v25, v24
	s_mov_b32 s34, 0x3f2aaaab
	v_cmp_gt_f32_e64 s[34:35], s34, v25
	s_mov_b32 s33, 0x7f800000
	v_subbrev_co_u32_e64 v19, s[34:35], 0, v19, s[34:35]
	v_sub_u32_e32 v25, 0, v19
	v_ldexp_f32 v24, v24, v25
	v_ldexp_f32 v20, v20, v25
	v_add_f32_e32 v25, -1.0, v24
	v_add_f32_e32 v28, 1.0, v24
	v_add_f32_e32 v26, 1.0, v25
	v_add_f32_e32 v29, -1.0, v28
	v_sub_f32_e32 v26, v24, v26
	v_sub_f32_e32 v24, v24, v29
	v_add_f32_e32 v26, v20, v26
	v_add_f32_e32 v20, v20, v24
	;; [unrolled: 1-line block ×3, first 2 shown]
	v_rcp_f32_e32 v29, v24
	v_add_f32_e32 v27, v25, v26
	v_sub_f32_e32 v25, v25, v27
	v_add_f32_e32 v25, v26, v25
	v_sub_f32_e32 v26, v28, v24
	v_add_f32_e32 v20, v20, v26
	v_mul_f32_e32 v26, v27, v29
	v_mul_f32_e32 v28, v24, v26
	v_fma_f32 v30, v26, v24, -v28
	v_fmac_f32_e32 v30, v26, v20
	v_add_f32_e32 v34, v28, v30
	v_sub_f32_e32 v35, v27, v34
	v_sub_f32_e32 v27, v27, v35
	;; [unrolled: 1-line block ×4, first 2 shown]
	v_add_f32_e32 v25, v25, v27
	v_sub_f32_e32 v27, v28, v30
	v_add_f32_e32 v25, v27, v25
	v_add_f32_e32 v27, v35, v25
	v_mul_f32_e32 v28, v29, v27
	v_mul_f32_e32 v30, v24, v28
	v_fma_f32 v24, v28, v24, -v30
	v_fmac_f32_e32 v24, v28, v20
	v_sub_f32_e32 v20, v35, v27
	v_add_f32_e32 v20, v25, v20
	v_add_f32_e32 v25, v30, v24
	v_sub_f32_e32 v34, v27, v25
	v_sub_f32_e32 v27, v27, v34
	;; [unrolled: 1-line block ×4, first 2 shown]
	v_add_f32_e32 v20, v20, v25
	v_sub_f32_e32 v24, v30, v24
	v_add_f32_e32 v20, v24, v20
	v_add_f32_e32 v24, v26, v28
	;; [unrolled: 1-line block ×3, first 2 shown]
	v_sub_f32_e32 v25, v24, v26
	v_mul_f32_e32 v20, v29, v20
	v_sub_f32_e32 v25, v28, v25
	v_add_f32_e32 v20, v25, v20
	v_cvt_f32_i32_e32 v19, v19
	v_add_f32_e32 v25, v24, v20
	v_mul_f32_e32 v26, v25, v25
	v_mov_b32_e32 v27, 0x3ecc95a3
	v_fmac_f32_e32 v27, 0x3e9b6dac, v26
	v_mov_b32_e32 v28, 0x3f2aaada
	v_fmac_f32_e32 v28, v26, v27
	s_mov_b32 s34, 0x3f317218
	v_mul_f32_e32 v27, 0x3f317218, v19
	v_fma_f32 v29, v19, s34, -v27
	v_fmac_f32_e32 v29, 0xb102e308, v19
	v_sub_f32_e32 v19, v25, v24
	v_sub_f32_e32 v19, v20, v19
	v_add_f32_e32 v20, v27, v29
	v_sub_f32_e32 v24, v20, v27
	v_ldexp_f32 v27, v25, 1
	v_mul_f32_e32 v25, v25, v26
	v_mul_f32_e32 v25, v25, v28
	v_add_f32_e32 v26, v27, v25
	v_sub_f32_e32 v27, v26, v27
	v_ldexp_f32 v19, v19, 1
	v_sub_f32_e32 v25, v25, v27
	v_add_f32_e32 v19, v19, v25
	v_add_f32_e32 v25, v26, v19
	v_sub_f32_e32 v26, v25, v26
	v_sub_f32_e32 v19, v19, v26
	v_add_f32_e32 v26, v20, v25
	v_sub_f32_e32 v27, v26, v20
	v_sub_f32_e32 v28, v26, v27
	;; [unrolled: 1-line block ×5, first 2 shown]
	v_add_f32_e32 v20, v25, v20
	v_add_f32_e32 v25, v24, v19
	v_sub_f32_e32 v27, v25, v24
	v_sub_f32_e32 v28, v25, v27
	;; [unrolled: 1-line block ×4, first 2 shown]
	v_add_f32_e32 v20, v25, v20
	v_add_f32_e32 v19, v19, v24
	;; [unrolled: 1-line block ×3, first 2 shown]
	v_sub_f32_e32 v25, v24, v26
	v_sub_f32_e32 v20, v20, v25
	v_add_f32_e32 v19, v19, v20
	v_add_f32_e32 v19, v24, v19
	v_cmp_neq_f32_e64 s[34:35], s33, v22
	s_mov_b32 s33, 0x33800000
	v_cndmask_b32_e64 v19, v21, v19, s[34:35]
	v_cmp_lt_f32_e64 s[34:35], |v22|, s33
	v_cndmask_b32_e64 v19, v19, v22, s[34:35]
	v_add_f32_e32 v36, v18, v19
.LBB128_34:
	s_or_b64 exec, exec, s[36:37]
	v_max_f32_e32 v19, v36, v36
	v_max_f32_e32 v18, v14, v14
	v_min_f32_e32 v20, v19, v18
	v_cmp_u_f32_e64 s[36:37], v36, v36
	v_max_f32_e32 v19, v19, v18
	v_cndmask_b32_e64 v20, v20, v36, s[36:37]
	v_cmp_u_f32_e64 s[34:35], v14, v14
	v_cndmask_b32_e64 v19, v19, v36, s[36:37]
	v_cndmask_b32_e64 v20, v20, v14, s[34:35]
	;; [unrolled: 1-line block ×3, first 2 shown]
	s_movk_i32 s33, 0x1f8
	v_cmp_neq_f32_e64 s[36:37], v20, v19
	v_cmp_class_f32_e64 s[38:39], v20, s33
	s_or_b64 s[36:37], s[36:37], s[38:39]
	s_and_saveexec_b64 s[38:39], s[36:37]
	s_cbranch_execz .LBB128_36
; %bb.35:
	v_sub_f32_e32 v20, v20, v19
	s_mov_b32 s36, 0x3fb8aa3b
	v_mul_f32_e32 v21, 0x3fb8aa3b, v20
	v_fma_f32 v22, v20, s36, -v21
	v_rndne_f32_e32 v24, v21
	v_fmac_f32_e32 v22, 0x32a5705f, v20
	v_sub_f32_e32 v21, v21, v24
	v_add_f32_e32 v21, v21, v22
	v_exp_f32_e32 v21, v21
	v_cvt_i32_f32_e32 v22, v24
	s_mov_b32 s36, 0xc2ce8ed0
	v_cmp_ngt_f32_e64 s[36:37], s36, v20
	s_mov_b32 s40, 0x7f800000
	v_ldexp_f32 v21, v21, v22
	v_cndmask_b32_e64 v21, 0, v21, s[36:37]
	s_mov_b32 s36, 0x42b17218
	v_mov_b32_e32 v22, 0x7f800000
	v_cmp_nlt_f32_e64 s[36:37], s36, v20
	v_cndmask_b32_e64 v24, v22, v21, s[36:37]
	v_add_f32_e32 v25, 1.0, v24
	v_cvt_f64_f32_e32 v[20:21], v25
	v_add_f32_e32 v26, -1.0, v25
	v_sub_f32_e32 v27, v26, v25
	v_sub_f32_e32 v26, v24, v26
	v_frexp_exp_i32_f64_e32 v20, v[20:21]
	v_add_f32_e32 v21, 1.0, v27
	v_add_f32_e32 v21, v26, v21
	v_frexp_mant_f32_e32 v26, v25
	s_mov_b32 s36, 0x3f2aaaab
	v_cmp_gt_f32_e64 s[36:37], s36, v26
	v_subbrev_co_u32_e64 v20, s[36:37], 0, v20, s[36:37]
	v_sub_u32_e32 v26, 0, v20
	v_ldexp_f32 v25, v25, v26
	v_ldexp_f32 v21, v21, v26
	v_add_f32_e32 v26, -1.0, v25
	v_add_f32_e32 v29, 1.0, v25
	v_add_f32_e32 v27, 1.0, v26
	v_add_f32_e32 v30, -1.0, v29
	v_sub_f32_e32 v27, v25, v27
	v_sub_f32_e32 v25, v25, v30
	v_add_f32_e32 v27, v21, v27
	v_add_f32_e32 v21, v21, v25
	;; [unrolled: 1-line block ×3, first 2 shown]
	v_rcp_f32_e32 v30, v25
	v_add_f32_e32 v28, v26, v27
	v_sub_f32_e32 v26, v26, v28
	v_add_f32_e32 v26, v27, v26
	v_sub_f32_e32 v27, v29, v25
	v_add_f32_e32 v21, v21, v27
	v_mul_f32_e32 v27, v28, v30
	v_mul_f32_e32 v29, v25, v27
	v_fma_f32 v34, v27, v25, -v29
	v_fmac_f32_e32 v34, v27, v21
	v_add_f32_e32 v35, v29, v34
	v_sub_f32_e32 v36, v28, v35
	v_sub_f32_e32 v28, v28, v36
	;; [unrolled: 1-line block ×4, first 2 shown]
	v_add_f32_e32 v26, v26, v28
	v_sub_f32_e32 v28, v29, v34
	v_add_f32_e32 v26, v28, v26
	v_add_f32_e32 v28, v36, v26
	v_mul_f32_e32 v29, v30, v28
	v_mul_f32_e32 v34, v25, v29
	v_fma_f32 v25, v29, v25, -v34
	v_fmac_f32_e32 v25, v29, v21
	v_sub_f32_e32 v21, v36, v28
	v_add_f32_e32 v21, v26, v21
	v_add_f32_e32 v26, v34, v25
	v_sub_f32_e32 v35, v28, v26
	v_sub_f32_e32 v28, v28, v35
	;; [unrolled: 1-line block ×4, first 2 shown]
	v_add_f32_e32 v21, v21, v26
	v_sub_f32_e32 v25, v34, v25
	v_add_f32_e32 v21, v25, v21
	v_add_f32_e32 v25, v27, v29
	;; [unrolled: 1-line block ×3, first 2 shown]
	v_sub_f32_e32 v26, v25, v27
	v_mul_f32_e32 v21, v30, v21
	v_sub_f32_e32 v26, v29, v26
	v_add_f32_e32 v21, v26, v21
	v_cvt_f32_i32_e32 v20, v20
	v_add_f32_e32 v26, v25, v21
	v_mul_f32_e32 v27, v26, v26
	v_mov_b32_e32 v28, 0x3ecc95a3
	v_fmac_f32_e32 v28, 0x3e9b6dac, v27
	v_mov_b32_e32 v29, 0x3f2aaada
	v_fmac_f32_e32 v29, v27, v28
	s_mov_b32 s36, 0x3f317218
	v_mul_f32_e32 v28, 0x3f317218, v20
	v_fma_f32 v30, v20, s36, -v28
	v_fmac_f32_e32 v30, 0xb102e308, v20
	v_sub_f32_e32 v20, v26, v25
	v_sub_f32_e32 v20, v21, v20
	v_add_f32_e32 v21, v28, v30
	v_sub_f32_e32 v25, v21, v28
	v_ldexp_f32 v28, v26, 1
	v_mul_f32_e32 v26, v26, v27
	v_mul_f32_e32 v26, v26, v29
	v_add_f32_e32 v27, v28, v26
	v_sub_f32_e32 v28, v27, v28
	v_ldexp_f32 v20, v20, 1
	v_sub_f32_e32 v26, v26, v28
	v_add_f32_e32 v20, v20, v26
	v_add_f32_e32 v26, v27, v20
	v_sub_f32_e32 v27, v26, v27
	v_sub_f32_e32 v20, v20, v27
	v_add_f32_e32 v27, v21, v26
	v_sub_f32_e32 v28, v27, v21
	v_sub_f32_e32 v29, v27, v28
	;; [unrolled: 1-line block ×5, first 2 shown]
	v_add_f32_e32 v21, v26, v21
	v_add_f32_e32 v26, v25, v20
	v_sub_f32_e32 v28, v26, v25
	v_sub_f32_e32 v29, v26, v28
	;; [unrolled: 1-line block ×4, first 2 shown]
	v_add_f32_e32 v21, v26, v21
	v_add_f32_e32 v20, v20, v25
	;; [unrolled: 1-line block ×3, first 2 shown]
	v_sub_f32_e32 v26, v25, v27
	v_sub_f32_e32 v21, v21, v26
	v_add_f32_e32 v20, v20, v21
	v_add_f32_e32 v20, v25, v20
	v_cmp_neq_f32_e64 s[36:37], s40, v24
	v_cndmask_b32_e64 v20, v22, v20, s[36:37]
	s_mov_b32 s36, 0x33800000
	v_cmp_lt_f32_e64 s[36:37], |v24|, s36
	v_cndmask_b32_e64 v20, v20, v24, s[36:37]
	v_add_f32_e32 v36, v19, v20
.LBB128_36:
	s_or_b64 exec, exec, s[38:39]
	v_max_f32_e32 v20, v36, v36
	v_max_f32_e32 v19, v11, v11
	v_min_f32_e32 v21, v20, v19
	v_cmp_u_f32_e64 s[38:39], v36, v36
	v_max_f32_e32 v20, v20, v19
	v_cndmask_b32_e64 v21, v21, v36, s[38:39]
	v_cmp_u_f32_e64 s[36:37], v11, v11
	v_cndmask_b32_e64 v20, v20, v36, s[38:39]
	v_cndmask_b32_e64 v21, v21, v11, s[36:37]
	;; [unrolled: 1-line block ×3, first 2 shown]
	v_cmp_neq_f32_e64 s[38:39], v21, v20
	v_cmp_class_f32_e64 s[40:41], v21, s33
	s_or_b64 s[38:39], s[38:39], s[40:41]
	s_and_saveexec_b64 s[40:41], s[38:39]
	s_cbranch_execz .LBB128_38
; %bb.37:
	v_sub_f32_e32 v21, v21, v20
	s_mov_b32 s33, 0x3fb8aa3b
	v_mul_f32_e32 v22, 0x3fb8aa3b, v21
	v_fma_f32 v24, v21, s33, -v22
	v_rndne_f32_e32 v25, v22
	v_fmac_f32_e32 v24, 0x32a5705f, v21
	v_sub_f32_e32 v22, v22, v25
	v_add_f32_e32 v22, v22, v24
	v_exp_f32_e32 v22, v22
	v_cvt_i32_f32_e32 v24, v25
	s_mov_b32 s33, 0xc2ce8ed0
	v_cmp_ngt_f32_e64 s[38:39], s33, v21
	s_mov_b32 s33, 0x42b17218
	v_ldexp_f32 v22, v22, v24
	v_cndmask_b32_e64 v22, 0, v22, s[38:39]
	v_mov_b32_e32 v24, 0x7f800000
	v_cmp_nlt_f32_e64 s[38:39], s33, v21
	v_cndmask_b32_e64 v25, v24, v22, s[38:39]
	v_add_f32_e32 v26, 1.0, v25
	v_cvt_f64_f32_e32 v[21:22], v26
	v_add_f32_e32 v27, -1.0, v26
	v_sub_f32_e32 v28, v27, v26
	v_sub_f32_e32 v27, v25, v27
	v_frexp_exp_i32_f64_e32 v21, v[21:22]
	v_add_f32_e32 v22, 1.0, v28
	v_add_f32_e32 v22, v27, v22
	v_frexp_mant_f32_e32 v27, v26
	s_mov_b32 s38, 0x3f2aaaab
	v_cmp_gt_f32_e64 s[38:39], s38, v27
	s_mov_b32 s33, 0x7f800000
	v_subbrev_co_u32_e64 v21, s[38:39], 0, v21, s[38:39]
	v_sub_u32_e32 v27, 0, v21
	v_ldexp_f32 v26, v26, v27
	v_ldexp_f32 v22, v22, v27
	v_add_f32_e32 v27, -1.0, v26
	v_add_f32_e32 v30, 1.0, v26
	v_add_f32_e32 v28, 1.0, v27
	v_add_f32_e32 v34, -1.0, v30
	v_sub_f32_e32 v28, v26, v28
	v_sub_f32_e32 v26, v26, v34
	v_add_f32_e32 v28, v22, v28
	v_add_f32_e32 v22, v22, v26
	;; [unrolled: 1-line block ×3, first 2 shown]
	v_rcp_f32_e32 v34, v26
	v_add_f32_e32 v29, v27, v28
	v_sub_f32_e32 v27, v27, v29
	v_add_f32_e32 v27, v28, v27
	v_sub_f32_e32 v28, v30, v26
	v_add_f32_e32 v22, v22, v28
	v_mul_f32_e32 v28, v29, v34
	v_mul_f32_e32 v30, v26, v28
	v_fma_f32 v35, v28, v26, -v30
	v_fmac_f32_e32 v35, v28, v22
	v_add_f32_e32 v36, v30, v35
	v_sub_f32_e32 v37, v29, v36
	v_sub_f32_e32 v29, v29, v37
	;; [unrolled: 1-line block ×4, first 2 shown]
	v_add_f32_e32 v27, v27, v29
	v_sub_f32_e32 v29, v30, v35
	v_add_f32_e32 v27, v29, v27
	v_add_f32_e32 v29, v37, v27
	v_mul_f32_e32 v30, v34, v29
	v_mul_f32_e32 v35, v26, v30
	v_fma_f32 v26, v30, v26, -v35
	v_fmac_f32_e32 v26, v30, v22
	v_sub_f32_e32 v22, v37, v29
	v_add_f32_e32 v22, v27, v22
	v_add_f32_e32 v27, v35, v26
	v_sub_f32_e32 v36, v29, v27
	v_sub_f32_e32 v29, v29, v36
	;; [unrolled: 1-line block ×4, first 2 shown]
	v_add_f32_e32 v22, v22, v27
	v_sub_f32_e32 v26, v35, v26
	v_add_f32_e32 v22, v26, v22
	v_add_f32_e32 v26, v28, v30
	;; [unrolled: 1-line block ×3, first 2 shown]
	v_sub_f32_e32 v27, v26, v28
	v_mul_f32_e32 v22, v34, v22
	v_sub_f32_e32 v27, v30, v27
	v_add_f32_e32 v22, v27, v22
	v_cvt_f32_i32_e32 v21, v21
	v_add_f32_e32 v27, v26, v22
	v_mul_f32_e32 v28, v27, v27
	v_mov_b32_e32 v29, 0x3ecc95a3
	v_fmac_f32_e32 v29, 0x3e9b6dac, v28
	v_mov_b32_e32 v30, 0x3f2aaada
	v_fmac_f32_e32 v30, v28, v29
	s_mov_b32 s38, 0x3f317218
	v_mul_f32_e32 v29, 0x3f317218, v21
	v_fma_f32 v34, v21, s38, -v29
	v_fmac_f32_e32 v34, 0xb102e308, v21
	v_sub_f32_e32 v21, v27, v26
	v_sub_f32_e32 v21, v22, v21
	v_add_f32_e32 v22, v29, v34
	v_sub_f32_e32 v26, v22, v29
	v_ldexp_f32 v29, v27, 1
	v_mul_f32_e32 v27, v27, v28
	v_mul_f32_e32 v27, v27, v30
	v_add_f32_e32 v28, v29, v27
	v_sub_f32_e32 v29, v28, v29
	v_ldexp_f32 v21, v21, 1
	v_sub_f32_e32 v27, v27, v29
	v_add_f32_e32 v21, v21, v27
	v_add_f32_e32 v27, v28, v21
	v_sub_f32_e32 v28, v27, v28
	v_sub_f32_e32 v21, v21, v28
	v_add_f32_e32 v28, v22, v27
	v_sub_f32_e32 v29, v28, v22
	v_sub_f32_e32 v30, v28, v29
	;; [unrolled: 1-line block ×5, first 2 shown]
	v_add_f32_e32 v22, v27, v22
	v_add_f32_e32 v27, v26, v21
	v_sub_f32_e32 v29, v27, v26
	v_sub_f32_e32 v30, v27, v29
	v_sub_f32_e32 v26, v26, v30
	v_sub_f32_e32 v21, v21, v29
	v_add_f32_e32 v22, v27, v22
	v_add_f32_e32 v21, v21, v26
	;; [unrolled: 1-line block ×3, first 2 shown]
	v_sub_f32_e32 v27, v26, v28
	v_sub_f32_e32 v22, v22, v27
	v_add_f32_e32 v21, v21, v22
	v_add_f32_e32 v21, v26, v21
	v_cmp_neq_f32_e64 s[38:39], s33, v25
	s_mov_b32 s33, 0x33800000
	v_cndmask_b32_e64 v21, v24, v21, s[38:39]
	v_cmp_lt_f32_e64 s[38:39], |v25|, s33
	v_cndmask_b32_e64 v21, v21, v25, s[38:39]
	v_add_f32_e32 v36, v20, v21
.LBB128_38:
	s_or_b64 exec, exec, s[40:41]
	v_max_f32_e32 v21, v36, v36
	v_max_f32_e32 v20, v12, v12
	v_min_f32_e32 v22, v21, v20
	v_cmp_u_f32_e64 s[40:41], v36, v36
	v_max_f32_e32 v21, v21, v20
	v_cndmask_b32_e64 v22, v22, v36, s[40:41]
	v_cmp_u_f32_e64 s[38:39], v12, v12
	v_cndmask_b32_e64 v21, v21, v36, s[40:41]
	v_cndmask_b32_e64 v22, v22, v12, s[38:39]
	;; [unrolled: 1-line block ×3, first 2 shown]
	s_movk_i32 s33, 0x1f8
	v_cmp_neq_f32_e64 s[40:41], v22, v21
	v_cmp_class_f32_e64 s[42:43], v22, s33
	s_or_b64 s[40:41], s[40:41], s[42:43]
	s_and_saveexec_b64 s[42:43], s[40:41]
	s_cbranch_execz .LBB128_40
; %bb.39:
	v_sub_f32_e32 v22, v22, v21
	s_mov_b32 s40, 0x3fb8aa3b
	v_mul_f32_e32 v24, 0x3fb8aa3b, v22
	v_fma_f32 v25, v22, s40, -v24
	v_rndne_f32_e32 v26, v24
	v_fmac_f32_e32 v25, 0x32a5705f, v22
	v_sub_f32_e32 v24, v24, v26
	v_add_f32_e32 v24, v24, v25
	v_exp_f32_e32 v24, v24
	v_cvt_i32_f32_e32 v25, v26
	s_mov_b32 s40, 0xc2ce8ed0
	v_cmp_ngt_f32_e64 s[40:41], s40, v22
	v_mov_b32_e32 v26, 0x7f800000
	v_ldexp_f32 v24, v24, v25
	v_cndmask_b32_e64 v24, 0, v24, s[40:41]
	s_mov_b32 s40, 0x42b17218
	v_cmp_nlt_f32_e64 s[40:41], s40, v22
	v_cndmask_b32_e64 v22, v26, v24, s[40:41]
	v_add_f32_e32 v27, 1.0, v22
	v_cvt_f64_f32_e32 v[24:25], v27
	v_add_f32_e32 v28, -1.0, v27
	v_sub_f32_e32 v29, v28, v27
	v_sub_f32_e32 v28, v22, v28
	v_frexp_exp_i32_f64_e32 v24, v[24:25]
	v_add_f32_e32 v25, 1.0, v29
	v_add_f32_e32 v25, v28, v25
	v_frexp_mant_f32_e32 v28, v27
	s_mov_b32 s40, 0x3f2aaaab
	v_cmp_gt_f32_e64 s[40:41], s40, v28
	s_mov_b32 s44, 0x7f800000
	v_subbrev_co_u32_e64 v24, s[40:41], 0, v24, s[40:41]
	v_sub_u32_e32 v28, 0, v24
	v_ldexp_f32 v27, v27, v28
	v_ldexp_f32 v25, v25, v28
	v_add_f32_e32 v28, -1.0, v27
	v_add_f32_e32 v34, 1.0, v27
	v_add_f32_e32 v29, 1.0, v28
	v_add_f32_e32 v35, -1.0, v34
	v_sub_f32_e32 v29, v27, v29
	v_sub_f32_e32 v27, v27, v35
	v_add_f32_e32 v29, v25, v29
	v_add_f32_e32 v25, v25, v27
	;; [unrolled: 1-line block ×3, first 2 shown]
	v_rcp_f32_e32 v35, v27
	v_add_f32_e32 v30, v28, v29
	v_sub_f32_e32 v28, v28, v30
	v_add_f32_e32 v28, v29, v28
	v_sub_f32_e32 v29, v34, v27
	v_add_f32_e32 v25, v25, v29
	v_mul_f32_e32 v29, v30, v35
	v_mul_f32_e32 v34, v27, v29
	v_fma_f32 v36, v29, v27, -v34
	v_fmac_f32_e32 v36, v29, v25
	v_add_f32_e32 v37, v34, v36
	v_sub_f32_e32 v38, v30, v37
	v_sub_f32_e32 v30, v30, v38
	;; [unrolled: 1-line block ×4, first 2 shown]
	v_add_f32_e32 v28, v28, v30
	v_sub_f32_e32 v30, v34, v36
	v_add_f32_e32 v28, v30, v28
	v_add_f32_e32 v30, v38, v28
	v_mul_f32_e32 v34, v35, v30
	v_mul_f32_e32 v36, v27, v34
	v_fma_f32 v27, v34, v27, -v36
	v_fmac_f32_e32 v27, v34, v25
	v_sub_f32_e32 v25, v38, v30
	v_add_f32_e32 v25, v28, v25
	v_add_f32_e32 v28, v36, v27
	v_sub_f32_e32 v37, v30, v28
	v_sub_f32_e32 v30, v30, v37
	;; [unrolled: 1-line block ×4, first 2 shown]
	v_add_f32_e32 v25, v25, v28
	v_sub_f32_e32 v27, v36, v27
	v_add_f32_e32 v25, v27, v25
	v_add_f32_e32 v27, v29, v34
	;; [unrolled: 1-line block ×3, first 2 shown]
	v_sub_f32_e32 v28, v27, v29
	v_mul_f32_e32 v25, v35, v25
	v_sub_f32_e32 v28, v34, v28
	v_add_f32_e32 v25, v28, v25
	v_cvt_f32_i32_e32 v24, v24
	v_add_f32_e32 v28, v27, v25
	v_mul_f32_e32 v29, v28, v28
	v_mov_b32_e32 v30, 0x3ecc95a3
	v_fmac_f32_e32 v30, 0x3e9b6dac, v29
	v_mov_b32_e32 v34, 0x3f2aaada
	v_fmac_f32_e32 v34, v29, v30
	s_mov_b32 s40, 0x3f317218
	v_mul_f32_e32 v30, 0x3f317218, v24
	v_fma_f32 v35, v24, s40, -v30
	v_fmac_f32_e32 v35, 0xb102e308, v24
	v_sub_f32_e32 v24, v28, v27
	v_sub_f32_e32 v24, v25, v24
	v_add_f32_e32 v25, v30, v35
	v_sub_f32_e32 v27, v25, v30
	v_ldexp_f32 v30, v28, 1
	v_mul_f32_e32 v28, v28, v29
	v_mul_f32_e32 v28, v28, v34
	v_add_f32_e32 v29, v30, v28
	v_sub_f32_e32 v30, v29, v30
	v_ldexp_f32 v24, v24, 1
	v_sub_f32_e32 v28, v28, v30
	v_add_f32_e32 v24, v24, v28
	v_add_f32_e32 v28, v29, v24
	v_sub_f32_e32 v29, v28, v29
	v_sub_f32_e32 v24, v24, v29
	v_add_f32_e32 v29, v25, v28
	v_sub_f32_e32 v30, v29, v25
	v_sub_f32_e32 v34, v29, v30
	v_sub_f32_e32 v27, v35, v27
	v_sub_f32_e32 v25, v25, v34
	v_sub_f32_e32 v28, v28, v30
	v_add_f32_e32 v25, v28, v25
	v_add_f32_e32 v28, v27, v24
	v_sub_f32_e32 v30, v28, v27
	v_sub_f32_e32 v34, v28, v30
	;; [unrolled: 1-line block ×4, first 2 shown]
	v_add_f32_e32 v25, v28, v25
	v_add_f32_e32 v24, v24, v27
	;; [unrolled: 1-line block ×3, first 2 shown]
	v_sub_f32_e32 v28, v27, v29
	v_sub_f32_e32 v25, v25, v28
	v_add_f32_e32 v24, v24, v25
	v_add_f32_e32 v24, v27, v24
	v_cmp_neq_f32_e64 s[40:41], s44, v22
	v_cndmask_b32_e64 v24, v26, v24, s[40:41]
	s_mov_b32 s40, 0x33800000
	v_cmp_lt_f32_e64 s[40:41], |v22|, s40
	v_cndmask_b32_e64 v22, v24, v22, s[40:41]
	v_add_f32_e32 v36, v21, v22
.LBB128_40:
	s_or_b64 exec, exec, s[42:43]
	v_max_f32_e32 v22, v36, v36
	v_max_f32_e32 v21, v9, v9
	v_min_f32_e32 v24, v22, v21
	v_cmp_u_f32_e64 s[42:43], v36, v36
	v_max_f32_e32 v22, v22, v21
	v_cndmask_b32_e64 v24, v24, v36, s[42:43]
	v_cmp_u_f32_e64 s[40:41], v9, v9
	v_cndmask_b32_e64 v22, v22, v36, s[42:43]
	v_cndmask_b32_e64 v24, v24, v9, s[40:41]
	;; [unrolled: 1-line block ×3, first 2 shown]
	v_cmp_neq_f32_e64 s[42:43], v24, v22
	v_cmp_class_f32_e64 s[44:45], v24, s33
	s_or_b64 s[42:43], s[42:43], s[44:45]
	s_and_saveexec_b64 s[44:45], s[42:43]
	s_cbranch_execz .LBB128_42
; %bb.41:
	v_sub_f32_e32 v24, v24, v22
	s_mov_b32 s33, 0x3fb8aa3b
	v_mul_f32_e32 v25, 0x3fb8aa3b, v24
	v_fma_f32 v26, v24, s33, -v25
	v_rndne_f32_e32 v27, v25
	v_fmac_f32_e32 v26, 0x32a5705f, v24
	v_sub_f32_e32 v25, v25, v27
	v_add_f32_e32 v25, v25, v26
	v_exp_f32_e32 v25, v25
	v_cvt_i32_f32_e32 v26, v27
	s_mov_b32 s33, 0xc2ce8ed0
	v_cmp_ngt_f32_e64 s[42:43], s33, v24
	s_mov_b32 s33, 0x42b17218
	v_ldexp_f32 v25, v25, v26
	v_cndmask_b32_e64 v25, 0, v25, s[42:43]
	v_mov_b32_e32 v26, 0x7f800000
	v_cmp_nlt_f32_e64 s[42:43], s33, v24
	v_cndmask_b32_e64 v27, v26, v25, s[42:43]
	v_add_f32_e32 v28, 1.0, v27
	v_cvt_f64_f32_e32 v[24:25], v28
	v_add_f32_e32 v29, -1.0, v28
	v_sub_f32_e32 v30, v29, v28
	v_sub_f32_e32 v29, v27, v29
	v_frexp_exp_i32_f64_e32 v24, v[24:25]
	v_add_f32_e32 v25, 1.0, v30
	v_add_f32_e32 v25, v29, v25
	v_frexp_mant_f32_e32 v29, v28
	s_mov_b32 s42, 0x3f2aaaab
	v_cmp_gt_f32_e64 s[42:43], s42, v29
	s_mov_b32 s33, 0x7f800000
	v_subbrev_co_u32_e64 v24, s[42:43], 0, v24, s[42:43]
	v_sub_u32_e32 v29, 0, v24
	v_ldexp_f32 v28, v28, v29
	v_ldexp_f32 v25, v25, v29
	v_add_f32_e32 v29, -1.0, v28
	v_add_f32_e32 v35, 1.0, v28
	v_add_f32_e32 v30, 1.0, v29
	v_add_f32_e32 v36, -1.0, v35
	v_sub_f32_e32 v30, v28, v30
	v_sub_f32_e32 v28, v28, v36
	v_add_f32_e32 v30, v25, v30
	v_add_f32_e32 v25, v25, v28
	;; [unrolled: 1-line block ×3, first 2 shown]
	v_rcp_f32_e32 v36, v28
	v_add_f32_e32 v34, v29, v30
	v_sub_f32_e32 v29, v29, v34
	v_add_f32_e32 v29, v30, v29
	v_sub_f32_e32 v30, v35, v28
	v_add_f32_e32 v25, v25, v30
	v_mul_f32_e32 v30, v34, v36
	v_mul_f32_e32 v35, v28, v30
	v_fma_f32 v37, v30, v28, -v35
	v_fmac_f32_e32 v37, v30, v25
	v_add_f32_e32 v38, v35, v37
	v_sub_f32_e32 v39, v34, v38
	v_sub_f32_e32 v34, v34, v39
	;; [unrolled: 1-line block ×4, first 2 shown]
	v_add_f32_e32 v29, v29, v34
	v_sub_f32_e32 v34, v35, v37
	v_add_f32_e32 v29, v34, v29
	v_add_f32_e32 v34, v39, v29
	v_mul_f32_e32 v35, v36, v34
	v_mul_f32_e32 v37, v28, v35
	v_fma_f32 v28, v35, v28, -v37
	v_fmac_f32_e32 v28, v35, v25
	v_sub_f32_e32 v25, v39, v34
	v_add_f32_e32 v25, v29, v25
	v_add_f32_e32 v29, v37, v28
	v_sub_f32_e32 v38, v34, v29
	v_sub_f32_e32 v34, v34, v38
	;; [unrolled: 1-line block ×4, first 2 shown]
	v_add_f32_e32 v25, v25, v29
	v_sub_f32_e32 v28, v37, v28
	v_add_f32_e32 v25, v28, v25
	v_add_f32_e32 v28, v30, v35
	;; [unrolled: 1-line block ×3, first 2 shown]
	v_sub_f32_e32 v29, v28, v30
	v_mul_f32_e32 v25, v36, v25
	v_sub_f32_e32 v29, v35, v29
	v_add_f32_e32 v25, v29, v25
	v_cvt_f32_i32_e32 v24, v24
	v_add_f32_e32 v29, v28, v25
	v_mul_f32_e32 v30, v29, v29
	v_mov_b32_e32 v34, 0x3ecc95a3
	v_fmac_f32_e32 v34, 0x3e9b6dac, v30
	v_mov_b32_e32 v35, 0x3f2aaada
	v_fmac_f32_e32 v35, v30, v34
	s_mov_b32 s42, 0x3f317218
	v_mul_f32_e32 v34, 0x3f317218, v24
	v_fma_f32 v36, v24, s42, -v34
	v_fmac_f32_e32 v36, 0xb102e308, v24
	v_sub_f32_e32 v24, v29, v28
	v_sub_f32_e32 v24, v25, v24
	v_add_f32_e32 v25, v34, v36
	v_sub_f32_e32 v28, v25, v34
	v_ldexp_f32 v34, v29, 1
	v_mul_f32_e32 v29, v29, v30
	v_mul_f32_e32 v29, v29, v35
	v_add_f32_e32 v30, v34, v29
	v_sub_f32_e32 v34, v30, v34
	v_ldexp_f32 v24, v24, 1
	v_sub_f32_e32 v29, v29, v34
	v_add_f32_e32 v24, v24, v29
	v_add_f32_e32 v29, v30, v24
	v_sub_f32_e32 v30, v29, v30
	v_sub_f32_e32 v24, v24, v30
	v_add_f32_e32 v30, v25, v29
	v_sub_f32_e32 v34, v30, v25
	v_sub_f32_e32 v35, v30, v34
	;; [unrolled: 1-line block ×5, first 2 shown]
	v_add_f32_e32 v25, v29, v25
	v_add_f32_e32 v29, v28, v24
	v_sub_f32_e32 v34, v29, v28
	v_sub_f32_e32 v35, v29, v34
	;; [unrolled: 1-line block ×4, first 2 shown]
	v_add_f32_e32 v25, v29, v25
	v_add_f32_e32 v24, v24, v28
	;; [unrolled: 1-line block ×3, first 2 shown]
	v_sub_f32_e32 v29, v28, v30
	v_sub_f32_e32 v25, v25, v29
	v_add_f32_e32 v24, v24, v25
	v_add_f32_e32 v24, v28, v24
	v_cmp_neq_f32_e64 s[42:43], s33, v27
	s_mov_b32 s33, 0x33800000
	v_cndmask_b32_e64 v24, v26, v24, s[42:43]
	v_cmp_lt_f32_e64 s[42:43], |v27|, s33
	v_cndmask_b32_e64 v24, v24, v27, s[42:43]
	v_add_f32_e32 v36, v22, v24
.LBB128_42:
	s_or_b64 exec, exec, s[44:45]
	v_max_f32_e32 v24, v36, v36
	v_max_f32_e32 v22, v10, v10
	v_min_f32_e32 v25, v24, v22
	v_cmp_u_f32_e64 s[44:45], v36, v36
	v_max_f32_e32 v24, v24, v22
	v_cndmask_b32_e64 v25, v25, v36, s[44:45]
	v_cmp_u_f32_e64 s[42:43], v10, v10
	v_cndmask_b32_e64 v24, v24, v36, s[44:45]
	v_cndmask_b32_e64 v25, v25, v10, s[42:43]
	;; [unrolled: 1-line block ×3, first 2 shown]
	s_movk_i32 s33, 0x1f8
	v_cmp_neq_f32_e64 s[44:45], v25, v24
	v_cmp_class_f32_e64 s[46:47], v25, s33
	s_or_b64 s[44:45], s[44:45], s[46:47]
	s_and_saveexec_b64 s[46:47], s[44:45]
	s_cbranch_execz .LBB128_44
; %bb.43:
	v_sub_f32_e32 v25, v25, v24
	s_mov_b32 s44, 0x3fb8aa3b
	v_mul_f32_e32 v26, 0x3fb8aa3b, v25
	v_fma_f32 v27, v25, s44, -v26
	v_rndne_f32_e32 v28, v26
	v_fmac_f32_e32 v27, 0x32a5705f, v25
	v_sub_f32_e32 v26, v26, v28
	v_add_f32_e32 v26, v26, v27
	v_exp_f32_e32 v26, v26
	v_cvt_i32_f32_e32 v27, v28
	s_mov_b32 s44, 0xc2ce8ed0
	v_cmp_ngt_f32_e64 s[44:45], s44, v25
	s_mov_b32 s48, 0x7f800000
	v_ldexp_f32 v26, v26, v27
	v_cndmask_b32_e64 v26, 0, v26, s[44:45]
	s_mov_b32 s44, 0x42b17218
	v_mov_b32_e32 v27, 0x7f800000
	v_cmp_nlt_f32_e64 s[44:45], s44, v25
	v_cndmask_b32_e64 v28, v27, v26, s[44:45]
	v_add_f32_e32 v29, 1.0, v28
	v_cvt_f64_f32_e32 v[25:26], v29
	v_add_f32_e32 v30, -1.0, v29
	v_sub_f32_e32 v34, v30, v29
	v_sub_f32_e32 v30, v28, v30
	v_frexp_exp_i32_f64_e32 v25, v[25:26]
	v_add_f32_e32 v26, 1.0, v34
	v_add_f32_e32 v26, v30, v26
	v_frexp_mant_f32_e32 v30, v29
	s_mov_b32 s44, 0x3f2aaaab
	v_cmp_gt_f32_e64 s[44:45], s44, v30
	v_subbrev_co_u32_e64 v25, s[44:45], 0, v25, s[44:45]
	v_sub_u32_e32 v30, 0, v25
	v_ldexp_f32 v29, v29, v30
	v_ldexp_f32 v26, v26, v30
	v_add_f32_e32 v30, -1.0, v29
	v_add_f32_e32 v36, 1.0, v29
	v_add_f32_e32 v34, 1.0, v30
	v_add_f32_e32 v37, -1.0, v36
	v_sub_f32_e32 v34, v29, v34
	v_sub_f32_e32 v29, v29, v37
	v_add_f32_e32 v34, v26, v34
	v_add_f32_e32 v26, v26, v29
	;; [unrolled: 1-line block ×3, first 2 shown]
	v_rcp_f32_e32 v37, v29
	v_add_f32_e32 v35, v30, v34
	v_sub_f32_e32 v30, v30, v35
	v_add_f32_e32 v30, v34, v30
	v_sub_f32_e32 v34, v36, v29
	v_add_f32_e32 v26, v26, v34
	v_mul_f32_e32 v34, v35, v37
	v_mul_f32_e32 v36, v29, v34
	v_fma_f32 v38, v34, v29, -v36
	v_fmac_f32_e32 v38, v34, v26
	v_add_f32_e32 v39, v36, v38
	v_sub_f32_e32 v40, v35, v39
	v_sub_f32_e32 v35, v35, v40
	;; [unrolled: 1-line block ×4, first 2 shown]
	v_add_f32_e32 v30, v30, v35
	v_sub_f32_e32 v35, v36, v38
	v_add_f32_e32 v30, v35, v30
	v_add_f32_e32 v35, v40, v30
	v_mul_f32_e32 v36, v37, v35
	v_mul_f32_e32 v38, v29, v36
	v_fma_f32 v29, v36, v29, -v38
	v_fmac_f32_e32 v29, v36, v26
	v_sub_f32_e32 v26, v40, v35
	v_add_f32_e32 v26, v30, v26
	v_add_f32_e32 v30, v38, v29
	v_sub_f32_e32 v39, v35, v30
	v_sub_f32_e32 v35, v35, v39
	;; [unrolled: 1-line block ×4, first 2 shown]
	v_add_f32_e32 v26, v26, v30
	v_sub_f32_e32 v29, v38, v29
	v_add_f32_e32 v26, v29, v26
	v_add_f32_e32 v29, v34, v36
	;; [unrolled: 1-line block ×3, first 2 shown]
	v_sub_f32_e32 v30, v29, v34
	v_mul_f32_e32 v26, v37, v26
	v_sub_f32_e32 v30, v36, v30
	v_add_f32_e32 v26, v30, v26
	v_cvt_f32_i32_e32 v25, v25
	v_add_f32_e32 v30, v29, v26
	v_mul_f32_e32 v34, v30, v30
	v_mov_b32_e32 v35, 0x3ecc95a3
	v_fmac_f32_e32 v35, 0x3e9b6dac, v34
	v_mov_b32_e32 v36, 0x3f2aaada
	v_fmac_f32_e32 v36, v34, v35
	s_mov_b32 s44, 0x3f317218
	v_mul_f32_e32 v35, 0x3f317218, v25
	v_fma_f32 v37, v25, s44, -v35
	v_fmac_f32_e32 v37, 0xb102e308, v25
	v_sub_f32_e32 v25, v30, v29
	v_sub_f32_e32 v25, v26, v25
	v_add_f32_e32 v26, v35, v37
	v_sub_f32_e32 v29, v26, v35
	v_ldexp_f32 v35, v30, 1
	v_mul_f32_e32 v30, v30, v34
	v_mul_f32_e32 v30, v30, v36
	v_add_f32_e32 v34, v35, v30
	v_sub_f32_e32 v35, v34, v35
	v_ldexp_f32 v25, v25, 1
	v_sub_f32_e32 v30, v30, v35
	v_add_f32_e32 v25, v25, v30
	v_add_f32_e32 v30, v34, v25
	v_sub_f32_e32 v34, v30, v34
	v_sub_f32_e32 v25, v25, v34
	v_add_f32_e32 v34, v26, v30
	v_sub_f32_e32 v35, v34, v26
	v_sub_f32_e32 v36, v34, v35
	;; [unrolled: 1-line block ×5, first 2 shown]
	v_add_f32_e32 v26, v30, v26
	v_add_f32_e32 v30, v29, v25
	v_sub_f32_e32 v35, v30, v29
	v_sub_f32_e32 v36, v30, v35
	v_sub_f32_e32 v29, v29, v36
	v_sub_f32_e32 v25, v25, v35
	v_add_f32_e32 v26, v30, v26
	v_add_f32_e32 v25, v25, v29
	;; [unrolled: 1-line block ×3, first 2 shown]
	v_sub_f32_e32 v30, v29, v34
	v_sub_f32_e32 v26, v26, v30
	v_add_f32_e32 v25, v25, v26
	v_add_f32_e32 v25, v29, v25
	v_cmp_neq_f32_e64 s[44:45], s48, v28
	v_cndmask_b32_e64 v25, v27, v25, s[44:45]
	s_mov_b32 s44, 0x33800000
	v_cmp_lt_f32_e64 s[44:45], |v28|, s44
	v_cndmask_b32_e64 v25, v25, v28, s[44:45]
	v_add_f32_e32 v36, v24, v25
.LBB128_44:
	s_or_b64 exec, exec, s[46:47]
	v_max_f32_e32 v25, v36, v36
	v_max_f32_e32 v24, v7, v7
	v_min_f32_e32 v26, v25, v24
	v_cmp_u_f32_e64 s[46:47], v36, v36
	v_max_f32_e32 v25, v25, v24
	v_cndmask_b32_e64 v26, v26, v36, s[46:47]
	v_cmp_u_f32_e64 s[44:45], v7, v7
	v_cndmask_b32_e64 v25, v25, v36, s[46:47]
	v_cndmask_b32_e64 v26, v26, v7, s[44:45]
	;; [unrolled: 1-line block ×3, first 2 shown]
	v_cmp_neq_f32_e64 s[46:47], v26, v25
	v_cmp_class_f32_e64 s[48:49], v26, s33
	s_or_b64 s[46:47], s[46:47], s[48:49]
	s_and_saveexec_b64 s[48:49], s[46:47]
	s_cbranch_execz .LBB128_46
; %bb.45:
	v_sub_f32_e32 v26, v26, v25
	s_mov_b32 s33, 0x3fb8aa3b
	v_mul_f32_e32 v27, 0x3fb8aa3b, v26
	v_fma_f32 v28, v26, s33, -v27
	v_rndne_f32_e32 v29, v27
	v_fmac_f32_e32 v28, 0x32a5705f, v26
	v_sub_f32_e32 v27, v27, v29
	v_add_f32_e32 v27, v27, v28
	v_exp_f32_e32 v27, v27
	v_cvt_i32_f32_e32 v28, v29
	s_mov_b32 s33, 0xc2ce8ed0
	v_cmp_ngt_f32_e64 s[46:47], s33, v26
	s_mov_b32 s33, 0x42b17218
	v_ldexp_f32 v27, v27, v28
	v_cndmask_b32_e64 v27, 0, v27, s[46:47]
	v_mov_b32_e32 v28, 0x7f800000
	v_cmp_nlt_f32_e64 s[46:47], s33, v26
	v_cndmask_b32_e64 v29, v28, v27, s[46:47]
	v_add_f32_e32 v30, 1.0, v29
	v_cvt_f64_f32_e32 v[26:27], v30
	v_add_f32_e32 v34, -1.0, v30
	v_sub_f32_e32 v35, v34, v30
	v_sub_f32_e32 v34, v29, v34
	v_frexp_exp_i32_f64_e32 v26, v[26:27]
	v_add_f32_e32 v27, 1.0, v35
	v_add_f32_e32 v27, v34, v27
	v_frexp_mant_f32_e32 v34, v30
	s_mov_b32 s46, 0x3f2aaaab
	v_cmp_gt_f32_e64 s[46:47], s46, v34
	s_mov_b32 s33, 0x7f800000
	v_subbrev_co_u32_e64 v26, s[46:47], 0, v26, s[46:47]
	v_sub_u32_e32 v34, 0, v26
	v_ldexp_f32 v30, v30, v34
	v_ldexp_f32 v27, v27, v34
	v_add_f32_e32 v34, -1.0, v30
	v_add_f32_e32 v37, 1.0, v30
	v_add_f32_e32 v35, 1.0, v34
	v_add_f32_e32 v38, -1.0, v37
	v_sub_f32_e32 v35, v30, v35
	v_sub_f32_e32 v30, v30, v38
	v_add_f32_e32 v35, v27, v35
	v_add_f32_e32 v27, v27, v30
	;; [unrolled: 1-line block ×3, first 2 shown]
	v_rcp_f32_e32 v38, v30
	v_add_f32_e32 v36, v34, v35
	v_sub_f32_e32 v34, v34, v36
	v_add_f32_e32 v34, v35, v34
	v_sub_f32_e32 v35, v37, v30
	v_add_f32_e32 v27, v27, v35
	v_mul_f32_e32 v35, v36, v38
	v_mul_f32_e32 v37, v30, v35
	v_fma_f32 v39, v35, v30, -v37
	v_fmac_f32_e32 v39, v35, v27
	v_add_f32_e32 v40, v37, v39
	v_sub_f32_e32 v41, v36, v40
	v_sub_f32_e32 v36, v36, v41
	;; [unrolled: 1-line block ×4, first 2 shown]
	v_add_f32_e32 v34, v34, v36
	v_sub_f32_e32 v36, v37, v39
	v_add_f32_e32 v34, v36, v34
	v_add_f32_e32 v36, v41, v34
	v_mul_f32_e32 v37, v38, v36
	v_mul_f32_e32 v39, v30, v37
	v_fma_f32 v30, v37, v30, -v39
	v_fmac_f32_e32 v30, v37, v27
	v_sub_f32_e32 v27, v41, v36
	v_add_f32_e32 v27, v34, v27
	v_add_f32_e32 v34, v39, v30
	v_sub_f32_e32 v40, v36, v34
	v_sub_f32_e32 v36, v36, v40
	;; [unrolled: 1-line block ×4, first 2 shown]
	v_add_f32_e32 v27, v27, v34
	v_sub_f32_e32 v30, v39, v30
	v_add_f32_e32 v27, v30, v27
	v_add_f32_e32 v30, v35, v37
	;; [unrolled: 1-line block ×3, first 2 shown]
	v_sub_f32_e32 v34, v30, v35
	v_mul_f32_e32 v27, v38, v27
	v_sub_f32_e32 v34, v37, v34
	v_add_f32_e32 v27, v34, v27
	v_cvt_f32_i32_e32 v26, v26
	v_add_f32_e32 v34, v30, v27
	v_mul_f32_e32 v35, v34, v34
	v_mov_b32_e32 v36, 0x3ecc95a3
	v_fmac_f32_e32 v36, 0x3e9b6dac, v35
	v_mov_b32_e32 v37, 0x3f2aaada
	v_fmac_f32_e32 v37, v35, v36
	s_mov_b32 s46, 0x3f317218
	v_mul_f32_e32 v36, 0x3f317218, v26
	v_fma_f32 v38, v26, s46, -v36
	v_fmac_f32_e32 v38, 0xb102e308, v26
	v_sub_f32_e32 v26, v34, v30
	v_sub_f32_e32 v26, v27, v26
	v_add_f32_e32 v27, v36, v38
	v_sub_f32_e32 v30, v27, v36
	v_ldexp_f32 v36, v34, 1
	v_mul_f32_e32 v34, v34, v35
	v_mul_f32_e32 v34, v34, v37
	v_add_f32_e32 v35, v36, v34
	v_sub_f32_e32 v36, v35, v36
	v_ldexp_f32 v26, v26, 1
	v_sub_f32_e32 v34, v34, v36
	v_add_f32_e32 v26, v26, v34
	v_add_f32_e32 v34, v35, v26
	v_sub_f32_e32 v35, v34, v35
	v_sub_f32_e32 v26, v26, v35
	v_add_f32_e32 v35, v27, v34
	v_sub_f32_e32 v36, v35, v27
	v_sub_f32_e32 v37, v35, v36
	;; [unrolled: 1-line block ×5, first 2 shown]
	v_add_f32_e32 v27, v34, v27
	v_add_f32_e32 v34, v30, v26
	v_sub_f32_e32 v36, v34, v30
	v_sub_f32_e32 v37, v34, v36
	;; [unrolled: 1-line block ×4, first 2 shown]
	v_add_f32_e32 v27, v34, v27
	v_add_f32_e32 v26, v26, v30
	;; [unrolled: 1-line block ×3, first 2 shown]
	v_sub_f32_e32 v34, v30, v35
	v_sub_f32_e32 v27, v27, v34
	v_add_f32_e32 v26, v26, v27
	v_add_f32_e32 v26, v30, v26
	v_cmp_neq_f32_e64 s[46:47], s33, v29
	s_mov_b32 s33, 0x33800000
	v_cndmask_b32_e64 v26, v28, v26, s[46:47]
	v_cmp_lt_f32_e64 s[46:47], |v29|, s33
	v_cndmask_b32_e64 v26, v26, v29, s[46:47]
	v_add_f32_e32 v36, v25, v26
.LBB128_46:
	s_or_b64 exec, exec, s[48:49]
	v_max_f32_e32 v26, v36, v36
	v_max_f32_e32 v25, v8, v8
	v_min_f32_e32 v27, v26, v25
	v_cmp_u_f32_e64 s[48:49], v36, v36
	v_max_f32_e32 v26, v26, v25
	v_cndmask_b32_e64 v27, v27, v36, s[48:49]
	v_cmp_u_f32_e64 s[46:47], v8, v8
	v_cndmask_b32_e64 v26, v26, v36, s[48:49]
	v_cndmask_b32_e64 v27, v27, v8, s[46:47]
	;; [unrolled: 1-line block ×3, first 2 shown]
	s_movk_i32 s33, 0x1f8
	v_cmp_neq_f32_e64 s[48:49], v27, v26
	v_cmp_class_f32_e64 s[50:51], v27, s33
	s_or_b64 s[48:49], s[48:49], s[50:51]
	s_and_saveexec_b64 s[50:51], s[48:49]
	s_cbranch_execz .LBB128_48
; %bb.47:
	v_sub_f32_e32 v27, v27, v26
	s_mov_b32 s48, 0x3fb8aa3b
	v_mul_f32_e32 v28, 0x3fb8aa3b, v27
	v_fma_f32 v29, v27, s48, -v28
	v_rndne_f32_e32 v30, v28
	v_fmac_f32_e32 v29, 0x32a5705f, v27
	v_sub_f32_e32 v28, v28, v30
	v_add_f32_e32 v28, v28, v29
	v_exp_f32_e32 v28, v28
	v_cvt_i32_f32_e32 v29, v30
	s_mov_b32 s48, 0xc2ce8ed0
	v_cmp_ngt_f32_e64 s[48:49], s48, v27
	s_mov_b32 s52, 0x7f800000
	v_ldexp_f32 v28, v28, v29
	v_cndmask_b32_e64 v28, 0, v28, s[48:49]
	s_mov_b32 s48, 0x42b17218
	v_mov_b32_e32 v29, 0x7f800000
	v_cmp_nlt_f32_e64 s[48:49], s48, v27
	v_cndmask_b32_e64 v30, v29, v28, s[48:49]
	v_add_f32_e32 v34, 1.0, v30
	v_cvt_f64_f32_e32 v[27:28], v34
	v_add_f32_e32 v35, -1.0, v34
	v_sub_f32_e32 v36, v35, v34
	v_sub_f32_e32 v35, v30, v35
	v_frexp_exp_i32_f64_e32 v27, v[27:28]
	v_add_f32_e32 v28, 1.0, v36
	v_add_f32_e32 v28, v35, v28
	v_frexp_mant_f32_e32 v35, v34
	s_mov_b32 s48, 0x3f2aaaab
	v_cmp_gt_f32_e64 s[48:49], s48, v35
	v_subbrev_co_u32_e64 v27, s[48:49], 0, v27, s[48:49]
	v_sub_u32_e32 v35, 0, v27
	v_ldexp_f32 v34, v34, v35
	v_ldexp_f32 v28, v28, v35
	v_add_f32_e32 v35, -1.0, v34
	v_add_f32_e32 v38, 1.0, v34
	v_add_f32_e32 v36, 1.0, v35
	v_add_f32_e32 v39, -1.0, v38
	v_sub_f32_e32 v36, v34, v36
	v_sub_f32_e32 v34, v34, v39
	v_add_f32_e32 v36, v28, v36
	v_add_f32_e32 v28, v28, v34
	;; [unrolled: 1-line block ×3, first 2 shown]
	v_rcp_f32_e32 v39, v34
	v_add_f32_e32 v37, v35, v36
	v_sub_f32_e32 v35, v35, v37
	v_add_f32_e32 v35, v36, v35
	v_sub_f32_e32 v36, v38, v34
	v_add_f32_e32 v28, v28, v36
	v_mul_f32_e32 v36, v37, v39
	v_mul_f32_e32 v38, v34, v36
	v_fma_f32 v40, v36, v34, -v38
	v_fmac_f32_e32 v40, v36, v28
	v_add_f32_e32 v41, v38, v40
	v_sub_f32_e32 v42, v37, v41
	v_sub_f32_e32 v37, v37, v42
	;; [unrolled: 1-line block ×4, first 2 shown]
	v_add_f32_e32 v35, v35, v37
	v_sub_f32_e32 v37, v38, v40
	v_add_f32_e32 v35, v37, v35
	v_add_f32_e32 v37, v42, v35
	v_mul_f32_e32 v38, v39, v37
	v_mul_f32_e32 v40, v34, v38
	v_fma_f32 v34, v38, v34, -v40
	v_fmac_f32_e32 v34, v38, v28
	v_sub_f32_e32 v28, v42, v37
	v_add_f32_e32 v28, v35, v28
	v_add_f32_e32 v35, v40, v34
	v_sub_f32_e32 v41, v37, v35
	v_sub_f32_e32 v37, v37, v41
	;; [unrolled: 1-line block ×4, first 2 shown]
	v_add_f32_e32 v28, v28, v35
	v_sub_f32_e32 v34, v40, v34
	v_add_f32_e32 v28, v34, v28
	v_add_f32_e32 v34, v36, v38
	;; [unrolled: 1-line block ×3, first 2 shown]
	v_sub_f32_e32 v35, v34, v36
	v_mul_f32_e32 v28, v39, v28
	v_sub_f32_e32 v35, v38, v35
	v_add_f32_e32 v28, v35, v28
	v_cvt_f32_i32_e32 v27, v27
	v_add_f32_e32 v35, v34, v28
	v_mul_f32_e32 v36, v35, v35
	v_mov_b32_e32 v37, 0x3ecc95a3
	v_fmac_f32_e32 v37, 0x3e9b6dac, v36
	v_mov_b32_e32 v38, 0x3f2aaada
	v_fmac_f32_e32 v38, v36, v37
	s_mov_b32 s48, 0x3f317218
	v_mul_f32_e32 v37, 0x3f317218, v27
	v_fma_f32 v39, v27, s48, -v37
	v_fmac_f32_e32 v39, 0xb102e308, v27
	v_sub_f32_e32 v27, v35, v34
	v_sub_f32_e32 v27, v28, v27
	v_add_f32_e32 v28, v37, v39
	v_sub_f32_e32 v34, v28, v37
	v_ldexp_f32 v37, v35, 1
	v_mul_f32_e32 v35, v35, v36
	v_mul_f32_e32 v35, v35, v38
	v_add_f32_e32 v36, v37, v35
	v_sub_f32_e32 v37, v36, v37
	v_ldexp_f32 v27, v27, 1
	v_sub_f32_e32 v35, v35, v37
	v_add_f32_e32 v27, v27, v35
	v_add_f32_e32 v35, v36, v27
	v_sub_f32_e32 v36, v35, v36
	v_sub_f32_e32 v27, v27, v36
	v_add_f32_e32 v36, v28, v35
	v_sub_f32_e32 v37, v36, v28
	v_sub_f32_e32 v38, v36, v37
	v_sub_f32_e32 v34, v39, v34
	v_sub_f32_e32 v28, v28, v38
	v_sub_f32_e32 v35, v35, v37
	v_add_f32_e32 v28, v35, v28
	v_add_f32_e32 v35, v34, v27
	v_sub_f32_e32 v37, v35, v34
	v_sub_f32_e32 v38, v35, v37
	;; [unrolled: 1-line block ×4, first 2 shown]
	v_add_f32_e32 v28, v35, v28
	v_add_f32_e32 v27, v27, v34
	;; [unrolled: 1-line block ×3, first 2 shown]
	v_sub_f32_e32 v35, v34, v36
	v_sub_f32_e32 v28, v28, v35
	v_add_f32_e32 v27, v27, v28
	v_add_f32_e32 v27, v34, v27
	v_cmp_neq_f32_e64 s[48:49], s52, v30
	v_cndmask_b32_e64 v27, v29, v27, s[48:49]
	s_mov_b32 s48, 0x33800000
	v_cmp_lt_f32_e64 s[48:49], |v30|, s48
	v_cndmask_b32_e64 v27, v27, v30, s[48:49]
	v_add_f32_e32 v36, v26, v27
.LBB128_48:
	s_or_b64 exec, exec, s[50:51]
	v_max_f32_e32 v27, v36, v36
	v_max_f32_e32 v26, v5, v5
	v_min_f32_e32 v28, v27, v26
	v_cmp_u_f32_e64 s[50:51], v36, v36
	v_max_f32_e32 v27, v27, v26
	v_cndmask_b32_e64 v28, v28, v36, s[50:51]
	v_cmp_u_f32_e64 s[48:49], v5, v5
	v_cndmask_b32_e64 v27, v27, v36, s[50:51]
	v_cndmask_b32_e64 v28, v28, v5, s[48:49]
	;; [unrolled: 1-line block ×3, first 2 shown]
	v_cmp_neq_f32_e64 s[50:51], v28, v27
	v_cmp_class_f32_e64 s[52:53], v28, s33
	s_or_b64 s[50:51], s[50:51], s[52:53]
	s_and_saveexec_b64 s[52:53], s[50:51]
	s_cbranch_execz .LBB128_50
; %bb.49:
	v_sub_f32_e32 v28, v28, v27
	s_mov_b32 s33, 0x3fb8aa3b
	v_mul_f32_e32 v29, 0x3fb8aa3b, v28
	v_fma_f32 v30, v28, s33, -v29
	v_rndne_f32_e32 v34, v29
	v_fmac_f32_e32 v30, 0x32a5705f, v28
	v_sub_f32_e32 v29, v29, v34
	v_add_f32_e32 v29, v29, v30
	v_exp_f32_e32 v29, v29
	v_cvt_i32_f32_e32 v30, v34
	s_mov_b32 s33, 0xc2ce8ed0
	v_cmp_ngt_f32_e64 s[50:51], s33, v28
	s_mov_b32 s33, 0x42b17218
	v_ldexp_f32 v29, v29, v30
	v_cndmask_b32_e64 v29, 0, v29, s[50:51]
	v_mov_b32_e32 v30, 0x7f800000
	v_cmp_nlt_f32_e64 s[50:51], s33, v28
	v_cndmask_b32_e64 v34, v30, v29, s[50:51]
	v_add_f32_e32 v35, 1.0, v34
	v_cvt_f64_f32_e32 v[28:29], v35
	v_add_f32_e32 v36, -1.0, v35
	v_sub_f32_e32 v37, v36, v35
	v_sub_f32_e32 v36, v34, v36
	v_frexp_exp_i32_f64_e32 v28, v[28:29]
	v_add_f32_e32 v29, 1.0, v37
	v_add_f32_e32 v29, v36, v29
	v_frexp_mant_f32_e32 v36, v35
	s_mov_b32 s50, 0x3f2aaaab
	v_cmp_gt_f32_e64 s[50:51], s50, v36
	s_mov_b32 s33, 0x7f800000
	v_subbrev_co_u32_e64 v28, s[50:51], 0, v28, s[50:51]
	v_sub_u32_e32 v36, 0, v28
	v_ldexp_f32 v35, v35, v36
	v_ldexp_f32 v29, v29, v36
	v_add_f32_e32 v36, -1.0, v35
	v_add_f32_e32 v39, 1.0, v35
	v_add_f32_e32 v37, 1.0, v36
	v_add_f32_e32 v40, -1.0, v39
	v_sub_f32_e32 v37, v35, v37
	v_sub_f32_e32 v35, v35, v40
	v_add_f32_e32 v37, v29, v37
	v_add_f32_e32 v29, v29, v35
	;; [unrolled: 1-line block ×3, first 2 shown]
	v_rcp_f32_e32 v40, v35
	v_add_f32_e32 v38, v36, v37
	v_sub_f32_e32 v36, v36, v38
	v_add_f32_e32 v36, v37, v36
	v_sub_f32_e32 v37, v39, v35
	v_add_f32_e32 v29, v29, v37
	v_mul_f32_e32 v37, v38, v40
	v_mul_f32_e32 v39, v35, v37
	v_fma_f32 v41, v37, v35, -v39
	v_fmac_f32_e32 v41, v37, v29
	v_add_f32_e32 v42, v39, v41
	v_sub_f32_e32 v43, v38, v42
	v_sub_f32_e32 v38, v38, v43
	;; [unrolled: 1-line block ×4, first 2 shown]
	v_add_f32_e32 v36, v36, v38
	v_sub_f32_e32 v38, v39, v41
	v_add_f32_e32 v36, v38, v36
	v_add_f32_e32 v38, v43, v36
	v_mul_f32_e32 v39, v40, v38
	v_mul_f32_e32 v41, v35, v39
	v_fma_f32 v35, v39, v35, -v41
	v_fmac_f32_e32 v35, v39, v29
	v_sub_f32_e32 v29, v43, v38
	v_add_f32_e32 v29, v36, v29
	v_add_f32_e32 v36, v41, v35
	v_sub_f32_e32 v42, v38, v36
	v_sub_f32_e32 v38, v38, v42
	;; [unrolled: 1-line block ×4, first 2 shown]
	v_add_f32_e32 v29, v29, v36
	v_sub_f32_e32 v35, v41, v35
	v_add_f32_e32 v29, v35, v29
	v_add_f32_e32 v35, v37, v39
	;; [unrolled: 1-line block ×3, first 2 shown]
	v_sub_f32_e32 v36, v35, v37
	v_mul_f32_e32 v29, v40, v29
	v_sub_f32_e32 v36, v39, v36
	v_add_f32_e32 v29, v36, v29
	v_cvt_f32_i32_e32 v28, v28
	v_add_f32_e32 v36, v35, v29
	v_mul_f32_e32 v37, v36, v36
	v_mov_b32_e32 v38, 0x3ecc95a3
	v_fmac_f32_e32 v38, 0x3e9b6dac, v37
	v_mov_b32_e32 v39, 0x3f2aaada
	v_fmac_f32_e32 v39, v37, v38
	s_mov_b32 s50, 0x3f317218
	v_mul_f32_e32 v38, 0x3f317218, v28
	v_fma_f32 v40, v28, s50, -v38
	v_fmac_f32_e32 v40, 0xb102e308, v28
	v_sub_f32_e32 v28, v36, v35
	v_sub_f32_e32 v28, v29, v28
	v_add_f32_e32 v29, v38, v40
	v_sub_f32_e32 v35, v29, v38
	v_ldexp_f32 v38, v36, 1
	v_mul_f32_e32 v36, v36, v37
	v_mul_f32_e32 v36, v36, v39
	v_add_f32_e32 v37, v38, v36
	v_sub_f32_e32 v38, v37, v38
	v_ldexp_f32 v28, v28, 1
	v_sub_f32_e32 v36, v36, v38
	v_add_f32_e32 v28, v28, v36
	v_add_f32_e32 v36, v37, v28
	v_sub_f32_e32 v37, v36, v37
	v_sub_f32_e32 v28, v28, v37
	v_add_f32_e32 v37, v29, v36
	v_sub_f32_e32 v38, v37, v29
	v_sub_f32_e32 v39, v37, v38
	;; [unrolled: 1-line block ×5, first 2 shown]
	v_add_f32_e32 v29, v36, v29
	v_add_f32_e32 v36, v35, v28
	v_sub_f32_e32 v38, v36, v35
	v_sub_f32_e32 v39, v36, v38
	v_sub_f32_e32 v35, v35, v39
	v_sub_f32_e32 v28, v28, v38
	v_add_f32_e32 v29, v36, v29
	v_add_f32_e32 v28, v28, v35
	;; [unrolled: 1-line block ×3, first 2 shown]
	v_sub_f32_e32 v36, v35, v37
	v_sub_f32_e32 v29, v29, v36
	v_add_f32_e32 v28, v28, v29
	v_add_f32_e32 v28, v35, v28
	v_cmp_neq_f32_e64 s[50:51], s33, v34
	s_mov_b32 s33, 0x33800000
	v_cndmask_b32_e64 v28, v30, v28, s[50:51]
	v_cmp_lt_f32_e64 s[50:51], |v34|, s33
	v_cndmask_b32_e64 v28, v28, v34, s[50:51]
	v_add_f32_e32 v36, v27, v28
.LBB128_50:
	s_or_b64 exec, exec, s[52:53]
	v_max_f32_e32 v28, v36, v36
	v_max_f32_e32 v27, v6, v6
	v_min_f32_e32 v29, v28, v27
	v_cmp_u_f32_e64 s[52:53], v36, v36
	v_max_f32_e32 v28, v28, v27
	v_cndmask_b32_e64 v29, v29, v36, s[52:53]
	v_cmp_u_f32_e64 s[50:51], v6, v6
	v_cndmask_b32_e64 v28, v28, v36, s[52:53]
	v_cndmask_b32_e64 v29, v29, v6, s[50:51]
	;; [unrolled: 1-line block ×3, first 2 shown]
	s_movk_i32 s33, 0x1f8
	v_cmp_neq_f32_e64 s[52:53], v29, v28
	v_cmp_class_f32_e64 s[54:55], v29, s33
	s_or_b64 s[52:53], s[52:53], s[54:55]
	s_and_saveexec_b64 s[54:55], s[52:53]
	s_cbranch_execz .LBB128_52
; %bb.51:
	v_sub_f32_e32 v29, v29, v28
	s_mov_b32 s52, 0x3fb8aa3b
	v_mul_f32_e32 v30, 0x3fb8aa3b, v29
	v_fma_f32 v34, v29, s52, -v30
	v_rndne_f32_e32 v35, v30
	v_fmac_f32_e32 v34, 0x32a5705f, v29
	v_sub_f32_e32 v30, v30, v35
	v_add_f32_e32 v30, v30, v34
	v_exp_f32_e32 v30, v30
	v_cvt_i32_f32_e32 v34, v35
	s_mov_b32 s52, 0xc2ce8ed0
	v_cmp_ngt_f32_e64 s[52:53], s52, v29
	s_mov_b32 s56, 0x7f800000
	v_ldexp_f32 v30, v30, v34
	v_cndmask_b32_e64 v30, 0, v30, s[52:53]
	s_mov_b32 s52, 0x42b17218
	v_mov_b32_e32 v34, 0x7f800000
	v_cmp_nlt_f32_e64 s[52:53], s52, v29
	v_cndmask_b32_e64 v35, v34, v30, s[52:53]
	v_add_f32_e32 v36, 1.0, v35
	v_cvt_f64_f32_e32 v[29:30], v36
	v_add_f32_e32 v37, -1.0, v36
	v_sub_f32_e32 v38, v37, v36
	v_sub_f32_e32 v37, v35, v37
	v_frexp_exp_i32_f64_e32 v29, v[29:30]
	v_add_f32_e32 v30, 1.0, v38
	v_add_f32_e32 v30, v37, v30
	v_frexp_mant_f32_e32 v37, v36
	s_mov_b32 s52, 0x3f2aaaab
	v_cmp_gt_f32_e64 s[52:53], s52, v37
	v_subbrev_co_u32_e64 v29, s[52:53], 0, v29, s[52:53]
	v_sub_u32_e32 v37, 0, v29
	v_ldexp_f32 v36, v36, v37
	v_ldexp_f32 v30, v30, v37
	v_add_f32_e32 v37, -1.0, v36
	v_add_f32_e32 v40, 1.0, v36
	v_add_f32_e32 v38, 1.0, v37
	v_add_f32_e32 v41, -1.0, v40
	v_sub_f32_e32 v38, v36, v38
	v_sub_f32_e32 v36, v36, v41
	v_add_f32_e32 v38, v30, v38
	v_add_f32_e32 v30, v30, v36
	;; [unrolled: 1-line block ×3, first 2 shown]
	v_rcp_f32_e32 v41, v36
	v_add_f32_e32 v39, v37, v38
	v_sub_f32_e32 v37, v37, v39
	v_add_f32_e32 v37, v38, v37
	v_sub_f32_e32 v38, v40, v36
	v_add_f32_e32 v30, v30, v38
	v_mul_f32_e32 v38, v39, v41
	v_mul_f32_e32 v40, v36, v38
	v_fma_f32 v42, v38, v36, -v40
	v_fmac_f32_e32 v42, v38, v30
	v_add_f32_e32 v43, v40, v42
	v_sub_f32_e32 v44, v39, v43
	v_sub_f32_e32 v39, v39, v44
	;; [unrolled: 1-line block ×4, first 2 shown]
	v_add_f32_e32 v37, v37, v39
	v_sub_f32_e32 v39, v40, v42
	v_add_f32_e32 v37, v39, v37
	v_add_f32_e32 v39, v44, v37
	v_mul_f32_e32 v40, v41, v39
	v_mul_f32_e32 v42, v36, v40
	v_fma_f32 v36, v40, v36, -v42
	v_fmac_f32_e32 v36, v40, v30
	v_sub_f32_e32 v30, v44, v39
	v_add_f32_e32 v30, v37, v30
	v_add_f32_e32 v37, v42, v36
	v_sub_f32_e32 v43, v39, v37
	v_sub_f32_e32 v39, v39, v43
	;; [unrolled: 1-line block ×4, first 2 shown]
	v_add_f32_e32 v30, v30, v37
	v_sub_f32_e32 v36, v42, v36
	v_add_f32_e32 v30, v36, v30
	v_add_f32_e32 v36, v38, v40
	;; [unrolled: 1-line block ×3, first 2 shown]
	v_sub_f32_e32 v37, v36, v38
	v_mul_f32_e32 v30, v41, v30
	v_sub_f32_e32 v37, v40, v37
	v_add_f32_e32 v30, v37, v30
	v_cvt_f32_i32_e32 v29, v29
	v_add_f32_e32 v37, v36, v30
	v_mul_f32_e32 v38, v37, v37
	v_mov_b32_e32 v39, 0x3ecc95a3
	v_fmac_f32_e32 v39, 0x3e9b6dac, v38
	v_mov_b32_e32 v40, 0x3f2aaada
	v_fmac_f32_e32 v40, v38, v39
	s_mov_b32 s52, 0x3f317218
	v_mul_f32_e32 v39, 0x3f317218, v29
	v_fma_f32 v41, v29, s52, -v39
	v_fmac_f32_e32 v41, 0xb102e308, v29
	v_sub_f32_e32 v29, v37, v36
	v_sub_f32_e32 v29, v30, v29
	v_add_f32_e32 v30, v39, v41
	v_sub_f32_e32 v36, v30, v39
	v_ldexp_f32 v39, v37, 1
	v_mul_f32_e32 v37, v37, v38
	v_mul_f32_e32 v37, v37, v40
	v_add_f32_e32 v38, v39, v37
	v_sub_f32_e32 v39, v38, v39
	v_ldexp_f32 v29, v29, 1
	v_sub_f32_e32 v37, v37, v39
	v_add_f32_e32 v29, v29, v37
	v_add_f32_e32 v37, v38, v29
	v_sub_f32_e32 v38, v37, v38
	v_sub_f32_e32 v29, v29, v38
	v_add_f32_e32 v38, v30, v37
	v_sub_f32_e32 v39, v38, v30
	v_sub_f32_e32 v40, v38, v39
	;; [unrolled: 1-line block ×5, first 2 shown]
	v_add_f32_e32 v30, v37, v30
	v_add_f32_e32 v37, v36, v29
	v_sub_f32_e32 v39, v37, v36
	v_sub_f32_e32 v40, v37, v39
	;; [unrolled: 1-line block ×4, first 2 shown]
	v_add_f32_e32 v30, v37, v30
	v_add_f32_e32 v29, v29, v36
	;; [unrolled: 1-line block ×3, first 2 shown]
	v_sub_f32_e32 v37, v36, v38
	v_sub_f32_e32 v30, v30, v37
	v_add_f32_e32 v29, v29, v30
	v_add_f32_e32 v29, v36, v29
	v_cmp_neq_f32_e64 s[52:53], s56, v35
	v_cndmask_b32_e64 v29, v34, v29, s[52:53]
	s_mov_b32 s52, 0x33800000
	v_cmp_lt_f32_e64 s[52:53], |v35|, s52
	v_cndmask_b32_e64 v29, v29, v35, s[52:53]
	v_add_f32_e32 v36, v28, v29
.LBB128_52:
	s_or_b64 exec, exec, s[54:55]
	v_max_f32_e32 v29, v36, v36
	v_max_f32_e32 v28, v3, v3
	v_min_f32_e32 v30, v29, v28
	v_cmp_u_f32_e64 s[54:55], v36, v36
	v_max_f32_e32 v29, v29, v28
	v_cndmask_b32_e64 v30, v30, v36, s[54:55]
	v_cmp_u_f32_e64 s[52:53], v3, v3
	v_cndmask_b32_e64 v29, v29, v36, s[54:55]
	v_cndmask_b32_e64 v30, v30, v3, s[52:53]
	;; [unrolled: 1-line block ×3, first 2 shown]
	v_cmp_neq_f32_e64 s[54:55], v30, v29
	v_cmp_class_f32_e64 s[56:57], v30, s33
	s_or_b64 s[54:55], s[54:55], s[56:57]
	s_and_saveexec_b64 s[56:57], s[54:55]
	s_cbranch_execz .LBB128_54
; %bb.53:
	v_sub_f32_e32 v30, v30, v29
	s_mov_b32 s33, 0x3fb8aa3b
	v_mul_f32_e32 v34, 0x3fb8aa3b, v30
	v_fma_f32 v35, v30, s33, -v34
	v_rndne_f32_e32 v36, v34
	v_fmac_f32_e32 v35, 0x32a5705f, v30
	v_sub_f32_e32 v34, v34, v36
	v_add_f32_e32 v34, v34, v35
	v_exp_f32_e32 v34, v34
	v_cvt_i32_f32_e32 v35, v36
	s_mov_b32 s33, 0xc2ce8ed0
	v_cmp_ngt_f32_e64 s[54:55], s33, v30
	s_mov_b32 s33, 0x42b17218
	v_ldexp_f32 v34, v34, v35
	v_cndmask_b32_e64 v34, 0, v34, s[54:55]
	v_mov_b32_e32 v36, 0x7f800000
	v_cmp_nlt_f32_e64 s[54:55], s33, v30
	v_cndmask_b32_e64 v30, v36, v34, s[54:55]
	v_add_f32_e32 v37, 1.0, v30
	v_cvt_f64_f32_e32 v[34:35], v37
	v_add_f32_e32 v38, -1.0, v37
	v_sub_f32_e32 v39, v38, v37
	v_sub_f32_e32 v38, v30, v38
	v_frexp_exp_i32_f64_e32 v34, v[34:35]
	v_add_f32_e32 v35, 1.0, v39
	v_add_f32_e32 v35, v38, v35
	v_frexp_mant_f32_e32 v38, v37
	s_mov_b32 s54, 0x3f2aaaab
	v_cmp_gt_f32_e64 s[54:55], s54, v38
	s_mov_b32 s33, 0x7f800000
	v_subbrev_co_u32_e64 v34, s[54:55], 0, v34, s[54:55]
	v_sub_u32_e32 v38, 0, v34
	v_ldexp_f32 v37, v37, v38
	v_ldexp_f32 v35, v35, v38
	v_add_f32_e32 v38, -1.0, v37
	v_add_f32_e32 v41, 1.0, v37
	v_add_f32_e32 v39, 1.0, v38
	v_add_f32_e32 v42, -1.0, v41
	v_sub_f32_e32 v39, v37, v39
	v_sub_f32_e32 v37, v37, v42
	v_add_f32_e32 v39, v35, v39
	v_add_f32_e32 v35, v35, v37
	;; [unrolled: 1-line block ×3, first 2 shown]
	v_rcp_f32_e32 v42, v37
	v_add_f32_e32 v40, v38, v39
	v_sub_f32_e32 v38, v38, v40
	v_add_f32_e32 v38, v39, v38
	v_sub_f32_e32 v39, v41, v37
	v_add_f32_e32 v35, v35, v39
	v_mul_f32_e32 v39, v40, v42
	v_mul_f32_e32 v41, v37, v39
	v_fma_f32 v43, v39, v37, -v41
	v_fmac_f32_e32 v43, v39, v35
	v_add_f32_e32 v44, v41, v43
	v_sub_f32_e32 v45, v40, v44
	v_sub_f32_e32 v40, v40, v45
	;; [unrolled: 1-line block ×4, first 2 shown]
	v_add_f32_e32 v38, v38, v40
	v_sub_f32_e32 v40, v41, v43
	v_add_f32_e32 v38, v40, v38
	v_add_f32_e32 v40, v45, v38
	v_mul_f32_e32 v41, v42, v40
	v_mul_f32_e32 v43, v37, v41
	v_fma_f32 v37, v41, v37, -v43
	v_fmac_f32_e32 v37, v41, v35
	v_sub_f32_e32 v35, v45, v40
	v_add_f32_e32 v35, v38, v35
	v_add_f32_e32 v38, v43, v37
	v_sub_f32_e32 v44, v40, v38
	v_sub_f32_e32 v40, v40, v44
	;; [unrolled: 1-line block ×4, first 2 shown]
	v_add_f32_e32 v35, v35, v38
	v_sub_f32_e32 v37, v43, v37
	v_add_f32_e32 v35, v37, v35
	v_add_f32_e32 v37, v39, v41
	;; [unrolled: 1-line block ×3, first 2 shown]
	v_sub_f32_e32 v38, v37, v39
	v_mul_f32_e32 v35, v42, v35
	v_sub_f32_e32 v38, v41, v38
	v_add_f32_e32 v35, v38, v35
	v_cvt_f32_i32_e32 v34, v34
	v_add_f32_e32 v38, v37, v35
	v_mul_f32_e32 v39, v38, v38
	v_mov_b32_e32 v40, 0x3ecc95a3
	v_fmac_f32_e32 v40, 0x3e9b6dac, v39
	v_mov_b32_e32 v41, 0x3f2aaada
	v_fmac_f32_e32 v41, v39, v40
	s_mov_b32 s54, 0x3f317218
	v_mul_f32_e32 v40, 0x3f317218, v34
	v_fma_f32 v42, v34, s54, -v40
	v_fmac_f32_e32 v42, 0xb102e308, v34
	v_sub_f32_e32 v34, v38, v37
	v_sub_f32_e32 v34, v35, v34
	v_add_f32_e32 v35, v40, v42
	v_sub_f32_e32 v37, v35, v40
	v_ldexp_f32 v40, v38, 1
	v_mul_f32_e32 v38, v38, v39
	v_mul_f32_e32 v38, v38, v41
	v_add_f32_e32 v39, v40, v38
	v_sub_f32_e32 v40, v39, v40
	v_ldexp_f32 v34, v34, 1
	v_sub_f32_e32 v38, v38, v40
	v_add_f32_e32 v34, v34, v38
	v_add_f32_e32 v38, v39, v34
	v_sub_f32_e32 v39, v38, v39
	v_sub_f32_e32 v34, v34, v39
	v_add_f32_e32 v39, v35, v38
	v_sub_f32_e32 v40, v39, v35
	v_sub_f32_e32 v41, v39, v40
	;; [unrolled: 1-line block ×5, first 2 shown]
	v_add_f32_e32 v35, v38, v35
	v_add_f32_e32 v38, v37, v34
	v_sub_f32_e32 v40, v38, v37
	v_sub_f32_e32 v41, v38, v40
	;; [unrolled: 1-line block ×4, first 2 shown]
	v_add_f32_e32 v35, v38, v35
	v_add_f32_e32 v34, v34, v37
	;; [unrolled: 1-line block ×3, first 2 shown]
	v_sub_f32_e32 v38, v37, v39
	v_sub_f32_e32 v35, v35, v38
	v_add_f32_e32 v34, v34, v35
	v_add_f32_e32 v34, v37, v34
	v_cmp_neq_f32_e64 s[54:55], s33, v30
	s_mov_b32 s33, 0x33800000
	v_cndmask_b32_e64 v34, v36, v34, s[54:55]
	v_cmp_lt_f32_e64 s[54:55], |v30|, s33
	v_cndmask_b32_e64 v30, v34, v30, s[54:55]
	v_add_f32_e32 v36, v29, v30
.LBB128_54:
	s_or_b64 exec, exec, s[56:57]
	v_max_f32_e32 v30, v36, v36
	v_max_f32_e32 v29, v4, v4
	v_min_f32_e32 v34, v30, v29
	v_cmp_u_f32_e64 s[56:57], v36, v36
	v_max_f32_e32 v30, v30, v29
	v_cndmask_b32_e64 v34, v34, v36, s[56:57]
	v_cmp_u_f32_e64 s[54:55], v4, v4
	v_cndmask_b32_e64 v30, v30, v36, s[56:57]
	v_cndmask_b32_e64 v34, v34, v4, s[54:55]
	;; [unrolled: 1-line block ×3, first 2 shown]
	s_movk_i32 s33, 0x1f8
	v_cmp_neq_f32_e64 s[56:57], v34, v30
	v_cmp_class_f32_e64 s[62:63], v34, s33
	s_or_b64 s[56:57], s[56:57], s[62:63]
	s_and_saveexec_b64 s[62:63], s[56:57]
	s_cbranch_execz .LBB128_56
; %bb.55:
	v_sub_f32_e32 v34, v34, v30
	s_mov_b32 s56, 0x3fb8aa3b
	v_mul_f32_e32 v35, 0x3fb8aa3b, v34
	v_fma_f32 v36, v34, s56, -v35
	v_rndne_f32_e32 v37, v35
	v_fmac_f32_e32 v36, 0x32a5705f, v34
	v_sub_f32_e32 v35, v35, v37
	v_add_f32_e32 v35, v35, v36
	v_exp_f32_e32 v35, v35
	v_cvt_i32_f32_e32 v36, v37
	s_mov_b32 s56, 0xc2ce8ed0
	v_cmp_ngt_f32_e64 s[56:57], s56, v34
	s_mov_b32 s64, 0x7f800000
	v_ldexp_f32 v35, v35, v36
	v_cndmask_b32_e64 v35, 0, v35, s[56:57]
	s_mov_b32 s56, 0x42b17218
	v_mov_b32_e32 v36, 0x7f800000
	v_cmp_nlt_f32_e64 s[56:57], s56, v34
	v_cndmask_b32_e64 v37, v36, v35, s[56:57]
	v_add_f32_e32 v38, 1.0, v37
	v_cvt_f64_f32_e32 v[34:35], v38
	v_add_f32_e32 v39, -1.0, v38
	v_sub_f32_e32 v40, v39, v38
	v_sub_f32_e32 v39, v37, v39
	v_frexp_exp_i32_f64_e32 v34, v[34:35]
	v_add_f32_e32 v35, 1.0, v40
	v_add_f32_e32 v35, v39, v35
	v_frexp_mant_f32_e32 v39, v38
	s_mov_b32 s56, 0x3f2aaaab
	v_cmp_gt_f32_e64 s[56:57], s56, v39
	v_subbrev_co_u32_e64 v34, s[56:57], 0, v34, s[56:57]
	v_sub_u32_e32 v39, 0, v34
	v_ldexp_f32 v38, v38, v39
	v_ldexp_f32 v35, v35, v39
	v_add_f32_e32 v39, -1.0, v38
	v_add_f32_e32 v42, 1.0, v38
	v_add_f32_e32 v40, 1.0, v39
	v_add_f32_e32 v43, -1.0, v42
	v_sub_f32_e32 v40, v38, v40
	v_sub_f32_e32 v38, v38, v43
	v_add_f32_e32 v40, v35, v40
	v_add_f32_e32 v35, v35, v38
	;; [unrolled: 1-line block ×3, first 2 shown]
	v_rcp_f32_e32 v43, v38
	v_add_f32_e32 v41, v39, v40
	v_sub_f32_e32 v39, v39, v41
	v_add_f32_e32 v39, v40, v39
	v_sub_f32_e32 v40, v42, v38
	v_add_f32_e32 v35, v35, v40
	v_mul_f32_e32 v40, v41, v43
	v_mul_f32_e32 v42, v38, v40
	v_fma_f32 v44, v40, v38, -v42
	v_fmac_f32_e32 v44, v40, v35
	v_add_f32_e32 v45, v42, v44
	v_sub_f32_e32 v46, v41, v45
	v_sub_f32_e32 v41, v41, v46
	v_sub_f32_e32 v42, v45, v42
	v_sub_f32_e32 v41, v41, v45
	v_add_f32_e32 v39, v39, v41
	v_sub_f32_e32 v41, v42, v44
	v_add_f32_e32 v39, v41, v39
	v_add_f32_e32 v41, v46, v39
	v_mul_f32_e32 v42, v43, v41
	v_mul_f32_e32 v44, v38, v42
	v_fma_f32 v38, v42, v38, -v44
	v_fmac_f32_e32 v38, v42, v35
	v_sub_f32_e32 v35, v46, v41
	v_add_f32_e32 v35, v39, v35
	v_add_f32_e32 v39, v44, v38
	v_sub_f32_e32 v45, v41, v39
	v_sub_f32_e32 v41, v41, v45
	;; [unrolled: 1-line block ×4, first 2 shown]
	v_add_f32_e32 v35, v35, v39
	v_sub_f32_e32 v38, v44, v38
	v_add_f32_e32 v35, v38, v35
	v_add_f32_e32 v38, v40, v42
	v_add_f32_e32 v35, v45, v35
	v_sub_f32_e32 v39, v38, v40
	v_mul_f32_e32 v35, v43, v35
	v_sub_f32_e32 v39, v42, v39
	v_add_f32_e32 v35, v39, v35
	v_cvt_f32_i32_e32 v34, v34
	v_add_f32_e32 v39, v38, v35
	v_mul_f32_e32 v40, v39, v39
	v_mov_b32_e32 v41, 0x3ecc95a3
	v_fmac_f32_e32 v41, 0x3e9b6dac, v40
	v_mov_b32_e32 v42, 0x3f2aaada
	v_fmac_f32_e32 v42, v40, v41
	s_mov_b32 s56, 0x3f317218
	v_mul_f32_e32 v41, 0x3f317218, v34
	v_fma_f32 v43, v34, s56, -v41
	v_fmac_f32_e32 v43, 0xb102e308, v34
	v_sub_f32_e32 v34, v39, v38
	v_sub_f32_e32 v34, v35, v34
	v_add_f32_e32 v35, v41, v43
	v_sub_f32_e32 v38, v35, v41
	v_ldexp_f32 v41, v39, 1
	v_mul_f32_e32 v39, v39, v40
	v_mul_f32_e32 v39, v39, v42
	v_add_f32_e32 v40, v41, v39
	v_sub_f32_e32 v41, v40, v41
	v_ldexp_f32 v34, v34, 1
	v_sub_f32_e32 v39, v39, v41
	v_add_f32_e32 v34, v34, v39
	v_add_f32_e32 v39, v40, v34
	v_sub_f32_e32 v40, v39, v40
	v_sub_f32_e32 v34, v34, v40
	v_add_f32_e32 v40, v35, v39
	v_sub_f32_e32 v41, v40, v35
	v_sub_f32_e32 v42, v40, v41
	;; [unrolled: 1-line block ×5, first 2 shown]
	v_add_f32_e32 v35, v39, v35
	v_add_f32_e32 v39, v38, v34
	v_sub_f32_e32 v41, v39, v38
	v_sub_f32_e32 v42, v39, v41
	v_sub_f32_e32 v38, v38, v42
	v_sub_f32_e32 v34, v34, v41
	v_add_f32_e32 v35, v39, v35
	v_add_f32_e32 v34, v34, v38
	v_add_f32_e32 v38, v40, v35
	v_sub_f32_e32 v39, v38, v40
	v_sub_f32_e32 v35, v35, v39
	v_add_f32_e32 v34, v34, v35
	v_add_f32_e32 v34, v38, v34
	v_cmp_neq_f32_e64 s[56:57], s64, v37
	v_cndmask_b32_e64 v34, v36, v34, s[56:57]
	s_mov_b32 s56, 0x33800000
	v_cmp_lt_f32_e64 s[56:57], |v37|, s56
	v_cndmask_b32_e64 v34, v34, v37, s[56:57]
	v_add_f32_e32 v36, v30, v34
.LBB128_56:
	s_or_b64 exec, exec, s[62:63]
	v_max_f32_e32 v30, v15, v15
	v_max_f32_e32 v34, v36, v36
	v_min_f32_e32 v35, v34, v30
	v_cmp_u_f32_e64 s[62:63], v36, v36
	v_max_f32_e32 v34, v34, v30
	v_cndmask_b32_e64 v35, v35, v36, s[62:63]
	v_cmp_u_f32_e64 s[56:57], v15, v15
	v_cndmask_b32_e64 v34, v34, v36, s[62:63]
	v_cndmask_b32_e64 v35, v35, v15, s[56:57]
	;; [unrolled: 1-line block ×3, first 2 shown]
	v_cmp_neq_f32_e64 s[62:63], v35, v34
	v_cmp_class_f32_e64 s[64:65], v35, s33
	s_or_b64 s[62:63], s[62:63], s[64:65]
	s_and_saveexec_b64 s[64:65], s[62:63]
	s_cbranch_execz .LBB128_58
; %bb.57:
	v_sub_f32_e32 v35, v35, v34
	s_mov_b32 s33, 0x3fb8aa3b
	v_mul_f32_e32 v36, 0x3fb8aa3b, v35
	v_fma_f32 v37, v35, s33, -v36
	v_rndne_f32_e32 v38, v36
	v_fmac_f32_e32 v37, 0x32a5705f, v35
	v_sub_f32_e32 v36, v36, v38
	v_add_f32_e32 v36, v36, v37
	v_exp_f32_e32 v36, v36
	v_cvt_i32_f32_e32 v37, v38
	s_mov_b32 s33, 0xc2ce8ed0
	v_cmp_ngt_f32_e64 s[62:63], s33, v35
	s_mov_b32 s33, 0x42b17218
	v_ldexp_f32 v36, v36, v37
	v_cndmask_b32_e64 v36, 0, v36, s[62:63]
	v_mov_b32_e32 v37, 0x7f800000
	v_cmp_nlt_f32_e64 s[62:63], s33, v35
	v_cndmask_b32_e64 v38, v37, v36, s[62:63]
	v_add_f32_e32 v39, 1.0, v38
	v_cvt_f64_f32_e32 v[35:36], v39
	v_add_f32_e32 v40, -1.0, v39
	v_sub_f32_e32 v41, v40, v39
	v_sub_f32_e32 v40, v38, v40
	v_frexp_exp_i32_f64_e32 v35, v[35:36]
	v_add_f32_e32 v36, 1.0, v41
	v_add_f32_e32 v36, v40, v36
	v_frexp_mant_f32_e32 v40, v39
	s_mov_b32 s62, 0x3f2aaaab
	v_cmp_gt_f32_e64 s[62:63], s62, v40
	s_mov_b32 s33, 0x7f800000
	v_subbrev_co_u32_e64 v35, s[62:63], 0, v35, s[62:63]
	v_sub_u32_e32 v40, 0, v35
	v_ldexp_f32 v39, v39, v40
	v_ldexp_f32 v36, v36, v40
	v_add_f32_e32 v40, -1.0, v39
	v_add_f32_e32 v43, 1.0, v39
	v_add_f32_e32 v41, 1.0, v40
	v_add_f32_e32 v44, -1.0, v43
	v_sub_f32_e32 v41, v39, v41
	v_sub_f32_e32 v39, v39, v44
	v_add_f32_e32 v41, v36, v41
	v_add_f32_e32 v36, v36, v39
	v_add_f32_e32 v39, v43, v36
	v_rcp_f32_e32 v44, v39
	v_add_f32_e32 v42, v40, v41
	v_sub_f32_e32 v40, v40, v42
	v_add_f32_e32 v40, v41, v40
	v_sub_f32_e32 v41, v43, v39
	v_add_f32_e32 v36, v36, v41
	v_mul_f32_e32 v41, v42, v44
	v_mul_f32_e32 v43, v39, v41
	v_fma_f32 v45, v41, v39, -v43
	v_fmac_f32_e32 v45, v41, v36
	v_add_f32_e32 v46, v43, v45
	v_sub_f32_e32 v47, v42, v46
	v_sub_f32_e32 v42, v42, v47
	;; [unrolled: 1-line block ×4, first 2 shown]
	v_add_f32_e32 v40, v40, v42
	v_sub_f32_e32 v42, v43, v45
	v_add_f32_e32 v40, v42, v40
	v_add_f32_e32 v42, v47, v40
	v_mul_f32_e32 v43, v44, v42
	v_mul_f32_e32 v45, v39, v43
	v_fma_f32 v39, v43, v39, -v45
	v_fmac_f32_e32 v39, v43, v36
	v_sub_f32_e32 v36, v47, v42
	v_add_f32_e32 v36, v40, v36
	v_add_f32_e32 v40, v45, v39
	v_sub_f32_e32 v46, v42, v40
	v_sub_f32_e32 v42, v42, v46
	;; [unrolled: 1-line block ×4, first 2 shown]
	v_add_f32_e32 v36, v36, v40
	v_sub_f32_e32 v39, v45, v39
	v_add_f32_e32 v36, v39, v36
	v_add_f32_e32 v39, v41, v43
	;; [unrolled: 1-line block ×3, first 2 shown]
	v_sub_f32_e32 v40, v39, v41
	v_mul_f32_e32 v36, v44, v36
	v_sub_f32_e32 v40, v43, v40
	v_add_f32_e32 v36, v40, v36
	v_cvt_f32_i32_e32 v35, v35
	v_add_f32_e32 v40, v39, v36
	v_mul_f32_e32 v41, v40, v40
	v_mov_b32_e32 v42, 0x3ecc95a3
	v_fmac_f32_e32 v42, 0x3e9b6dac, v41
	v_mov_b32_e32 v43, 0x3f2aaada
	v_fmac_f32_e32 v43, v41, v42
	s_mov_b32 s62, 0x3f317218
	v_mul_f32_e32 v42, 0x3f317218, v35
	v_fma_f32 v44, v35, s62, -v42
	v_fmac_f32_e32 v44, 0xb102e308, v35
	v_sub_f32_e32 v35, v40, v39
	v_sub_f32_e32 v35, v36, v35
	v_add_f32_e32 v36, v42, v44
	v_sub_f32_e32 v39, v36, v42
	v_ldexp_f32 v42, v40, 1
	v_mul_f32_e32 v40, v40, v41
	v_mul_f32_e32 v40, v40, v43
	v_add_f32_e32 v41, v42, v40
	v_sub_f32_e32 v42, v41, v42
	v_ldexp_f32 v35, v35, 1
	v_sub_f32_e32 v40, v40, v42
	v_add_f32_e32 v35, v35, v40
	v_add_f32_e32 v40, v41, v35
	v_sub_f32_e32 v41, v40, v41
	v_sub_f32_e32 v35, v35, v41
	v_add_f32_e32 v41, v36, v40
	v_sub_f32_e32 v42, v41, v36
	v_sub_f32_e32 v43, v41, v42
	;; [unrolled: 1-line block ×5, first 2 shown]
	v_add_f32_e32 v36, v40, v36
	v_add_f32_e32 v40, v39, v35
	v_sub_f32_e32 v42, v40, v39
	v_sub_f32_e32 v43, v40, v42
	;; [unrolled: 1-line block ×4, first 2 shown]
	v_add_f32_e32 v36, v40, v36
	v_add_f32_e32 v35, v35, v39
	;; [unrolled: 1-line block ×3, first 2 shown]
	v_sub_f32_e32 v40, v39, v41
	v_sub_f32_e32 v36, v36, v40
	v_add_f32_e32 v35, v35, v36
	v_add_f32_e32 v35, v39, v35
	v_cmp_neq_f32_e64 s[62:63], s33, v38
	s_mov_b32 s33, 0x33800000
	v_cndmask_b32_e64 v35, v37, v35, s[62:63]
	v_cmp_lt_f32_e64 s[62:63], |v38|, s33
	v_cndmask_b32_e64 v35, v35, v38, s[62:63]
	v_add_f32_e32 v36, v34, v35
.LBB128_58:
	s_or_b64 exec, exec, s[64:65]
	s_load_dwordx2 s[64:65], s[4:5], 0x18
	v_mbcnt_lo_u32_b32 v34, -1, 0
	v_mbcnt_hi_u32_b32 v35, -1, v34
	v_and_b32_e32 v37, 15, v35
	v_mov_b32_dpp v38, v36 row_shr:1 row_mask:0xf bank_mask:0xf
	v_cmp_ne_u32_e64 s[4:5], 0, v37
	s_and_saveexec_b64 s[66:67], s[4:5]
	s_cbranch_execz .LBB128_62
; %bb.59:
	v_max_f32_e32 v34, v36, v36
	v_max_f32_e32 v40, v38, v38
	v_min_f32_e32 v39, v40, v34
	v_cmp_u_f32_e64 s[4:5], v38, v38
	v_max_f32_e32 v34, v40, v34
	v_cndmask_b32_e64 v39, v39, v38, s[4:5]
	v_cmp_u_f32_e64 s[62:63], v36, v36
	v_cndmask_b32_e64 v34, v34, v38, s[4:5]
	v_cndmask_b32_e64 v39, v39, v36, s[62:63]
	;; [unrolled: 1-line block ×3, first 2 shown]
	s_movk_i32 s33, 0x1f8
	v_cmp_neq_f32_e64 s[4:5], v39, v34
	v_cmp_class_f32_e64 s[62:63], v39, s33
	s_or_b64 s[4:5], s[4:5], s[62:63]
	s_and_saveexec_b64 s[62:63], s[4:5]
	s_cbranch_execz .LBB128_61
; %bb.60:
	v_sub_f32_e32 v36, v39, v34
	s_mov_b32 s4, 0x3fb8aa3b
	v_mul_f32_e32 v38, 0x3fb8aa3b, v36
	v_fma_f32 v39, v36, s4, -v38
	v_rndne_f32_e32 v40, v38
	v_fmac_f32_e32 v39, 0x32a5705f, v36
	v_sub_f32_e32 v38, v38, v40
	v_add_f32_e32 v38, v38, v39
	v_exp_f32_e32 v38, v38
	v_cvt_i32_f32_e32 v39, v40
	s_mov_b32 s4, 0xc2ce8ed0
	v_cmp_ngt_f32_e64 s[4:5], s4, v36
	v_mov_b32_e32 v40, 0x7f800000
	v_ldexp_f32 v38, v38, v39
	v_cndmask_b32_e64 v38, 0, v38, s[4:5]
	s_mov_b32 s4, 0x42b17218
	v_cmp_nlt_f32_e64 s[4:5], s4, v36
	v_cndmask_b32_e64 v36, v40, v38, s[4:5]
	v_add_f32_e32 v41, 1.0, v36
	v_cvt_f64_f32_e32 v[38:39], v41
	v_add_f32_e32 v42, -1.0, v41
	v_sub_f32_e32 v43, v42, v41
	v_sub_f32_e32 v42, v36, v42
	v_frexp_exp_i32_f64_e32 v38, v[38:39]
	v_add_f32_e32 v39, 1.0, v43
	v_add_f32_e32 v39, v42, v39
	v_frexp_mant_f32_e32 v42, v41
	s_mov_b32 s4, 0x3f2aaaab
	v_cmp_gt_f32_e64 s[4:5], s4, v42
	s_mov_b32 s33, 0x7f800000
	v_subbrev_co_u32_e64 v38, s[4:5], 0, v38, s[4:5]
	v_sub_u32_e32 v42, 0, v38
	v_ldexp_f32 v41, v41, v42
	v_ldexp_f32 v39, v39, v42
	v_add_f32_e32 v42, -1.0, v41
	v_add_f32_e32 v45, 1.0, v41
	v_add_f32_e32 v43, 1.0, v42
	v_add_f32_e32 v46, -1.0, v45
	v_sub_f32_e32 v43, v41, v43
	v_sub_f32_e32 v41, v41, v46
	v_add_f32_e32 v43, v39, v43
	v_add_f32_e32 v39, v39, v41
	;; [unrolled: 1-line block ×3, first 2 shown]
	v_rcp_f32_e32 v46, v41
	v_add_f32_e32 v44, v42, v43
	v_sub_f32_e32 v42, v42, v44
	v_add_f32_e32 v42, v43, v42
	v_sub_f32_e32 v43, v45, v41
	v_add_f32_e32 v39, v39, v43
	v_mul_f32_e32 v43, v44, v46
	v_mul_f32_e32 v45, v41, v43
	v_fma_f32 v47, v43, v41, -v45
	v_fmac_f32_e32 v47, v43, v39
	v_add_f32_e32 v48, v45, v47
	v_sub_f32_e32 v49, v44, v48
	v_sub_f32_e32 v44, v44, v49
	;; [unrolled: 1-line block ×4, first 2 shown]
	v_add_f32_e32 v42, v42, v44
	v_sub_f32_e32 v44, v45, v47
	v_add_f32_e32 v42, v44, v42
	v_add_f32_e32 v44, v49, v42
	v_mul_f32_e32 v45, v46, v44
	v_mul_f32_e32 v47, v41, v45
	v_fma_f32 v41, v45, v41, -v47
	v_fmac_f32_e32 v41, v45, v39
	v_sub_f32_e32 v39, v49, v44
	v_add_f32_e32 v39, v42, v39
	v_add_f32_e32 v42, v47, v41
	v_sub_f32_e32 v48, v44, v42
	v_sub_f32_e32 v44, v44, v48
	;; [unrolled: 1-line block ×4, first 2 shown]
	v_add_f32_e32 v39, v39, v42
	v_sub_f32_e32 v41, v47, v41
	v_add_f32_e32 v39, v41, v39
	v_add_f32_e32 v41, v43, v45
	;; [unrolled: 1-line block ×3, first 2 shown]
	v_sub_f32_e32 v42, v41, v43
	v_mul_f32_e32 v39, v46, v39
	v_sub_f32_e32 v42, v45, v42
	v_add_f32_e32 v39, v42, v39
	v_cvt_f32_i32_e32 v38, v38
	v_add_f32_e32 v42, v41, v39
	v_mul_f32_e32 v43, v42, v42
	v_mov_b32_e32 v44, 0x3ecc95a3
	v_fmac_f32_e32 v44, 0x3e9b6dac, v43
	v_mov_b32_e32 v45, 0x3f2aaada
	v_fmac_f32_e32 v45, v43, v44
	s_mov_b32 s4, 0x3f317218
	v_mul_f32_e32 v44, 0x3f317218, v38
	v_fma_f32 v46, v38, s4, -v44
	v_fmac_f32_e32 v46, 0xb102e308, v38
	v_sub_f32_e32 v38, v42, v41
	v_sub_f32_e32 v38, v39, v38
	v_add_f32_e32 v39, v44, v46
	v_sub_f32_e32 v41, v39, v44
	v_ldexp_f32 v44, v42, 1
	v_mul_f32_e32 v42, v42, v43
	v_mul_f32_e32 v42, v42, v45
	v_add_f32_e32 v43, v44, v42
	v_sub_f32_e32 v44, v43, v44
	v_ldexp_f32 v38, v38, 1
	v_sub_f32_e32 v42, v42, v44
	v_add_f32_e32 v38, v38, v42
	v_add_f32_e32 v42, v43, v38
	v_sub_f32_e32 v43, v42, v43
	v_sub_f32_e32 v38, v38, v43
	v_add_f32_e32 v43, v39, v42
	v_sub_f32_e32 v44, v43, v39
	v_sub_f32_e32 v45, v43, v44
	;; [unrolled: 1-line block ×5, first 2 shown]
	v_add_f32_e32 v39, v42, v39
	v_add_f32_e32 v42, v41, v38
	v_sub_f32_e32 v44, v42, v41
	v_sub_f32_e32 v45, v42, v44
	;; [unrolled: 1-line block ×4, first 2 shown]
	v_add_f32_e32 v39, v42, v39
	v_add_f32_e32 v38, v38, v41
	;; [unrolled: 1-line block ×3, first 2 shown]
	v_sub_f32_e32 v42, v41, v43
	v_sub_f32_e32 v39, v39, v42
	v_add_f32_e32 v38, v38, v39
	v_add_f32_e32 v38, v41, v38
	v_cmp_neq_f32_e64 s[4:5], s33, v36
	v_cndmask_b32_e64 v38, v40, v38, s[4:5]
	s_mov_b32 s4, 0x33800000
	v_cmp_lt_f32_e64 s[4:5], |v36|, s4
	v_cndmask_b32_e64 v36, v38, v36, s[4:5]
	v_add_f32_e32 v38, v34, v36
.LBB128_61:
	s_or_b64 exec, exec, s[62:63]
	v_mov_b32_e32 v36, v38
.LBB128_62:
	s_or_b64 exec, exec, s[66:67]
	v_mul_u32_u24_e32 v34, 56, v0
	v_mov_b32_dpp v38, v36 row_shr:2 row_mask:0xf bank_mask:0xf
	v_cmp_lt_u32_e64 s[4:5], 1, v37
	s_and_saveexec_b64 s[66:67], s[4:5]
	s_cbranch_execz .LBB128_66
; %bb.63:
	v_max_f32_e32 v40, v36, v36
	v_max_f32_e32 v41, v38, v38
	v_min_f32_e32 v39, v41, v40
	v_cmp_u_f32_e64 s[4:5], v38, v38
	v_max_f32_e32 v40, v41, v40
	v_cndmask_b32_e64 v39, v39, v38, s[4:5]
	v_cmp_u_f32_e64 s[62:63], v36, v36
	v_cndmask_b32_e64 v40, v40, v38, s[4:5]
	v_cndmask_b32_e64 v39, v39, v36, s[62:63]
	;; [unrolled: 1-line block ×3, first 2 shown]
	s_movk_i32 s33, 0x1f8
	v_cmp_neq_f32_e64 s[4:5], v39, v36
	v_cmp_class_f32_e64 s[62:63], v39, s33
	s_or_b64 s[4:5], s[4:5], s[62:63]
	s_and_saveexec_b64 s[62:63], s[4:5]
	s_cbranch_execz .LBB128_65
; %bb.64:
	v_sub_f32_e32 v38, v39, v36
	s_mov_b32 s4, 0x3fb8aa3b
	v_mul_f32_e32 v39, 0x3fb8aa3b, v38
	v_fma_f32 v40, v38, s4, -v39
	v_rndne_f32_e32 v41, v39
	v_fmac_f32_e32 v40, 0x32a5705f, v38
	v_sub_f32_e32 v39, v39, v41
	v_add_f32_e32 v39, v39, v40
	v_exp_f32_e32 v39, v39
	v_cvt_i32_f32_e32 v40, v41
	s_mov_b32 s4, 0xc2ce8ed0
	v_cmp_ngt_f32_e64 s[4:5], s4, v38
	s_mov_b32 s33, 0x7f800000
	v_ldexp_f32 v39, v39, v40
	v_cndmask_b32_e64 v39, 0, v39, s[4:5]
	s_mov_b32 s4, 0x42b17218
	v_mov_b32_e32 v40, 0x7f800000
	v_cmp_nlt_f32_e64 s[4:5], s4, v38
	v_cndmask_b32_e64 v41, v40, v39, s[4:5]
	v_add_f32_e32 v42, 1.0, v41
	v_cvt_f64_f32_e32 v[38:39], v42
	v_add_f32_e32 v43, -1.0, v42
	v_sub_f32_e32 v44, v43, v42
	v_sub_f32_e32 v43, v41, v43
	v_frexp_exp_i32_f64_e32 v38, v[38:39]
	v_add_f32_e32 v39, 1.0, v44
	v_add_f32_e32 v39, v43, v39
	v_frexp_mant_f32_e32 v43, v42
	s_mov_b32 s4, 0x3f2aaaab
	v_cmp_gt_f32_e64 s[4:5], s4, v43
	v_subbrev_co_u32_e64 v38, s[4:5], 0, v38, s[4:5]
	v_sub_u32_e32 v43, 0, v38
	v_ldexp_f32 v42, v42, v43
	v_ldexp_f32 v39, v39, v43
	v_add_f32_e32 v43, -1.0, v42
	v_add_f32_e32 v46, 1.0, v42
	v_add_f32_e32 v44, 1.0, v43
	v_add_f32_e32 v47, -1.0, v46
	v_sub_f32_e32 v44, v42, v44
	v_sub_f32_e32 v42, v42, v47
	v_add_f32_e32 v44, v39, v44
	v_add_f32_e32 v39, v39, v42
	;; [unrolled: 1-line block ×3, first 2 shown]
	v_rcp_f32_e32 v47, v42
	v_add_f32_e32 v45, v43, v44
	v_sub_f32_e32 v43, v43, v45
	v_add_f32_e32 v43, v44, v43
	v_sub_f32_e32 v44, v46, v42
	v_add_f32_e32 v39, v39, v44
	v_mul_f32_e32 v44, v45, v47
	v_mul_f32_e32 v46, v42, v44
	v_fma_f32 v48, v44, v42, -v46
	v_fmac_f32_e32 v48, v44, v39
	v_add_f32_e32 v49, v46, v48
	v_sub_f32_e32 v50, v45, v49
	v_sub_f32_e32 v45, v45, v50
	;; [unrolled: 1-line block ×4, first 2 shown]
	v_add_f32_e32 v43, v43, v45
	v_sub_f32_e32 v45, v46, v48
	v_add_f32_e32 v43, v45, v43
	v_add_f32_e32 v45, v50, v43
	v_mul_f32_e32 v46, v47, v45
	v_mul_f32_e32 v48, v42, v46
	v_fma_f32 v42, v46, v42, -v48
	v_fmac_f32_e32 v42, v46, v39
	v_sub_f32_e32 v39, v50, v45
	v_add_f32_e32 v39, v43, v39
	v_add_f32_e32 v43, v48, v42
	v_sub_f32_e32 v49, v45, v43
	v_sub_f32_e32 v45, v45, v49
	;; [unrolled: 1-line block ×4, first 2 shown]
	v_add_f32_e32 v39, v39, v43
	v_sub_f32_e32 v42, v48, v42
	v_add_f32_e32 v39, v42, v39
	v_add_f32_e32 v42, v44, v46
	;; [unrolled: 1-line block ×3, first 2 shown]
	v_sub_f32_e32 v43, v42, v44
	v_mul_f32_e32 v39, v47, v39
	v_sub_f32_e32 v43, v46, v43
	v_add_f32_e32 v39, v43, v39
	v_cvt_f32_i32_e32 v38, v38
	v_add_f32_e32 v43, v42, v39
	v_mul_f32_e32 v44, v43, v43
	v_mov_b32_e32 v45, 0x3ecc95a3
	v_fmac_f32_e32 v45, 0x3e9b6dac, v44
	v_mov_b32_e32 v46, 0x3f2aaada
	v_fmac_f32_e32 v46, v44, v45
	s_mov_b32 s4, 0x3f317218
	v_mul_f32_e32 v45, 0x3f317218, v38
	v_fma_f32 v47, v38, s4, -v45
	v_fmac_f32_e32 v47, 0xb102e308, v38
	v_sub_f32_e32 v38, v43, v42
	v_sub_f32_e32 v38, v39, v38
	v_add_f32_e32 v39, v45, v47
	v_sub_f32_e32 v42, v39, v45
	v_ldexp_f32 v45, v43, 1
	v_mul_f32_e32 v43, v43, v44
	v_mul_f32_e32 v43, v43, v46
	v_add_f32_e32 v44, v45, v43
	v_sub_f32_e32 v45, v44, v45
	v_ldexp_f32 v38, v38, 1
	v_sub_f32_e32 v43, v43, v45
	v_add_f32_e32 v38, v38, v43
	v_add_f32_e32 v43, v44, v38
	v_sub_f32_e32 v44, v43, v44
	v_sub_f32_e32 v38, v38, v44
	v_add_f32_e32 v44, v39, v43
	v_sub_f32_e32 v45, v44, v39
	v_sub_f32_e32 v46, v44, v45
	;; [unrolled: 1-line block ×5, first 2 shown]
	v_add_f32_e32 v39, v43, v39
	v_add_f32_e32 v43, v42, v38
	v_sub_f32_e32 v45, v43, v42
	v_sub_f32_e32 v46, v43, v45
	v_sub_f32_e32 v42, v42, v46
	v_sub_f32_e32 v38, v38, v45
	v_add_f32_e32 v39, v43, v39
	v_add_f32_e32 v38, v38, v42
	;; [unrolled: 1-line block ×3, first 2 shown]
	v_sub_f32_e32 v43, v42, v44
	v_sub_f32_e32 v39, v39, v43
	v_add_f32_e32 v38, v38, v39
	v_add_f32_e32 v38, v42, v38
	v_cmp_neq_f32_e64 s[4:5], s33, v41
	v_cndmask_b32_e64 v38, v40, v38, s[4:5]
	s_mov_b32 s4, 0x33800000
	v_cmp_lt_f32_e64 s[4:5], |v41|, s4
	v_cndmask_b32_e64 v38, v38, v41, s[4:5]
	v_add_f32_e32 v38, v36, v38
.LBB128_65:
	s_or_b64 exec, exec, s[62:63]
	v_mov_b32_e32 v36, v38
.LBB128_66:
	s_or_b64 exec, exec, s[66:67]
	s_nop 0
	v_mov_b32_dpp v38, v36 row_shr:4 row_mask:0xf bank_mask:0xf
	v_cmp_lt_u32_e64 s[4:5], 3, v37
	s_and_saveexec_b64 s[66:67], s[4:5]
	s_cbranch_execz .LBB128_70
; %bb.67:
	v_max_f32_e32 v40, v36, v36
	v_max_f32_e32 v41, v38, v38
	v_min_f32_e32 v39, v41, v40
	v_cmp_u_f32_e64 s[4:5], v38, v38
	v_max_f32_e32 v40, v41, v40
	v_cndmask_b32_e64 v39, v39, v38, s[4:5]
	v_cmp_u_f32_e64 s[62:63], v36, v36
	v_cndmask_b32_e64 v40, v40, v38, s[4:5]
	v_cndmask_b32_e64 v39, v39, v36, s[62:63]
	;; [unrolled: 1-line block ×3, first 2 shown]
	s_movk_i32 s33, 0x1f8
	v_cmp_neq_f32_e64 s[4:5], v39, v36
	v_cmp_class_f32_e64 s[62:63], v39, s33
	s_or_b64 s[4:5], s[4:5], s[62:63]
	s_and_saveexec_b64 s[62:63], s[4:5]
	s_cbranch_execz .LBB128_69
; %bb.68:
	v_sub_f32_e32 v38, v39, v36
	s_mov_b32 s4, 0x3fb8aa3b
	v_mul_f32_e32 v39, 0x3fb8aa3b, v38
	v_fma_f32 v40, v38, s4, -v39
	v_rndne_f32_e32 v41, v39
	v_fmac_f32_e32 v40, 0x32a5705f, v38
	v_sub_f32_e32 v39, v39, v41
	v_add_f32_e32 v39, v39, v40
	v_exp_f32_e32 v39, v39
	v_cvt_i32_f32_e32 v40, v41
	s_mov_b32 s4, 0xc2ce8ed0
	v_cmp_ngt_f32_e64 s[4:5], s4, v38
	s_mov_b32 s33, 0x7f800000
	v_ldexp_f32 v39, v39, v40
	v_cndmask_b32_e64 v39, 0, v39, s[4:5]
	s_mov_b32 s4, 0x42b17218
	v_mov_b32_e32 v40, 0x7f800000
	v_cmp_nlt_f32_e64 s[4:5], s4, v38
	v_cndmask_b32_e64 v41, v40, v39, s[4:5]
	v_add_f32_e32 v42, 1.0, v41
	v_cvt_f64_f32_e32 v[38:39], v42
	v_add_f32_e32 v43, -1.0, v42
	v_sub_f32_e32 v44, v43, v42
	v_sub_f32_e32 v43, v41, v43
	v_frexp_exp_i32_f64_e32 v38, v[38:39]
	v_add_f32_e32 v39, 1.0, v44
	v_add_f32_e32 v39, v43, v39
	v_frexp_mant_f32_e32 v43, v42
	s_mov_b32 s4, 0x3f2aaaab
	v_cmp_gt_f32_e64 s[4:5], s4, v43
	v_subbrev_co_u32_e64 v38, s[4:5], 0, v38, s[4:5]
	v_sub_u32_e32 v43, 0, v38
	v_ldexp_f32 v42, v42, v43
	v_ldexp_f32 v39, v39, v43
	v_add_f32_e32 v43, -1.0, v42
	v_add_f32_e32 v46, 1.0, v42
	v_add_f32_e32 v44, 1.0, v43
	v_add_f32_e32 v47, -1.0, v46
	v_sub_f32_e32 v44, v42, v44
	v_sub_f32_e32 v42, v42, v47
	v_add_f32_e32 v44, v39, v44
	v_add_f32_e32 v39, v39, v42
	;; [unrolled: 1-line block ×3, first 2 shown]
	v_rcp_f32_e32 v47, v42
	v_add_f32_e32 v45, v43, v44
	v_sub_f32_e32 v43, v43, v45
	v_add_f32_e32 v43, v44, v43
	v_sub_f32_e32 v44, v46, v42
	v_add_f32_e32 v39, v39, v44
	v_mul_f32_e32 v44, v45, v47
	v_mul_f32_e32 v46, v42, v44
	v_fma_f32 v48, v44, v42, -v46
	v_fmac_f32_e32 v48, v44, v39
	v_add_f32_e32 v49, v46, v48
	v_sub_f32_e32 v50, v45, v49
	v_sub_f32_e32 v45, v45, v50
	;; [unrolled: 1-line block ×4, first 2 shown]
	v_add_f32_e32 v43, v43, v45
	v_sub_f32_e32 v45, v46, v48
	v_add_f32_e32 v43, v45, v43
	v_add_f32_e32 v45, v50, v43
	v_mul_f32_e32 v46, v47, v45
	v_mul_f32_e32 v48, v42, v46
	v_fma_f32 v42, v46, v42, -v48
	v_fmac_f32_e32 v42, v46, v39
	v_sub_f32_e32 v39, v50, v45
	v_add_f32_e32 v39, v43, v39
	v_add_f32_e32 v43, v48, v42
	v_sub_f32_e32 v49, v45, v43
	v_sub_f32_e32 v45, v45, v49
	;; [unrolled: 1-line block ×4, first 2 shown]
	v_add_f32_e32 v39, v39, v43
	v_sub_f32_e32 v42, v48, v42
	v_add_f32_e32 v39, v42, v39
	v_add_f32_e32 v42, v44, v46
	;; [unrolled: 1-line block ×3, first 2 shown]
	v_sub_f32_e32 v43, v42, v44
	v_mul_f32_e32 v39, v47, v39
	v_sub_f32_e32 v43, v46, v43
	v_add_f32_e32 v39, v43, v39
	v_cvt_f32_i32_e32 v38, v38
	v_add_f32_e32 v43, v42, v39
	v_mul_f32_e32 v44, v43, v43
	v_mov_b32_e32 v45, 0x3ecc95a3
	v_fmac_f32_e32 v45, 0x3e9b6dac, v44
	v_mov_b32_e32 v46, 0x3f2aaada
	v_fmac_f32_e32 v46, v44, v45
	s_mov_b32 s4, 0x3f317218
	v_mul_f32_e32 v45, 0x3f317218, v38
	v_fma_f32 v47, v38, s4, -v45
	v_fmac_f32_e32 v47, 0xb102e308, v38
	v_sub_f32_e32 v38, v43, v42
	v_sub_f32_e32 v38, v39, v38
	v_add_f32_e32 v39, v45, v47
	v_sub_f32_e32 v42, v39, v45
	v_ldexp_f32 v45, v43, 1
	v_mul_f32_e32 v43, v43, v44
	v_mul_f32_e32 v43, v43, v46
	v_add_f32_e32 v44, v45, v43
	v_sub_f32_e32 v45, v44, v45
	v_ldexp_f32 v38, v38, 1
	v_sub_f32_e32 v43, v43, v45
	v_add_f32_e32 v38, v38, v43
	v_add_f32_e32 v43, v44, v38
	v_sub_f32_e32 v44, v43, v44
	v_sub_f32_e32 v38, v38, v44
	v_add_f32_e32 v44, v39, v43
	v_sub_f32_e32 v45, v44, v39
	v_sub_f32_e32 v46, v44, v45
	v_sub_f32_e32 v42, v47, v42
	v_sub_f32_e32 v39, v39, v46
	v_sub_f32_e32 v43, v43, v45
	v_add_f32_e32 v39, v43, v39
	v_add_f32_e32 v43, v42, v38
	v_sub_f32_e32 v45, v43, v42
	v_sub_f32_e32 v46, v43, v45
	;; [unrolled: 1-line block ×4, first 2 shown]
	v_add_f32_e32 v39, v43, v39
	v_add_f32_e32 v38, v38, v42
	;; [unrolled: 1-line block ×3, first 2 shown]
	v_sub_f32_e32 v43, v42, v44
	v_sub_f32_e32 v39, v39, v43
	v_add_f32_e32 v38, v38, v39
	v_add_f32_e32 v38, v42, v38
	v_cmp_neq_f32_e64 s[4:5], s33, v41
	v_cndmask_b32_e64 v38, v40, v38, s[4:5]
	s_mov_b32 s4, 0x33800000
	v_cmp_lt_f32_e64 s[4:5], |v41|, s4
	v_cndmask_b32_e64 v38, v38, v41, s[4:5]
	v_add_f32_e32 v38, v36, v38
.LBB128_69:
	s_or_b64 exec, exec, s[62:63]
	v_mov_b32_e32 v36, v38
.LBB128_70:
	s_or_b64 exec, exec, s[66:67]
	s_nop 0
	v_mov_b32_dpp v38, v36 row_shr:8 row_mask:0xf bank_mask:0xf
	v_cmp_lt_u32_e64 s[4:5], 7, v37
	s_and_saveexec_b64 s[66:67], s[4:5]
	s_cbranch_execz .LBB128_74
; %bb.71:
	v_max_f32_e32 v39, v36, v36
	v_max_f32_e32 v40, v38, v38
	v_min_f32_e32 v37, v40, v39
	v_cmp_u_f32_e64 s[4:5], v38, v38
	v_max_f32_e32 v39, v40, v39
	v_cndmask_b32_e64 v37, v37, v38, s[4:5]
	v_cmp_u_f32_e64 s[62:63], v36, v36
	v_cndmask_b32_e64 v39, v39, v38, s[4:5]
	v_cndmask_b32_e64 v37, v37, v36, s[62:63]
	;; [unrolled: 1-line block ×3, first 2 shown]
	s_movk_i32 s33, 0x1f8
	v_cmp_neq_f32_e64 s[4:5], v37, v36
	v_cmp_class_f32_e64 s[62:63], v37, s33
	s_or_b64 s[4:5], s[4:5], s[62:63]
	s_and_saveexec_b64 s[62:63], s[4:5]
	s_cbranch_execz .LBB128_73
; %bb.72:
	v_sub_f32_e32 v37, v37, v36
	s_mov_b32 s4, 0x3fb8aa3b
	v_mul_f32_e32 v38, 0x3fb8aa3b, v37
	v_fma_f32 v39, v37, s4, -v38
	v_rndne_f32_e32 v40, v38
	v_fmac_f32_e32 v39, 0x32a5705f, v37
	v_sub_f32_e32 v38, v38, v40
	v_add_f32_e32 v38, v38, v39
	v_exp_f32_e32 v38, v38
	v_cvt_i32_f32_e32 v39, v40
	s_mov_b32 s4, 0xc2ce8ed0
	v_cmp_ngt_f32_e64 s[4:5], s4, v37
	s_mov_b32 s33, 0x7f800000
	v_ldexp_f32 v38, v38, v39
	v_cndmask_b32_e64 v38, 0, v38, s[4:5]
	s_mov_b32 s4, 0x42b17218
	v_mov_b32_e32 v39, 0x7f800000
	v_cmp_nlt_f32_e64 s[4:5], s4, v37
	v_cndmask_b32_e64 v40, v39, v38, s[4:5]
	v_add_f32_e32 v41, 1.0, v40
	v_cvt_f64_f32_e32 v[37:38], v41
	v_add_f32_e32 v42, -1.0, v41
	v_sub_f32_e32 v43, v42, v41
	v_sub_f32_e32 v42, v40, v42
	v_frexp_exp_i32_f64_e32 v37, v[37:38]
	v_add_f32_e32 v38, 1.0, v43
	v_add_f32_e32 v38, v42, v38
	v_frexp_mant_f32_e32 v42, v41
	s_mov_b32 s4, 0x3f2aaaab
	v_cmp_gt_f32_e64 s[4:5], s4, v42
	v_subbrev_co_u32_e64 v37, s[4:5], 0, v37, s[4:5]
	v_sub_u32_e32 v42, 0, v37
	v_ldexp_f32 v41, v41, v42
	v_ldexp_f32 v38, v38, v42
	v_add_f32_e32 v42, -1.0, v41
	v_add_f32_e32 v45, 1.0, v41
	v_add_f32_e32 v43, 1.0, v42
	v_add_f32_e32 v46, -1.0, v45
	v_sub_f32_e32 v43, v41, v43
	v_sub_f32_e32 v41, v41, v46
	v_add_f32_e32 v43, v38, v43
	v_add_f32_e32 v38, v38, v41
	;; [unrolled: 1-line block ×3, first 2 shown]
	v_rcp_f32_e32 v46, v41
	v_add_f32_e32 v44, v42, v43
	v_sub_f32_e32 v42, v42, v44
	v_add_f32_e32 v42, v43, v42
	v_sub_f32_e32 v43, v45, v41
	v_add_f32_e32 v38, v38, v43
	v_mul_f32_e32 v43, v44, v46
	v_mul_f32_e32 v45, v41, v43
	v_fma_f32 v47, v43, v41, -v45
	v_fmac_f32_e32 v47, v43, v38
	v_add_f32_e32 v48, v45, v47
	v_sub_f32_e32 v49, v44, v48
	v_sub_f32_e32 v44, v44, v49
	;; [unrolled: 1-line block ×4, first 2 shown]
	v_add_f32_e32 v42, v42, v44
	v_sub_f32_e32 v44, v45, v47
	v_add_f32_e32 v42, v44, v42
	v_add_f32_e32 v44, v49, v42
	v_mul_f32_e32 v45, v46, v44
	v_mul_f32_e32 v47, v41, v45
	v_fma_f32 v41, v45, v41, -v47
	v_fmac_f32_e32 v41, v45, v38
	v_sub_f32_e32 v38, v49, v44
	v_add_f32_e32 v38, v42, v38
	v_add_f32_e32 v42, v47, v41
	v_sub_f32_e32 v48, v44, v42
	v_sub_f32_e32 v44, v44, v48
	;; [unrolled: 1-line block ×4, first 2 shown]
	v_add_f32_e32 v38, v38, v42
	v_sub_f32_e32 v41, v47, v41
	v_add_f32_e32 v38, v41, v38
	v_add_f32_e32 v41, v43, v45
	;; [unrolled: 1-line block ×3, first 2 shown]
	v_sub_f32_e32 v42, v41, v43
	v_mul_f32_e32 v38, v46, v38
	v_sub_f32_e32 v42, v45, v42
	v_add_f32_e32 v38, v42, v38
	v_cvt_f32_i32_e32 v37, v37
	v_add_f32_e32 v42, v41, v38
	v_mul_f32_e32 v43, v42, v42
	v_mov_b32_e32 v44, 0x3ecc95a3
	v_fmac_f32_e32 v44, 0x3e9b6dac, v43
	v_mov_b32_e32 v45, 0x3f2aaada
	v_fmac_f32_e32 v45, v43, v44
	s_mov_b32 s4, 0x3f317218
	v_mul_f32_e32 v44, 0x3f317218, v37
	v_fma_f32 v46, v37, s4, -v44
	v_fmac_f32_e32 v46, 0xb102e308, v37
	v_sub_f32_e32 v37, v42, v41
	v_sub_f32_e32 v37, v38, v37
	v_add_f32_e32 v38, v44, v46
	v_sub_f32_e32 v41, v38, v44
	v_ldexp_f32 v44, v42, 1
	v_mul_f32_e32 v42, v42, v43
	v_mul_f32_e32 v42, v42, v45
	v_add_f32_e32 v43, v44, v42
	v_sub_f32_e32 v44, v43, v44
	v_ldexp_f32 v37, v37, 1
	v_sub_f32_e32 v42, v42, v44
	v_add_f32_e32 v37, v37, v42
	v_add_f32_e32 v42, v43, v37
	v_sub_f32_e32 v43, v42, v43
	v_sub_f32_e32 v37, v37, v43
	v_add_f32_e32 v43, v38, v42
	v_sub_f32_e32 v44, v43, v38
	v_sub_f32_e32 v45, v43, v44
	;; [unrolled: 1-line block ×5, first 2 shown]
	v_add_f32_e32 v38, v42, v38
	v_add_f32_e32 v42, v41, v37
	v_sub_f32_e32 v44, v42, v41
	v_sub_f32_e32 v45, v42, v44
	;; [unrolled: 1-line block ×4, first 2 shown]
	v_add_f32_e32 v38, v42, v38
	v_add_f32_e32 v37, v37, v41
	;; [unrolled: 1-line block ×3, first 2 shown]
	v_sub_f32_e32 v42, v41, v43
	v_sub_f32_e32 v38, v38, v42
	v_add_f32_e32 v37, v37, v38
	v_add_f32_e32 v37, v41, v37
	v_cmp_neq_f32_e64 s[4:5], s33, v40
	v_cndmask_b32_e64 v37, v39, v37, s[4:5]
	s_mov_b32 s4, 0x33800000
	v_cmp_lt_f32_e64 s[4:5], |v40|, s4
	v_cndmask_b32_e64 v37, v37, v40, s[4:5]
	v_add_f32_e32 v38, v36, v37
.LBB128_73:
	s_or_b64 exec, exec, s[62:63]
	v_mov_b32_e32 v36, v38
.LBB128_74:
	s_or_b64 exec, exec, s[66:67]
	v_and_b32_e32 v38, 16, v35
	v_mov_b32_dpp v37, v36 row_bcast:15 row_mask:0xf bank_mask:0xf
	v_cmp_ne_u32_e64 s[4:5], 0, v38
	s_and_saveexec_b64 s[66:67], s[4:5]
	s_cbranch_execz .LBB128_78
; %bb.75:
	v_max_f32_e32 v39, v36, v36
	v_max_f32_e32 v40, v37, v37
	v_min_f32_e32 v38, v40, v39
	v_cmp_u_f32_e64 s[4:5], v37, v37
	v_max_f32_e32 v39, v40, v39
	v_cndmask_b32_e64 v38, v38, v37, s[4:5]
	v_cmp_u_f32_e64 s[62:63], v36, v36
	v_cndmask_b32_e64 v39, v39, v37, s[4:5]
	v_cndmask_b32_e64 v38, v38, v36, s[62:63]
	;; [unrolled: 1-line block ×3, first 2 shown]
	s_movk_i32 s33, 0x1f8
	v_cmp_neq_f32_e64 s[4:5], v38, v36
	v_cmp_class_f32_e64 s[62:63], v38, s33
	s_or_b64 s[4:5], s[4:5], s[62:63]
	s_and_saveexec_b64 s[62:63], s[4:5]
	s_cbranch_execz .LBB128_77
; %bb.76:
	v_sub_f32_e32 v37, v38, v36
	s_mov_b32 s4, 0x3fb8aa3b
	v_mul_f32_e32 v38, 0x3fb8aa3b, v37
	v_fma_f32 v39, v37, s4, -v38
	v_rndne_f32_e32 v40, v38
	v_fmac_f32_e32 v39, 0x32a5705f, v37
	v_sub_f32_e32 v38, v38, v40
	v_add_f32_e32 v38, v38, v39
	v_exp_f32_e32 v38, v38
	v_cvt_i32_f32_e32 v39, v40
	s_mov_b32 s4, 0xc2ce8ed0
	v_cmp_ngt_f32_e64 s[4:5], s4, v37
	s_mov_b32 s33, 0x7f800000
	v_ldexp_f32 v38, v38, v39
	v_cndmask_b32_e64 v38, 0, v38, s[4:5]
	s_mov_b32 s4, 0x42b17218
	v_mov_b32_e32 v39, 0x7f800000
	v_cmp_nlt_f32_e64 s[4:5], s4, v37
	v_cndmask_b32_e64 v40, v39, v38, s[4:5]
	v_add_f32_e32 v41, 1.0, v40
	v_cvt_f64_f32_e32 v[37:38], v41
	v_add_f32_e32 v42, -1.0, v41
	v_sub_f32_e32 v43, v42, v41
	v_sub_f32_e32 v42, v40, v42
	v_frexp_exp_i32_f64_e32 v37, v[37:38]
	v_add_f32_e32 v38, 1.0, v43
	v_add_f32_e32 v38, v42, v38
	v_frexp_mant_f32_e32 v42, v41
	s_mov_b32 s4, 0x3f2aaaab
	v_cmp_gt_f32_e64 s[4:5], s4, v42
	v_subbrev_co_u32_e64 v37, s[4:5], 0, v37, s[4:5]
	v_sub_u32_e32 v42, 0, v37
	v_ldexp_f32 v41, v41, v42
	v_ldexp_f32 v38, v38, v42
	v_add_f32_e32 v42, -1.0, v41
	v_add_f32_e32 v45, 1.0, v41
	v_add_f32_e32 v43, 1.0, v42
	v_add_f32_e32 v46, -1.0, v45
	v_sub_f32_e32 v43, v41, v43
	v_sub_f32_e32 v41, v41, v46
	v_add_f32_e32 v43, v38, v43
	v_add_f32_e32 v38, v38, v41
	;; [unrolled: 1-line block ×3, first 2 shown]
	v_rcp_f32_e32 v46, v41
	v_add_f32_e32 v44, v42, v43
	v_sub_f32_e32 v42, v42, v44
	v_add_f32_e32 v42, v43, v42
	v_sub_f32_e32 v43, v45, v41
	v_add_f32_e32 v38, v38, v43
	v_mul_f32_e32 v43, v44, v46
	v_mul_f32_e32 v45, v41, v43
	v_fma_f32 v47, v43, v41, -v45
	v_fmac_f32_e32 v47, v43, v38
	v_add_f32_e32 v48, v45, v47
	v_sub_f32_e32 v49, v44, v48
	v_sub_f32_e32 v44, v44, v49
	;; [unrolled: 1-line block ×4, first 2 shown]
	v_add_f32_e32 v42, v42, v44
	v_sub_f32_e32 v44, v45, v47
	v_add_f32_e32 v42, v44, v42
	v_add_f32_e32 v44, v49, v42
	v_mul_f32_e32 v45, v46, v44
	v_mul_f32_e32 v47, v41, v45
	v_fma_f32 v41, v45, v41, -v47
	v_fmac_f32_e32 v41, v45, v38
	v_sub_f32_e32 v38, v49, v44
	v_add_f32_e32 v38, v42, v38
	v_add_f32_e32 v42, v47, v41
	v_sub_f32_e32 v48, v44, v42
	v_sub_f32_e32 v44, v44, v48
	v_sub_f32_e32 v47, v42, v47
	v_sub_f32_e32 v42, v44, v42
	v_add_f32_e32 v38, v38, v42
	v_sub_f32_e32 v41, v47, v41
	v_add_f32_e32 v38, v41, v38
	v_add_f32_e32 v41, v43, v45
	;; [unrolled: 1-line block ×3, first 2 shown]
	v_sub_f32_e32 v42, v41, v43
	v_mul_f32_e32 v38, v46, v38
	v_sub_f32_e32 v42, v45, v42
	v_add_f32_e32 v38, v42, v38
	v_cvt_f32_i32_e32 v37, v37
	v_add_f32_e32 v42, v41, v38
	v_mul_f32_e32 v43, v42, v42
	v_mov_b32_e32 v44, 0x3ecc95a3
	v_fmac_f32_e32 v44, 0x3e9b6dac, v43
	v_mov_b32_e32 v45, 0x3f2aaada
	v_fmac_f32_e32 v45, v43, v44
	s_mov_b32 s4, 0x3f317218
	v_mul_f32_e32 v44, 0x3f317218, v37
	v_fma_f32 v46, v37, s4, -v44
	v_fmac_f32_e32 v46, 0xb102e308, v37
	v_sub_f32_e32 v37, v42, v41
	v_sub_f32_e32 v37, v38, v37
	v_add_f32_e32 v38, v44, v46
	v_sub_f32_e32 v41, v38, v44
	v_ldexp_f32 v44, v42, 1
	v_mul_f32_e32 v42, v42, v43
	v_mul_f32_e32 v42, v42, v45
	v_add_f32_e32 v43, v44, v42
	v_sub_f32_e32 v44, v43, v44
	v_ldexp_f32 v37, v37, 1
	v_sub_f32_e32 v42, v42, v44
	v_add_f32_e32 v37, v37, v42
	v_add_f32_e32 v42, v43, v37
	v_sub_f32_e32 v43, v42, v43
	v_sub_f32_e32 v37, v37, v43
	v_add_f32_e32 v43, v38, v42
	v_sub_f32_e32 v44, v43, v38
	v_sub_f32_e32 v45, v43, v44
	;; [unrolled: 1-line block ×5, first 2 shown]
	v_add_f32_e32 v38, v42, v38
	v_add_f32_e32 v42, v41, v37
	v_sub_f32_e32 v44, v42, v41
	v_sub_f32_e32 v45, v42, v44
	;; [unrolled: 1-line block ×4, first 2 shown]
	v_add_f32_e32 v38, v42, v38
	v_add_f32_e32 v37, v37, v41
	v_add_f32_e32 v41, v43, v38
	v_sub_f32_e32 v42, v41, v43
	v_sub_f32_e32 v38, v38, v42
	v_add_f32_e32 v37, v37, v38
	v_add_f32_e32 v37, v41, v37
	v_cmp_neq_f32_e64 s[4:5], s33, v40
	v_cndmask_b32_e64 v37, v39, v37, s[4:5]
	s_mov_b32 s4, 0x33800000
	v_cmp_lt_f32_e64 s[4:5], |v40|, s4
	v_cndmask_b32_e64 v37, v37, v40, s[4:5]
	v_add_f32_e32 v37, v36, v37
.LBB128_77:
	s_or_b64 exec, exec, s[62:63]
	v_mov_b32_e32 v36, v37
.LBB128_78:
	s_or_b64 exec, exec, s[66:67]
	s_nop 0
	v_mov_b32_dpp v37, v36 row_bcast:31 row_mask:0xf bank_mask:0xf
	v_cmp_lt_u32_e64 s[4:5], 31, v35
	s_and_saveexec_b64 s[66:67], s[4:5]
	s_cbranch_execz .LBB128_82
; %bb.79:
	v_max_f32_e32 v39, v36, v36
	v_max_f32_e32 v40, v37, v37
	v_min_f32_e32 v38, v40, v39
	v_cmp_u_f32_e64 s[4:5], v37, v37
	v_max_f32_e32 v39, v40, v39
	v_cndmask_b32_e64 v38, v38, v37, s[4:5]
	v_cmp_u_f32_e64 s[62:63], v36, v36
	v_cndmask_b32_e64 v39, v39, v37, s[4:5]
	v_cndmask_b32_e64 v38, v38, v36, s[62:63]
	;; [unrolled: 1-line block ×3, first 2 shown]
	s_movk_i32 s33, 0x1f8
	v_cmp_neq_f32_e64 s[4:5], v38, v36
	v_cmp_class_f32_e64 s[62:63], v38, s33
	s_or_b64 s[4:5], s[4:5], s[62:63]
	s_and_saveexec_b64 s[62:63], s[4:5]
	s_cbranch_execz .LBB128_81
; %bb.80:
	v_sub_f32_e32 v37, v38, v36
	s_mov_b32 s4, 0x3fb8aa3b
	v_mul_f32_e32 v38, 0x3fb8aa3b, v37
	v_fma_f32 v39, v37, s4, -v38
	v_rndne_f32_e32 v40, v38
	v_fmac_f32_e32 v39, 0x32a5705f, v37
	v_sub_f32_e32 v38, v38, v40
	v_add_f32_e32 v38, v38, v39
	v_exp_f32_e32 v38, v38
	v_cvt_i32_f32_e32 v39, v40
	s_mov_b32 s4, 0xc2ce8ed0
	v_cmp_ngt_f32_e64 s[4:5], s4, v37
	s_mov_b32 s33, 0x7f800000
	v_ldexp_f32 v38, v38, v39
	v_cndmask_b32_e64 v38, 0, v38, s[4:5]
	s_mov_b32 s4, 0x42b17218
	v_mov_b32_e32 v39, 0x7f800000
	v_cmp_nlt_f32_e64 s[4:5], s4, v37
	v_cndmask_b32_e64 v40, v39, v38, s[4:5]
	v_add_f32_e32 v41, 1.0, v40
	v_cvt_f64_f32_e32 v[37:38], v41
	v_add_f32_e32 v42, -1.0, v41
	v_sub_f32_e32 v43, v42, v41
	v_sub_f32_e32 v42, v40, v42
	v_frexp_exp_i32_f64_e32 v37, v[37:38]
	v_add_f32_e32 v38, 1.0, v43
	v_add_f32_e32 v38, v42, v38
	v_frexp_mant_f32_e32 v42, v41
	s_mov_b32 s4, 0x3f2aaaab
	v_cmp_gt_f32_e64 s[4:5], s4, v42
	v_subbrev_co_u32_e64 v37, s[4:5], 0, v37, s[4:5]
	v_sub_u32_e32 v42, 0, v37
	v_ldexp_f32 v41, v41, v42
	v_ldexp_f32 v38, v38, v42
	v_add_f32_e32 v42, -1.0, v41
	v_add_f32_e32 v45, 1.0, v41
	v_add_f32_e32 v43, 1.0, v42
	v_add_f32_e32 v46, -1.0, v45
	v_sub_f32_e32 v43, v41, v43
	v_sub_f32_e32 v41, v41, v46
	v_add_f32_e32 v43, v38, v43
	v_add_f32_e32 v38, v38, v41
	;; [unrolled: 1-line block ×3, first 2 shown]
	v_rcp_f32_e32 v46, v41
	v_add_f32_e32 v44, v42, v43
	v_sub_f32_e32 v42, v42, v44
	v_add_f32_e32 v42, v43, v42
	v_sub_f32_e32 v43, v45, v41
	v_add_f32_e32 v38, v38, v43
	v_mul_f32_e32 v43, v44, v46
	v_mul_f32_e32 v45, v41, v43
	v_fma_f32 v47, v43, v41, -v45
	v_fmac_f32_e32 v47, v43, v38
	v_add_f32_e32 v48, v45, v47
	v_sub_f32_e32 v49, v44, v48
	v_sub_f32_e32 v44, v44, v49
	;; [unrolled: 1-line block ×4, first 2 shown]
	v_add_f32_e32 v42, v42, v44
	v_sub_f32_e32 v44, v45, v47
	v_add_f32_e32 v42, v44, v42
	v_add_f32_e32 v44, v49, v42
	v_mul_f32_e32 v45, v46, v44
	v_mul_f32_e32 v47, v41, v45
	v_fma_f32 v41, v45, v41, -v47
	v_fmac_f32_e32 v41, v45, v38
	v_sub_f32_e32 v38, v49, v44
	v_add_f32_e32 v38, v42, v38
	v_add_f32_e32 v42, v47, v41
	v_sub_f32_e32 v48, v44, v42
	v_sub_f32_e32 v44, v44, v48
	;; [unrolled: 1-line block ×4, first 2 shown]
	v_add_f32_e32 v38, v38, v42
	v_sub_f32_e32 v41, v47, v41
	v_add_f32_e32 v38, v41, v38
	v_add_f32_e32 v41, v43, v45
	v_add_f32_e32 v38, v48, v38
	v_sub_f32_e32 v42, v41, v43
	v_mul_f32_e32 v38, v46, v38
	v_sub_f32_e32 v42, v45, v42
	v_add_f32_e32 v38, v42, v38
	v_cvt_f32_i32_e32 v37, v37
	v_add_f32_e32 v42, v41, v38
	v_mul_f32_e32 v43, v42, v42
	v_mov_b32_e32 v44, 0x3ecc95a3
	v_fmac_f32_e32 v44, 0x3e9b6dac, v43
	v_mov_b32_e32 v45, 0x3f2aaada
	v_fmac_f32_e32 v45, v43, v44
	s_mov_b32 s4, 0x3f317218
	v_mul_f32_e32 v44, 0x3f317218, v37
	v_fma_f32 v46, v37, s4, -v44
	v_fmac_f32_e32 v46, 0xb102e308, v37
	v_sub_f32_e32 v37, v42, v41
	v_sub_f32_e32 v37, v38, v37
	v_add_f32_e32 v38, v44, v46
	v_sub_f32_e32 v41, v38, v44
	v_ldexp_f32 v44, v42, 1
	v_mul_f32_e32 v42, v42, v43
	v_mul_f32_e32 v42, v42, v45
	v_add_f32_e32 v43, v44, v42
	v_sub_f32_e32 v44, v43, v44
	v_ldexp_f32 v37, v37, 1
	v_sub_f32_e32 v42, v42, v44
	v_add_f32_e32 v37, v37, v42
	v_add_f32_e32 v42, v43, v37
	v_sub_f32_e32 v43, v42, v43
	v_sub_f32_e32 v37, v37, v43
	v_add_f32_e32 v43, v38, v42
	v_sub_f32_e32 v44, v43, v38
	v_sub_f32_e32 v45, v43, v44
	;; [unrolled: 1-line block ×5, first 2 shown]
	v_add_f32_e32 v38, v42, v38
	v_add_f32_e32 v42, v41, v37
	v_sub_f32_e32 v44, v42, v41
	v_sub_f32_e32 v45, v42, v44
	;; [unrolled: 1-line block ×4, first 2 shown]
	v_add_f32_e32 v38, v42, v38
	v_add_f32_e32 v37, v37, v41
	v_add_f32_e32 v41, v43, v38
	v_sub_f32_e32 v42, v41, v43
	v_sub_f32_e32 v38, v38, v42
	v_add_f32_e32 v37, v37, v38
	v_add_f32_e32 v37, v41, v37
	v_cmp_neq_f32_e64 s[4:5], s33, v40
	v_cndmask_b32_e64 v37, v39, v37, s[4:5]
	s_mov_b32 s4, 0x33800000
	v_cmp_lt_f32_e64 s[4:5], |v40|, s4
	v_cndmask_b32_e64 v37, v37, v40, s[4:5]
	v_add_f32_e32 v37, v36, v37
.LBB128_81:
	s_or_b64 exec, exec, s[62:63]
	v_mov_b32_e32 v36, v37
.LBB128_82:
	s_or_b64 exec, exec, s[66:67]
	v_or_b32_e32 v38, 63, v0
	v_lshrrev_b32_e32 v37, 6, v0
	v_cmp_eq_u32_e64 s[4:5], v0, v38
	s_and_saveexec_b64 s[62:63], s[4:5]
; %bb.83:
	v_lshlrev_b32_e32 v38, 2, v37
	ds_write_b32 v38, v36
; %bb.84:
	s_or_b64 exec, exec, s[62:63]
	v_cmp_gt_u32_e64 s[4:5], 4, v0
	s_waitcnt lgkmcnt(0)
	s_barrier
	s_and_saveexec_b64 s[66:67], s[4:5]
	s_cbranch_execz .LBB128_94
; %bb.85:
	ds_read_b32 v39, v16
	v_and_b32_e32 v38, 3, v35
	v_cmp_ne_u32_e64 s[4:5], 0, v38
	s_waitcnt lgkmcnt(0)
	v_mov_b32_dpp v40, v39 row_shr:1 row_mask:0xf bank_mask:0xf
	s_and_saveexec_b64 s[68:69], s[4:5]
	s_cbranch_execz .LBB128_89
; %bb.86:
	v_max_f32_e32 v42, v39, v39
	v_max_f32_e32 v43, v40, v40
	v_min_f32_e32 v41, v43, v42
	v_cmp_u_f32_e64 s[4:5], v40, v40
	v_max_f32_e32 v42, v43, v42
	v_cndmask_b32_e64 v41, v41, v40, s[4:5]
	v_cmp_u_f32_e64 s[62:63], v39, v39
	v_cndmask_b32_e64 v42, v42, v40, s[4:5]
	v_cndmask_b32_e64 v41, v41, v39, s[62:63]
	;; [unrolled: 1-line block ×3, first 2 shown]
	s_movk_i32 s33, 0x1f8
	v_cmp_neq_f32_e64 s[4:5], v41, v39
	v_cmp_class_f32_e64 s[62:63], v41, s33
	s_or_b64 s[4:5], s[4:5], s[62:63]
	s_and_saveexec_b64 s[62:63], s[4:5]
	s_cbranch_execz .LBB128_88
; %bb.87:
	v_sub_f32_e32 v40, v41, v39
	s_mov_b32 s4, 0x3fb8aa3b
	v_mul_f32_e32 v41, 0x3fb8aa3b, v40
	v_fma_f32 v42, v40, s4, -v41
	v_rndne_f32_e32 v43, v41
	v_fmac_f32_e32 v42, 0x32a5705f, v40
	v_sub_f32_e32 v41, v41, v43
	v_add_f32_e32 v41, v41, v42
	v_exp_f32_e32 v41, v41
	v_cvt_i32_f32_e32 v42, v43
	s_mov_b32 s4, 0xc2ce8ed0
	v_cmp_ngt_f32_e64 s[4:5], s4, v40
	s_mov_b32 s33, 0x7f800000
	v_ldexp_f32 v41, v41, v42
	v_cndmask_b32_e64 v41, 0, v41, s[4:5]
	s_mov_b32 s4, 0x42b17218
	v_mov_b32_e32 v42, 0x7f800000
	v_cmp_nlt_f32_e64 s[4:5], s4, v40
	v_cndmask_b32_e64 v43, v42, v41, s[4:5]
	v_add_f32_e32 v44, 1.0, v43
	v_cvt_f64_f32_e32 v[40:41], v44
	v_add_f32_e32 v45, -1.0, v44
	v_sub_f32_e32 v46, v45, v44
	v_sub_f32_e32 v45, v43, v45
	v_frexp_exp_i32_f64_e32 v40, v[40:41]
	v_add_f32_e32 v41, 1.0, v46
	v_add_f32_e32 v41, v45, v41
	v_frexp_mant_f32_e32 v45, v44
	s_mov_b32 s4, 0x3f2aaaab
	v_cmp_gt_f32_e64 s[4:5], s4, v45
	v_subbrev_co_u32_e64 v40, s[4:5], 0, v40, s[4:5]
	v_sub_u32_e32 v45, 0, v40
	v_ldexp_f32 v44, v44, v45
	v_ldexp_f32 v41, v41, v45
	v_add_f32_e32 v45, -1.0, v44
	v_add_f32_e32 v48, 1.0, v44
	v_add_f32_e32 v46, 1.0, v45
	v_add_f32_e32 v49, -1.0, v48
	v_sub_f32_e32 v46, v44, v46
	v_sub_f32_e32 v44, v44, v49
	v_add_f32_e32 v46, v41, v46
	v_add_f32_e32 v41, v41, v44
	;; [unrolled: 1-line block ×3, first 2 shown]
	v_rcp_f32_e32 v49, v44
	v_add_f32_e32 v47, v45, v46
	v_sub_f32_e32 v45, v45, v47
	v_add_f32_e32 v45, v46, v45
	v_sub_f32_e32 v46, v48, v44
	v_add_f32_e32 v41, v41, v46
	v_mul_f32_e32 v46, v47, v49
	v_mul_f32_e32 v48, v44, v46
	v_fma_f32 v50, v46, v44, -v48
	v_fmac_f32_e32 v50, v46, v41
	v_add_f32_e32 v51, v48, v50
	v_sub_f32_e32 v52, v47, v51
	v_sub_f32_e32 v47, v47, v52
	;; [unrolled: 1-line block ×4, first 2 shown]
	v_add_f32_e32 v45, v45, v47
	v_sub_f32_e32 v47, v48, v50
	v_add_f32_e32 v45, v47, v45
	v_add_f32_e32 v47, v52, v45
	v_mul_f32_e32 v48, v49, v47
	v_mul_f32_e32 v50, v44, v48
	v_fma_f32 v44, v48, v44, -v50
	v_fmac_f32_e32 v44, v48, v41
	v_sub_f32_e32 v41, v52, v47
	v_add_f32_e32 v41, v45, v41
	v_add_f32_e32 v45, v50, v44
	v_sub_f32_e32 v51, v47, v45
	v_sub_f32_e32 v47, v47, v51
	v_sub_f32_e32 v50, v45, v50
	v_sub_f32_e32 v45, v47, v45
	v_add_f32_e32 v41, v41, v45
	v_sub_f32_e32 v44, v50, v44
	v_add_f32_e32 v41, v44, v41
	v_add_f32_e32 v44, v46, v48
	;; [unrolled: 1-line block ×3, first 2 shown]
	v_sub_f32_e32 v45, v44, v46
	v_mul_f32_e32 v41, v49, v41
	v_sub_f32_e32 v45, v48, v45
	v_add_f32_e32 v41, v45, v41
	v_cvt_f32_i32_e32 v40, v40
	v_add_f32_e32 v45, v44, v41
	v_mul_f32_e32 v46, v45, v45
	v_mov_b32_e32 v47, 0x3ecc95a3
	v_fmac_f32_e32 v47, 0x3e9b6dac, v46
	v_mov_b32_e32 v48, 0x3f2aaada
	v_fmac_f32_e32 v48, v46, v47
	s_mov_b32 s4, 0x3f317218
	v_mul_f32_e32 v47, 0x3f317218, v40
	v_fma_f32 v49, v40, s4, -v47
	v_fmac_f32_e32 v49, 0xb102e308, v40
	v_sub_f32_e32 v40, v45, v44
	v_sub_f32_e32 v40, v41, v40
	v_add_f32_e32 v41, v47, v49
	v_sub_f32_e32 v44, v41, v47
	v_ldexp_f32 v47, v45, 1
	v_mul_f32_e32 v45, v45, v46
	v_mul_f32_e32 v45, v45, v48
	v_add_f32_e32 v46, v47, v45
	v_sub_f32_e32 v47, v46, v47
	v_ldexp_f32 v40, v40, 1
	v_sub_f32_e32 v45, v45, v47
	v_add_f32_e32 v40, v40, v45
	v_add_f32_e32 v45, v46, v40
	v_sub_f32_e32 v46, v45, v46
	v_sub_f32_e32 v40, v40, v46
	v_add_f32_e32 v46, v41, v45
	v_sub_f32_e32 v47, v46, v41
	v_sub_f32_e32 v48, v46, v47
	;; [unrolled: 1-line block ×5, first 2 shown]
	v_add_f32_e32 v41, v45, v41
	v_add_f32_e32 v45, v44, v40
	v_sub_f32_e32 v47, v45, v44
	v_sub_f32_e32 v48, v45, v47
	;; [unrolled: 1-line block ×4, first 2 shown]
	v_add_f32_e32 v41, v45, v41
	v_add_f32_e32 v40, v40, v44
	;; [unrolled: 1-line block ×3, first 2 shown]
	v_sub_f32_e32 v45, v44, v46
	v_sub_f32_e32 v41, v41, v45
	v_add_f32_e32 v40, v40, v41
	v_add_f32_e32 v40, v44, v40
	v_cmp_neq_f32_e64 s[4:5], s33, v43
	v_cndmask_b32_e64 v40, v42, v40, s[4:5]
	s_mov_b32 s4, 0x33800000
	v_cmp_lt_f32_e64 s[4:5], |v43|, s4
	v_cndmask_b32_e64 v40, v40, v43, s[4:5]
	v_add_f32_e32 v40, v39, v40
.LBB128_88:
	s_or_b64 exec, exec, s[62:63]
	v_mov_b32_e32 v39, v40
.LBB128_89:
	s_or_b64 exec, exec, s[68:69]
	s_nop 0
	v_mov_b32_dpp v40, v39 row_shr:2 row_mask:0xf bank_mask:0xf
	v_cmp_lt_u32_e64 s[4:5], 1, v38
	s_and_saveexec_b64 s[68:69], s[4:5]
	s_cbranch_execz .LBB128_93
; %bb.90:
	v_max_f32_e32 v38, v39, v39
	v_max_f32_e32 v42, v40, v40
	v_min_f32_e32 v41, v42, v38
	v_cmp_u_f32_e64 s[4:5], v40, v40
	v_max_f32_e32 v38, v42, v38
	v_cndmask_b32_e64 v41, v41, v40, s[4:5]
	v_cmp_u_f32_e64 s[62:63], v39, v39
	v_cndmask_b32_e64 v38, v38, v40, s[4:5]
	v_cndmask_b32_e64 v41, v41, v39, s[62:63]
	;; [unrolled: 1-line block ×3, first 2 shown]
	s_movk_i32 s33, 0x1f8
	v_cmp_neq_f32_e64 s[4:5], v41, v38
	v_cmp_class_f32_e64 s[62:63], v41, s33
	s_or_b64 s[4:5], s[4:5], s[62:63]
	s_and_saveexec_b64 s[62:63], s[4:5]
	s_cbranch_execz .LBB128_92
; %bb.91:
	v_sub_f32_e32 v39, v41, v38
	s_mov_b32 s4, 0x3fb8aa3b
	v_mul_f32_e32 v40, 0x3fb8aa3b, v39
	v_fma_f32 v41, v39, s4, -v40
	v_rndne_f32_e32 v42, v40
	v_fmac_f32_e32 v41, 0x32a5705f, v39
	v_sub_f32_e32 v40, v40, v42
	v_add_f32_e32 v40, v40, v41
	v_exp_f32_e32 v40, v40
	v_cvt_i32_f32_e32 v41, v42
	s_mov_b32 s4, 0xc2ce8ed0
	v_cmp_ngt_f32_e64 s[4:5], s4, v39
	s_mov_b32 s33, 0x7f800000
	v_ldexp_f32 v40, v40, v41
	v_cndmask_b32_e64 v40, 0, v40, s[4:5]
	s_mov_b32 s4, 0x42b17218
	v_mov_b32_e32 v41, 0x7f800000
	v_cmp_nlt_f32_e64 s[4:5], s4, v39
	v_cndmask_b32_e64 v42, v41, v40, s[4:5]
	v_add_f32_e32 v43, 1.0, v42
	v_cvt_f64_f32_e32 v[39:40], v43
	v_add_f32_e32 v44, -1.0, v43
	v_sub_f32_e32 v45, v44, v43
	v_sub_f32_e32 v44, v42, v44
	v_frexp_exp_i32_f64_e32 v39, v[39:40]
	v_add_f32_e32 v40, 1.0, v45
	v_add_f32_e32 v40, v44, v40
	v_frexp_mant_f32_e32 v44, v43
	s_mov_b32 s4, 0x3f2aaaab
	v_cmp_gt_f32_e64 s[4:5], s4, v44
	v_subbrev_co_u32_e64 v39, s[4:5], 0, v39, s[4:5]
	v_sub_u32_e32 v44, 0, v39
	v_ldexp_f32 v43, v43, v44
	v_ldexp_f32 v40, v40, v44
	v_add_f32_e32 v44, -1.0, v43
	v_add_f32_e32 v47, 1.0, v43
	v_add_f32_e32 v45, 1.0, v44
	v_add_f32_e32 v48, -1.0, v47
	v_sub_f32_e32 v45, v43, v45
	v_sub_f32_e32 v43, v43, v48
	v_add_f32_e32 v45, v40, v45
	v_add_f32_e32 v40, v40, v43
	;; [unrolled: 1-line block ×3, first 2 shown]
	v_rcp_f32_e32 v48, v43
	v_add_f32_e32 v46, v44, v45
	v_sub_f32_e32 v44, v44, v46
	v_add_f32_e32 v44, v45, v44
	v_sub_f32_e32 v45, v47, v43
	v_add_f32_e32 v40, v40, v45
	v_mul_f32_e32 v45, v46, v48
	v_mul_f32_e32 v47, v43, v45
	v_fma_f32 v49, v45, v43, -v47
	v_fmac_f32_e32 v49, v45, v40
	v_add_f32_e32 v50, v47, v49
	v_sub_f32_e32 v51, v46, v50
	v_sub_f32_e32 v46, v46, v51
	;; [unrolled: 1-line block ×4, first 2 shown]
	v_add_f32_e32 v44, v44, v46
	v_sub_f32_e32 v46, v47, v49
	v_add_f32_e32 v44, v46, v44
	v_add_f32_e32 v46, v51, v44
	v_mul_f32_e32 v47, v48, v46
	v_mul_f32_e32 v49, v43, v47
	v_fma_f32 v43, v47, v43, -v49
	v_fmac_f32_e32 v43, v47, v40
	v_sub_f32_e32 v40, v51, v46
	v_add_f32_e32 v40, v44, v40
	v_add_f32_e32 v44, v49, v43
	v_sub_f32_e32 v50, v46, v44
	v_sub_f32_e32 v46, v46, v50
	;; [unrolled: 1-line block ×4, first 2 shown]
	v_add_f32_e32 v40, v40, v44
	v_sub_f32_e32 v43, v49, v43
	v_add_f32_e32 v40, v43, v40
	v_add_f32_e32 v43, v45, v47
	;; [unrolled: 1-line block ×3, first 2 shown]
	v_sub_f32_e32 v44, v43, v45
	v_mul_f32_e32 v40, v48, v40
	v_sub_f32_e32 v44, v47, v44
	v_add_f32_e32 v40, v44, v40
	v_cvt_f32_i32_e32 v39, v39
	v_add_f32_e32 v44, v43, v40
	v_mul_f32_e32 v45, v44, v44
	v_mov_b32_e32 v46, 0x3ecc95a3
	v_fmac_f32_e32 v46, 0x3e9b6dac, v45
	v_mov_b32_e32 v47, 0x3f2aaada
	v_fmac_f32_e32 v47, v45, v46
	s_mov_b32 s4, 0x3f317218
	v_mul_f32_e32 v46, 0x3f317218, v39
	v_fma_f32 v48, v39, s4, -v46
	v_fmac_f32_e32 v48, 0xb102e308, v39
	v_sub_f32_e32 v39, v44, v43
	v_sub_f32_e32 v39, v40, v39
	v_add_f32_e32 v40, v46, v48
	v_sub_f32_e32 v43, v40, v46
	v_ldexp_f32 v46, v44, 1
	v_mul_f32_e32 v44, v44, v45
	v_mul_f32_e32 v44, v44, v47
	v_add_f32_e32 v45, v46, v44
	v_sub_f32_e32 v46, v45, v46
	v_ldexp_f32 v39, v39, 1
	v_sub_f32_e32 v44, v44, v46
	v_add_f32_e32 v39, v39, v44
	v_add_f32_e32 v44, v45, v39
	v_sub_f32_e32 v45, v44, v45
	v_sub_f32_e32 v39, v39, v45
	v_add_f32_e32 v45, v40, v44
	v_sub_f32_e32 v46, v45, v40
	v_sub_f32_e32 v47, v45, v46
	;; [unrolled: 1-line block ×5, first 2 shown]
	v_add_f32_e32 v40, v44, v40
	v_add_f32_e32 v44, v43, v39
	v_sub_f32_e32 v46, v44, v43
	v_sub_f32_e32 v47, v44, v46
	;; [unrolled: 1-line block ×4, first 2 shown]
	v_add_f32_e32 v40, v44, v40
	v_add_f32_e32 v39, v39, v43
	;; [unrolled: 1-line block ×3, first 2 shown]
	v_sub_f32_e32 v44, v43, v45
	v_sub_f32_e32 v40, v40, v44
	v_add_f32_e32 v39, v39, v40
	v_add_f32_e32 v39, v43, v39
	v_cmp_neq_f32_e64 s[4:5], s33, v42
	v_cndmask_b32_e64 v39, v41, v39, s[4:5]
	s_mov_b32 s4, 0x33800000
	v_cmp_lt_f32_e64 s[4:5], |v42|, s4
	v_cndmask_b32_e64 v39, v39, v42, s[4:5]
	v_add_f32_e32 v40, v38, v39
.LBB128_92:
	s_or_b64 exec, exec, s[62:63]
	v_mov_b32_e32 v39, v40
.LBB128_93:
	s_or_b64 exec, exec, s[68:69]
	ds_write_b32 v16, v39
.LBB128_94:
	s_or_b64 exec, exec, s[66:67]
	v_cmp_lt_u32_e64 s[4:5], 63, v0
	s_waitcnt lgkmcnt(0)
	s_barrier
                                        ; implicit-def: $vgpr38
	s_and_saveexec_b64 s[66:67], s[4:5]
	s_cbranch_execz .LBB128_98
; %bb.95:
	v_lshl_add_u32 v37, v37, 2, -4
	ds_read_b32 v38, v37
	v_max_f32_e32 v37, v36, v36
	v_cmp_u_f32_e64 s[62:63], v36, v36
	s_movk_i32 s33, 0x1f8
	s_waitcnt lgkmcnt(0)
	v_max_f32_e32 v39, v38, v38
	v_min_f32_e32 v40, v39, v37
	v_max_f32_e32 v37, v39, v37
	v_cmp_u_f32_e64 s[4:5], v38, v38
	v_cndmask_b32_e64 v39, v40, v38, s[4:5]
	v_cndmask_b32_e64 v37, v37, v38, s[4:5]
	;; [unrolled: 1-line block ×4, first 2 shown]
	v_cmp_neq_f32_e64 s[4:5], v39, v37
	v_cmp_class_f32_e64 s[62:63], v39, s33
	s_or_b64 s[4:5], s[4:5], s[62:63]
	v_mov_b32_e32 v36, v38
	s_and_saveexec_b64 s[62:63], s[4:5]
	s_cbranch_execz .LBB128_97
; %bb.96:
	v_sub_f32_e32 v36, v39, v37
	s_mov_b32 s4, 0x3fb8aa3b
	v_mul_f32_e32 v39, 0x3fb8aa3b, v36
	v_fma_f32 v40, v36, s4, -v39
	v_rndne_f32_e32 v41, v39
	v_fmac_f32_e32 v40, 0x32a5705f, v36
	v_sub_f32_e32 v39, v39, v41
	v_add_f32_e32 v39, v39, v40
	v_exp_f32_e32 v39, v39
	v_cvt_i32_f32_e32 v40, v41
	s_mov_b32 s4, 0xc2ce8ed0
	v_cmp_ngt_f32_e64 s[4:5], s4, v36
	v_mov_b32_e32 v41, 0x7f800000
	v_ldexp_f32 v39, v39, v40
	v_cndmask_b32_e64 v39, 0, v39, s[4:5]
	s_mov_b32 s4, 0x42b17218
	v_cmp_nlt_f32_e64 s[4:5], s4, v36
	v_cndmask_b32_e64 v36, v41, v39, s[4:5]
	v_add_f32_e32 v42, 1.0, v36
	v_cvt_f64_f32_e32 v[39:40], v42
	v_add_f32_e32 v43, -1.0, v42
	v_sub_f32_e32 v44, v43, v42
	v_sub_f32_e32 v43, v36, v43
	v_frexp_exp_i32_f64_e32 v39, v[39:40]
	v_add_f32_e32 v40, 1.0, v44
	v_add_f32_e32 v40, v43, v40
	v_frexp_mant_f32_e32 v43, v42
	s_mov_b32 s4, 0x3f2aaaab
	v_cmp_gt_f32_e64 s[4:5], s4, v43
	s_mov_b32 s33, 0x7f800000
	v_subbrev_co_u32_e64 v39, s[4:5], 0, v39, s[4:5]
	v_sub_u32_e32 v43, 0, v39
	v_ldexp_f32 v42, v42, v43
	v_ldexp_f32 v40, v40, v43
	v_add_f32_e32 v43, -1.0, v42
	v_add_f32_e32 v46, 1.0, v42
	v_add_f32_e32 v44, 1.0, v43
	v_add_f32_e32 v47, -1.0, v46
	v_sub_f32_e32 v44, v42, v44
	v_sub_f32_e32 v42, v42, v47
	v_add_f32_e32 v44, v40, v44
	v_add_f32_e32 v40, v40, v42
	;; [unrolled: 1-line block ×3, first 2 shown]
	v_rcp_f32_e32 v47, v42
	v_add_f32_e32 v45, v43, v44
	v_sub_f32_e32 v43, v43, v45
	v_add_f32_e32 v43, v44, v43
	v_sub_f32_e32 v44, v46, v42
	v_add_f32_e32 v40, v40, v44
	v_mul_f32_e32 v44, v45, v47
	v_mul_f32_e32 v46, v42, v44
	v_fma_f32 v48, v44, v42, -v46
	v_fmac_f32_e32 v48, v44, v40
	v_add_f32_e32 v49, v46, v48
	v_sub_f32_e32 v50, v45, v49
	v_sub_f32_e32 v45, v45, v50
	;; [unrolled: 1-line block ×4, first 2 shown]
	v_add_f32_e32 v43, v43, v45
	v_sub_f32_e32 v45, v46, v48
	v_add_f32_e32 v43, v45, v43
	v_add_f32_e32 v45, v50, v43
	v_mul_f32_e32 v46, v47, v45
	v_mul_f32_e32 v48, v42, v46
	v_fma_f32 v42, v46, v42, -v48
	v_fmac_f32_e32 v42, v46, v40
	v_sub_f32_e32 v40, v50, v45
	v_add_f32_e32 v40, v43, v40
	v_add_f32_e32 v43, v48, v42
	v_sub_f32_e32 v49, v45, v43
	v_sub_f32_e32 v45, v45, v49
	;; [unrolled: 1-line block ×4, first 2 shown]
	v_add_f32_e32 v40, v40, v43
	v_sub_f32_e32 v42, v48, v42
	v_add_f32_e32 v40, v42, v40
	v_add_f32_e32 v42, v44, v46
	;; [unrolled: 1-line block ×3, first 2 shown]
	v_sub_f32_e32 v43, v42, v44
	v_mul_f32_e32 v40, v47, v40
	v_sub_f32_e32 v43, v46, v43
	v_add_f32_e32 v40, v43, v40
	v_cvt_f32_i32_e32 v39, v39
	v_add_f32_e32 v43, v42, v40
	v_mul_f32_e32 v44, v43, v43
	v_mov_b32_e32 v45, 0x3ecc95a3
	v_fmac_f32_e32 v45, 0x3e9b6dac, v44
	v_mov_b32_e32 v46, 0x3f2aaada
	v_fmac_f32_e32 v46, v44, v45
	s_mov_b32 s4, 0x3f317218
	v_mul_f32_e32 v45, 0x3f317218, v39
	v_fma_f32 v47, v39, s4, -v45
	v_fmac_f32_e32 v47, 0xb102e308, v39
	v_sub_f32_e32 v39, v43, v42
	v_sub_f32_e32 v39, v40, v39
	v_add_f32_e32 v40, v45, v47
	v_sub_f32_e32 v42, v40, v45
	v_ldexp_f32 v45, v43, 1
	v_mul_f32_e32 v43, v43, v44
	v_mul_f32_e32 v43, v43, v46
	v_add_f32_e32 v44, v45, v43
	v_sub_f32_e32 v45, v44, v45
	v_ldexp_f32 v39, v39, 1
	v_sub_f32_e32 v43, v43, v45
	v_add_f32_e32 v39, v39, v43
	v_add_f32_e32 v43, v44, v39
	v_sub_f32_e32 v44, v43, v44
	v_sub_f32_e32 v39, v39, v44
	v_add_f32_e32 v44, v40, v43
	v_sub_f32_e32 v45, v44, v40
	v_sub_f32_e32 v46, v44, v45
	;; [unrolled: 1-line block ×5, first 2 shown]
	v_add_f32_e32 v40, v43, v40
	v_add_f32_e32 v43, v42, v39
	v_sub_f32_e32 v45, v43, v42
	v_sub_f32_e32 v46, v43, v45
	;; [unrolled: 1-line block ×4, first 2 shown]
	v_add_f32_e32 v40, v43, v40
	v_add_f32_e32 v39, v39, v42
	;; [unrolled: 1-line block ×3, first 2 shown]
	v_sub_f32_e32 v43, v42, v44
	v_sub_f32_e32 v40, v40, v43
	v_add_f32_e32 v39, v39, v40
	v_add_f32_e32 v39, v42, v39
	v_cmp_neq_f32_e64 s[4:5], s33, v36
	v_cndmask_b32_e64 v39, v41, v39, s[4:5]
	s_mov_b32 s4, 0x33800000
	v_cmp_lt_f32_e64 s[4:5], |v36|, s4
	v_cndmask_b32_e64 v36, v39, v36, s[4:5]
	v_add_f32_e32 v36, v37, v36
.LBB128_97:
	s_or_b64 exec, exec, s[62:63]
.LBB128_98:
	s_or_b64 exec, exec, s[66:67]
	v_add_u32_e32 v37, -1, v35
	v_and_b32_e32 v39, 64, v35
	v_cmp_lt_i32_e64 s[4:5], v37, v39
	v_cndmask_b32_e64 v37, v37, v35, s[4:5]
	v_lshlrev_b32_e32 v37, 2, v37
	ds_bpermute_b32 v36, v37, v36
	v_cmp_ne_u32_e64 s[4:5], 0, v0
	s_and_saveexec_b64 s[62:63], s[4:5]
	s_cbranch_execz .LBB128_102
; %bb.99:
	v_cmp_eq_u32_e64 s[4:5], 0, v35
	s_waitcnt lgkmcnt(0)
	v_cndmask_b32_e64 v35, v36, v38, s[4:5]
	v_max_f32_e32 v0, v35, v35
	v_min_f32_e32 v31, v0, v32
	v_cmp_u_f32_e64 s[4:5], v35, v35
	v_max_f32_e32 v0, v0, v32
	v_cndmask_b32_e64 v31, v31, v35, s[4:5]
	v_cndmask_b32_e64 v0, v0, v35, s[4:5]
	;; [unrolled: 1-line block ×4, first 2 shown]
	s_movk_i32 s33, 0x1f8
	v_cmp_neq_f32_e64 s[4:5], v31, v0
	v_cmp_class_f32_e64 s[58:59], v31, s33
	s_or_b64 s[4:5], s[4:5], s[58:59]
	s_and_saveexec_b64 s[58:59], s[4:5]
	s_cbranch_execz .LBB128_101
; %bb.100:
	v_sub_f32_e32 v1, v31, v0
	s_mov_b32 s4, 0x3fb8aa3b
	v_mul_f32_e32 v31, 0x3fb8aa3b, v1
	v_fma_f32 v32, v1, s4, -v31
	v_rndne_f32_e32 v33, v31
	v_fmac_f32_e32 v32, 0x32a5705f, v1
	v_sub_f32_e32 v31, v31, v33
	v_add_f32_e32 v31, v31, v32
	v_exp_f32_e32 v31, v31
	v_cvt_i32_f32_e32 v32, v33
	s_mov_b32 s4, 0xc2ce8ed0
	v_cmp_ngt_f32_e64 s[4:5], s4, v1
	v_mov_b32_e32 v33, 0x7f800000
	v_ldexp_f32 v31, v31, v32
	v_cndmask_b32_e64 v31, 0, v31, s[4:5]
	s_mov_b32 s4, 0x42b17218
	v_cmp_nlt_f32_e64 s[4:5], s4, v1
	v_cndmask_b32_e64 v1, v33, v31, s[4:5]
	v_add_f32_e32 v35, 1.0, v1
	v_cvt_f64_f32_e32 v[31:32], v35
	v_add_f32_e32 v36, -1.0, v35
	v_sub_f32_e32 v37, v36, v35
	v_sub_f32_e32 v36, v1, v36
	v_frexp_exp_i32_f64_e32 v31, v[31:32]
	v_add_f32_e32 v32, 1.0, v37
	v_add_f32_e32 v32, v36, v32
	v_frexp_mant_f32_e32 v36, v35
	s_mov_b32 s4, 0x3f2aaaab
	v_cmp_gt_f32_e64 s[4:5], s4, v36
	s_mov_b32 s33, 0x7f800000
	v_subbrev_co_u32_e64 v31, s[4:5], 0, v31, s[4:5]
	v_sub_u32_e32 v36, 0, v31
	v_ldexp_f32 v35, v35, v36
	v_ldexp_f32 v32, v32, v36
	v_add_f32_e32 v36, -1.0, v35
	v_add_f32_e32 v39, 1.0, v35
	v_add_f32_e32 v37, 1.0, v36
	v_add_f32_e32 v40, -1.0, v39
	v_sub_f32_e32 v37, v35, v37
	v_sub_f32_e32 v35, v35, v40
	v_add_f32_e32 v37, v32, v37
	v_add_f32_e32 v32, v32, v35
	;; [unrolled: 1-line block ×3, first 2 shown]
	v_rcp_f32_e32 v40, v35
	v_add_f32_e32 v38, v36, v37
	v_sub_f32_e32 v36, v36, v38
	v_add_f32_e32 v36, v37, v36
	v_sub_f32_e32 v37, v39, v35
	v_add_f32_e32 v32, v32, v37
	v_mul_f32_e32 v37, v38, v40
	v_mul_f32_e32 v39, v35, v37
	v_fma_f32 v41, v37, v35, -v39
	v_fmac_f32_e32 v41, v37, v32
	v_add_f32_e32 v42, v39, v41
	v_sub_f32_e32 v43, v38, v42
	v_sub_f32_e32 v38, v38, v43
	;; [unrolled: 1-line block ×4, first 2 shown]
	v_add_f32_e32 v36, v36, v38
	v_sub_f32_e32 v38, v39, v41
	v_add_f32_e32 v36, v38, v36
	v_add_f32_e32 v38, v43, v36
	v_mul_f32_e32 v39, v40, v38
	v_mul_f32_e32 v41, v35, v39
	v_fma_f32 v35, v39, v35, -v41
	v_fmac_f32_e32 v35, v39, v32
	v_sub_f32_e32 v32, v43, v38
	v_add_f32_e32 v32, v36, v32
	v_add_f32_e32 v36, v41, v35
	v_sub_f32_e32 v42, v38, v36
	v_sub_f32_e32 v38, v38, v42
	;; [unrolled: 1-line block ×4, first 2 shown]
	v_add_f32_e32 v32, v32, v36
	v_sub_f32_e32 v35, v41, v35
	v_add_f32_e32 v32, v35, v32
	v_add_f32_e32 v35, v37, v39
	;; [unrolled: 1-line block ×3, first 2 shown]
	v_sub_f32_e32 v36, v35, v37
	v_mul_f32_e32 v32, v40, v32
	v_sub_f32_e32 v36, v39, v36
	v_add_f32_e32 v32, v36, v32
	v_cvt_f32_i32_e32 v31, v31
	v_add_f32_e32 v36, v35, v32
	v_mul_f32_e32 v37, v36, v36
	v_mov_b32_e32 v38, 0x3ecc95a3
	v_fmac_f32_e32 v38, 0x3e9b6dac, v37
	v_mov_b32_e32 v39, 0x3f2aaada
	v_fmac_f32_e32 v39, v37, v38
	s_mov_b32 s4, 0x3f317218
	v_mul_f32_e32 v38, 0x3f317218, v31
	v_fma_f32 v40, v31, s4, -v38
	v_fmac_f32_e32 v40, 0xb102e308, v31
	v_sub_f32_e32 v31, v36, v35
	v_sub_f32_e32 v31, v32, v31
	v_add_f32_e32 v32, v38, v40
	v_sub_f32_e32 v35, v32, v38
	v_ldexp_f32 v38, v36, 1
	v_mul_f32_e32 v36, v36, v37
	v_mul_f32_e32 v36, v36, v39
	v_add_f32_e32 v37, v38, v36
	v_sub_f32_e32 v38, v37, v38
	v_ldexp_f32 v31, v31, 1
	v_sub_f32_e32 v36, v36, v38
	v_add_f32_e32 v31, v31, v36
	v_add_f32_e32 v36, v37, v31
	v_sub_f32_e32 v37, v36, v37
	v_sub_f32_e32 v31, v31, v37
	v_add_f32_e32 v37, v32, v36
	v_sub_f32_e32 v38, v37, v32
	v_sub_f32_e32 v39, v37, v38
	;; [unrolled: 1-line block ×5, first 2 shown]
	v_add_f32_e32 v32, v36, v32
	v_add_f32_e32 v36, v35, v31
	v_sub_f32_e32 v38, v36, v35
	v_sub_f32_e32 v39, v36, v38
	v_sub_f32_e32 v35, v35, v39
	v_sub_f32_e32 v31, v31, v38
	v_add_f32_e32 v32, v36, v32
	v_add_f32_e32 v31, v31, v35
	;; [unrolled: 1-line block ×3, first 2 shown]
	v_sub_f32_e32 v36, v35, v37
	v_sub_f32_e32 v32, v32, v36
	v_add_f32_e32 v31, v31, v32
	v_add_f32_e32 v31, v35, v31
	v_cmp_neq_f32_e64 s[4:5], s33, v1
	v_cndmask_b32_e64 v31, v33, v31, s[4:5]
	s_mov_b32 s4, 0x33800000
	v_cmp_lt_f32_e64 s[4:5], |v1|, s4
	v_cndmask_b32_e64 v1, v31, v1, s[4:5]
	v_add_f32_e32 v35, v0, v1
.LBB128_101:
	s_or_b64 exec, exec, s[58:59]
	v_max_f32_e32 v0, v35, v35
	v_min_f32_e32 v31, v0, v23
	v_max_f32_e32 v33, v0, v23
	v_mov_b32_e32 v1, v35
	;;#ASMSTART
	;;#ASMEND
.LBB128_102:
	s_or_b64 exec, exec, s[62:63]
	v_cmp_u_f32_e64 s[4:5], v1, v1
	v_cndmask_b32_e64 v0, v31, v1, s[4:5]
	v_cndmask_b32_e64 v23, v0, v2, s[28:29]
	;; [unrolled: 1-line block ×4, first 2 shown]
	s_movk_i32 s33, 0x1f8
	v_cmp_neq_f32_e64 s[4:5], v23, v2
	v_cmp_class_f32_e64 s[28:29], v23, s33
	s_or_b64 s[4:5], s[4:5], s[28:29]
	v_mov_b32_e32 v0, v1
	s_and_saveexec_b64 s[28:29], s[4:5]
	s_cbranch_execz .LBB128_104
; %bb.103:
	v_sub_f32_e32 v0, v23, v2
	s_mov_b32 s4, 0x3fb8aa3b
	v_mul_f32_e32 v23, 0x3fb8aa3b, v0
	v_fma_f32 v31, v0, s4, -v23
	v_rndne_f32_e32 v32, v23
	v_fmac_f32_e32 v31, 0x32a5705f, v0
	v_sub_f32_e32 v23, v23, v32
	v_add_f32_e32 v23, v23, v31
	v_exp_f32_e32 v23, v23
	v_cvt_i32_f32_e32 v31, v32
	s_mov_b32 s4, 0xc2ce8ed0
	v_cmp_ngt_f32_e64 s[4:5], s4, v0
	v_mov_b32_e32 v33, 0x7f800000
	v_ldexp_f32 v23, v23, v31
	v_cndmask_b32_e64 v23, 0, v23, s[4:5]
	s_mov_b32 s4, 0x42b17218
	v_cmp_nlt_f32_e64 s[4:5], s4, v0
	v_cndmask_b32_e64 v0, v33, v23, s[4:5]
	v_add_f32_e32 v23, 1.0, v0
	v_cvt_f64_f32_e32 v[31:32], v23
	v_add_f32_e32 v35, -1.0, v23
	s_waitcnt lgkmcnt(0)
	v_sub_f32_e32 v36, v35, v23
	v_sub_f32_e32 v35, v0, v35
	v_frexp_exp_i32_f64_e32 v31, v[31:32]
	v_add_f32_e32 v32, 1.0, v36
	v_add_f32_e32 v32, v35, v32
	v_frexp_mant_f32_e32 v35, v23
	s_mov_b32 s4, 0x3f2aaaab
	v_cmp_gt_f32_e64 s[4:5], s4, v35
	s_mov_b32 s58, 0x7f800000
	v_subbrev_co_u32_e64 v31, s[4:5], 0, v31, s[4:5]
	v_sub_u32_e32 v35, 0, v31
	v_ldexp_f32 v23, v23, v35
	v_ldexp_f32 v32, v32, v35
	v_add_f32_e32 v35, -1.0, v23
	v_add_f32_e32 v38, 1.0, v23
	v_add_f32_e32 v36, 1.0, v35
	v_add_f32_e32 v39, -1.0, v38
	v_sub_f32_e32 v36, v23, v36
	v_sub_f32_e32 v23, v23, v39
	v_add_f32_e32 v23, v32, v23
	v_add_f32_e32 v36, v32, v36
	;; [unrolled: 1-line block ×3, first 2 shown]
	v_rcp_f32_e32 v39, v32
	v_add_f32_e32 v37, v35, v36
	v_sub_f32_e32 v35, v35, v37
	v_add_f32_e32 v35, v36, v35
	v_sub_f32_e32 v36, v38, v32
	v_add_f32_e32 v23, v23, v36
	v_mul_f32_e32 v36, v37, v39
	v_mul_f32_e32 v38, v32, v36
	v_fma_f32 v40, v36, v32, -v38
	v_fmac_f32_e32 v40, v36, v23
	v_add_f32_e32 v41, v38, v40
	v_sub_f32_e32 v42, v37, v41
	v_sub_f32_e32 v37, v37, v42
	;; [unrolled: 1-line block ×4, first 2 shown]
	v_add_f32_e32 v35, v35, v37
	v_sub_f32_e32 v37, v38, v40
	v_add_f32_e32 v35, v37, v35
	v_add_f32_e32 v37, v42, v35
	v_mul_f32_e32 v38, v39, v37
	v_mul_f32_e32 v40, v32, v38
	v_fma_f32 v32, v38, v32, -v40
	v_fmac_f32_e32 v32, v38, v23
	v_sub_f32_e32 v23, v42, v37
	v_add_f32_e32 v23, v35, v23
	v_add_f32_e32 v35, v40, v32
	v_sub_f32_e32 v41, v37, v35
	v_sub_f32_e32 v37, v37, v41
	;; [unrolled: 1-line block ×4, first 2 shown]
	v_add_f32_e32 v23, v23, v35
	v_sub_f32_e32 v32, v40, v32
	v_add_f32_e32 v23, v32, v23
	v_add_f32_e32 v32, v36, v38
	;; [unrolled: 1-line block ×3, first 2 shown]
	v_sub_f32_e32 v35, v32, v36
	v_mul_f32_e32 v23, v39, v23
	v_sub_f32_e32 v35, v38, v35
	v_add_f32_e32 v23, v35, v23
	v_cvt_f32_i32_e32 v31, v31
	v_add_f32_e32 v35, v32, v23
	v_mul_f32_e32 v36, v35, v35
	v_mov_b32_e32 v37, 0x3ecc95a3
	v_fmac_f32_e32 v37, 0x3e9b6dac, v36
	v_mov_b32_e32 v38, 0x3f2aaada
	v_fmac_f32_e32 v38, v36, v37
	s_mov_b32 s4, 0x3f317218
	v_mul_f32_e32 v37, 0x3f317218, v31
	v_fma_f32 v39, v31, s4, -v37
	v_fmac_f32_e32 v39, 0xb102e308, v31
	v_sub_f32_e32 v31, v35, v32
	v_sub_f32_e32 v23, v23, v31
	v_add_f32_e32 v31, v37, v39
	v_sub_f32_e32 v32, v31, v37
	v_ldexp_f32 v37, v35, 1
	v_mul_f32_e32 v35, v35, v36
	v_mul_f32_e32 v35, v35, v38
	v_add_f32_e32 v36, v37, v35
	v_sub_f32_e32 v37, v36, v37
	v_ldexp_f32 v23, v23, 1
	v_sub_f32_e32 v35, v35, v37
	v_add_f32_e32 v23, v23, v35
	v_add_f32_e32 v35, v36, v23
	v_sub_f32_e32 v36, v35, v36
	v_sub_f32_e32 v23, v23, v36
	v_add_f32_e32 v36, v31, v35
	v_sub_f32_e32 v37, v36, v31
	v_sub_f32_e32 v38, v36, v37
	;; [unrolled: 1-line block ×5, first 2 shown]
	v_add_f32_e32 v31, v35, v31
	v_add_f32_e32 v35, v32, v23
	v_sub_f32_e32 v37, v35, v32
	v_sub_f32_e32 v38, v35, v37
	;; [unrolled: 1-line block ×4, first 2 shown]
	v_add_f32_e32 v31, v35, v31
	v_add_f32_e32 v23, v23, v32
	;; [unrolled: 1-line block ×3, first 2 shown]
	v_sub_f32_e32 v35, v32, v36
	v_sub_f32_e32 v31, v31, v35
	v_add_f32_e32 v23, v23, v31
	v_add_f32_e32 v23, v32, v23
	v_cmp_neq_f32_e64 s[4:5], s58, v0
	v_cndmask_b32_e64 v23, v33, v23, s[4:5]
	s_mov_b32 s4, 0x33800000
	v_cmp_lt_f32_e64 s[4:5], |v0|, s4
	v_cndmask_b32_e64 v0, v23, v0, s[4:5]
	v_add_f32_e32 v0, v2, v0
.LBB128_104:
	s_or_b64 exec, exec, s[28:29]
	v_max_f32_e32 v2, v0, v0
	v_min_f32_e32 v23, v2, v17
	v_cmp_u_f32_e64 s[4:5], v0, v0
	v_max_f32_e32 v2, v2, v17
	v_cndmask_b32_e64 v23, v23, v0, s[4:5]
	v_cndmask_b32_e64 v2, v2, v0, s[4:5]
	;; [unrolled: 1-line block ×4, first 2 shown]
	v_cmp_neq_f32_e64 s[4:5], v23, v13
	v_cmp_class_f32_e64 s[28:29], v23, s33
	s_or_b64 s[4:5], s[4:5], s[28:29]
	v_mov_b32_e32 v2, v0
	s_and_saveexec_b64 s[28:29], s[4:5]
	s_cbranch_execz .LBB128_106
; %bb.105:
	v_sub_f32_e32 v2, v23, v13
	s_mov_b32 s4, 0x3fb8aa3b
	v_mul_f32_e32 v17, 0x3fb8aa3b, v2
	v_fma_f32 v23, v2, s4, -v17
	v_rndne_f32_e32 v31, v17
	v_fmac_f32_e32 v23, 0x32a5705f, v2
	v_sub_f32_e32 v17, v17, v31
	v_add_f32_e32 v17, v17, v23
	v_exp_f32_e32 v17, v17
	v_cvt_i32_f32_e32 v23, v31
	s_mov_b32 s4, 0xc2ce8ed0
	v_cmp_ngt_f32_e64 s[4:5], s4, v2
	s_mov_b32 s30, 0x7f800000
	v_ldexp_f32 v17, v17, v23
	v_cndmask_b32_e64 v17, 0, v17, s[4:5]
	s_mov_b32 s4, 0x42b17218
	v_mov_b32_e32 v23, 0x7f800000
	v_cmp_nlt_f32_e64 s[4:5], s4, v2
	v_cndmask_b32_e64 v2, v23, v17, s[4:5]
	v_add_f32_e32 v17, 1.0, v2
	v_cvt_f64_f32_e32 v[31:32], v17
	v_add_f32_e32 v33, -1.0, v17
	v_sub_f32_e32 v35, v33, v17
	v_sub_f32_e32 v33, v2, v33
	v_frexp_exp_i32_f64_e32 v31, v[31:32]
	v_add_f32_e32 v32, 1.0, v35
	v_add_f32_e32 v32, v33, v32
	v_frexp_mant_f32_e32 v33, v17
	s_mov_b32 s4, 0x3f2aaaab
	v_cmp_gt_f32_e64 s[4:5], s4, v33
	v_subbrev_co_u32_e64 v31, s[4:5], 0, v31, s[4:5]
	v_sub_u32_e32 v33, 0, v31
	v_ldexp_f32 v17, v17, v33
	v_ldexp_f32 v32, v32, v33
	v_add_f32_e32 v33, -1.0, v17
	v_add_f32_e32 v37, 1.0, v17
	v_add_f32_e32 v35, 1.0, v33
	v_add_f32_e32 v38, -1.0, v37
	v_sub_f32_e32 v35, v17, v35
	v_sub_f32_e32 v17, v17, v38
	v_add_f32_e32 v17, v32, v17
	v_add_f32_e32 v35, v32, v35
	;; [unrolled: 1-line block ×3, first 2 shown]
	v_rcp_f32_e32 v38, v32
	s_waitcnt lgkmcnt(0)
	v_add_f32_e32 v36, v33, v35
	v_sub_f32_e32 v33, v33, v36
	v_add_f32_e32 v33, v35, v33
	v_sub_f32_e32 v35, v37, v32
	v_add_f32_e32 v17, v17, v35
	v_mul_f32_e32 v35, v36, v38
	v_mul_f32_e32 v37, v32, v35
	v_fma_f32 v39, v35, v32, -v37
	v_fmac_f32_e32 v39, v35, v17
	v_add_f32_e32 v40, v37, v39
	v_sub_f32_e32 v41, v36, v40
	v_sub_f32_e32 v36, v36, v41
	;; [unrolled: 1-line block ×4, first 2 shown]
	v_add_f32_e32 v33, v33, v36
	v_sub_f32_e32 v36, v37, v39
	v_add_f32_e32 v33, v36, v33
	v_add_f32_e32 v36, v41, v33
	v_mul_f32_e32 v37, v38, v36
	v_mul_f32_e32 v39, v32, v37
	v_fma_f32 v32, v37, v32, -v39
	v_fmac_f32_e32 v32, v37, v17
	v_sub_f32_e32 v17, v41, v36
	v_add_f32_e32 v17, v33, v17
	v_add_f32_e32 v33, v39, v32
	v_sub_f32_e32 v40, v36, v33
	v_sub_f32_e32 v36, v36, v40
	;; [unrolled: 1-line block ×4, first 2 shown]
	v_add_f32_e32 v17, v17, v33
	v_sub_f32_e32 v32, v39, v32
	v_add_f32_e32 v17, v32, v17
	v_add_f32_e32 v32, v35, v37
	;; [unrolled: 1-line block ×3, first 2 shown]
	v_sub_f32_e32 v33, v32, v35
	v_mul_f32_e32 v17, v38, v17
	v_sub_f32_e32 v33, v37, v33
	v_add_f32_e32 v17, v33, v17
	v_cvt_f32_i32_e32 v31, v31
	v_add_f32_e32 v33, v32, v17
	v_mul_f32_e32 v35, v33, v33
	v_mov_b32_e32 v36, 0x3ecc95a3
	v_fmac_f32_e32 v36, 0x3e9b6dac, v35
	v_mov_b32_e32 v37, 0x3f2aaada
	v_fmac_f32_e32 v37, v35, v36
	s_mov_b32 s4, 0x3f317218
	v_mul_f32_e32 v36, 0x3f317218, v31
	v_fma_f32 v38, v31, s4, -v36
	v_fmac_f32_e32 v38, 0xb102e308, v31
	v_sub_f32_e32 v31, v33, v32
	v_sub_f32_e32 v17, v17, v31
	v_add_f32_e32 v31, v36, v38
	v_sub_f32_e32 v32, v31, v36
	v_ldexp_f32 v36, v33, 1
	v_mul_f32_e32 v33, v33, v35
	v_mul_f32_e32 v33, v33, v37
	v_add_f32_e32 v35, v36, v33
	v_sub_f32_e32 v36, v35, v36
	v_ldexp_f32 v17, v17, 1
	v_sub_f32_e32 v33, v33, v36
	v_add_f32_e32 v17, v17, v33
	v_add_f32_e32 v33, v35, v17
	v_sub_f32_e32 v35, v33, v35
	v_sub_f32_e32 v17, v17, v35
	v_add_f32_e32 v35, v31, v33
	v_sub_f32_e32 v36, v35, v31
	v_sub_f32_e32 v37, v35, v36
	;; [unrolled: 1-line block ×5, first 2 shown]
	v_add_f32_e32 v31, v33, v31
	v_add_f32_e32 v33, v32, v17
	v_sub_f32_e32 v36, v33, v32
	v_sub_f32_e32 v37, v33, v36
	;; [unrolled: 1-line block ×4, first 2 shown]
	v_add_f32_e32 v31, v33, v31
	v_add_f32_e32 v17, v17, v32
	;; [unrolled: 1-line block ×3, first 2 shown]
	v_sub_f32_e32 v33, v32, v35
	v_sub_f32_e32 v31, v31, v33
	v_add_f32_e32 v17, v17, v31
	v_add_f32_e32 v17, v32, v17
	v_cmp_neq_f32_e64 s[4:5], s30, v2
	v_cndmask_b32_e64 v17, v23, v17, s[4:5]
	s_mov_b32 s4, 0x33800000
	v_cmp_lt_f32_e64 s[4:5], |v2|, s4
	v_cndmask_b32_e64 v2, v17, v2, s[4:5]
	v_add_f32_e32 v2, v13, v2
.LBB128_106:
	s_or_b64 exec, exec, s[28:29]
	v_max_f32_e32 v13, v2, v2
	v_min_f32_e32 v17, v13, v18
	v_cmp_u_f32_e64 s[4:5], v2, v2
	v_max_f32_e32 v13, v13, v18
	v_cndmask_b32_e64 v17, v17, v2, s[4:5]
	v_cndmask_b32_e64 v13, v13, v2, s[4:5]
	v_cndmask_b32_e64 v17, v17, v14, s[34:35]
	v_cndmask_b32_e64 v14, v13, v14, s[34:35]
	s_movk_i32 s30, 0x1f8
	v_cmp_neq_f32_e64 s[4:5], v17, v14
	v_cmp_class_f32_e64 s[28:29], v17, s30
	s_or_b64 s[4:5], s[4:5], s[28:29]
	v_mov_b32_e32 v13, v2
	s_and_saveexec_b64 s[28:29], s[4:5]
	s_cbranch_execz .LBB128_108
; %bb.107:
	v_sub_f32_e32 v13, v17, v14
	s_mov_b32 s4, 0x3fb8aa3b
	v_mul_f32_e32 v17, 0x3fb8aa3b, v13
	v_fma_f32 v18, v13, s4, -v17
	v_rndne_f32_e32 v23, v17
	v_fmac_f32_e32 v18, 0x32a5705f, v13
	v_sub_f32_e32 v17, v17, v23
	v_add_f32_e32 v17, v17, v18
	v_exp_f32_e32 v17, v17
	v_cvt_i32_f32_e32 v18, v23
	s_mov_b32 s4, 0xc2ce8ed0
	v_cmp_ngt_f32_e64 s[4:5], s4, v13
	v_mov_b32_e32 v23, 0x7f800000
	v_ldexp_f32 v17, v17, v18
	v_cndmask_b32_e64 v17, 0, v17, s[4:5]
	s_mov_b32 s4, 0x42b17218
	v_cmp_nlt_f32_e64 s[4:5], s4, v13
	v_cndmask_b32_e64 v13, v23, v17, s[4:5]
	v_add_f32_e32 v31, 1.0, v13
	v_cvt_f64_f32_e32 v[17:18], v31
	v_add_f32_e32 v32, -1.0, v31
	v_sub_f32_e32 v33, v32, v31
	v_sub_f32_e32 v32, v13, v32
	v_frexp_exp_i32_f64_e32 v17, v[17:18]
	v_add_f32_e32 v18, 1.0, v33
	v_add_f32_e32 v18, v32, v18
	v_frexp_mant_f32_e32 v32, v31
	s_mov_b32 s4, 0x3f2aaaab
	v_cmp_gt_f32_e64 s[4:5], s4, v32
	s_mov_b32 s31, 0x7f800000
	v_subbrev_co_u32_e64 v17, s[4:5], 0, v17, s[4:5]
	v_sub_u32_e32 v32, 0, v17
	v_ldexp_f32 v31, v31, v32
	v_ldexp_f32 v18, v18, v32
	v_add_f32_e32 v32, -1.0, v31
	s_waitcnt lgkmcnt(0)
	v_add_f32_e32 v36, 1.0, v31
	v_add_f32_e32 v33, 1.0, v32
	v_add_f32_e32 v37, -1.0, v36
	v_sub_f32_e32 v33, v31, v33
	v_sub_f32_e32 v31, v31, v37
	v_add_f32_e32 v33, v18, v33
	v_add_f32_e32 v18, v18, v31
	v_add_f32_e32 v31, v36, v18
	v_rcp_f32_e32 v37, v31
	v_add_f32_e32 v35, v32, v33
	v_sub_f32_e32 v32, v32, v35
	v_add_f32_e32 v32, v33, v32
	v_sub_f32_e32 v33, v36, v31
	v_add_f32_e32 v18, v18, v33
	v_mul_f32_e32 v33, v35, v37
	v_mul_f32_e32 v36, v31, v33
	v_fma_f32 v38, v33, v31, -v36
	v_fmac_f32_e32 v38, v33, v18
	v_add_f32_e32 v39, v36, v38
	v_sub_f32_e32 v40, v35, v39
	v_sub_f32_e32 v35, v35, v40
	;; [unrolled: 1-line block ×4, first 2 shown]
	v_add_f32_e32 v32, v32, v35
	v_sub_f32_e32 v35, v36, v38
	v_add_f32_e32 v32, v35, v32
	v_add_f32_e32 v35, v40, v32
	v_mul_f32_e32 v36, v37, v35
	v_mul_f32_e32 v38, v31, v36
	v_fma_f32 v31, v36, v31, -v38
	v_fmac_f32_e32 v31, v36, v18
	v_sub_f32_e32 v18, v40, v35
	v_add_f32_e32 v18, v32, v18
	v_add_f32_e32 v32, v38, v31
	v_sub_f32_e32 v39, v35, v32
	v_sub_f32_e32 v35, v35, v39
	;; [unrolled: 1-line block ×4, first 2 shown]
	v_add_f32_e32 v18, v18, v32
	v_sub_f32_e32 v31, v38, v31
	v_add_f32_e32 v18, v31, v18
	v_add_f32_e32 v31, v33, v36
	v_add_f32_e32 v18, v39, v18
	v_sub_f32_e32 v32, v31, v33
	v_mul_f32_e32 v18, v37, v18
	v_sub_f32_e32 v32, v36, v32
	v_add_f32_e32 v18, v32, v18
	v_cvt_f32_i32_e32 v17, v17
	v_add_f32_e32 v32, v31, v18
	v_mul_f32_e32 v33, v32, v32
	v_mov_b32_e32 v35, 0x3ecc95a3
	v_fmac_f32_e32 v35, 0x3e9b6dac, v33
	v_mov_b32_e32 v36, 0x3f2aaada
	v_fmac_f32_e32 v36, v33, v35
	s_mov_b32 s4, 0x3f317218
	v_mul_f32_e32 v35, 0x3f317218, v17
	v_fma_f32 v37, v17, s4, -v35
	v_fmac_f32_e32 v37, 0xb102e308, v17
	v_sub_f32_e32 v17, v32, v31
	v_sub_f32_e32 v17, v18, v17
	v_add_f32_e32 v18, v35, v37
	v_sub_f32_e32 v31, v18, v35
	v_ldexp_f32 v35, v32, 1
	v_mul_f32_e32 v32, v32, v33
	v_mul_f32_e32 v32, v32, v36
	v_add_f32_e32 v33, v35, v32
	v_sub_f32_e32 v35, v33, v35
	v_ldexp_f32 v17, v17, 1
	v_sub_f32_e32 v32, v32, v35
	v_add_f32_e32 v17, v17, v32
	v_add_f32_e32 v32, v33, v17
	v_sub_f32_e32 v33, v32, v33
	v_sub_f32_e32 v17, v17, v33
	v_add_f32_e32 v33, v18, v32
	v_sub_f32_e32 v35, v33, v18
	v_sub_f32_e32 v36, v33, v35
	;; [unrolled: 1-line block ×5, first 2 shown]
	v_add_f32_e32 v18, v32, v18
	v_add_f32_e32 v32, v31, v17
	v_sub_f32_e32 v35, v32, v31
	v_sub_f32_e32 v36, v32, v35
	;; [unrolled: 1-line block ×4, first 2 shown]
	v_add_f32_e32 v18, v32, v18
	v_add_f32_e32 v17, v17, v31
	;; [unrolled: 1-line block ×3, first 2 shown]
	v_sub_f32_e32 v32, v31, v33
	v_sub_f32_e32 v18, v18, v32
	v_add_f32_e32 v17, v17, v18
	v_add_f32_e32 v17, v31, v17
	v_cmp_neq_f32_e64 s[4:5], s31, v13
	v_cndmask_b32_e64 v17, v23, v17, s[4:5]
	s_mov_b32 s4, 0x33800000
	v_cmp_lt_f32_e64 s[4:5], |v13|, s4
	v_cndmask_b32_e64 v13, v17, v13, s[4:5]
	v_add_f32_e32 v13, v14, v13
.LBB128_108:
	s_or_b64 exec, exec, s[28:29]
	v_max_f32_e32 v14, v13, v13
	v_min_f32_e32 v17, v14, v19
	v_cmp_u_f32_e64 s[4:5], v13, v13
	v_max_f32_e32 v14, v14, v19
	v_cndmask_b32_e64 v17, v17, v13, s[4:5]
	v_cndmask_b32_e64 v14, v14, v13, s[4:5]
	;; [unrolled: 1-line block ×4, first 2 shown]
	v_cmp_neq_f32_e64 s[4:5], v17, v14
	v_cmp_class_f32_e64 s[28:29], v17, s30
	s_or_b64 s[4:5], s[4:5], s[28:29]
	v_mov_b32_e32 v11, v13
	s_and_saveexec_b64 s[28:29], s[4:5]
	s_cbranch_execz .LBB128_110
; %bb.109:
	v_sub_f32_e32 v11, v17, v14
	s_mov_b32 s4, 0x3fb8aa3b
	v_mul_f32_e32 v17, 0x3fb8aa3b, v11
	v_fma_f32 v18, v11, s4, -v17
	v_rndne_f32_e32 v19, v17
	v_fmac_f32_e32 v18, 0x32a5705f, v11
	v_sub_f32_e32 v17, v17, v19
	v_add_f32_e32 v17, v17, v18
	v_exp_f32_e32 v17, v17
	v_cvt_i32_f32_e32 v18, v19
	s_mov_b32 s4, 0xc2ce8ed0
	v_cmp_ngt_f32_e64 s[4:5], s4, v11
	v_mov_b32_e32 v19, 0x7f800000
	v_ldexp_f32 v17, v17, v18
	v_cndmask_b32_e64 v17, 0, v17, s[4:5]
	s_mov_b32 s4, 0x42b17218
	v_cmp_nlt_f32_e64 s[4:5], s4, v11
	v_cndmask_b32_e64 v11, v19, v17, s[4:5]
	v_add_f32_e32 v23, 1.0, v11
	v_cvt_f64_f32_e32 v[17:18], v23
	v_add_f32_e32 v31, -1.0, v23
	v_sub_f32_e32 v32, v31, v23
	v_sub_f32_e32 v31, v11, v31
	v_frexp_exp_i32_f64_e32 v17, v[17:18]
	v_add_f32_e32 v18, 1.0, v32
	v_add_f32_e32 v18, v31, v18
	v_frexp_mant_f32_e32 v31, v23
	s_mov_b32 s4, 0x3f2aaaab
	v_cmp_gt_f32_e64 s[4:5], s4, v31
	s_mov_b32 s30, 0x7f800000
	v_subbrev_co_u32_e64 v17, s[4:5], 0, v17, s[4:5]
	v_sub_u32_e32 v31, 0, v17
	v_ldexp_f32 v23, v23, v31
	v_ldexp_f32 v18, v18, v31
	v_add_f32_e32 v31, -1.0, v23
	v_add_f32_e32 v35, 1.0, v23
	v_add_f32_e32 v32, 1.0, v31
	s_waitcnt lgkmcnt(0)
	v_add_f32_e32 v36, -1.0, v35
	v_sub_f32_e32 v32, v23, v32
	v_sub_f32_e32 v23, v23, v36
	v_add_f32_e32 v32, v18, v32
	v_add_f32_e32 v18, v18, v23
	;; [unrolled: 1-line block ×3, first 2 shown]
	v_rcp_f32_e32 v36, v23
	v_add_f32_e32 v33, v31, v32
	v_sub_f32_e32 v31, v31, v33
	v_add_f32_e32 v31, v32, v31
	v_sub_f32_e32 v32, v35, v23
	v_add_f32_e32 v18, v18, v32
	v_mul_f32_e32 v32, v33, v36
	v_mul_f32_e32 v35, v23, v32
	v_fma_f32 v37, v32, v23, -v35
	v_fmac_f32_e32 v37, v32, v18
	v_add_f32_e32 v38, v35, v37
	v_sub_f32_e32 v39, v33, v38
	v_sub_f32_e32 v33, v33, v39
	;; [unrolled: 1-line block ×4, first 2 shown]
	v_add_f32_e32 v31, v31, v33
	v_sub_f32_e32 v33, v35, v37
	v_add_f32_e32 v31, v33, v31
	v_add_f32_e32 v33, v39, v31
	v_mul_f32_e32 v35, v36, v33
	v_mul_f32_e32 v37, v23, v35
	v_fma_f32 v23, v35, v23, -v37
	v_fmac_f32_e32 v23, v35, v18
	v_sub_f32_e32 v18, v39, v33
	v_add_f32_e32 v18, v31, v18
	v_add_f32_e32 v31, v37, v23
	v_sub_f32_e32 v38, v33, v31
	v_sub_f32_e32 v33, v33, v38
	;; [unrolled: 1-line block ×4, first 2 shown]
	v_add_f32_e32 v18, v18, v31
	v_sub_f32_e32 v23, v37, v23
	v_add_f32_e32 v18, v23, v18
	v_add_f32_e32 v23, v32, v35
	;; [unrolled: 1-line block ×3, first 2 shown]
	v_sub_f32_e32 v31, v23, v32
	v_mul_f32_e32 v18, v36, v18
	v_sub_f32_e32 v31, v35, v31
	v_add_f32_e32 v18, v31, v18
	v_cvt_f32_i32_e32 v17, v17
	v_add_f32_e32 v31, v23, v18
	v_mul_f32_e32 v32, v31, v31
	v_mov_b32_e32 v33, 0x3ecc95a3
	v_fmac_f32_e32 v33, 0x3e9b6dac, v32
	v_mov_b32_e32 v35, 0x3f2aaada
	v_fmac_f32_e32 v35, v32, v33
	s_mov_b32 s4, 0x3f317218
	v_mul_f32_e32 v33, 0x3f317218, v17
	v_fma_f32 v36, v17, s4, -v33
	v_fmac_f32_e32 v36, 0xb102e308, v17
	v_sub_f32_e32 v17, v31, v23
	v_sub_f32_e32 v17, v18, v17
	v_add_f32_e32 v18, v33, v36
	v_sub_f32_e32 v23, v18, v33
	v_ldexp_f32 v33, v31, 1
	v_mul_f32_e32 v31, v31, v32
	v_mul_f32_e32 v31, v31, v35
	v_add_f32_e32 v32, v33, v31
	v_sub_f32_e32 v33, v32, v33
	v_ldexp_f32 v17, v17, 1
	v_sub_f32_e32 v31, v31, v33
	v_add_f32_e32 v17, v17, v31
	v_add_f32_e32 v31, v32, v17
	v_sub_f32_e32 v32, v31, v32
	v_sub_f32_e32 v17, v17, v32
	v_add_f32_e32 v32, v18, v31
	v_sub_f32_e32 v33, v32, v18
	v_sub_f32_e32 v35, v32, v33
	;; [unrolled: 1-line block ×5, first 2 shown]
	v_add_f32_e32 v18, v31, v18
	v_add_f32_e32 v31, v23, v17
	v_sub_f32_e32 v33, v31, v23
	v_sub_f32_e32 v35, v31, v33
	;; [unrolled: 1-line block ×4, first 2 shown]
	v_add_f32_e32 v18, v31, v18
	v_add_f32_e32 v17, v17, v23
	;; [unrolled: 1-line block ×3, first 2 shown]
	v_sub_f32_e32 v31, v23, v32
	v_sub_f32_e32 v18, v18, v31
	v_add_f32_e32 v17, v17, v18
	v_add_f32_e32 v17, v23, v17
	v_cmp_neq_f32_e64 s[4:5], s30, v11
	v_cndmask_b32_e64 v17, v19, v17, s[4:5]
	s_mov_b32 s4, 0x33800000
	v_cmp_lt_f32_e64 s[4:5], |v11|, s4
	v_cndmask_b32_e64 v11, v17, v11, s[4:5]
	v_add_f32_e32 v11, v14, v11
.LBB128_110:
	s_or_b64 exec, exec, s[28:29]
	v_max_f32_e32 v14, v11, v11
	v_min_f32_e32 v17, v14, v20
	v_cmp_u_f32_e64 s[4:5], v11, v11
	v_max_f32_e32 v14, v14, v20
	v_cndmask_b32_e64 v17, v17, v11, s[4:5]
	v_cndmask_b32_e64 v14, v14, v11, s[4:5]
	;; [unrolled: 1-line block ×4, first 2 shown]
	s_movk_i32 s30, 0x1f8
	v_cmp_neq_f32_e64 s[4:5], v17, v14
	v_cmp_class_f32_e64 s[28:29], v17, s30
	s_or_b64 s[4:5], s[4:5], s[28:29]
	v_mov_b32_e32 v12, v11
	s_and_saveexec_b64 s[28:29], s[4:5]
	s_cbranch_execz .LBB128_112
; %bb.111:
	v_sub_f32_e32 v12, v17, v14
	s_mov_b32 s4, 0x3fb8aa3b
	v_mul_f32_e32 v17, 0x3fb8aa3b, v12
	v_fma_f32 v18, v12, s4, -v17
	v_rndne_f32_e32 v19, v17
	v_fmac_f32_e32 v18, 0x32a5705f, v12
	v_sub_f32_e32 v17, v17, v19
	v_add_f32_e32 v17, v17, v18
	v_exp_f32_e32 v17, v17
	v_cvt_i32_f32_e32 v18, v19
	s_mov_b32 s4, 0xc2ce8ed0
	v_cmp_ngt_f32_e64 s[4:5], s4, v12
	v_mov_b32_e32 v19, 0x7f800000
	v_ldexp_f32 v17, v17, v18
	v_cndmask_b32_e64 v17, 0, v17, s[4:5]
	s_mov_b32 s4, 0x42b17218
	v_cmp_nlt_f32_e64 s[4:5], s4, v12
	v_cndmask_b32_e64 v12, v19, v17, s[4:5]
	v_add_f32_e32 v20, 1.0, v12
	v_cvt_f64_f32_e32 v[17:18], v20
	v_add_f32_e32 v23, -1.0, v20
	v_sub_f32_e32 v31, v23, v20
	v_sub_f32_e32 v23, v12, v23
	v_frexp_exp_i32_f64_e32 v17, v[17:18]
	v_add_f32_e32 v18, 1.0, v31
	v_add_f32_e32 v18, v23, v18
	v_frexp_mant_f32_e32 v23, v20
	s_mov_b32 s4, 0x3f2aaaab
	v_cmp_gt_f32_e64 s[4:5], s4, v23
	s_mov_b32 s31, 0x7f800000
	v_subbrev_co_u32_e64 v17, s[4:5], 0, v17, s[4:5]
	v_sub_u32_e32 v23, 0, v17
	v_ldexp_f32 v20, v20, v23
	v_ldexp_f32 v18, v18, v23
	v_add_f32_e32 v23, -1.0, v20
	v_add_f32_e32 v33, 1.0, v20
	v_add_f32_e32 v31, 1.0, v23
	v_add_f32_e32 v35, -1.0, v33
	v_sub_f32_e32 v31, v20, v31
	v_sub_f32_e32 v20, v20, v35
	v_add_f32_e32 v31, v18, v31
	v_add_f32_e32 v18, v18, v20
	;; [unrolled: 1-line block ×3, first 2 shown]
	v_rcp_f32_e32 v35, v20
	v_add_f32_e32 v32, v23, v31
	v_sub_f32_e32 v23, v23, v32
	v_add_f32_e32 v23, v31, v23
	v_sub_f32_e32 v31, v33, v20
	v_add_f32_e32 v18, v18, v31
	v_mul_f32_e32 v31, v32, v35
	v_mul_f32_e32 v33, v20, v31
	s_waitcnt lgkmcnt(0)
	v_fma_f32 v36, v31, v20, -v33
	v_fmac_f32_e32 v36, v31, v18
	v_add_f32_e32 v37, v33, v36
	v_sub_f32_e32 v38, v32, v37
	v_sub_f32_e32 v32, v32, v38
	;; [unrolled: 1-line block ×4, first 2 shown]
	v_add_f32_e32 v23, v23, v32
	v_sub_f32_e32 v32, v33, v36
	v_add_f32_e32 v23, v32, v23
	v_add_f32_e32 v32, v38, v23
	v_mul_f32_e32 v33, v35, v32
	v_mul_f32_e32 v36, v20, v33
	v_fma_f32 v20, v33, v20, -v36
	v_fmac_f32_e32 v20, v33, v18
	v_sub_f32_e32 v18, v38, v32
	v_add_f32_e32 v18, v23, v18
	v_add_f32_e32 v23, v36, v20
	v_sub_f32_e32 v37, v32, v23
	v_sub_f32_e32 v32, v32, v37
	v_sub_f32_e32 v36, v23, v36
	v_sub_f32_e32 v23, v32, v23
	v_add_f32_e32 v18, v18, v23
	v_sub_f32_e32 v20, v36, v20
	v_add_f32_e32 v18, v20, v18
	v_add_f32_e32 v20, v31, v33
	;; [unrolled: 1-line block ×3, first 2 shown]
	v_sub_f32_e32 v23, v20, v31
	v_mul_f32_e32 v18, v35, v18
	v_sub_f32_e32 v23, v33, v23
	v_add_f32_e32 v18, v23, v18
	v_cvt_f32_i32_e32 v17, v17
	v_add_f32_e32 v23, v20, v18
	v_mul_f32_e32 v31, v23, v23
	v_mov_b32_e32 v32, 0x3ecc95a3
	v_fmac_f32_e32 v32, 0x3e9b6dac, v31
	v_mov_b32_e32 v33, 0x3f2aaada
	v_fmac_f32_e32 v33, v31, v32
	s_mov_b32 s4, 0x3f317218
	v_mul_f32_e32 v32, 0x3f317218, v17
	v_fma_f32 v35, v17, s4, -v32
	v_fmac_f32_e32 v35, 0xb102e308, v17
	v_sub_f32_e32 v17, v23, v20
	v_sub_f32_e32 v17, v18, v17
	v_add_f32_e32 v18, v32, v35
	v_sub_f32_e32 v20, v18, v32
	v_ldexp_f32 v32, v23, 1
	v_mul_f32_e32 v23, v23, v31
	v_mul_f32_e32 v23, v23, v33
	v_add_f32_e32 v31, v32, v23
	v_sub_f32_e32 v32, v31, v32
	v_ldexp_f32 v17, v17, 1
	v_sub_f32_e32 v23, v23, v32
	v_add_f32_e32 v17, v17, v23
	v_add_f32_e32 v23, v31, v17
	v_sub_f32_e32 v31, v23, v31
	v_sub_f32_e32 v17, v17, v31
	v_add_f32_e32 v31, v18, v23
	v_sub_f32_e32 v32, v31, v18
	v_sub_f32_e32 v33, v31, v32
	;; [unrolled: 1-line block ×5, first 2 shown]
	v_add_f32_e32 v18, v23, v18
	v_add_f32_e32 v23, v20, v17
	v_sub_f32_e32 v32, v23, v20
	v_sub_f32_e32 v33, v23, v32
	;; [unrolled: 1-line block ×4, first 2 shown]
	v_add_f32_e32 v18, v23, v18
	v_add_f32_e32 v17, v17, v20
	;; [unrolled: 1-line block ×3, first 2 shown]
	v_sub_f32_e32 v23, v20, v31
	v_sub_f32_e32 v18, v18, v23
	v_add_f32_e32 v17, v17, v18
	v_add_f32_e32 v17, v20, v17
	v_cmp_neq_f32_e64 s[4:5], s31, v12
	v_cndmask_b32_e64 v17, v19, v17, s[4:5]
	s_mov_b32 s4, 0x33800000
	v_cmp_lt_f32_e64 s[4:5], |v12|, s4
	v_cndmask_b32_e64 v12, v17, v12, s[4:5]
	v_add_f32_e32 v12, v14, v12
.LBB128_112:
	s_or_b64 exec, exec, s[28:29]
	v_max_f32_e32 v14, v12, v12
	v_min_f32_e32 v17, v14, v21
	v_cmp_u_f32_e64 s[4:5], v12, v12
	v_max_f32_e32 v14, v14, v21
	v_cndmask_b32_e64 v17, v17, v12, s[4:5]
	v_cndmask_b32_e64 v14, v14, v12, s[4:5]
	;; [unrolled: 1-line block ×4, first 2 shown]
	v_cmp_neq_f32_e64 s[4:5], v17, v14
	v_cmp_class_f32_e64 s[28:29], v17, s30
	s_or_b64 s[4:5], s[4:5], s[28:29]
	v_mov_b32_e32 v9, v12
	s_and_saveexec_b64 s[28:29], s[4:5]
	s_cbranch_execz .LBB128_114
; %bb.113:
	v_sub_f32_e32 v9, v17, v14
	s_mov_b32 s4, 0x3fb8aa3b
	v_mul_f32_e32 v17, 0x3fb8aa3b, v9
	v_fma_f32 v18, v9, s4, -v17
	v_rndne_f32_e32 v19, v17
	v_fmac_f32_e32 v18, 0x32a5705f, v9
	v_sub_f32_e32 v17, v17, v19
	v_add_f32_e32 v17, v17, v18
	v_exp_f32_e32 v17, v17
	v_cvt_i32_f32_e32 v18, v19
	s_mov_b32 s4, 0xc2ce8ed0
	v_cmp_ngt_f32_e64 s[4:5], s4, v9
	v_mov_b32_e32 v19, 0x7f800000
	v_ldexp_f32 v17, v17, v18
	v_cndmask_b32_e64 v17, 0, v17, s[4:5]
	s_mov_b32 s4, 0x42b17218
	v_cmp_nlt_f32_e64 s[4:5], s4, v9
	v_cndmask_b32_e64 v9, v19, v17, s[4:5]
	v_add_f32_e32 v20, 1.0, v9
	v_cvt_f64_f32_e32 v[17:18], v20
	v_add_f32_e32 v21, -1.0, v20
	v_sub_f32_e32 v23, v21, v20
	v_sub_f32_e32 v21, v9, v21
	v_frexp_exp_i32_f64_e32 v17, v[17:18]
	v_add_f32_e32 v18, 1.0, v23
	v_add_f32_e32 v18, v21, v18
	v_frexp_mant_f32_e32 v21, v20
	s_mov_b32 s4, 0x3f2aaaab
	v_cmp_gt_f32_e64 s[4:5], s4, v21
	s_mov_b32 s30, 0x7f800000
	v_subbrev_co_u32_e64 v17, s[4:5], 0, v17, s[4:5]
	v_sub_u32_e32 v21, 0, v17
	v_ldexp_f32 v20, v20, v21
	v_ldexp_f32 v18, v18, v21
	v_add_f32_e32 v21, -1.0, v20
	v_add_f32_e32 v32, 1.0, v20
	v_add_f32_e32 v23, 1.0, v21
	v_add_f32_e32 v33, -1.0, v32
	v_sub_f32_e32 v23, v20, v23
	v_sub_f32_e32 v20, v20, v33
	v_add_f32_e32 v23, v18, v23
	v_add_f32_e32 v18, v18, v20
	;; [unrolled: 1-line block ×3, first 2 shown]
	v_rcp_f32_e32 v33, v20
	v_add_f32_e32 v31, v21, v23
	v_sub_f32_e32 v21, v21, v31
	v_add_f32_e32 v21, v23, v21
	v_sub_f32_e32 v23, v32, v20
	v_add_f32_e32 v18, v18, v23
	v_mul_f32_e32 v23, v31, v33
	v_mul_f32_e32 v32, v20, v23
	v_fma_f32 v35, v23, v20, -v32
	v_fmac_f32_e32 v35, v23, v18
	s_waitcnt lgkmcnt(0)
	v_add_f32_e32 v36, v32, v35
	v_sub_f32_e32 v37, v31, v36
	v_sub_f32_e32 v31, v31, v37
	;; [unrolled: 1-line block ×4, first 2 shown]
	v_add_f32_e32 v21, v21, v31
	v_sub_f32_e32 v31, v32, v35
	v_add_f32_e32 v21, v31, v21
	v_add_f32_e32 v31, v37, v21
	v_mul_f32_e32 v32, v33, v31
	v_mul_f32_e32 v35, v20, v32
	v_fma_f32 v20, v32, v20, -v35
	v_fmac_f32_e32 v20, v32, v18
	v_sub_f32_e32 v18, v37, v31
	v_add_f32_e32 v18, v21, v18
	v_add_f32_e32 v21, v35, v20
	v_sub_f32_e32 v36, v31, v21
	v_sub_f32_e32 v31, v31, v36
	;; [unrolled: 1-line block ×4, first 2 shown]
	v_add_f32_e32 v18, v18, v21
	v_sub_f32_e32 v20, v35, v20
	v_add_f32_e32 v18, v20, v18
	v_add_f32_e32 v20, v23, v32
	;; [unrolled: 1-line block ×3, first 2 shown]
	v_sub_f32_e32 v21, v20, v23
	v_mul_f32_e32 v18, v33, v18
	v_sub_f32_e32 v21, v32, v21
	v_add_f32_e32 v18, v21, v18
	v_cvt_f32_i32_e32 v17, v17
	v_add_f32_e32 v21, v20, v18
	v_mul_f32_e32 v23, v21, v21
	v_mov_b32_e32 v31, 0x3ecc95a3
	v_fmac_f32_e32 v31, 0x3e9b6dac, v23
	v_mov_b32_e32 v32, 0x3f2aaada
	v_fmac_f32_e32 v32, v23, v31
	s_mov_b32 s4, 0x3f317218
	v_mul_f32_e32 v31, 0x3f317218, v17
	v_fma_f32 v33, v17, s4, -v31
	v_fmac_f32_e32 v33, 0xb102e308, v17
	v_sub_f32_e32 v17, v21, v20
	v_sub_f32_e32 v17, v18, v17
	v_add_f32_e32 v18, v31, v33
	v_sub_f32_e32 v20, v18, v31
	v_ldexp_f32 v31, v21, 1
	v_mul_f32_e32 v21, v21, v23
	v_mul_f32_e32 v21, v21, v32
	v_add_f32_e32 v23, v31, v21
	v_sub_f32_e32 v31, v23, v31
	v_ldexp_f32 v17, v17, 1
	v_sub_f32_e32 v21, v21, v31
	v_add_f32_e32 v17, v17, v21
	v_add_f32_e32 v21, v23, v17
	v_sub_f32_e32 v23, v21, v23
	v_sub_f32_e32 v17, v17, v23
	v_add_f32_e32 v23, v18, v21
	v_sub_f32_e32 v31, v23, v18
	v_sub_f32_e32 v32, v23, v31
	;; [unrolled: 1-line block ×5, first 2 shown]
	v_add_f32_e32 v18, v21, v18
	v_add_f32_e32 v21, v20, v17
	v_sub_f32_e32 v31, v21, v20
	v_sub_f32_e32 v32, v21, v31
	;; [unrolled: 1-line block ×4, first 2 shown]
	v_add_f32_e32 v18, v21, v18
	v_add_f32_e32 v17, v17, v20
	;; [unrolled: 1-line block ×3, first 2 shown]
	v_sub_f32_e32 v21, v20, v23
	v_sub_f32_e32 v18, v18, v21
	v_add_f32_e32 v17, v17, v18
	v_add_f32_e32 v17, v20, v17
	v_cmp_neq_f32_e64 s[4:5], s30, v9
	v_cndmask_b32_e64 v17, v19, v17, s[4:5]
	s_mov_b32 s4, 0x33800000
	v_cmp_lt_f32_e64 s[4:5], |v9|, s4
	v_cndmask_b32_e64 v9, v17, v9, s[4:5]
	v_add_f32_e32 v9, v14, v9
.LBB128_114:
	s_or_b64 exec, exec, s[28:29]
	v_max_f32_e32 v14, v9, v9
	v_min_f32_e32 v17, v14, v22
	v_cmp_u_f32_e64 s[4:5], v9, v9
	v_max_f32_e32 v14, v14, v22
	v_cndmask_b32_e64 v17, v17, v9, s[4:5]
	v_cndmask_b32_e64 v14, v14, v9, s[4:5]
	v_cndmask_b32_e64 v17, v17, v10, s[42:43]
	v_cndmask_b32_e64 v14, v14, v10, s[42:43]
	s_movk_i32 s30, 0x1f8
	v_cmp_neq_f32_e64 s[4:5], v17, v14
	v_cmp_class_f32_e64 s[28:29], v17, s30
	s_or_b64 s[4:5], s[4:5], s[28:29]
	v_mov_b32_e32 v10, v9
	s_and_saveexec_b64 s[28:29], s[4:5]
	s_cbranch_execz .LBB128_116
; %bb.115:
	v_sub_f32_e32 v10, v17, v14
	s_mov_b32 s4, 0x3fb8aa3b
	v_mul_f32_e32 v17, 0x3fb8aa3b, v10
	v_fma_f32 v18, v10, s4, -v17
	v_rndne_f32_e32 v19, v17
	v_fmac_f32_e32 v18, 0x32a5705f, v10
	v_sub_f32_e32 v17, v17, v19
	v_add_f32_e32 v17, v17, v18
	v_exp_f32_e32 v17, v17
	v_cvt_i32_f32_e32 v18, v19
	s_mov_b32 s4, 0xc2ce8ed0
	v_cmp_ngt_f32_e64 s[4:5], s4, v10
	v_mov_b32_e32 v19, 0x7f800000
	v_ldexp_f32 v17, v17, v18
	v_cndmask_b32_e64 v17, 0, v17, s[4:5]
	s_mov_b32 s4, 0x42b17218
	v_cmp_nlt_f32_e64 s[4:5], s4, v10
	v_cndmask_b32_e64 v10, v19, v17, s[4:5]
	v_add_f32_e32 v20, 1.0, v10
	v_cvt_f64_f32_e32 v[17:18], v20
	v_add_f32_e32 v21, -1.0, v20
	v_sub_f32_e32 v22, v21, v20
	v_sub_f32_e32 v21, v10, v21
	v_frexp_exp_i32_f64_e32 v17, v[17:18]
	v_add_f32_e32 v18, 1.0, v22
	v_add_f32_e32 v18, v21, v18
	v_frexp_mant_f32_e32 v21, v20
	s_mov_b32 s4, 0x3f2aaaab
	v_cmp_gt_f32_e64 s[4:5], s4, v21
	s_mov_b32 s31, 0x7f800000
	v_subbrev_co_u32_e64 v17, s[4:5], 0, v17, s[4:5]
	v_sub_u32_e32 v21, 0, v17
	v_ldexp_f32 v20, v20, v21
	v_ldexp_f32 v18, v18, v21
	v_add_f32_e32 v21, -1.0, v20
	v_add_f32_e32 v31, 1.0, v20
	v_add_f32_e32 v22, 1.0, v21
	v_add_f32_e32 v32, -1.0, v31
	v_sub_f32_e32 v22, v20, v22
	v_sub_f32_e32 v20, v20, v32
	v_add_f32_e32 v22, v18, v22
	v_add_f32_e32 v18, v18, v20
	;; [unrolled: 1-line block ×3, first 2 shown]
	v_rcp_f32_e32 v32, v20
	v_add_f32_e32 v23, v21, v22
	v_sub_f32_e32 v21, v21, v23
	v_add_f32_e32 v21, v22, v21
	v_sub_f32_e32 v22, v31, v20
	v_add_f32_e32 v18, v18, v22
	v_mul_f32_e32 v22, v23, v32
	v_mul_f32_e32 v31, v20, v22
	v_fma_f32 v33, v22, v20, -v31
	v_fmac_f32_e32 v33, v22, v18
	v_add_f32_e32 v35, v31, v33
	s_waitcnt lgkmcnt(0)
	v_sub_f32_e32 v36, v23, v35
	v_sub_f32_e32 v23, v23, v36
	;; [unrolled: 1-line block ×4, first 2 shown]
	v_add_f32_e32 v21, v21, v23
	v_sub_f32_e32 v23, v31, v33
	v_add_f32_e32 v21, v23, v21
	v_add_f32_e32 v23, v36, v21
	v_mul_f32_e32 v31, v32, v23
	v_mul_f32_e32 v33, v20, v31
	v_fma_f32 v20, v31, v20, -v33
	v_fmac_f32_e32 v20, v31, v18
	v_sub_f32_e32 v18, v36, v23
	v_add_f32_e32 v18, v21, v18
	v_add_f32_e32 v21, v33, v20
	v_sub_f32_e32 v35, v23, v21
	v_sub_f32_e32 v23, v23, v35
	;; [unrolled: 1-line block ×4, first 2 shown]
	v_add_f32_e32 v18, v18, v21
	v_sub_f32_e32 v20, v33, v20
	v_add_f32_e32 v18, v20, v18
	v_add_f32_e32 v20, v22, v31
	;; [unrolled: 1-line block ×3, first 2 shown]
	v_sub_f32_e32 v21, v20, v22
	v_mul_f32_e32 v18, v32, v18
	v_sub_f32_e32 v21, v31, v21
	v_add_f32_e32 v18, v21, v18
	v_cvt_f32_i32_e32 v17, v17
	v_add_f32_e32 v21, v20, v18
	v_mul_f32_e32 v22, v21, v21
	v_mov_b32_e32 v23, 0x3ecc95a3
	v_fmac_f32_e32 v23, 0x3e9b6dac, v22
	v_mov_b32_e32 v31, 0x3f2aaada
	v_fmac_f32_e32 v31, v22, v23
	s_mov_b32 s4, 0x3f317218
	v_mul_f32_e32 v23, 0x3f317218, v17
	v_fma_f32 v32, v17, s4, -v23
	v_fmac_f32_e32 v32, 0xb102e308, v17
	v_sub_f32_e32 v17, v21, v20
	v_sub_f32_e32 v17, v18, v17
	v_add_f32_e32 v18, v23, v32
	v_sub_f32_e32 v20, v18, v23
	v_ldexp_f32 v23, v21, 1
	v_mul_f32_e32 v21, v21, v22
	v_mul_f32_e32 v21, v21, v31
	v_add_f32_e32 v22, v23, v21
	v_sub_f32_e32 v23, v22, v23
	v_ldexp_f32 v17, v17, 1
	v_sub_f32_e32 v21, v21, v23
	v_add_f32_e32 v17, v17, v21
	v_add_f32_e32 v21, v22, v17
	v_sub_f32_e32 v22, v21, v22
	v_sub_f32_e32 v17, v17, v22
	v_add_f32_e32 v22, v18, v21
	v_sub_f32_e32 v23, v22, v18
	v_sub_f32_e32 v31, v22, v23
	;; [unrolled: 1-line block ×5, first 2 shown]
	v_add_f32_e32 v18, v21, v18
	v_add_f32_e32 v21, v20, v17
	v_sub_f32_e32 v23, v21, v20
	v_sub_f32_e32 v31, v21, v23
	;; [unrolled: 1-line block ×4, first 2 shown]
	v_add_f32_e32 v18, v21, v18
	v_add_f32_e32 v17, v17, v20
	;; [unrolled: 1-line block ×3, first 2 shown]
	v_sub_f32_e32 v21, v20, v22
	v_sub_f32_e32 v18, v18, v21
	v_add_f32_e32 v17, v17, v18
	v_add_f32_e32 v17, v20, v17
	v_cmp_neq_f32_e64 s[4:5], s31, v10
	v_cndmask_b32_e64 v17, v19, v17, s[4:5]
	s_mov_b32 s4, 0x33800000
	v_cmp_lt_f32_e64 s[4:5], |v10|, s4
	v_cndmask_b32_e64 v10, v17, v10, s[4:5]
	v_add_f32_e32 v10, v14, v10
.LBB128_116:
	s_or_b64 exec, exec, s[28:29]
	v_max_f32_e32 v14, v10, v10
	v_min_f32_e32 v17, v14, v24
	v_cmp_u_f32_e64 s[4:5], v10, v10
	v_max_f32_e32 v14, v14, v24
	v_cndmask_b32_e64 v17, v17, v10, s[4:5]
	v_cndmask_b32_e64 v14, v14, v10, s[4:5]
	;; [unrolled: 1-line block ×4, first 2 shown]
	v_cmp_neq_f32_e64 s[4:5], v17, v14
	v_cmp_class_f32_e64 s[28:29], v17, s30
	s_or_b64 s[4:5], s[4:5], s[28:29]
	v_mov_b32_e32 v7, v10
	s_and_saveexec_b64 s[28:29], s[4:5]
	s_cbranch_execz .LBB128_118
; %bb.117:
	v_sub_f32_e32 v7, v17, v14
	s_mov_b32 s4, 0x3fb8aa3b
	v_mul_f32_e32 v17, 0x3fb8aa3b, v7
	v_fma_f32 v18, v7, s4, -v17
	v_rndne_f32_e32 v19, v17
	v_fmac_f32_e32 v18, 0x32a5705f, v7
	v_sub_f32_e32 v17, v17, v19
	v_add_f32_e32 v17, v17, v18
	v_exp_f32_e32 v17, v17
	v_cvt_i32_f32_e32 v18, v19
	s_mov_b32 s4, 0xc2ce8ed0
	v_cmp_ngt_f32_e64 s[4:5], s4, v7
	v_mov_b32_e32 v19, 0x7f800000
	v_ldexp_f32 v17, v17, v18
	v_cndmask_b32_e64 v17, 0, v17, s[4:5]
	s_mov_b32 s4, 0x42b17218
	v_cmp_nlt_f32_e64 s[4:5], s4, v7
	v_cndmask_b32_e64 v7, v19, v17, s[4:5]
	v_add_f32_e32 v20, 1.0, v7
	v_cvt_f64_f32_e32 v[17:18], v20
	v_add_f32_e32 v21, -1.0, v20
	v_sub_f32_e32 v22, v21, v20
	v_sub_f32_e32 v21, v7, v21
	v_frexp_exp_i32_f64_e32 v17, v[17:18]
	v_add_f32_e32 v18, 1.0, v22
	v_add_f32_e32 v18, v21, v18
	v_frexp_mant_f32_e32 v21, v20
	s_mov_b32 s4, 0x3f2aaaab
	v_cmp_gt_f32_e64 s[4:5], s4, v21
	s_mov_b32 s30, 0x7f800000
	v_subbrev_co_u32_e64 v17, s[4:5], 0, v17, s[4:5]
	v_sub_u32_e32 v21, 0, v17
	v_ldexp_f32 v20, v20, v21
	v_ldexp_f32 v18, v18, v21
	v_add_f32_e32 v21, -1.0, v20
	v_add_f32_e32 v24, 1.0, v20
	v_add_f32_e32 v22, 1.0, v21
	v_add_f32_e32 v31, -1.0, v24
	v_sub_f32_e32 v22, v20, v22
	v_sub_f32_e32 v20, v20, v31
	v_add_f32_e32 v22, v18, v22
	v_add_f32_e32 v18, v18, v20
	;; [unrolled: 1-line block ×3, first 2 shown]
	v_rcp_f32_e32 v31, v20
	v_add_f32_e32 v23, v21, v22
	v_sub_f32_e32 v21, v21, v23
	v_add_f32_e32 v21, v22, v21
	v_sub_f32_e32 v22, v24, v20
	v_add_f32_e32 v18, v18, v22
	v_mul_f32_e32 v22, v23, v31
	v_mul_f32_e32 v24, v20, v22
	v_fma_f32 v32, v22, v20, -v24
	v_fmac_f32_e32 v32, v22, v18
	v_add_f32_e32 v33, v24, v32
	v_sub_f32_e32 v35, v23, v33
	v_sub_f32_e32 v23, v23, v35
	;; [unrolled: 1-line block ×4, first 2 shown]
	v_add_f32_e32 v21, v21, v23
	v_sub_f32_e32 v23, v24, v32
	v_add_f32_e32 v21, v23, v21
	v_add_f32_e32 v23, v35, v21
	v_mul_f32_e32 v24, v31, v23
	v_mul_f32_e32 v32, v20, v24
	v_fma_f32 v20, v24, v20, -v32
	v_fmac_f32_e32 v20, v24, v18
	v_sub_f32_e32 v18, v35, v23
	v_add_f32_e32 v18, v21, v18
	v_add_f32_e32 v21, v32, v20
	v_sub_f32_e32 v33, v23, v21
	v_sub_f32_e32 v23, v23, v33
	;; [unrolled: 1-line block ×4, first 2 shown]
	v_add_f32_e32 v18, v18, v21
	v_sub_f32_e32 v20, v32, v20
	v_add_f32_e32 v18, v20, v18
	v_add_f32_e32 v20, v22, v24
	;; [unrolled: 1-line block ×3, first 2 shown]
	v_sub_f32_e32 v21, v20, v22
	v_mul_f32_e32 v18, v31, v18
	v_sub_f32_e32 v21, v24, v21
	v_add_f32_e32 v18, v21, v18
	v_cvt_f32_i32_e32 v17, v17
	v_add_f32_e32 v21, v20, v18
	v_mul_f32_e32 v22, v21, v21
	v_mov_b32_e32 v23, 0x3ecc95a3
	v_fmac_f32_e32 v23, 0x3e9b6dac, v22
	v_mov_b32_e32 v24, 0x3f2aaada
	v_fmac_f32_e32 v24, v22, v23
	s_mov_b32 s4, 0x3f317218
	v_mul_f32_e32 v23, 0x3f317218, v17
	v_fma_f32 v31, v17, s4, -v23
	v_fmac_f32_e32 v31, 0xb102e308, v17
	v_sub_f32_e32 v17, v21, v20
	v_sub_f32_e32 v17, v18, v17
	v_add_f32_e32 v18, v23, v31
	v_sub_f32_e32 v20, v18, v23
	v_ldexp_f32 v23, v21, 1
	v_mul_f32_e32 v21, v21, v22
	v_mul_f32_e32 v21, v21, v24
	v_add_f32_e32 v22, v23, v21
	v_sub_f32_e32 v23, v22, v23
	v_ldexp_f32 v17, v17, 1
	v_sub_f32_e32 v21, v21, v23
	v_add_f32_e32 v17, v17, v21
	v_add_f32_e32 v21, v22, v17
	v_sub_f32_e32 v22, v21, v22
	v_sub_f32_e32 v17, v17, v22
	v_add_f32_e32 v22, v18, v21
	v_sub_f32_e32 v23, v22, v18
	v_sub_f32_e32 v24, v22, v23
	;; [unrolled: 1-line block ×5, first 2 shown]
	v_add_f32_e32 v18, v21, v18
	v_add_f32_e32 v21, v20, v17
	v_sub_f32_e32 v23, v21, v20
	v_sub_f32_e32 v24, v21, v23
	;; [unrolled: 1-line block ×4, first 2 shown]
	v_add_f32_e32 v18, v21, v18
	v_add_f32_e32 v17, v17, v20
	v_add_f32_e32 v20, v22, v18
	v_sub_f32_e32 v21, v20, v22
	v_sub_f32_e32 v18, v18, v21
	v_add_f32_e32 v17, v17, v18
	v_add_f32_e32 v17, v20, v17
	v_cmp_neq_f32_e64 s[4:5], s30, v7
	v_cndmask_b32_e64 v17, v19, v17, s[4:5]
	s_mov_b32 s4, 0x33800000
	v_cmp_lt_f32_e64 s[4:5], |v7|, s4
	v_cndmask_b32_e64 v7, v17, v7, s[4:5]
	v_add_f32_e32 v7, v14, v7
.LBB128_118:
	s_or_b64 exec, exec, s[28:29]
	v_max_f32_e32 v14, v7, v7
	v_min_f32_e32 v17, v14, v25
	v_cmp_u_f32_e64 s[4:5], v7, v7
	v_max_f32_e32 v14, v14, v25
	v_cndmask_b32_e64 v17, v17, v7, s[4:5]
	v_cndmask_b32_e64 v14, v14, v7, s[4:5]
	;; [unrolled: 1-line block ×4, first 2 shown]
	s_movk_i32 s30, 0x1f8
	v_cmp_neq_f32_e64 s[4:5], v17, v14
	v_cmp_class_f32_e64 s[28:29], v17, s30
	s_or_b64 s[4:5], s[4:5], s[28:29]
	v_mov_b32_e32 v8, v7
	s_and_saveexec_b64 s[28:29], s[4:5]
	s_cbranch_execz .LBB128_120
; %bb.119:
	v_sub_f32_e32 v8, v17, v14
	s_mov_b32 s4, 0x3fb8aa3b
	v_mul_f32_e32 v17, 0x3fb8aa3b, v8
	v_fma_f32 v18, v8, s4, -v17
	v_rndne_f32_e32 v19, v17
	v_fmac_f32_e32 v18, 0x32a5705f, v8
	v_sub_f32_e32 v17, v17, v19
	v_add_f32_e32 v17, v17, v18
	v_exp_f32_e32 v17, v17
	v_cvt_i32_f32_e32 v18, v19
	s_mov_b32 s4, 0xc2ce8ed0
	v_cmp_ngt_f32_e64 s[4:5], s4, v8
	v_mov_b32_e32 v19, 0x7f800000
	v_ldexp_f32 v17, v17, v18
	v_cndmask_b32_e64 v17, 0, v17, s[4:5]
	s_mov_b32 s4, 0x42b17218
	v_cmp_nlt_f32_e64 s[4:5], s4, v8
	v_cndmask_b32_e64 v8, v19, v17, s[4:5]
	v_add_f32_e32 v20, 1.0, v8
	v_cvt_f64_f32_e32 v[17:18], v20
	v_add_f32_e32 v21, -1.0, v20
	v_sub_f32_e32 v22, v21, v20
	v_sub_f32_e32 v21, v8, v21
	v_frexp_exp_i32_f64_e32 v17, v[17:18]
	v_add_f32_e32 v18, 1.0, v22
	v_add_f32_e32 v18, v21, v18
	v_frexp_mant_f32_e32 v21, v20
	s_mov_b32 s4, 0x3f2aaaab
	v_cmp_gt_f32_e64 s[4:5], s4, v21
	s_mov_b32 s31, 0x7f800000
	v_subbrev_co_u32_e64 v17, s[4:5], 0, v17, s[4:5]
	v_sub_u32_e32 v21, 0, v17
	v_ldexp_f32 v20, v20, v21
	v_ldexp_f32 v18, v18, v21
	v_add_f32_e32 v21, -1.0, v20
	v_add_f32_e32 v24, 1.0, v20
	v_add_f32_e32 v22, 1.0, v21
	v_add_f32_e32 v25, -1.0, v24
	v_sub_f32_e32 v22, v20, v22
	v_sub_f32_e32 v20, v20, v25
	v_add_f32_e32 v22, v18, v22
	v_add_f32_e32 v18, v18, v20
	;; [unrolled: 1-line block ×3, first 2 shown]
	v_rcp_f32_e32 v25, v20
	v_add_f32_e32 v23, v21, v22
	v_sub_f32_e32 v21, v21, v23
	v_add_f32_e32 v21, v22, v21
	v_sub_f32_e32 v22, v24, v20
	v_add_f32_e32 v18, v18, v22
	v_mul_f32_e32 v22, v23, v25
	v_mul_f32_e32 v24, v20, v22
	v_fma_f32 v31, v22, v20, -v24
	v_fmac_f32_e32 v31, v22, v18
	v_add_f32_e32 v32, v24, v31
	v_sub_f32_e32 v33, v23, v32
	v_sub_f32_e32 v23, v23, v33
	v_sub_f32_e32 v24, v32, v24
	v_sub_f32_e32 v23, v23, v32
	v_add_f32_e32 v21, v21, v23
	v_sub_f32_e32 v23, v24, v31
	v_add_f32_e32 v21, v23, v21
	v_add_f32_e32 v23, v33, v21
	v_mul_f32_e32 v24, v25, v23
	v_mul_f32_e32 v31, v20, v24
	v_fma_f32 v20, v24, v20, -v31
	v_fmac_f32_e32 v20, v24, v18
	v_sub_f32_e32 v18, v33, v23
	v_add_f32_e32 v18, v21, v18
	v_add_f32_e32 v21, v31, v20
	v_sub_f32_e32 v32, v23, v21
	v_sub_f32_e32 v23, v23, v32
	;; [unrolled: 1-line block ×4, first 2 shown]
	v_add_f32_e32 v18, v18, v21
	v_sub_f32_e32 v20, v31, v20
	v_add_f32_e32 v18, v20, v18
	v_add_f32_e32 v20, v22, v24
	v_add_f32_e32 v18, v32, v18
	v_sub_f32_e32 v21, v20, v22
	v_mul_f32_e32 v18, v25, v18
	v_sub_f32_e32 v21, v24, v21
	v_add_f32_e32 v18, v21, v18
	v_cvt_f32_i32_e32 v17, v17
	v_add_f32_e32 v21, v20, v18
	v_mul_f32_e32 v22, v21, v21
	v_mov_b32_e32 v23, 0x3ecc95a3
	v_fmac_f32_e32 v23, 0x3e9b6dac, v22
	v_mov_b32_e32 v24, 0x3f2aaada
	v_fmac_f32_e32 v24, v22, v23
	s_mov_b32 s4, 0x3f317218
	v_mul_f32_e32 v23, 0x3f317218, v17
	v_fma_f32 v25, v17, s4, -v23
	v_fmac_f32_e32 v25, 0xb102e308, v17
	v_sub_f32_e32 v17, v21, v20
	v_sub_f32_e32 v17, v18, v17
	v_add_f32_e32 v18, v23, v25
	v_sub_f32_e32 v20, v18, v23
	v_ldexp_f32 v23, v21, 1
	v_mul_f32_e32 v21, v21, v22
	v_mul_f32_e32 v21, v21, v24
	v_add_f32_e32 v22, v23, v21
	v_sub_f32_e32 v23, v22, v23
	v_ldexp_f32 v17, v17, 1
	v_sub_f32_e32 v21, v21, v23
	v_add_f32_e32 v17, v17, v21
	v_add_f32_e32 v21, v22, v17
	v_sub_f32_e32 v22, v21, v22
	v_sub_f32_e32 v17, v17, v22
	v_add_f32_e32 v22, v18, v21
	v_sub_f32_e32 v23, v22, v18
	v_sub_f32_e32 v24, v22, v23
	;; [unrolled: 1-line block ×5, first 2 shown]
	v_add_f32_e32 v18, v21, v18
	v_add_f32_e32 v21, v20, v17
	v_sub_f32_e32 v23, v21, v20
	v_sub_f32_e32 v24, v21, v23
	;; [unrolled: 1-line block ×4, first 2 shown]
	v_add_f32_e32 v18, v21, v18
	v_add_f32_e32 v17, v17, v20
	v_add_f32_e32 v20, v22, v18
	v_sub_f32_e32 v21, v20, v22
	v_sub_f32_e32 v18, v18, v21
	v_add_f32_e32 v17, v17, v18
	v_add_f32_e32 v17, v20, v17
	v_cmp_neq_f32_e64 s[4:5], s31, v8
	v_cndmask_b32_e64 v17, v19, v17, s[4:5]
	s_mov_b32 s4, 0x33800000
	v_cmp_lt_f32_e64 s[4:5], |v8|, s4
	v_cndmask_b32_e64 v8, v17, v8, s[4:5]
	v_add_f32_e32 v8, v14, v8
.LBB128_120:
	s_or_b64 exec, exec, s[28:29]
	v_max_f32_e32 v14, v8, v8
	v_min_f32_e32 v17, v14, v26
	v_cmp_u_f32_e64 s[4:5], v8, v8
	v_max_f32_e32 v14, v14, v26
	v_cndmask_b32_e64 v17, v17, v8, s[4:5]
	v_cndmask_b32_e64 v14, v14, v8, s[4:5]
	;; [unrolled: 1-line block ×4, first 2 shown]
	v_cmp_neq_f32_e64 s[4:5], v17, v14
	v_cmp_class_f32_e64 s[28:29], v17, s30
	s_or_b64 s[4:5], s[4:5], s[28:29]
	v_mov_b32_e32 v5, v8
	s_and_saveexec_b64 s[28:29], s[4:5]
	s_cbranch_execz .LBB128_122
; %bb.121:
	v_sub_f32_e32 v5, v17, v14
	s_mov_b32 s4, 0x3fb8aa3b
	v_mul_f32_e32 v17, 0x3fb8aa3b, v5
	v_fma_f32 v18, v5, s4, -v17
	v_rndne_f32_e32 v19, v17
	v_fmac_f32_e32 v18, 0x32a5705f, v5
	v_sub_f32_e32 v17, v17, v19
	v_add_f32_e32 v17, v17, v18
	v_exp_f32_e32 v17, v17
	v_cvt_i32_f32_e32 v18, v19
	s_mov_b32 s4, 0xc2ce8ed0
	v_cmp_ngt_f32_e64 s[4:5], s4, v5
	v_mov_b32_e32 v19, 0x7f800000
	v_ldexp_f32 v17, v17, v18
	v_cndmask_b32_e64 v17, 0, v17, s[4:5]
	s_mov_b32 s4, 0x42b17218
	v_cmp_nlt_f32_e64 s[4:5], s4, v5
	v_cndmask_b32_e64 v5, v19, v17, s[4:5]
	v_add_f32_e32 v20, 1.0, v5
	v_cvt_f64_f32_e32 v[17:18], v20
	v_add_f32_e32 v21, -1.0, v20
	v_sub_f32_e32 v22, v21, v20
	v_sub_f32_e32 v21, v5, v21
	v_frexp_exp_i32_f64_e32 v17, v[17:18]
	v_add_f32_e32 v18, 1.0, v22
	v_add_f32_e32 v18, v21, v18
	v_frexp_mant_f32_e32 v21, v20
	s_mov_b32 s4, 0x3f2aaaab
	v_cmp_gt_f32_e64 s[4:5], s4, v21
	s_mov_b32 s30, 0x7f800000
	v_subbrev_co_u32_e64 v17, s[4:5], 0, v17, s[4:5]
	v_sub_u32_e32 v21, 0, v17
	v_ldexp_f32 v20, v20, v21
	v_ldexp_f32 v18, v18, v21
	v_add_f32_e32 v21, -1.0, v20
	v_add_f32_e32 v24, 1.0, v20
	v_add_f32_e32 v22, 1.0, v21
	v_add_f32_e32 v25, -1.0, v24
	v_sub_f32_e32 v22, v20, v22
	v_sub_f32_e32 v20, v20, v25
	v_add_f32_e32 v22, v18, v22
	v_add_f32_e32 v18, v18, v20
	;; [unrolled: 1-line block ×3, first 2 shown]
	v_rcp_f32_e32 v25, v20
	v_add_f32_e32 v23, v21, v22
	v_sub_f32_e32 v21, v21, v23
	v_add_f32_e32 v21, v22, v21
	v_sub_f32_e32 v22, v24, v20
	v_add_f32_e32 v18, v18, v22
	v_mul_f32_e32 v22, v23, v25
	v_mul_f32_e32 v24, v20, v22
	v_fma_f32 v26, v22, v20, -v24
	v_fmac_f32_e32 v26, v22, v18
	v_add_f32_e32 v31, v24, v26
	v_sub_f32_e32 v32, v23, v31
	v_sub_f32_e32 v23, v23, v32
	v_sub_f32_e32 v24, v31, v24
	v_sub_f32_e32 v23, v23, v31
	v_add_f32_e32 v21, v21, v23
	v_sub_f32_e32 v23, v24, v26
	v_add_f32_e32 v21, v23, v21
	v_add_f32_e32 v23, v32, v21
	v_mul_f32_e32 v24, v25, v23
	v_mul_f32_e32 v26, v20, v24
	v_fma_f32 v20, v24, v20, -v26
	v_fmac_f32_e32 v20, v24, v18
	v_sub_f32_e32 v18, v32, v23
	v_add_f32_e32 v18, v21, v18
	v_add_f32_e32 v21, v26, v20
	v_sub_f32_e32 v31, v23, v21
	v_sub_f32_e32 v23, v23, v31
	;; [unrolled: 1-line block ×4, first 2 shown]
	v_add_f32_e32 v18, v18, v21
	v_sub_f32_e32 v20, v26, v20
	v_add_f32_e32 v18, v20, v18
	v_add_f32_e32 v20, v22, v24
	;; [unrolled: 1-line block ×3, first 2 shown]
	v_sub_f32_e32 v21, v20, v22
	v_mul_f32_e32 v18, v25, v18
	v_sub_f32_e32 v21, v24, v21
	v_add_f32_e32 v18, v21, v18
	v_cvt_f32_i32_e32 v17, v17
	v_add_f32_e32 v21, v20, v18
	v_mul_f32_e32 v22, v21, v21
	v_mov_b32_e32 v23, 0x3ecc95a3
	v_fmac_f32_e32 v23, 0x3e9b6dac, v22
	v_mov_b32_e32 v24, 0x3f2aaada
	v_fmac_f32_e32 v24, v22, v23
	s_mov_b32 s4, 0x3f317218
	v_mul_f32_e32 v23, 0x3f317218, v17
	v_fma_f32 v25, v17, s4, -v23
	v_fmac_f32_e32 v25, 0xb102e308, v17
	v_sub_f32_e32 v17, v21, v20
	v_sub_f32_e32 v17, v18, v17
	v_add_f32_e32 v18, v23, v25
	v_sub_f32_e32 v20, v18, v23
	v_ldexp_f32 v23, v21, 1
	v_mul_f32_e32 v21, v21, v22
	v_mul_f32_e32 v21, v21, v24
	v_add_f32_e32 v22, v23, v21
	v_sub_f32_e32 v23, v22, v23
	v_ldexp_f32 v17, v17, 1
	v_sub_f32_e32 v21, v21, v23
	v_add_f32_e32 v17, v17, v21
	v_add_f32_e32 v21, v22, v17
	v_sub_f32_e32 v22, v21, v22
	v_sub_f32_e32 v17, v17, v22
	v_add_f32_e32 v22, v18, v21
	v_sub_f32_e32 v23, v22, v18
	v_sub_f32_e32 v24, v22, v23
	;; [unrolled: 1-line block ×5, first 2 shown]
	v_add_f32_e32 v18, v21, v18
	v_add_f32_e32 v21, v20, v17
	v_sub_f32_e32 v23, v21, v20
	v_sub_f32_e32 v24, v21, v23
	;; [unrolled: 1-line block ×4, first 2 shown]
	v_add_f32_e32 v18, v21, v18
	v_add_f32_e32 v17, v17, v20
	;; [unrolled: 1-line block ×3, first 2 shown]
	v_sub_f32_e32 v21, v20, v22
	v_sub_f32_e32 v18, v18, v21
	v_add_f32_e32 v17, v17, v18
	v_add_f32_e32 v17, v20, v17
	v_cmp_neq_f32_e64 s[4:5], s30, v5
	v_cndmask_b32_e64 v17, v19, v17, s[4:5]
	s_mov_b32 s4, 0x33800000
	v_cmp_lt_f32_e64 s[4:5], |v5|, s4
	v_cndmask_b32_e64 v5, v17, v5, s[4:5]
	v_add_f32_e32 v5, v14, v5
.LBB128_122:
	s_or_b64 exec, exec, s[28:29]
	v_max_f32_e32 v14, v5, v5
	v_min_f32_e32 v17, v14, v27
	v_cmp_u_f32_e64 s[4:5], v5, v5
	v_max_f32_e32 v14, v14, v27
	v_cndmask_b32_e64 v17, v17, v5, s[4:5]
	v_cndmask_b32_e64 v14, v14, v5, s[4:5]
	;; [unrolled: 1-line block ×4, first 2 shown]
	s_movk_i32 s30, 0x1f8
	v_cmp_neq_f32_e64 s[4:5], v17, v14
	v_cmp_class_f32_e64 s[28:29], v17, s30
	s_or_b64 s[4:5], s[4:5], s[28:29]
	v_mov_b32_e32 v6, v5
	s_and_saveexec_b64 s[28:29], s[4:5]
	s_cbranch_execz .LBB128_124
; %bb.123:
	v_sub_f32_e32 v6, v17, v14
	s_mov_b32 s4, 0x3fb8aa3b
	v_mul_f32_e32 v17, 0x3fb8aa3b, v6
	v_fma_f32 v18, v6, s4, -v17
	v_rndne_f32_e32 v19, v17
	v_fmac_f32_e32 v18, 0x32a5705f, v6
	v_sub_f32_e32 v17, v17, v19
	v_add_f32_e32 v17, v17, v18
	v_exp_f32_e32 v17, v17
	v_cvt_i32_f32_e32 v18, v19
	s_mov_b32 s4, 0xc2ce8ed0
	v_cmp_ngt_f32_e64 s[4:5], s4, v6
	v_mov_b32_e32 v19, 0x7f800000
	v_ldexp_f32 v17, v17, v18
	v_cndmask_b32_e64 v17, 0, v17, s[4:5]
	s_mov_b32 s4, 0x42b17218
	v_cmp_nlt_f32_e64 s[4:5], s4, v6
	v_cndmask_b32_e64 v6, v19, v17, s[4:5]
	v_add_f32_e32 v20, 1.0, v6
	v_cvt_f64_f32_e32 v[17:18], v20
	v_add_f32_e32 v21, -1.0, v20
	v_sub_f32_e32 v22, v21, v20
	v_sub_f32_e32 v21, v6, v21
	v_frexp_exp_i32_f64_e32 v17, v[17:18]
	v_add_f32_e32 v18, 1.0, v22
	v_add_f32_e32 v18, v21, v18
	v_frexp_mant_f32_e32 v21, v20
	s_mov_b32 s4, 0x3f2aaaab
	v_cmp_gt_f32_e64 s[4:5], s4, v21
	s_mov_b32 s31, 0x7f800000
	v_subbrev_co_u32_e64 v17, s[4:5], 0, v17, s[4:5]
	v_sub_u32_e32 v21, 0, v17
	v_ldexp_f32 v20, v20, v21
	v_ldexp_f32 v18, v18, v21
	v_add_f32_e32 v21, -1.0, v20
	v_add_f32_e32 v24, 1.0, v20
	v_add_f32_e32 v22, 1.0, v21
	v_add_f32_e32 v25, -1.0, v24
	v_sub_f32_e32 v22, v20, v22
	v_sub_f32_e32 v20, v20, v25
	v_add_f32_e32 v22, v18, v22
	v_add_f32_e32 v18, v18, v20
	;; [unrolled: 1-line block ×3, first 2 shown]
	v_rcp_f32_e32 v25, v20
	v_add_f32_e32 v23, v21, v22
	v_sub_f32_e32 v21, v21, v23
	v_add_f32_e32 v21, v22, v21
	v_sub_f32_e32 v22, v24, v20
	v_add_f32_e32 v18, v18, v22
	v_mul_f32_e32 v22, v23, v25
	v_mul_f32_e32 v24, v20, v22
	v_fma_f32 v26, v22, v20, -v24
	v_fmac_f32_e32 v26, v22, v18
	v_add_f32_e32 v27, v24, v26
	v_sub_f32_e32 v31, v23, v27
	v_sub_f32_e32 v23, v23, v31
	;; [unrolled: 1-line block ×4, first 2 shown]
	v_add_f32_e32 v21, v21, v23
	v_sub_f32_e32 v23, v24, v26
	v_add_f32_e32 v21, v23, v21
	v_add_f32_e32 v23, v31, v21
	v_mul_f32_e32 v24, v25, v23
	v_mul_f32_e32 v26, v20, v24
	v_fma_f32 v20, v24, v20, -v26
	v_fmac_f32_e32 v20, v24, v18
	v_sub_f32_e32 v18, v31, v23
	v_add_f32_e32 v18, v21, v18
	v_add_f32_e32 v21, v26, v20
	v_sub_f32_e32 v27, v23, v21
	v_sub_f32_e32 v23, v23, v27
	;; [unrolled: 1-line block ×4, first 2 shown]
	v_add_f32_e32 v18, v18, v21
	v_sub_f32_e32 v20, v26, v20
	v_add_f32_e32 v18, v20, v18
	v_add_f32_e32 v20, v22, v24
	;; [unrolled: 1-line block ×3, first 2 shown]
	v_sub_f32_e32 v21, v20, v22
	v_mul_f32_e32 v18, v25, v18
	v_sub_f32_e32 v21, v24, v21
	v_add_f32_e32 v18, v21, v18
	v_cvt_f32_i32_e32 v17, v17
	v_add_f32_e32 v21, v20, v18
	v_mul_f32_e32 v22, v21, v21
	v_mov_b32_e32 v23, 0x3ecc95a3
	v_fmac_f32_e32 v23, 0x3e9b6dac, v22
	v_mov_b32_e32 v24, 0x3f2aaada
	v_fmac_f32_e32 v24, v22, v23
	s_mov_b32 s4, 0x3f317218
	v_mul_f32_e32 v23, 0x3f317218, v17
	v_fma_f32 v25, v17, s4, -v23
	v_fmac_f32_e32 v25, 0xb102e308, v17
	v_sub_f32_e32 v17, v21, v20
	v_sub_f32_e32 v17, v18, v17
	v_add_f32_e32 v18, v23, v25
	v_sub_f32_e32 v20, v18, v23
	v_ldexp_f32 v23, v21, 1
	v_mul_f32_e32 v21, v21, v22
	v_mul_f32_e32 v21, v21, v24
	v_add_f32_e32 v22, v23, v21
	v_sub_f32_e32 v23, v22, v23
	v_ldexp_f32 v17, v17, 1
	v_sub_f32_e32 v21, v21, v23
	v_add_f32_e32 v17, v17, v21
	v_add_f32_e32 v21, v22, v17
	v_sub_f32_e32 v22, v21, v22
	v_sub_f32_e32 v17, v17, v22
	v_add_f32_e32 v22, v18, v21
	v_sub_f32_e32 v23, v22, v18
	v_sub_f32_e32 v24, v22, v23
	;; [unrolled: 1-line block ×5, first 2 shown]
	v_add_f32_e32 v18, v21, v18
	v_add_f32_e32 v21, v20, v17
	v_sub_f32_e32 v23, v21, v20
	v_sub_f32_e32 v24, v21, v23
	;; [unrolled: 1-line block ×4, first 2 shown]
	v_add_f32_e32 v18, v21, v18
	v_add_f32_e32 v17, v17, v20
	;; [unrolled: 1-line block ×3, first 2 shown]
	v_sub_f32_e32 v21, v20, v22
	v_sub_f32_e32 v18, v18, v21
	v_add_f32_e32 v17, v17, v18
	v_add_f32_e32 v17, v20, v17
	v_cmp_neq_f32_e64 s[4:5], s31, v6
	v_cndmask_b32_e64 v17, v19, v17, s[4:5]
	s_mov_b32 s4, 0x33800000
	v_cmp_lt_f32_e64 s[4:5], |v6|, s4
	v_cndmask_b32_e64 v6, v17, v6, s[4:5]
	v_add_f32_e32 v6, v14, v6
.LBB128_124:
	s_or_b64 exec, exec, s[28:29]
	v_max_f32_e32 v14, v6, v6
	v_min_f32_e32 v17, v14, v28
	v_cmp_u_f32_e64 s[4:5], v6, v6
	v_max_f32_e32 v14, v14, v28
	v_cndmask_b32_e64 v17, v17, v6, s[4:5]
	v_cndmask_b32_e64 v14, v14, v6, s[4:5]
	;; [unrolled: 1-line block ×4, first 2 shown]
	v_cmp_neq_f32_e64 s[4:5], v17, v14
	v_cmp_class_f32_e64 s[28:29], v17, s30
	s_or_b64 s[4:5], s[4:5], s[28:29]
	v_mov_b32_e32 v3, v6
	s_and_saveexec_b64 s[28:29], s[4:5]
	s_cbranch_execz .LBB128_126
; %bb.125:
	v_sub_f32_e32 v3, v17, v14
	s_mov_b32 s4, 0x3fb8aa3b
	v_mul_f32_e32 v17, 0x3fb8aa3b, v3
	v_fma_f32 v18, v3, s4, -v17
	v_rndne_f32_e32 v19, v17
	v_fmac_f32_e32 v18, 0x32a5705f, v3
	v_sub_f32_e32 v17, v17, v19
	v_add_f32_e32 v17, v17, v18
	v_exp_f32_e32 v17, v17
	v_cvt_i32_f32_e32 v18, v19
	s_mov_b32 s4, 0xc2ce8ed0
	v_cmp_ngt_f32_e64 s[4:5], s4, v3
	v_mov_b32_e32 v19, 0x7f800000
	v_ldexp_f32 v17, v17, v18
	v_cndmask_b32_e64 v17, 0, v17, s[4:5]
	s_mov_b32 s4, 0x42b17218
	v_cmp_nlt_f32_e64 s[4:5], s4, v3
	v_cndmask_b32_e64 v3, v19, v17, s[4:5]
	v_add_f32_e32 v20, 1.0, v3
	v_cvt_f64_f32_e32 v[17:18], v20
	v_add_f32_e32 v21, -1.0, v20
	v_sub_f32_e32 v22, v21, v20
	v_sub_f32_e32 v21, v3, v21
	v_frexp_exp_i32_f64_e32 v17, v[17:18]
	v_add_f32_e32 v18, 1.0, v22
	v_add_f32_e32 v18, v21, v18
	v_frexp_mant_f32_e32 v21, v20
	s_mov_b32 s4, 0x3f2aaaab
	v_cmp_gt_f32_e64 s[4:5], s4, v21
	s_mov_b32 s30, 0x7f800000
	v_subbrev_co_u32_e64 v17, s[4:5], 0, v17, s[4:5]
	v_sub_u32_e32 v21, 0, v17
	v_ldexp_f32 v20, v20, v21
	v_ldexp_f32 v18, v18, v21
	v_add_f32_e32 v21, -1.0, v20
	v_add_f32_e32 v24, 1.0, v20
	v_add_f32_e32 v22, 1.0, v21
	v_add_f32_e32 v25, -1.0, v24
	v_sub_f32_e32 v22, v20, v22
	v_sub_f32_e32 v20, v20, v25
	v_add_f32_e32 v22, v18, v22
	v_add_f32_e32 v18, v18, v20
	;; [unrolled: 1-line block ×3, first 2 shown]
	v_rcp_f32_e32 v25, v20
	v_add_f32_e32 v23, v21, v22
	v_sub_f32_e32 v21, v21, v23
	v_add_f32_e32 v21, v22, v21
	v_sub_f32_e32 v22, v24, v20
	v_add_f32_e32 v18, v18, v22
	v_mul_f32_e32 v22, v23, v25
	v_mul_f32_e32 v24, v20, v22
	v_fma_f32 v26, v22, v20, -v24
	v_fmac_f32_e32 v26, v22, v18
	v_add_f32_e32 v27, v24, v26
	v_sub_f32_e32 v28, v23, v27
	v_sub_f32_e32 v23, v23, v28
	;; [unrolled: 1-line block ×4, first 2 shown]
	v_add_f32_e32 v21, v21, v23
	v_sub_f32_e32 v23, v24, v26
	v_add_f32_e32 v21, v23, v21
	v_add_f32_e32 v23, v28, v21
	v_mul_f32_e32 v24, v25, v23
	v_mul_f32_e32 v26, v20, v24
	v_fma_f32 v20, v24, v20, -v26
	v_fmac_f32_e32 v20, v24, v18
	v_sub_f32_e32 v18, v28, v23
	v_add_f32_e32 v18, v21, v18
	v_add_f32_e32 v21, v26, v20
	v_sub_f32_e32 v27, v23, v21
	v_sub_f32_e32 v23, v23, v27
	;; [unrolled: 1-line block ×4, first 2 shown]
	v_add_f32_e32 v18, v18, v21
	v_sub_f32_e32 v20, v26, v20
	v_add_f32_e32 v18, v20, v18
	v_add_f32_e32 v20, v22, v24
	;; [unrolled: 1-line block ×3, first 2 shown]
	v_sub_f32_e32 v21, v20, v22
	v_mul_f32_e32 v18, v25, v18
	v_sub_f32_e32 v21, v24, v21
	v_add_f32_e32 v18, v21, v18
	v_cvt_f32_i32_e32 v17, v17
	v_add_f32_e32 v21, v20, v18
	v_mul_f32_e32 v22, v21, v21
	v_mov_b32_e32 v23, 0x3ecc95a3
	v_fmac_f32_e32 v23, 0x3e9b6dac, v22
	v_mov_b32_e32 v24, 0x3f2aaada
	v_fmac_f32_e32 v24, v22, v23
	s_mov_b32 s4, 0x3f317218
	v_mul_f32_e32 v23, 0x3f317218, v17
	v_fma_f32 v25, v17, s4, -v23
	v_fmac_f32_e32 v25, 0xb102e308, v17
	v_sub_f32_e32 v17, v21, v20
	v_sub_f32_e32 v17, v18, v17
	v_add_f32_e32 v18, v23, v25
	v_sub_f32_e32 v20, v18, v23
	v_ldexp_f32 v23, v21, 1
	v_mul_f32_e32 v21, v21, v22
	v_mul_f32_e32 v21, v21, v24
	v_add_f32_e32 v22, v23, v21
	v_sub_f32_e32 v23, v22, v23
	v_ldexp_f32 v17, v17, 1
	v_sub_f32_e32 v21, v21, v23
	v_add_f32_e32 v17, v17, v21
	v_add_f32_e32 v21, v22, v17
	v_sub_f32_e32 v22, v21, v22
	v_sub_f32_e32 v17, v17, v22
	v_add_f32_e32 v22, v18, v21
	v_sub_f32_e32 v23, v22, v18
	v_sub_f32_e32 v24, v22, v23
	;; [unrolled: 1-line block ×5, first 2 shown]
	v_add_f32_e32 v18, v21, v18
	v_add_f32_e32 v21, v20, v17
	v_sub_f32_e32 v23, v21, v20
	v_sub_f32_e32 v24, v21, v23
	;; [unrolled: 1-line block ×4, first 2 shown]
	v_add_f32_e32 v18, v21, v18
	v_add_f32_e32 v17, v17, v20
	;; [unrolled: 1-line block ×3, first 2 shown]
	v_sub_f32_e32 v21, v20, v22
	v_sub_f32_e32 v18, v18, v21
	v_add_f32_e32 v17, v17, v18
	v_add_f32_e32 v17, v20, v17
	v_cmp_neq_f32_e64 s[4:5], s30, v3
	v_cndmask_b32_e64 v17, v19, v17, s[4:5]
	s_mov_b32 s4, 0x33800000
	v_cmp_lt_f32_e64 s[4:5], |v3|, s4
	v_cndmask_b32_e64 v3, v17, v3, s[4:5]
	v_add_f32_e32 v3, v14, v3
.LBB128_126:
	s_or_b64 exec, exec, s[28:29]
	v_max_f32_e32 v14, v3, v3
	v_min_f32_e32 v17, v14, v29
	v_cmp_u_f32_e64 s[4:5], v3, v3
	v_max_f32_e32 v14, v14, v29
	v_cndmask_b32_e64 v17, v17, v3, s[4:5]
	v_cndmask_b32_e64 v14, v14, v3, s[4:5]
	;; [unrolled: 1-line block ×4, first 2 shown]
	s_movk_i32 s30, 0x1f8
	v_cmp_neq_f32_e64 s[4:5], v17, v14
	v_cmp_class_f32_e64 s[28:29], v17, s30
	s_or_b64 s[4:5], s[4:5], s[28:29]
	v_mov_b32_e32 v4, v3
	s_and_saveexec_b64 s[28:29], s[4:5]
	s_cbranch_execz .LBB128_128
; %bb.127:
	v_sub_f32_e32 v4, v17, v14
	s_mov_b32 s4, 0x3fb8aa3b
	v_mul_f32_e32 v17, 0x3fb8aa3b, v4
	v_fma_f32 v18, v4, s4, -v17
	v_rndne_f32_e32 v19, v17
	v_fmac_f32_e32 v18, 0x32a5705f, v4
	v_sub_f32_e32 v17, v17, v19
	v_add_f32_e32 v17, v17, v18
	v_exp_f32_e32 v17, v17
	v_cvt_i32_f32_e32 v18, v19
	s_mov_b32 s4, 0xc2ce8ed0
	v_cmp_ngt_f32_e64 s[4:5], s4, v4
	v_mov_b32_e32 v19, 0x7f800000
	v_ldexp_f32 v17, v17, v18
	v_cndmask_b32_e64 v17, 0, v17, s[4:5]
	s_mov_b32 s4, 0x42b17218
	v_cmp_nlt_f32_e64 s[4:5], s4, v4
	v_cndmask_b32_e64 v4, v19, v17, s[4:5]
	v_add_f32_e32 v20, 1.0, v4
	v_cvt_f64_f32_e32 v[17:18], v20
	v_add_f32_e32 v21, -1.0, v20
	v_sub_f32_e32 v22, v21, v20
	v_sub_f32_e32 v21, v4, v21
	v_frexp_exp_i32_f64_e32 v17, v[17:18]
	v_add_f32_e32 v18, 1.0, v22
	v_add_f32_e32 v18, v21, v18
	v_frexp_mant_f32_e32 v21, v20
	s_mov_b32 s4, 0x3f2aaaab
	v_cmp_gt_f32_e64 s[4:5], s4, v21
	s_mov_b32 s31, 0x7f800000
	v_subbrev_co_u32_e64 v17, s[4:5], 0, v17, s[4:5]
	v_sub_u32_e32 v21, 0, v17
	v_ldexp_f32 v20, v20, v21
	v_ldexp_f32 v18, v18, v21
	v_add_f32_e32 v21, -1.0, v20
	v_add_f32_e32 v24, 1.0, v20
	v_add_f32_e32 v22, 1.0, v21
	v_add_f32_e32 v25, -1.0, v24
	v_sub_f32_e32 v22, v20, v22
	v_sub_f32_e32 v20, v20, v25
	v_add_f32_e32 v22, v18, v22
	v_add_f32_e32 v18, v18, v20
	;; [unrolled: 1-line block ×3, first 2 shown]
	v_rcp_f32_e32 v25, v20
	v_add_f32_e32 v23, v21, v22
	v_sub_f32_e32 v21, v21, v23
	v_add_f32_e32 v21, v22, v21
	v_sub_f32_e32 v22, v24, v20
	v_add_f32_e32 v18, v18, v22
	v_mul_f32_e32 v22, v23, v25
	v_mul_f32_e32 v24, v20, v22
	v_fma_f32 v26, v22, v20, -v24
	v_fmac_f32_e32 v26, v22, v18
	v_add_f32_e32 v27, v24, v26
	v_sub_f32_e32 v28, v23, v27
	v_sub_f32_e32 v23, v23, v28
	;; [unrolled: 1-line block ×4, first 2 shown]
	v_add_f32_e32 v21, v21, v23
	v_sub_f32_e32 v23, v24, v26
	v_add_f32_e32 v21, v23, v21
	v_add_f32_e32 v23, v28, v21
	v_mul_f32_e32 v24, v25, v23
	v_mul_f32_e32 v26, v20, v24
	v_fma_f32 v20, v24, v20, -v26
	v_fmac_f32_e32 v20, v24, v18
	v_sub_f32_e32 v18, v28, v23
	v_add_f32_e32 v18, v21, v18
	v_add_f32_e32 v21, v26, v20
	v_sub_f32_e32 v27, v23, v21
	v_sub_f32_e32 v23, v23, v27
	;; [unrolled: 1-line block ×4, first 2 shown]
	v_add_f32_e32 v18, v18, v21
	v_sub_f32_e32 v20, v26, v20
	v_add_f32_e32 v18, v20, v18
	v_add_f32_e32 v20, v22, v24
	;; [unrolled: 1-line block ×3, first 2 shown]
	v_sub_f32_e32 v21, v20, v22
	v_mul_f32_e32 v18, v25, v18
	v_sub_f32_e32 v21, v24, v21
	v_add_f32_e32 v18, v21, v18
	v_cvt_f32_i32_e32 v17, v17
	v_add_f32_e32 v21, v20, v18
	v_mul_f32_e32 v22, v21, v21
	v_mov_b32_e32 v23, 0x3ecc95a3
	v_fmac_f32_e32 v23, 0x3e9b6dac, v22
	v_mov_b32_e32 v24, 0x3f2aaada
	v_fmac_f32_e32 v24, v22, v23
	s_mov_b32 s4, 0x3f317218
	v_mul_f32_e32 v23, 0x3f317218, v17
	v_fma_f32 v25, v17, s4, -v23
	v_fmac_f32_e32 v25, 0xb102e308, v17
	v_sub_f32_e32 v17, v21, v20
	v_sub_f32_e32 v17, v18, v17
	v_add_f32_e32 v18, v23, v25
	v_sub_f32_e32 v20, v18, v23
	v_ldexp_f32 v23, v21, 1
	v_mul_f32_e32 v21, v21, v22
	v_mul_f32_e32 v21, v21, v24
	v_add_f32_e32 v22, v23, v21
	v_sub_f32_e32 v23, v22, v23
	v_ldexp_f32 v17, v17, 1
	v_sub_f32_e32 v21, v21, v23
	v_add_f32_e32 v17, v17, v21
	v_add_f32_e32 v21, v22, v17
	v_sub_f32_e32 v22, v21, v22
	v_sub_f32_e32 v17, v17, v22
	v_add_f32_e32 v22, v18, v21
	v_sub_f32_e32 v23, v22, v18
	v_sub_f32_e32 v24, v22, v23
	;; [unrolled: 1-line block ×5, first 2 shown]
	v_add_f32_e32 v18, v21, v18
	v_add_f32_e32 v21, v20, v17
	v_sub_f32_e32 v23, v21, v20
	v_sub_f32_e32 v24, v21, v23
	;; [unrolled: 1-line block ×4, first 2 shown]
	v_add_f32_e32 v18, v21, v18
	v_add_f32_e32 v17, v17, v20
	v_add_f32_e32 v20, v22, v18
	v_sub_f32_e32 v21, v20, v22
	v_sub_f32_e32 v18, v18, v21
	v_add_f32_e32 v17, v17, v18
	v_add_f32_e32 v17, v20, v17
	v_cmp_neq_f32_e64 s[4:5], s31, v4
	v_cndmask_b32_e64 v17, v19, v17, s[4:5]
	s_mov_b32 s4, 0x33800000
	v_cmp_lt_f32_e64 s[4:5], |v4|, s4
	v_cndmask_b32_e64 v4, v17, v4, s[4:5]
	v_add_f32_e32 v4, v14, v4
.LBB128_128:
	s_or_b64 exec, exec, s[28:29]
	v_max_f32_e32 v14, v4, v4
	v_min_f32_e32 v17, v14, v30
	v_cmp_u_f32_e64 s[4:5], v4, v4
	v_max_f32_e32 v14, v14, v30
	v_cndmask_b32_e64 v17, v17, v4, s[4:5]
	v_cndmask_b32_e64 v14, v14, v4, s[4:5]
	v_cndmask_b32_e64 v17, v17, v15, s[56:57]
	v_cndmask_b32_e64 v14, v14, v15, s[56:57]
	v_cmp_neq_f32_e64 s[4:5], v17, v14
	v_cmp_class_f32_e64 s[28:29], v17, s30
	s_or_b64 s[4:5], s[4:5], s[28:29]
	v_mov_b32_e32 v15, v4
	s_and_saveexec_b64 s[28:29], s[4:5]
	s_cbranch_execz .LBB128_130
; %bb.129:
	v_sub_f32_e32 v15, v17, v14
	s_mov_b32 s4, 0x3fb8aa3b
	v_mul_f32_e32 v17, 0x3fb8aa3b, v15
	v_fma_f32 v18, v15, s4, -v17
	v_rndne_f32_e32 v19, v17
	v_fmac_f32_e32 v18, 0x32a5705f, v15
	v_sub_f32_e32 v17, v17, v19
	v_add_f32_e32 v17, v17, v18
	v_exp_f32_e32 v17, v17
	v_cvt_i32_f32_e32 v18, v19
	s_mov_b32 s4, 0xc2ce8ed0
	v_cmp_ngt_f32_e64 s[4:5], s4, v15
	v_mov_b32_e32 v19, 0x7f800000
	v_ldexp_f32 v17, v17, v18
	v_cndmask_b32_e64 v17, 0, v17, s[4:5]
	s_mov_b32 s4, 0x42b17218
	v_cmp_nlt_f32_e64 s[4:5], s4, v15
	v_cndmask_b32_e64 v15, v19, v17, s[4:5]
	v_add_f32_e32 v20, 1.0, v15
	v_cvt_f64_f32_e32 v[17:18], v20
	v_add_f32_e32 v21, -1.0, v20
	v_sub_f32_e32 v22, v21, v20
	v_sub_f32_e32 v21, v15, v21
	v_frexp_exp_i32_f64_e32 v17, v[17:18]
	v_add_f32_e32 v18, 1.0, v22
	v_add_f32_e32 v18, v21, v18
	v_frexp_mant_f32_e32 v21, v20
	s_mov_b32 s4, 0x3f2aaaab
	v_cmp_gt_f32_e64 s[4:5], s4, v21
	s_mov_b32 s30, 0x7f800000
	v_subbrev_co_u32_e64 v17, s[4:5], 0, v17, s[4:5]
	v_sub_u32_e32 v21, 0, v17
	v_ldexp_f32 v20, v20, v21
	v_ldexp_f32 v18, v18, v21
	v_add_f32_e32 v21, -1.0, v20
	v_add_f32_e32 v24, 1.0, v20
	v_add_f32_e32 v22, 1.0, v21
	v_add_f32_e32 v25, -1.0, v24
	v_sub_f32_e32 v22, v20, v22
	v_sub_f32_e32 v20, v20, v25
	v_add_f32_e32 v22, v18, v22
	v_add_f32_e32 v18, v18, v20
	;; [unrolled: 1-line block ×3, first 2 shown]
	v_rcp_f32_e32 v25, v20
	v_add_f32_e32 v23, v21, v22
	v_sub_f32_e32 v21, v21, v23
	v_add_f32_e32 v21, v22, v21
	v_sub_f32_e32 v22, v24, v20
	v_add_f32_e32 v18, v18, v22
	v_mul_f32_e32 v22, v23, v25
	v_mul_f32_e32 v24, v20, v22
	v_fma_f32 v26, v22, v20, -v24
	v_fmac_f32_e32 v26, v22, v18
	v_add_f32_e32 v27, v24, v26
	v_sub_f32_e32 v28, v23, v27
	v_sub_f32_e32 v23, v23, v28
	;; [unrolled: 1-line block ×4, first 2 shown]
	v_add_f32_e32 v21, v21, v23
	v_sub_f32_e32 v23, v24, v26
	v_add_f32_e32 v21, v23, v21
	v_add_f32_e32 v23, v28, v21
	v_mul_f32_e32 v24, v25, v23
	v_mul_f32_e32 v26, v20, v24
	v_fma_f32 v20, v24, v20, -v26
	v_fmac_f32_e32 v20, v24, v18
	v_sub_f32_e32 v18, v28, v23
	v_add_f32_e32 v18, v21, v18
	v_add_f32_e32 v21, v26, v20
	v_sub_f32_e32 v27, v23, v21
	v_sub_f32_e32 v23, v23, v27
	;; [unrolled: 1-line block ×4, first 2 shown]
	v_add_f32_e32 v18, v18, v21
	v_sub_f32_e32 v20, v26, v20
	v_add_f32_e32 v18, v20, v18
	v_add_f32_e32 v20, v22, v24
	;; [unrolled: 1-line block ×3, first 2 shown]
	v_sub_f32_e32 v21, v20, v22
	v_mul_f32_e32 v18, v25, v18
	v_sub_f32_e32 v21, v24, v21
	v_add_f32_e32 v18, v21, v18
	v_cvt_f32_i32_e32 v17, v17
	v_add_f32_e32 v21, v20, v18
	v_mul_f32_e32 v22, v21, v21
	v_mov_b32_e32 v23, 0x3ecc95a3
	v_fmac_f32_e32 v23, 0x3e9b6dac, v22
	v_mov_b32_e32 v24, 0x3f2aaada
	v_fmac_f32_e32 v24, v22, v23
	s_mov_b32 s4, 0x3f317218
	v_mul_f32_e32 v23, 0x3f317218, v17
	v_fma_f32 v25, v17, s4, -v23
	v_fmac_f32_e32 v25, 0xb102e308, v17
	v_sub_f32_e32 v17, v21, v20
	v_sub_f32_e32 v17, v18, v17
	v_add_f32_e32 v18, v23, v25
	v_sub_f32_e32 v20, v18, v23
	v_ldexp_f32 v23, v21, 1
	v_mul_f32_e32 v21, v21, v22
	v_mul_f32_e32 v21, v21, v24
	v_add_f32_e32 v22, v23, v21
	v_sub_f32_e32 v23, v22, v23
	v_ldexp_f32 v17, v17, 1
	v_sub_f32_e32 v21, v21, v23
	v_add_f32_e32 v17, v17, v21
	v_add_f32_e32 v21, v22, v17
	v_sub_f32_e32 v22, v21, v22
	v_sub_f32_e32 v17, v17, v22
	v_add_f32_e32 v22, v18, v21
	v_sub_f32_e32 v23, v22, v18
	v_sub_f32_e32 v24, v22, v23
	v_sub_f32_e32 v20, v25, v20
	v_sub_f32_e32 v18, v18, v24
	v_sub_f32_e32 v21, v21, v23
	v_add_f32_e32 v18, v21, v18
	v_add_f32_e32 v21, v20, v17
	v_sub_f32_e32 v23, v21, v20
	v_sub_f32_e32 v24, v21, v23
	;; [unrolled: 1-line block ×4, first 2 shown]
	v_add_f32_e32 v18, v21, v18
	v_add_f32_e32 v17, v17, v20
	;; [unrolled: 1-line block ×3, first 2 shown]
	v_sub_f32_e32 v21, v20, v22
	v_sub_f32_e32 v18, v18, v21
	v_add_f32_e32 v17, v17, v18
	v_add_f32_e32 v17, v20, v17
	v_cmp_neq_f32_e64 s[4:5], s30, v15
	v_cndmask_b32_e64 v17, v19, v17, s[4:5]
	s_mov_b32 s4, 0x33800000
	v_cmp_lt_f32_e64 s[4:5], |v15|, s4
	v_cndmask_b32_e64 v15, v17, v15, s[4:5]
	v_add_f32_e32 v15, v14, v15
.LBB128_130:
	s_or_b64 exec, exec, s[28:29]
	v_add_u32_e32 v14, v16, v34
	s_waitcnt lgkmcnt(0)
	s_barrier
	ds_write2_b32 v14, v1, v0 offset1:1
	ds_write2_b32 v14, v2, v13 offset0:2 offset1:3
	ds_write2_b32 v14, v11, v12 offset0:4 offset1:5
	;; [unrolled: 1-line block ×6, first 2 shown]
	ds_write_b32 v14, v15 offset:56
	s_waitcnt lgkmcnt(0)
	s_barrier
	ds_read2st64_b32 v[14:15], v16 offset0:4 offset1:8
	ds_read2st64_b32 v[12:13], v16 offset0:12 offset1:16
	;; [unrolled: 1-line block ×7, first 2 shown]
	v_mov_b32_e32 v3, s65
	v_add_co_u32_e64 v2, s[4:5], s64, v16
	v_addc_co_u32_e64 v3, s[4:5], 0, v3, s[4:5]
	s_and_saveexec_b64 s[4:5], vcc
	s_cbranch_execnz .LBB128_146
; %bb.131:
	s_or_b64 exec, exec, s[4:5]
	s_and_saveexec_b64 s[4:5], s[0:1]
	s_cbranch_execnz .LBB128_147
.LBB128_132:
	s_or_b64 exec, exec, s[4:5]
	s_and_saveexec_b64 s[0:1], s[2:3]
	s_cbranch_execnz .LBB128_148
.LBB128_133:
	s_or_b64 exec, exec, s[0:1]
	s_and_saveexec_b64 s[0:1], s[60:61]
	s_cbranch_execnz .LBB128_149
.LBB128_134:
	s_or_b64 exec, exec, s[0:1]
	s_and_saveexec_b64 s[0:1], s[6:7]
	s_cbranch_execnz .LBB128_150
.LBB128_135:
	s_or_b64 exec, exec, s[0:1]
	s_and_saveexec_b64 s[0:1], s[8:9]
	s_cbranch_execnz .LBB128_151
.LBB128_136:
	s_or_b64 exec, exec, s[0:1]
	s_and_saveexec_b64 s[0:1], s[10:11]
	s_cbranch_execnz .LBB128_152
.LBB128_137:
	s_or_b64 exec, exec, s[0:1]
	s_and_saveexec_b64 s[0:1], s[12:13]
	s_cbranch_execnz .LBB128_153
.LBB128_138:
	s_or_b64 exec, exec, s[0:1]
	s_and_saveexec_b64 s[0:1], s[14:15]
	s_cbranch_execnz .LBB128_154
.LBB128_139:
	s_or_b64 exec, exec, s[0:1]
	s_and_saveexec_b64 s[0:1], s[16:17]
	s_cbranch_execnz .LBB128_155
.LBB128_140:
	s_or_b64 exec, exec, s[0:1]
	s_and_saveexec_b64 s[0:1], s[18:19]
	s_cbranch_execnz .LBB128_156
.LBB128_141:
	s_or_b64 exec, exec, s[0:1]
	s_and_saveexec_b64 s[0:1], s[20:21]
	s_cbranch_execnz .LBB128_157
.LBB128_142:
	s_or_b64 exec, exec, s[0:1]
	s_and_saveexec_b64 s[0:1], s[22:23]
	s_cbranch_execnz .LBB128_158
.LBB128_143:
	s_or_b64 exec, exec, s[0:1]
	s_and_saveexec_b64 s[0:1], s[24:25]
	s_cbranch_execnz .LBB128_159
.LBB128_144:
	s_or_b64 exec, exec, s[0:1]
	s_and_saveexec_b64 s[0:1], s[26:27]
	s_cbranch_execnz .LBB128_160
.LBB128_145:
	s_endpgm
.LBB128_146:
	ds_read_b32 v16, v16
	s_waitcnt lgkmcnt(0)
	global_store_dword v[2:3], v16, off
	s_or_b64 exec, exec, s[4:5]
	s_and_saveexec_b64 s[4:5], s[0:1]
	s_cbranch_execz .LBB128_132
.LBB128_147:
	s_waitcnt lgkmcnt(6)
	global_store_dword v[2:3], v14, off offset:1024
	s_or_b64 exec, exec, s[4:5]
	s_and_saveexec_b64 s[0:1], s[2:3]
	s_cbranch_execz .LBB128_133
.LBB128_148:
	s_waitcnt lgkmcnt(6)
	global_store_dword v[2:3], v15, off offset:2048
	s_or_b64 exec, exec, s[0:1]
	s_and_saveexec_b64 s[0:1], s[60:61]
	s_cbranch_execz .LBB128_134
.LBB128_149:
	s_waitcnt lgkmcnt(5)
	global_store_dword v[2:3], v12, off offset:3072
	s_or_b64 exec, exec, s[0:1]
	s_and_saveexec_b64 s[0:1], s[6:7]
	s_cbranch_execz .LBB128_135
.LBB128_150:
	s_waitcnt lgkmcnt(6)
	v_add_co_u32_e32 v14, vcc, 0x1000, v2
	v_addc_co_u32_e32 v15, vcc, 0, v3, vcc
	s_waitcnt lgkmcnt(5)
	global_store_dword v[14:15], v13, off
	s_or_b64 exec, exec, s[0:1]
	s_and_saveexec_b64 s[0:1], s[8:9]
	s_cbranch_execz .LBB128_136
.LBB128_151:
	s_waitcnt lgkmcnt(5)
	v_add_co_u32_e32 v12, vcc, 0x1000, v2
	v_addc_co_u32_e32 v13, vcc, 0, v3, vcc
	s_waitcnt lgkmcnt(4)
	global_store_dword v[12:13], v10, off offset:1024
	s_or_b64 exec, exec, s[0:1]
	s_and_saveexec_b64 s[0:1], s[10:11]
	s_cbranch_execz .LBB128_137
.LBB128_152:
	s_waitcnt lgkmcnt(5)
	v_add_co_u32_e32 v12, vcc, 0x1000, v2
	v_addc_co_u32_e32 v13, vcc, 0, v3, vcc
	s_waitcnt lgkmcnt(4)
	global_store_dword v[12:13], v11, off offset:2048
	s_or_b64 exec, exec, s[0:1]
	s_and_saveexec_b64 s[0:1], s[12:13]
	s_cbranch_execz .LBB128_138
.LBB128_153:
	s_waitcnt lgkmcnt(4)
	v_add_co_u32_e32 v10, vcc, 0x1000, v2
	v_addc_co_u32_e32 v11, vcc, 0, v3, vcc
	s_waitcnt lgkmcnt(3)
	global_store_dword v[10:11], v8, off offset:3072
	s_or_b64 exec, exec, s[0:1]
	s_and_saveexec_b64 s[0:1], s[14:15]
	s_cbranch_execz .LBB128_139
.LBB128_154:
	s_waitcnt lgkmcnt(4)
	v_add_co_u32_e32 v10, vcc, 0x2000, v2
	v_addc_co_u32_e32 v11, vcc, 0, v3, vcc
	s_waitcnt lgkmcnt(3)
	global_store_dword v[10:11], v9, off
	s_or_b64 exec, exec, s[0:1]
	s_and_saveexec_b64 s[0:1], s[16:17]
	s_cbranch_execz .LBB128_140
.LBB128_155:
	s_waitcnt lgkmcnt(3)
	v_add_co_u32_e32 v8, vcc, 0x2000, v2
	v_addc_co_u32_e32 v9, vcc, 0, v3, vcc
	s_waitcnt lgkmcnt(2)
	global_store_dword v[8:9], v6, off offset:1024
	s_or_b64 exec, exec, s[0:1]
	s_and_saveexec_b64 s[0:1], s[18:19]
	s_cbranch_execz .LBB128_141
.LBB128_156:
	s_waitcnt lgkmcnt(3)
	v_add_co_u32_e32 v8, vcc, 0x2000, v2
	v_addc_co_u32_e32 v9, vcc, 0, v3, vcc
	s_waitcnt lgkmcnt(2)
	global_store_dword v[8:9], v7, off offset:2048
	s_or_b64 exec, exec, s[0:1]
	s_and_saveexec_b64 s[0:1], s[20:21]
	s_cbranch_execz .LBB128_142
.LBB128_157:
	s_waitcnt lgkmcnt(2)
	v_add_co_u32_e32 v6, vcc, 0x2000, v2
	v_addc_co_u32_e32 v7, vcc, 0, v3, vcc
	s_waitcnt lgkmcnt(1)
	global_store_dword v[6:7], v4, off offset:3072
	s_or_b64 exec, exec, s[0:1]
	s_and_saveexec_b64 s[0:1], s[22:23]
	s_cbranch_execz .LBB128_143
.LBB128_158:
	s_waitcnt lgkmcnt(2)
	v_add_co_u32_e32 v6, vcc, 0x3000, v2
	v_addc_co_u32_e32 v7, vcc, 0, v3, vcc
	s_waitcnt lgkmcnt(1)
	global_store_dword v[6:7], v5, off
	s_or_b64 exec, exec, s[0:1]
	s_and_saveexec_b64 s[0:1], s[24:25]
	s_cbranch_execz .LBB128_144
.LBB128_159:
	s_waitcnt lgkmcnt(1)
	v_add_co_u32_e32 v4, vcc, 0x3000, v2
	v_addc_co_u32_e32 v5, vcc, 0, v3, vcc
	s_waitcnt lgkmcnt(0)
	global_store_dword v[4:5], v0, off offset:1024
	s_or_b64 exec, exec, s[0:1]
	s_and_saveexec_b64 s[0:1], s[26:27]
	s_cbranch_execz .LBB128_145
.LBB128_160:
	v_add_co_u32_e32 v2, vcc, 0x3000, v2
	v_addc_co_u32_e32 v3, vcc, 0, v3, vcc
	s_waitcnt lgkmcnt(0)
	global_store_dword v[2:3], v1, off offset:2048
	s_endpgm
	.section	.rodata,"a",@progbits
	.p2align	6, 0x0
	.amdhsa_kernel _ZN7rocprim17ROCPRIM_400000_NS6detail17trampoline_kernelINS0_14default_configENS1_20scan_config_selectorIfEEZZNS1_9scan_implILNS1_25lookback_scan_determinismE0ELb0ELb0ES3_PKfPffZZZN2at6native31launch_logcumsumexp_cuda_kernelERKNSB_10TensorBaseESF_lENKUlvE_clEvENKUlvE0_clEvEUlffE_fEEDaPvRmT3_T4_T5_mT6_P12ihipStream_tbENKUlT_T0_E_clISt17integral_constantIbLb1EESW_EEDaSR_SS_EUlSR_E0_NS1_11comp_targetILNS1_3genE2ELNS1_11target_archE906ELNS1_3gpuE6ELNS1_3repE0EEENS1_30default_config_static_selectorELNS0_4arch9wavefront6targetE1EEEvT1_
		.amdhsa_group_segment_fixed_size 15360
		.amdhsa_private_segment_fixed_size 0
		.amdhsa_kernarg_size 32
		.amdhsa_user_sgpr_count 6
		.amdhsa_user_sgpr_private_segment_buffer 1
		.amdhsa_user_sgpr_dispatch_ptr 0
		.amdhsa_user_sgpr_queue_ptr 0
		.amdhsa_user_sgpr_kernarg_segment_ptr 1
		.amdhsa_user_sgpr_dispatch_id 0
		.amdhsa_user_sgpr_flat_scratch_init 0
		.amdhsa_user_sgpr_private_segment_size 0
		.amdhsa_uses_dynamic_stack 0
		.amdhsa_system_sgpr_private_segment_wavefront_offset 0
		.amdhsa_system_sgpr_workgroup_id_x 1
		.amdhsa_system_sgpr_workgroup_id_y 0
		.amdhsa_system_sgpr_workgroup_id_z 0
		.amdhsa_system_sgpr_workgroup_info 0
		.amdhsa_system_vgpr_workitem_id 0
		.amdhsa_next_free_vgpr 53
		.amdhsa_next_free_sgpr 98
		.amdhsa_reserve_vcc 1
		.amdhsa_reserve_flat_scratch 0
		.amdhsa_float_round_mode_32 0
		.amdhsa_float_round_mode_16_64 0
		.amdhsa_float_denorm_mode_32 3
		.amdhsa_float_denorm_mode_16_64 3
		.amdhsa_dx10_clamp 1
		.amdhsa_ieee_mode 1
		.amdhsa_fp16_overflow 0
		.amdhsa_exception_fp_ieee_invalid_op 0
		.amdhsa_exception_fp_denorm_src 0
		.amdhsa_exception_fp_ieee_div_zero 0
		.amdhsa_exception_fp_ieee_overflow 0
		.amdhsa_exception_fp_ieee_underflow 0
		.amdhsa_exception_fp_ieee_inexact 0
		.amdhsa_exception_int_div_zero 0
	.end_amdhsa_kernel
	.section	.text._ZN7rocprim17ROCPRIM_400000_NS6detail17trampoline_kernelINS0_14default_configENS1_20scan_config_selectorIfEEZZNS1_9scan_implILNS1_25lookback_scan_determinismE0ELb0ELb0ES3_PKfPffZZZN2at6native31launch_logcumsumexp_cuda_kernelERKNSB_10TensorBaseESF_lENKUlvE_clEvENKUlvE0_clEvEUlffE_fEEDaPvRmT3_T4_T5_mT6_P12ihipStream_tbENKUlT_T0_E_clISt17integral_constantIbLb1EESW_EEDaSR_SS_EUlSR_E0_NS1_11comp_targetILNS1_3genE2ELNS1_11target_archE906ELNS1_3gpuE6ELNS1_3repE0EEENS1_30default_config_static_selectorELNS0_4arch9wavefront6targetE1EEEvT1_,"axG",@progbits,_ZN7rocprim17ROCPRIM_400000_NS6detail17trampoline_kernelINS0_14default_configENS1_20scan_config_selectorIfEEZZNS1_9scan_implILNS1_25lookback_scan_determinismE0ELb0ELb0ES3_PKfPffZZZN2at6native31launch_logcumsumexp_cuda_kernelERKNSB_10TensorBaseESF_lENKUlvE_clEvENKUlvE0_clEvEUlffE_fEEDaPvRmT3_T4_T5_mT6_P12ihipStream_tbENKUlT_T0_E_clISt17integral_constantIbLb1EESW_EEDaSR_SS_EUlSR_E0_NS1_11comp_targetILNS1_3genE2ELNS1_11target_archE906ELNS1_3gpuE6ELNS1_3repE0EEENS1_30default_config_static_selectorELNS0_4arch9wavefront6targetE1EEEvT1_,comdat
.Lfunc_end128:
	.size	_ZN7rocprim17ROCPRIM_400000_NS6detail17trampoline_kernelINS0_14default_configENS1_20scan_config_selectorIfEEZZNS1_9scan_implILNS1_25lookback_scan_determinismE0ELb0ELb0ES3_PKfPffZZZN2at6native31launch_logcumsumexp_cuda_kernelERKNSB_10TensorBaseESF_lENKUlvE_clEvENKUlvE0_clEvEUlffE_fEEDaPvRmT3_T4_T5_mT6_P12ihipStream_tbENKUlT_T0_E_clISt17integral_constantIbLb1EESW_EEDaSR_SS_EUlSR_E0_NS1_11comp_targetILNS1_3genE2ELNS1_11target_archE906ELNS1_3gpuE6ELNS1_3repE0EEENS1_30default_config_static_selectorELNS0_4arch9wavefront6targetE1EEEvT1_, .Lfunc_end128-_ZN7rocprim17ROCPRIM_400000_NS6detail17trampoline_kernelINS0_14default_configENS1_20scan_config_selectorIfEEZZNS1_9scan_implILNS1_25lookback_scan_determinismE0ELb0ELb0ES3_PKfPffZZZN2at6native31launch_logcumsumexp_cuda_kernelERKNSB_10TensorBaseESF_lENKUlvE_clEvENKUlvE0_clEvEUlffE_fEEDaPvRmT3_T4_T5_mT6_P12ihipStream_tbENKUlT_T0_E_clISt17integral_constantIbLb1EESW_EEDaSR_SS_EUlSR_E0_NS1_11comp_targetILNS1_3genE2ELNS1_11target_archE906ELNS1_3gpuE6ELNS1_3repE0EEENS1_30default_config_static_selectorELNS0_4arch9wavefront6targetE1EEEvT1_
                                        ; -- End function
	.set _ZN7rocprim17ROCPRIM_400000_NS6detail17trampoline_kernelINS0_14default_configENS1_20scan_config_selectorIfEEZZNS1_9scan_implILNS1_25lookback_scan_determinismE0ELb0ELb0ES3_PKfPffZZZN2at6native31launch_logcumsumexp_cuda_kernelERKNSB_10TensorBaseESF_lENKUlvE_clEvENKUlvE0_clEvEUlffE_fEEDaPvRmT3_T4_T5_mT6_P12ihipStream_tbENKUlT_T0_E_clISt17integral_constantIbLb1EESW_EEDaSR_SS_EUlSR_E0_NS1_11comp_targetILNS1_3genE2ELNS1_11target_archE906ELNS1_3gpuE6ELNS1_3repE0EEENS1_30default_config_static_selectorELNS0_4arch9wavefront6targetE1EEEvT1_.num_vgpr, 53
	.set _ZN7rocprim17ROCPRIM_400000_NS6detail17trampoline_kernelINS0_14default_configENS1_20scan_config_selectorIfEEZZNS1_9scan_implILNS1_25lookback_scan_determinismE0ELb0ELb0ES3_PKfPffZZZN2at6native31launch_logcumsumexp_cuda_kernelERKNSB_10TensorBaseESF_lENKUlvE_clEvENKUlvE0_clEvEUlffE_fEEDaPvRmT3_T4_T5_mT6_P12ihipStream_tbENKUlT_T0_E_clISt17integral_constantIbLb1EESW_EEDaSR_SS_EUlSR_E0_NS1_11comp_targetILNS1_3genE2ELNS1_11target_archE906ELNS1_3gpuE6ELNS1_3repE0EEENS1_30default_config_static_selectorELNS0_4arch9wavefront6targetE1EEEvT1_.num_agpr, 0
	.set _ZN7rocprim17ROCPRIM_400000_NS6detail17trampoline_kernelINS0_14default_configENS1_20scan_config_selectorIfEEZZNS1_9scan_implILNS1_25lookback_scan_determinismE0ELb0ELb0ES3_PKfPffZZZN2at6native31launch_logcumsumexp_cuda_kernelERKNSB_10TensorBaseESF_lENKUlvE_clEvENKUlvE0_clEvEUlffE_fEEDaPvRmT3_T4_T5_mT6_P12ihipStream_tbENKUlT_T0_E_clISt17integral_constantIbLb1EESW_EEDaSR_SS_EUlSR_E0_NS1_11comp_targetILNS1_3genE2ELNS1_11target_archE906ELNS1_3gpuE6ELNS1_3repE0EEENS1_30default_config_static_selectorELNS0_4arch9wavefront6targetE1EEEvT1_.numbered_sgpr, 70
	.set _ZN7rocprim17ROCPRIM_400000_NS6detail17trampoline_kernelINS0_14default_configENS1_20scan_config_selectorIfEEZZNS1_9scan_implILNS1_25lookback_scan_determinismE0ELb0ELb0ES3_PKfPffZZZN2at6native31launch_logcumsumexp_cuda_kernelERKNSB_10TensorBaseESF_lENKUlvE_clEvENKUlvE0_clEvEUlffE_fEEDaPvRmT3_T4_T5_mT6_P12ihipStream_tbENKUlT_T0_E_clISt17integral_constantIbLb1EESW_EEDaSR_SS_EUlSR_E0_NS1_11comp_targetILNS1_3genE2ELNS1_11target_archE906ELNS1_3gpuE6ELNS1_3repE0EEENS1_30default_config_static_selectorELNS0_4arch9wavefront6targetE1EEEvT1_.num_named_barrier, 0
	.set _ZN7rocprim17ROCPRIM_400000_NS6detail17trampoline_kernelINS0_14default_configENS1_20scan_config_selectorIfEEZZNS1_9scan_implILNS1_25lookback_scan_determinismE0ELb0ELb0ES3_PKfPffZZZN2at6native31launch_logcumsumexp_cuda_kernelERKNSB_10TensorBaseESF_lENKUlvE_clEvENKUlvE0_clEvEUlffE_fEEDaPvRmT3_T4_T5_mT6_P12ihipStream_tbENKUlT_T0_E_clISt17integral_constantIbLb1EESW_EEDaSR_SS_EUlSR_E0_NS1_11comp_targetILNS1_3genE2ELNS1_11target_archE906ELNS1_3gpuE6ELNS1_3repE0EEENS1_30default_config_static_selectorELNS0_4arch9wavefront6targetE1EEEvT1_.private_seg_size, 0
	.set _ZN7rocprim17ROCPRIM_400000_NS6detail17trampoline_kernelINS0_14default_configENS1_20scan_config_selectorIfEEZZNS1_9scan_implILNS1_25lookback_scan_determinismE0ELb0ELb0ES3_PKfPffZZZN2at6native31launch_logcumsumexp_cuda_kernelERKNSB_10TensorBaseESF_lENKUlvE_clEvENKUlvE0_clEvEUlffE_fEEDaPvRmT3_T4_T5_mT6_P12ihipStream_tbENKUlT_T0_E_clISt17integral_constantIbLb1EESW_EEDaSR_SS_EUlSR_E0_NS1_11comp_targetILNS1_3genE2ELNS1_11target_archE906ELNS1_3gpuE6ELNS1_3repE0EEENS1_30default_config_static_selectorELNS0_4arch9wavefront6targetE1EEEvT1_.uses_vcc, 1
	.set _ZN7rocprim17ROCPRIM_400000_NS6detail17trampoline_kernelINS0_14default_configENS1_20scan_config_selectorIfEEZZNS1_9scan_implILNS1_25lookback_scan_determinismE0ELb0ELb0ES3_PKfPffZZZN2at6native31launch_logcumsumexp_cuda_kernelERKNSB_10TensorBaseESF_lENKUlvE_clEvENKUlvE0_clEvEUlffE_fEEDaPvRmT3_T4_T5_mT6_P12ihipStream_tbENKUlT_T0_E_clISt17integral_constantIbLb1EESW_EEDaSR_SS_EUlSR_E0_NS1_11comp_targetILNS1_3genE2ELNS1_11target_archE906ELNS1_3gpuE6ELNS1_3repE0EEENS1_30default_config_static_selectorELNS0_4arch9wavefront6targetE1EEEvT1_.uses_flat_scratch, 0
	.set _ZN7rocprim17ROCPRIM_400000_NS6detail17trampoline_kernelINS0_14default_configENS1_20scan_config_selectorIfEEZZNS1_9scan_implILNS1_25lookback_scan_determinismE0ELb0ELb0ES3_PKfPffZZZN2at6native31launch_logcumsumexp_cuda_kernelERKNSB_10TensorBaseESF_lENKUlvE_clEvENKUlvE0_clEvEUlffE_fEEDaPvRmT3_T4_T5_mT6_P12ihipStream_tbENKUlT_T0_E_clISt17integral_constantIbLb1EESW_EEDaSR_SS_EUlSR_E0_NS1_11comp_targetILNS1_3genE2ELNS1_11target_archE906ELNS1_3gpuE6ELNS1_3repE0EEENS1_30default_config_static_selectorELNS0_4arch9wavefront6targetE1EEEvT1_.has_dyn_sized_stack, 0
	.set _ZN7rocprim17ROCPRIM_400000_NS6detail17trampoline_kernelINS0_14default_configENS1_20scan_config_selectorIfEEZZNS1_9scan_implILNS1_25lookback_scan_determinismE0ELb0ELb0ES3_PKfPffZZZN2at6native31launch_logcumsumexp_cuda_kernelERKNSB_10TensorBaseESF_lENKUlvE_clEvENKUlvE0_clEvEUlffE_fEEDaPvRmT3_T4_T5_mT6_P12ihipStream_tbENKUlT_T0_E_clISt17integral_constantIbLb1EESW_EEDaSR_SS_EUlSR_E0_NS1_11comp_targetILNS1_3genE2ELNS1_11target_archE906ELNS1_3gpuE6ELNS1_3repE0EEENS1_30default_config_static_selectorELNS0_4arch9wavefront6targetE1EEEvT1_.has_recursion, 0
	.set _ZN7rocprim17ROCPRIM_400000_NS6detail17trampoline_kernelINS0_14default_configENS1_20scan_config_selectorIfEEZZNS1_9scan_implILNS1_25lookback_scan_determinismE0ELb0ELb0ES3_PKfPffZZZN2at6native31launch_logcumsumexp_cuda_kernelERKNSB_10TensorBaseESF_lENKUlvE_clEvENKUlvE0_clEvEUlffE_fEEDaPvRmT3_T4_T5_mT6_P12ihipStream_tbENKUlT_T0_E_clISt17integral_constantIbLb1EESW_EEDaSR_SS_EUlSR_E0_NS1_11comp_targetILNS1_3genE2ELNS1_11target_archE906ELNS1_3gpuE6ELNS1_3repE0EEENS1_30default_config_static_selectorELNS0_4arch9wavefront6targetE1EEEvT1_.has_indirect_call, 0
	.section	.AMDGPU.csdata,"",@progbits
; Kernel info:
; codeLenInByte = 31256
; TotalNumSgprs: 74
; NumVgprs: 53
; ScratchSize: 0
; MemoryBound: 0
; FloatMode: 240
; IeeeMode: 1
; LDSByteSize: 15360 bytes/workgroup (compile time only)
; SGPRBlocks: 12
; VGPRBlocks: 13
; NumSGPRsForWavesPerEU: 102
; NumVGPRsForWavesPerEU: 53
; Occupancy: 4
; WaveLimiterHint : 0
; COMPUTE_PGM_RSRC2:SCRATCH_EN: 0
; COMPUTE_PGM_RSRC2:USER_SGPR: 6
; COMPUTE_PGM_RSRC2:TRAP_HANDLER: 0
; COMPUTE_PGM_RSRC2:TGID_X_EN: 1
; COMPUTE_PGM_RSRC2:TGID_Y_EN: 0
; COMPUTE_PGM_RSRC2:TGID_Z_EN: 0
; COMPUTE_PGM_RSRC2:TIDIG_COMP_CNT: 0
	.section	.text._ZN7rocprim17ROCPRIM_400000_NS6detail17trampoline_kernelINS0_14default_configENS1_20scan_config_selectorIfEEZZNS1_9scan_implILNS1_25lookback_scan_determinismE0ELb0ELb0ES3_PKfPffZZZN2at6native31launch_logcumsumexp_cuda_kernelERKNSB_10TensorBaseESF_lENKUlvE_clEvENKUlvE0_clEvEUlffE_fEEDaPvRmT3_T4_T5_mT6_P12ihipStream_tbENKUlT_T0_E_clISt17integral_constantIbLb1EESW_EEDaSR_SS_EUlSR_E0_NS1_11comp_targetILNS1_3genE10ELNS1_11target_archE1201ELNS1_3gpuE5ELNS1_3repE0EEENS1_30default_config_static_selectorELNS0_4arch9wavefront6targetE1EEEvT1_,"axG",@progbits,_ZN7rocprim17ROCPRIM_400000_NS6detail17trampoline_kernelINS0_14default_configENS1_20scan_config_selectorIfEEZZNS1_9scan_implILNS1_25lookback_scan_determinismE0ELb0ELb0ES3_PKfPffZZZN2at6native31launch_logcumsumexp_cuda_kernelERKNSB_10TensorBaseESF_lENKUlvE_clEvENKUlvE0_clEvEUlffE_fEEDaPvRmT3_T4_T5_mT6_P12ihipStream_tbENKUlT_T0_E_clISt17integral_constantIbLb1EESW_EEDaSR_SS_EUlSR_E0_NS1_11comp_targetILNS1_3genE10ELNS1_11target_archE1201ELNS1_3gpuE5ELNS1_3repE0EEENS1_30default_config_static_selectorELNS0_4arch9wavefront6targetE1EEEvT1_,comdat
	.globl	_ZN7rocprim17ROCPRIM_400000_NS6detail17trampoline_kernelINS0_14default_configENS1_20scan_config_selectorIfEEZZNS1_9scan_implILNS1_25lookback_scan_determinismE0ELb0ELb0ES3_PKfPffZZZN2at6native31launch_logcumsumexp_cuda_kernelERKNSB_10TensorBaseESF_lENKUlvE_clEvENKUlvE0_clEvEUlffE_fEEDaPvRmT3_T4_T5_mT6_P12ihipStream_tbENKUlT_T0_E_clISt17integral_constantIbLb1EESW_EEDaSR_SS_EUlSR_E0_NS1_11comp_targetILNS1_3genE10ELNS1_11target_archE1201ELNS1_3gpuE5ELNS1_3repE0EEENS1_30default_config_static_selectorELNS0_4arch9wavefront6targetE1EEEvT1_ ; -- Begin function _ZN7rocprim17ROCPRIM_400000_NS6detail17trampoline_kernelINS0_14default_configENS1_20scan_config_selectorIfEEZZNS1_9scan_implILNS1_25lookback_scan_determinismE0ELb0ELb0ES3_PKfPffZZZN2at6native31launch_logcumsumexp_cuda_kernelERKNSB_10TensorBaseESF_lENKUlvE_clEvENKUlvE0_clEvEUlffE_fEEDaPvRmT3_T4_T5_mT6_P12ihipStream_tbENKUlT_T0_E_clISt17integral_constantIbLb1EESW_EEDaSR_SS_EUlSR_E0_NS1_11comp_targetILNS1_3genE10ELNS1_11target_archE1201ELNS1_3gpuE5ELNS1_3repE0EEENS1_30default_config_static_selectorELNS0_4arch9wavefront6targetE1EEEvT1_
	.p2align	8
	.type	_ZN7rocprim17ROCPRIM_400000_NS6detail17trampoline_kernelINS0_14default_configENS1_20scan_config_selectorIfEEZZNS1_9scan_implILNS1_25lookback_scan_determinismE0ELb0ELb0ES3_PKfPffZZZN2at6native31launch_logcumsumexp_cuda_kernelERKNSB_10TensorBaseESF_lENKUlvE_clEvENKUlvE0_clEvEUlffE_fEEDaPvRmT3_T4_T5_mT6_P12ihipStream_tbENKUlT_T0_E_clISt17integral_constantIbLb1EESW_EEDaSR_SS_EUlSR_E0_NS1_11comp_targetILNS1_3genE10ELNS1_11target_archE1201ELNS1_3gpuE5ELNS1_3repE0EEENS1_30default_config_static_selectorELNS0_4arch9wavefront6targetE1EEEvT1_,@function
_ZN7rocprim17ROCPRIM_400000_NS6detail17trampoline_kernelINS0_14default_configENS1_20scan_config_selectorIfEEZZNS1_9scan_implILNS1_25lookback_scan_determinismE0ELb0ELb0ES3_PKfPffZZZN2at6native31launch_logcumsumexp_cuda_kernelERKNSB_10TensorBaseESF_lENKUlvE_clEvENKUlvE0_clEvEUlffE_fEEDaPvRmT3_T4_T5_mT6_P12ihipStream_tbENKUlT_T0_E_clISt17integral_constantIbLb1EESW_EEDaSR_SS_EUlSR_E0_NS1_11comp_targetILNS1_3genE10ELNS1_11target_archE1201ELNS1_3gpuE5ELNS1_3repE0EEENS1_30default_config_static_selectorELNS0_4arch9wavefront6targetE1EEEvT1_: ; @_ZN7rocprim17ROCPRIM_400000_NS6detail17trampoline_kernelINS0_14default_configENS1_20scan_config_selectorIfEEZZNS1_9scan_implILNS1_25lookback_scan_determinismE0ELb0ELb0ES3_PKfPffZZZN2at6native31launch_logcumsumexp_cuda_kernelERKNSB_10TensorBaseESF_lENKUlvE_clEvENKUlvE0_clEvEUlffE_fEEDaPvRmT3_T4_T5_mT6_P12ihipStream_tbENKUlT_T0_E_clISt17integral_constantIbLb1EESW_EEDaSR_SS_EUlSR_E0_NS1_11comp_targetILNS1_3genE10ELNS1_11target_archE1201ELNS1_3gpuE5ELNS1_3repE0EEENS1_30default_config_static_selectorELNS0_4arch9wavefront6targetE1EEEvT1_
; %bb.0:
	.section	.rodata,"a",@progbits
	.p2align	6, 0x0
	.amdhsa_kernel _ZN7rocprim17ROCPRIM_400000_NS6detail17trampoline_kernelINS0_14default_configENS1_20scan_config_selectorIfEEZZNS1_9scan_implILNS1_25lookback_scan_determinismE0ELb0ELb0ES3_PKfPffZZZN2at6native31launch_logcumsumexp_cuda_kernelERKNSB_10TensorBaseESF_lENKUlvE_clEvENKUlvE0_clEvEUlffE_fEEDaPvRmT3_T4_T5_mT6_P12ihipStream_tbENKUlT_T0_E_clISt17integral_constantIbLb1EESW_EEDaSR_SS_EUlSR_E0_NS1_11comp_targetILNS1_3genE10ELNS1_11target_archE1201ELNS1_3gpuE5ELNS1_3repE0EEENS1_30default_config_static_selectorELNS0_4arch9wavefront6targetE1EEEvT1_
		.amdhsa_group_segment_fixed_size 0
		.amdhsa_private_segment_fixed_size 0
		.amdhsa_kernarg_size 32
		.amdhsa_user_sgpr_count 6
		.amdhsa_user_sgpr_private_segment_buffer 1
		.amdhsa_user_sgpr_dispatch_ptr 0
		.amdhsa_user_sgpr_queue_ptr 0
		.amdhsa_user_sgpr_kernarg_segment_ptr 1
		.amdhsa_user_sgpr_dispatch_id 0
		.amdhsa_user_sgpr_flat_scratch_init 0
		.amdhsa_user_sgpr_private_segment_size 0
		.amdhsa_uses_dynamic_stack 0
		.amdhsa_system_sgpr_private_segment_wavefront_offset 0
		.amdhsa_system_sgpr_workgroup_id_x 1
		.amdhsa_system_sgpr_workgroup_id_y 0
		.amdhsa_system_sgpr_workgroup_id_z 0
		.amdhsa_system_sgpr_workgroup_info 0
		.amdhsa_system_vgpr_workitem_id 0
		.amdhsa_next_free_vgpr 1
		.amdhsa_next_free_sgpr 0
		.amdhsa_reserve_vcc 0
		.amdhsa_reserve_flat_scratch 0
		.amdhsa_float_round_mode_32 0
		.amdhsa_float_round_mode_16_64 0
		.amdhsa_float_denorm_mode_32 3
		.amdhsa_float_denorm_mode_16_64 3
		.amdhsa_dx10_clamp 1
		.amdhsa_ieee_mode 1
		.amdhsa_fp16_overflow 0
		.amdhsa_exception_fp_ieee_invalid_op 0
		.amdhsa_exception_fp_denorm_src 0
		.amdhsa_exception_fp_ieee_div_zero 0
		.amdhsa_exception_fp_ieee_overflow 0
		.amdhsa_exception_fp_ieee_underflow 0
		.amdhsa_exception_fp_ieee_inexact 0
		.amdhsa_exception_int_div_zero 0
	.end_amdhsa_kernel
	.section	.text._ZN7rocprim17ROCPRIM_400000_NS6detail17trampoline_kernelINS0_14default_configENS1_20scan_config_selectorIfEEZZNS1_9scan_implILNS1_25lookback_scan_determinismE0ELb0ELb0ES3_PKfPffZZZN2at6native31launch_logcumsumexp_cuda_kernelERKNSB_10TensorBaseESF_lENKUlvE_clEvENKUlvE0_clEvEUlffE_fEEDaPvRmT3_T4_T5_mT6_P12ihipStream_tbENKUlT_T0_E_clISt17integral_constantIbLb1EESW_EEDaSR_SS_EUlSR_E0_NS1_11comp_targetILNS1_3genE10ELNS1_11target_archE1201ELNS1_3gpuE5ELNS1_3repE0EEENS1_30default_config_static_selectorELNS0_4arch9wavefront6targetE1EEEvT1_,"axG",@progbits,_ZN7rocprim17ROCPRIM_400000_NS6detail17trampoline_kernelINS0_14default_configENS1_20scan_config_selectorIfEEZZNS1_9scan_implILNS1_25lookback_scan_determinismE0ELb0ELb0ES3_PKfPffZZZN2at6native31launch_logcumsumexp_cuda_kernelERKNSB_10TensorBaseESF_lENKUlvE_clEvENKUlvE0_clEvEUlffE_fEEDaPvRmT3_T4_T5_mT6_P12ihipStream_tbENKUlT_T0_E_clISt17integral_constantIbLb1EESW_EEDaSR_SS_EUlSR_E0_NS1_11comp_targetILNS1_3genE10ELNS1_11target_archE1201ELNS1_3gpuE5ELNS1_3repE0EEENS1_30default_config_static_selectorELNS0_4arch9wavefront6targetE1EEEvT1_,comdat
.Lfunc_end129:
	.size	_ZN7rocprim17ROCPRIM_400000_NS6detail17trampoline_kernelINS0_14default_configENS1_20scan_config_selectorIfEEZZNS1_9scan_implILNS1_25lookback_scan_determinismE0ELb0ELb0ES3_PKfPffZZZN2at6native31launch_logcumsumexp_cuda_kernelERKNSB_10TensorBaseESF_lENKUlvE_clEvENKUlvE0_clEvEUlffE_fEEDaPvRmT3_T4_T5_mT6_P12ihipStream_tbENKUlT_T0_E_clISt17integral_constantIbLb1EESW_EEDaSR_SS_EUlSR_E0_NS1_11comp_targetILNS1_3genE10ELNS1_11target_archE1201ELNS1_3gpuE5ELNS1_3repE0EEENS1_30default_config_static_selectorELNS0_4arch9wavefront6targetE1EEEvT1_, .Lfunc_end129-_ZN7rocprim17ROCPRIM_400000_NS6detail17trampoline_kernelINS0_14default_configENS1_20scan_config_selectorIfEEZZNS1_9scan_implILNS1_25lookback_scan_determinismE0ELb0ELb0ES3_PKfPffZZZN2at6native31launch_logcumsumexp_cuda_kernelERKNSB_10TensorBaseESF_lENKUlvE_clEvENKUlvE0_clEvEUlffE_fEEDaPvRmT3_T4_T5_mT6_P12ihipStream_tbENKUlT_T0_E_clISt17integral_constantIbLb1EESW_EEDaSR_SS_EUlSR_E0_NS1_11comp_targetILNS1_3genE10ELNS1_11target_archE1201ELNS1_3gpuE5ELNS1_3repE0EEENS1_30default_config_static_selectorELNS0_4arch9wavefront6targetE1EEEvT1_
                                        ; -- End function
	.set _ZN7rocprim17ROCPRIM_400000_NS6detail17trampoline_kernelINS0_14default_configENS1_20scan_config_selectorIfEEZZNS1_9scan_implILNS1_25lookback_scan_determinismE0ELb0ELb0ES3_PKfPffZZZN2at6native31launch_logcumsumexp_cuda_kernelERKNSB_10TensorBaseESF_lENKUlvE_clEvENKUlvE0_clEvEUlffE_fEEDaPvRmT3_T4_T5_mT6_P12ihipStream_tbENKUlT_T0_E_clISt17integral_constantIbLb1EESW_EEDaSR_SS_EUlSR_E0_NS1_11comp_targetILNS1_3genE10ELNS1_11target_archE1201ELNS1_3gpuE5ELNS1_3repE0EEENS1_30default_config_static_selectorELNS0_4arch9wavefront6targetE1EEEvT1_.num_vgpr, 0
	.set _ZN7rocprim17ROCPRIM_400000_NS6detail17trampoline_kernelINS0_14default_configENS1_20scan_config_selectorIfEEZZNS1_9scan_implILNS1_25lookback_scan_determinismE0ELb0ELb0ES3_PKfPffZZZN2at6native31launch_logcumsumexp_cuda_kernelERKNSB_10TensorBaseESF_lENKUlvE_clEvENKUlvE0_clEvEUlffE_fEEDaPvRmT3_T4_T5_mT6_P12ihipStream_tbENKUlT_T0_E_clISt17integral_constantIbLb1EESW_EEDaSR_SS_EUlSR_E0_NS1_11comp_targetILNS1_3genE10ELNS1_11target_archE1201ELNS1_3gpuE5ELNS1_3repE0EEENS1_30default_config_static_selectorELNS0_4arch9wavefront6targetE1EEEvT1_.num_agpr, 0
	.set _ZN7rocprim17ROCPRIM_400000_NS6detail17trampoline_kernelINS0_14default_configENS1_20scan_config_selectorIfEEZZNS1_9scan_implILNS1_25lookback_scan_determinismE0ELb0ELb0ES3_PKfPffZZZN2at6native31launch_logcumsumexp_cuda_kernelERKNSB_10TensorBaseESF_lENKUlvE_clEvENKUlvE0_clEvEUlffE_fEEDaPvRmT3_T4_T5_mT6_P12ihipStream_tbENKUlT_T0_E_clISt17integral_constantIbLb1EESW_EEDaSR_SS_EUlSR_E0_NS1_11comp_targetILNS1_3genE10ELNS1_11target_archE1201ELNS1_3gpuE5ELNS1_3repE0EEENS1_30default_config_static_selectorELNS0_4arch9wavefront6targetE1EEEvT1_.numbered_sgpr, 0
	.set _ZN7rocprim17ROCPRIM_400000_NS6detail17trampoline_kernelINS0_14default_configENS1_20scan_config_selectorIfEEZZNS1_9scan_implILNS1_25lookback_scan_determinismE0ELb0ELb0ES3_PKfPffZZZN2at6native31launch_logcumsumexp_cuda_kernelERKNSB_10TensorBaseESF_lENKUlvE_clEvENKUlvE0_clEvEUlffE_fEEDaPvRmT3_T4_T5_mT6_P12ihipStream_tbENKUlT_T0_E_clISt17integral_constantIbLb1EESW_EEDaSR_SS_EUlSR_E0_NS1_11comp_targetILNS1_3genE10ELNS1_11target_archE1201ELNS1_3gpuE5ELNS1_3repE0EEENS1_30default_config_static_selectorELNS0_4arch9wavefront6targetE1EEEvT1_.num_named_barrier, 0
	.set _ZN7rocprim17ROCPRIM_400000_NS6detail17trampoline_kernelINS0_14default_configENS1_20scan_config_selectorIfEEZZNS1_9scan_implILNS1_25lookback_scan_determinismE0ELb0ELb0ES3_PKfPffZZZN2at6native31launch_logcumsumexp_cuda_kernelERKNSB_10TensorBaseESF_lENKUlvE_clEvENKUlvE0_clEvEUlffE_fEEDaPvRmT3_T4_T5_mT6_P12ihipStream_tbENKUlT_T0_E_clISt17integral_constantIbLb1EESW_EEDaSR_SS_EUlSR_E0_NS1_11comp_targetILNS1_3genE10ELNS1_11target_archE1201ELNS1_3gpuE5ELNS1_3repE0EEENS1_30default_config_static_selectorELNS0_4arch9wavefront6targetE1EEEvT1_.private_seg_size, 0
	.set _ZN7rocprim17ROCPRIM_400000_NS6detail17trampoline_kernelINS0_14default_configENS1_20scan_config_selectorIfEEZZNS1_9scan_implILNS1_25lookback_scan_determinismE0ELb0ELb0ES3_PKfPffZZZN2at6native31launch_logcumsumexp_cuda_kernelERKNSB_10TensorBaseESF_lENKUlvE_clEvENKUlvE0_clEvEUlffE_fEEDaPvRmT3_T4_T5_mT6_P12ihipStream_tbENKUlT_T0_E_clISt17integral_constantIbLb1EESW_EEDaSR_SS_EUlSR_E0_NS1_11comp_targetILNS1_3genE10ELNS1_11target_archE1201ELNS1_3gpuE5ELNS1_3repE0EEENS1_30default_config_static_selectorELNS0_4arch9wavefront6targetE1EEEvT1_.uses_vcc, 0
	.set _ZN7rocprim17ROCPRIM_400000_NS6detail17trampoline_kernelINS0_14default_configENS1_20scan_config_selectorIfEEZZNS1_9scan_implILNS1_25lookback_scan_determinismE0ELb0ELb0ES3_PKfPffZZZN2at6native31launch_logcumsumexp_cuda_kernelERKNSB_10TensorBaseESF_lENKUlvE_clEvENKUlvE0_clEvEUlffE_fEEDaPvRmT3_T4_T5_mT6_P12ihipStream_tbENKUlT_T0_E_clISt17integral_constantIbLb1EESW_EEDaSR_SS_EUlSR_E0_NS1_11comp_targetILNS1_3genE10ELNS1_11target_archE1201ELNS1_3gpuE5ELNS1_3repE0EEENS1_30default_config_static_selectorELNS0_4arch9wavefront6targetE1EEEvT1_.uses_flat_scratch, 0
	.set _ZN7rocprim17ROCPRIM_400000_NS6detail17trampoline_kernelINS0_14default_configENS1_20scan_config_selectorIfEEZZNS1_9scan_implILNS1_25lookback_scan_determinismE0ELb0ELb0ES3_PKfPffZZZN2at6native31launch_logcumsumexp_cuda_kernelERKNSB_10TensorBaseESF_lENKUlvE_clEvENKUlvE0_clEvEUlffE_fEEDaPvRmT3_T4_T5_mT6_P12ihipStream_tbENKUlT_T0_E_clISt17integral_constantIbLb1EESW_EEDaSR_SS_EUlSR_E0_NS1_11comp_targetILNS1_3genE10ELNS1_11target_archE1201ELNS1_3gpuE5ELNS1_3repE0EEENS1_30default_config_static_selectorELNS0_4arch9wavefront6targetE1EEEvT1_.has_dyn_sized_stack, 0
	.set _ZN7rocprim17ROCPRIM_400000_NS6detail17trampoline_kernelINS0_14default_configENS1_20scan_config_selectorIfEEZZNS1_9scan_implILNS1_25lookback_scan_determinismE0ELb0ELb0ES3_PKfPffZZZN2at6native31launch_logcumsumexp_cuda_kernelERKNSB_10TensorBaseESF_lENKUlvE_clEvENKUlvE0_clEvEUlffE_fEEDaPvRmT3_T4_T5_mT6_P12ihipStream_tbENKUlT_T0_E_clISt17integral_constantIbLb1EESW_EEDaSR_SS_EUlSR_E0_NS1_11comp_targetILNS1_3genE10ELNS1_11target_archE1201ELNS1_3gpuE5ELNS1_3repE0EEENS1_30default_config_static_selectorELNS0_4arch9wavefront6targetE1EEEvT1_.has_recursion, 0
	.set _ZN7rocprim17ROCPRIM_400000_NS6detail17trampoline_kernelINS0_14default_configENS1_20scan_config_selectorIfEEZZNS1_9scan_implILNS1_25lookback_scan_determinismE0ELb0ELb0ES3_PKfPffZZZN2at6native31launch_logcumsumexp_cuda_kernelERKNSB_10TensorBaseESF_lENKUlvE_clEvENKUlvE0_clEvEUlffE_fEEDaPvRmT3_T4_T5_mT6_P12ihipStream_tbENKUlT_T0_E_clISt17integral_constantIbLb1EESW_EEDaSR_SS_EUlSR_E0_NS1_11comp_targetILNS1_3genE10ELNS1_11target_archE1201ELNS1_3gpuE5ELNS1_3repE0EEENS1_30default_config_static_selectorELNS0_4arch9wavefront6targetE1EEEvT1_.has_indirect_call, 0
	.section	.AMDGPU.csdata,"",@progbits
; Kernel info:
; codeLenInByte = 0
; TotalNumSgprs: 4
; NumVgprs: 0
; ScratchSize: 0
; MemoryBound: 0
; FloatMode: 240
; IeeeMode: 1
; LDSByteSize: 0 bytes/workgroup (compile time only)
; SGPRBlocks: 0
; VGPRBlocks: 0
; NumSGPRsForWavesPerEU: 4
; NumVGPRsForWavesPerEU: 1
; Occupancy: 10
; WaveLimiterHint : 0
; COMPUTE_PGM_RSRC2:SCRATCH_EN: 0
; COMPUTE_PGM_RSRC2:USER_SGPR: 6
; COMPUTE_PGM_RSRC2:TRAP_HANDLER: 0
; COMPUTE_PGM_RSRC2:TGID_X_EN: 1
; COMPUTE_PGM_RSRC2:TGID_Y_EN: 0
; COMPUTE_PGM_RSRC2:TGID_Z_EN: 0
; COMPUTE_PGM_RSRC2:TIDIG_COMP_CNT: 0
	.section	.text._ZN7rocprim17ROCPRIM_400000_NS6detail17trampoline_kernelINS0_14default_configENS1_20scan_config_selectorIfEEZZNS1_9scan_implILNS1_25lookback_scan_determinismE0ELb0ELb0ES3_PKfPffZZZN2at6native31launch_logcumsumexp_cuda_kernelERKNSB_10TensorBaseESF_lENKUlvE_clEvENKUlvE0_clEvEUlffE_fEEDaPvRmT3_T4_T5_mT6_P12ihipStream_tbENKUlT_T0_E_clISt17integral_constantIbLb1EESW_EEDaSR_SS_EUlSR_E0_NS1_11comp_targetILNS1_3genE10ELNS1_11target_archE1200ELNS1_3gpuE4ELNS1_3repE0EEENS1_30default_config_static_selectorELNS0_4arch9wavefront6targetE1EEEvT1_,"axG",@progbits,_ZN7rocprim17ROCPRIM_400000_NS6detail17trampoline_kernelINS0_14default_configENS1_20scan_config_selectorIfEEZZNS1_9scan_implILNS1_25lookback_scan_determinismE0ELb0ELb0ES3_PKfPffZZZN2at6native31launch_logcumsumexp_cuda_kernelERKNSB_10TensorBaseESF_lENKUlvE_clEvENKUlvE0_clEvEUlffE_fEEDaPvRmT3_T4_T5_mT6_P12ihipStream_tbENKUlT_T0_E_clISt17integral_constantIbLb1EESW_EEDaSR_SS_EUlSR_E0_NS1_11comp_targetILNS1_3genE10ELNS1_11target_archE1200ELNS1_3gpuE4ELNS1_3repE0EEENS1_30default_config_static_selectorELNS0_4arch9wavefront6targetE1EEEvT1_,comdat
	.globl	_ZN7rocprim17ROCPRIM_400000_NS6detail17trampoline_kernelINS0_14default_configENS1_20scan_config_selectorIfEEZZNS1_9scan_implILNS1_25lookback_scan_determinismE0ELb0ELb0ES3_PKfPffZZZN2at6native31launch_logcumsumexp_cuda_kernelERKNSB_10TensorBaseESF_lENKUlvE_clEvENKUlvE0_clEvEUlffE_fEEDaPvRmT3_T4_T5_mT6_P12ihipStream_tbENKUlT_T0_E_clISt17integral_constantIbLb1EESW_EEDaSR_SS_EUlSR_E0_NS1_11comp_targetILNS1_3genE10ELNS1_11target_archE1200ELNS1_3gpuE4ELNS1_3repE0EEENS1_30default_config_static_selectorELNS0_4arch9wavefront6targetE1EEEvT1_ ; -- Begin function _ZN7rocprim17ROCPRIM_400000_NS6detail17trampoline_kernelINS0_14default_configENS1_20scan_config_selectorIfEEZZNS1_9scan_implILNS1_25lookback_scan_determinismE0ELb0ELb0ES3_PKfPffZZZN2at6native31launch_logcumsumexp_cuda_kernelERKNSB_10TensorBaseESF_lENKUlvE_clEvENKUlvE0_clEvEUlffE_fEEDaPvRmT3_T4_T5_mT6_P12ihipStream_tbENKUlT_T0_E_clISt17integral_constantIbLb1EESW_EEDaSR_SS_EUlSR_E0_NS1_11comp_targetILNS1_3genE10ELNS1_11target_archE1200ELNS1_3gpuE4ELNS1_3repE0EEENS1_30default_config_static_selectorELNS0_4arch9wavefront6targetE1EEEvT1_
	.p2align	8
	.type	_ZN7rocprim17ROCPRIM_400000_NS6detail17trampoline_kernelINS0_14default_configENS1_20scan_config_selectorIfEEZZNS1_9scan_implILNS1_25lookback_scan_determinismE0ELb0ELb0ES3_PKfPffZZZN2at6native31launch_logcumsumexp_cuda_kernelERKNSB_10TensorBaseESF_lENKUlvE_clEvENKUlvE0_clEvEUlffE_fEEDaPvRmT3_T4_T5_mT6_P12ihipStream_tbENKUlT_T0_E_clISt17integral_constantIbLb1EESW_EEDaSR_SS_EUlSR_E0_NS1_11comp_targetILNS1_3genE10ELNS1_11target_archE1200ELNS1_3gpuE4ELNS1_3repE0EEENS1_30default_config_static_selectorELNS0_4arch9wavefront6targetE1EEEvT1_,@function
_ZN7rocprim17ROCPRIM_400000_NS6detail17trampoline_kernelINS0_14default_configENS1_20scan_config_selectorIfEEZZNS1_9scan_implILNS1_25lookback_scan_determinismE0ELb0ELb0ES3_PKfPffZZZN2at6native31launch_logcumsumexp_cuda_kernelERKNSB_10TensorBaseESF_lENKUlvE_clEvENKUlvE0_clEvEUlffE_fEEDaPvRmT3_T4_T5_mT6_P12ihipStream_tbENKUlT_T0_E_clISt17integral_constantIbLb1EESW_EEDaSR_SS_EUlSR_E0_NS1_11comp_targetILNS1_3genE10ELNS1_11target_archE1200ELNS1_3gpuE4ELNS1_3repE0EEENS1_30default_config_static_selectorELNS0_4arch9wavefront6targetE1EEEvT1_: ; @_ZN7rocprim17ROCPRIM_400000_NS6detail17trampoline_kernelINS0_14default_configENS1_20scan_config_selectorIfEEZZNS1_9scan_implILNS1_25lookback_scan_determinismE0ELb0ELb0ES3_PKfPffZZZN2at6native31launch_logcumsumexp_cuda_kernelERKNSB_10TensorBaseESF_lENKUlvE_clEvENKUlvE0_clEvEUlffE_fEEDaPvRmT3_T4_T5_mT6_P12ihipStream_tbENKUlT_T0_E_clISt17integral_constantIbLb1EESW_EEDaSR_SS_EUlSR_E0_NS1_11comp_targetILNS1_3genE10ELNS1_11target_archE1200ELNS1_3gpuE4ELNS1_3repE0EEENS1_30default_config_static_selectorELNS0_4arch9wavefront6targetE1EEEvT1_
; %bb.0:
	.section	.rodata,"a",@progbits
	.p2align	6, 0x0
	.amdhsa_kernel _ZN7rocprim17ROCPRIM_400000_NS6detail17trampoline_kernelINS0_14default_configENS1_20scan_config_selectorIfEEZZNS1_9scan_implILNS1_25lookback_scan_determinismE0ELb0ELb0ES3_PKfPffZZZN2at6native31launch_logcumsumexp_cuda_kernelERKNSB_10TensorBaseESF_lENKUlvE_clEvENKUlvE0_clEvEUlffE_fEEDaPvRmT3_T4_T5_mT6_P12ihipStream_tbENKUlT_T0_E_clISt17integral_constantIbLb1EESW_EEDaSR_SS_EUlSR_E0_NS1_11comp_targetILNS1_3genE10ELNS1_11target_archE1200ELNS1_3gpuE4ELNS1_3repE0EEENS1_30default_config_static_selectorELNS0_4arch9wavefront6targetE1EEEvT1_
		.amdhsa_group_segment_fixed_size 0
		.amdhsa_private_segment_fixed_size 0
		.amdhsa_kernarg_size 32
		.amdhsa_user_sgpr_count 6
		.amdhsa_user_sgpr_private_segment_buffer 1
		.amdhsa_user_sgpr_dispatch_ptr 0
		.amdhsa_user_sgpr_queue_ptr 0
		.amdhsa_user_sgpr_kernarg_segment_ptr 1
		.amdhsa_user_sgpr_dispatch_id 0
		.amdhsa_user_sgpr_flat_scratch_init 0
		.amdhsa_user_sgpr_private_segment_size 0
		.amdhsa_uses_dynamic_stack 0
		.amdhsa_system_sgpr_private_segment_wavefront_offset 0
		.amdhsa_system_sgpr_workgroup_id_x 1
		.amdhsa_system_sgpr_workgroup_id_y 0
		.amdhsa_system_sgpr_workgroup_id_z 0
		.amdhsa_system_sgpr_workgroup_info 0
		.amdhsa_system_vgpr_workitem_id 0
		.amdhsa_next_free_vgpr 1
		.amdhsa_next_free_sgpr 0
		.amdhsa_reserve_vcc 0
		.amdhsa_reserve_flat_scratch 0
		.amdhsa_float_round_mode_32 0
		.amdhsa_float_round_mode_16_64 0
		.amdhsa_float_denorm_mode_32 3
		.amdhsa_float_denorm_mode_16_64 3
		.amdhsa_dx10_clamp 1
		.amdhsa_ieee_mode 1
		.amdhsa_fp16_overflow 0
		.amdhsa_exception_fp_ieee_invalid_op 0
		.amdhsa_exception_fp_denorm_src 0
		.amdhsa_exception_fp_ieee_div_zero 0
		.amdhsa_exception_fp_ieee_overflow 0
		.amdhsa_exception_fp_ieee_underflow 0
		.amdhsa_exception_fp_ieee_inexact 0
		.amdhsa_exception_int_div_zero 0
	.end_amdhsa_kernel
	.section	.text._ZN7rocprim17ROCPRIM_400000_NS6detail17trampoline_kernelINS0_14default_configENS1_20scan_config_selectorIfEEZZNS1_9scan_implILNS1_25lookback_scan_determinismE0ELb0ELb0ES3_PKfPffZZZN2at6native31launch_logcumsumexp_cuda_kernelERKNSB_10TensorBaseESF_lENKUlvE_clEvENKUlvE0_clEvEUlffE_fEEDaPvRmT3_T4_T5_mT6_P12ihipStream_tbENKUlT_T0_E_clISt17integral_constantIbLb1EESW_EEDaSR_SS_EUlSR_E0_NS1_11comp_targetILNS1_3genE10ELNS1_11target_archE1200ELNS1_3gpuE4ELNS1_3repE0EEENS1_30default_config_static_selectorELNS0_4arch9wavefront6targetE1EEEvT1_,"axG",@progbits,_ZN7rocprim17ROCPRIM_400000_NS6detail17trampoline_kernelINS0_14default_configENS1_20scan_config_selectorIfEEZZNS1_9scan_implILNS1_25lookback_scan_determinismE0ELb0ELb0ES3_PKfPffZZZN2at6native31launch_logcumsumexp_cuda_kernelERKNSB_10TensorBaseESF_lENKUlvE_clEvENKUlvE0_clEvEUlffE_fEEDaPvRmT3_T4_T5_mT6_P12ihipStream_tbENKUlT_T0_E_clISt17integral_constantIbLb1EESW_EEDaSR_SS_EUlSR_E0_NS1_11comp_targetILNS1_3genE10ELNS1_11target_archE1200ELNS1_3gpuE4ELNS1_3repE0EEENS1_30default_config_static_selectorELNS0_4arch9wavefront6targetE1EEEvT1_,comdat
.Lfunc_end130:
	.size	_ZN7rocprim17ROCPRIM_400000_NS6detail17trampoline_kernelINS0_14default_configENS1_20scan_config_selectorIfEEZZNS1_9scan_implILNS1_25lookback_scan_determinismE0ELb0ELb0ES3_PKfPffZZZN2at6native31launch_logcumsumexp_cuda_kernelERKNSB_10TensorBaseESF_lENKUlvE_clEvENKUlvE0_clEvEUlffE_fEEDaPvRmT3_T4_T5_mT6_P12ihipStream_tbENKUlT_T0_E_clISt17integral_constantIbLb1EESW_EEDaSR_SS_EUlSR_E0_NS1_11comp_targetILNS1_3genE10ELNS1_11target_archE1200ELNS1_3gpuE4ELNS1_3repE0EEENS1_30default_config_static_selectorELNS0_4arch9wavefront6targetE1EEEvT1_, .Lfunc_end130-_ZN7rocprim17ROCPRIM_400000_NS6detail17trampoline_kernelINS0_14default_configENS1_20scan_config_selectorIfEEZZNS1_9scan_implILNS1_25lookback_scan_determinismE0ELb0ELb0ES3_PKfPffZZZN2at6native31launch_logcumsumexp_cuda_kernelERKNSB_10TensorBaseESF_lENKUlvE_clEvENKUlvE0_clEvEUlffE_fEEDaPvRmT3_T4_T5_mT6_P12ihipStream_tbENKUlT_T0_E_clISt17integral_constantIbLb1EESW_EEDaSR_SS_EUlSR_E0_NS1_11comp_targetILNS1_3genE10ELNS1_11target_archE1200ELNS1_3gpuE4ELNS1_3repE0EEENS1_30default_config_static_selectorELNS0_4arch9wavefront6targetE1EEEvT1_
                                        ; -- End function
	.set _ZN7rocprim17ROCPRIM_400000_NS6detail17trampoline_kernelINS0_14default_configENS1_20scan_config_selectorIfEEZZNS1_9scan_implILNS1_25lookback_scan_determinismE0ELb0ELb0ES3_PKfPffZZZN2at6native31launch_logcumsumexp_cuda_kernelERKNSB_10TensorBaseESF_lENKUlvE_clEvENKUlvE0_clEvEUlffE_fEEDaPvRmT3_T4_T5_mT6_P12ihipStream_tbENKUlT_T0_E_clISt17integral_constantIbLb1EESW_EEDaSR_SS_EUlSR_E0_NS1_11comp_targetILNS1_3genE10ELNS1_11target_archE1200ELNS1_3gpuE4ELNS1_3repE0EEENS1_30default_config_static_selectorELNS0_4arch9wavefront6targetE1EEEvT1_.num_vgpr, 0
	.set _ZN7rocprim17ROCPRIM_400000_NS6detail17trampoline_kernelINS0_14default_configENS1_20scan_config_selectorIfEEZZNS1_9scan_implILNS1_25lookback_scan_determinismE0ELb0ELb0ES3_PKfPffZZZN2at6native31launch_logcumsumexp_cuda_kernelERKNSB_10TensorBaseESF_lENKUlvE_clEvENKUlvE0_clEvEUlffE_fEEDaPvRmT3_T4_T5_mT6_P12ihipStream_tbENKUlT_T0_E_clISt17integral_constantIbLb1EESW_EEDaSR_SS_EUlSR_E0_NS1_11comp_targetILNS1_3genE10ELNS1_11target_archE1200ELNS1_3gpuE4ELNS1_3repE0EEENS1_30default_config_static_selectorELNS0_4arch9wavefront6targetE1EEEvT1_.num_agpr, 0
	.set _ZN7rocprim17ROCPRIM_400000_NS6detail17trampoline_kernelINS0_14default_configENS1_20scan_config_selectorIfEEZZNS1_9scan_implILNS1_25lookback_scan_determinismE0ELb0ELb0ES3_PKfPffZZZN2at6native31launch_logcumsumexp_cuda_kernelERKNSB_10TensorBaseESF_lENKUlvE_clEvENKUlvE0_clEvEUlffE_fEEDaPvRmT3_T4_T5_mT6_P12ihipStream_tbENKUlT_T0_E_clISt17integral_constantIbLb1EESW_EEDaSR_SS_EUlSR_E0_NS1_11comp_targetILNS1_3genE10ELNS1_11target_archE1200ELNS1_3gpuE4ELNS1_3repE0EEENS1_30default_config_static_selectorELNS0_4arch9wavefront6targetE1EEEvT1_.numbered_sgpr, 0
	.set _ZN7rocprim17ROCPRIM_400000_NS6detail17trampoline_kernelINS0_14default_configENS1_20scan_config_selectorIfEEZZNS1_9scan_implILNS1_25lookback_scan_determinismE0ELb0ELb0ES3_PKfPffZZZN2at6native31launch_logcumsumexp_cuda_kernelERKNSB_10TensorBaseESF_lENKUlvE_clEvENKUlvE0_clEvEUlffE_fEEDaPvRmT3_T4_T5_mT6_P12ihipStream_tbENKUlT_T0_E_clISt17integral_constantIbLb1EESW_EEDaSR_SS_EUlSR_E0_NS1_11comp_targetILNS1_3genE10ELNS1_11target_archE1200ELNS1_3gpuE4ELNS1_3repE0EEENS1_30default_config_static_selectorELNS0_4arch9wavefront6targetE1EEEvT1_.num_named_barrier, 0
	.set _ZN7rocprim17ROCPRIM_400000_NS6detail17trampoline_kernelINS0_14default_configENS1_20scan_config_selectorIfEEZZNS1_9scan_implILNS1_25lookback_scan_determinismE0ELb0ELb0ES3_PKfPffZZZN2at6native31launch_logcumsumexp_cuda_kernelERKNSB_10TensorBaseESF_lENKUlvE_clEvENKUlvE0_clEvEUlffE_fEEDaPvRmT3_T4_T5_mT6_P12ihipStream_tbENKUlT_T0_E_clISt17integral_constantIbLb1EESW_EEDaSR_SS_EUlSR_E0_NS1_11comp_targetILNS1_3genE10ELNS1_11target_archE1200ELNS1_3gpuE4ELNS1_3repE0EEENS1_30default_config_static_selectorELNS0_4arch9wavefront6targetE1EEEvT1_.private_seg_size, 0
	.set _ZN7rocprim17ROCPRIM_400000_NS6detail17trampoline_kernelINS0_14default_configENS1_20scan_config_selectorIfEEZZNS1_9scan_implILNS1_25lookback_scan_determinismE0ELb0ELb0ES3_PKfPffZZZN2at6native31launch_logcumsumexp_cuda_kernelERKNSB_10TensorBaseESF_lENKUlvE_clEvENKUlvE0_clEvEUlffE_fEEDaPvRmT3_T4_T5_mT6_P12ihipStream_tbENKUlT_T0_E_clISt17integral_constantIbLb1EESW_EEDaSR_SS_EUlSR_E0_NS1_11comp_targetILNS1_3genE10ELNS1_11target_archE1200ELNS1_3gpuE4ELNS1_3repE0EEENS1_30default_config_static_selectorELNS0_4arch9wavefront6targetE1EEEvT1_.uses_vcc, 0
	.set _ZN7rocprim17ROCPRIM_400000_NS6detail17trampoline_kernelINS0_14default_configENS1_20scan_config_selectorIfEEZZNS1_9scan_implILNS1_25lookback_scan_determinismE0ELb0ELb0ES3_PKfPffZZZN2at6native31launch_logcumsumexp_cuda_kernelERKNSB_10TensorBaseESF_lENKUlvE_clEvENKUlvE0_clEvEUlffE_fEEDaPvRmT3_T4_T5_mT6_P12ihipStream_tbENKUlT_T0_E_clISt17integral_constantIbLb1EESW_EEDaSR_SS_EUlSR_E0_NS1_11comp_targetILNS1_3genE10ELNS1_11target_archE1200ELNS1_3gpuE4ELNS1_3repE0EEENS1_30default_config_static_selectorELNS0_4arch9wavefront6targetE1EEEvT1_.uses_flat_scratch, 0
	.set _ZN7rocprim17ROCPRIM_400000_NS6detail17trampoline_kernelINS0_14default_configENS1_20scan_config_selectorIfEEZZNS1_9scan_implILNS1_25lookback_scan_determinismE0ELb0ELb0ES3_PKfPffZZZN2at6native31launch_logcumsumexp_cuda_kernelERKNSB_10TensorBaseESF_lENKUlvE_clEvENKUlvE0_clEvEUlffE_fEEDaPvRmT3_T4_T5_mT6_P12ihipStream_tbENKUlT_T0_E_clISt17integral_constantIbLb1EESW_EEDaSR_SS_EUlSR_E0_NS1_11comp_targetILNS1_3genE10ELNS1_11target_archE1200ELNS1_3gpuE4ELNS1_3repE0EEENS1_30default_config_static_selectorELNS0_4arch9wavefront6targetE1EEEvT1_.has_dyn_sized_stack, 0
	.set _ZN7rocprim17ROCPRIM_400000_NS6detail17trampoline_kernelINS0_14default_configENS1_20scan_config_selectorIfEEZZNS1_9scan_implILNS1_25lookback_scan_determinismE0ELb0ELb0ES3_PKfPffZZZN2at6native31launch_logcumsumexp_cuda_kernelERKNSB_10TensorBaseESF_lENKUlvE_clEvENKUlvE0_clEvEUlffE_fEEDaPvRmT3_T4_T5_mT6_P12ihipStream_tbENKUlT_T0_E_clISt17integral_constantIbLb1EESW_EEDaSR_SS_EUlSR_E0_NS1_11comp_targetILNS1_3genE10ELNS1_11target_archE1200ELNS1_3gpuE4ELNS1_3repE0EEENS1_30default_config_static_selectorELNS0_4arch9wavefront6targetE1EEEvT1_.has_recursion, 0
	.set _ZN7rocprim17ROCPRIM_400000_NS6detail17trampoline_kernelINS0_14default_configENS1_20scan_config_selectorIfEEZZNS1_9scan_implILNS1_25lookback_scan_determinismE0ELb0ELb0ES3_PKfPffZZZN2at6native31launch_logcumsumexp_cuda_kernelERKNSB_10TensorBaseESF_lENKUlvE_clEvENKUlvE0_clEvEUlffE_fEEDaPvRmT3_T4_T5_mT6_P12ihipStream_tbENKUlT_T0_E_clISt17integral_constantIbLb1EESW_EEDaSR_SS_EUlSR_E0_NS1_11comp_targetILNS1_3genE10ELNS1_11target_archE1200ELNS1_3gpuE4ELNS1_3repE0EEENS1_30default_config_static_selectorELNS0_4arch9wavefront6targetE1EEEvT1_.has_indirect_call, 0
	.section	.AMDGPU.csdata,"",@progbits
; Kernel info:
; codeLenInByte = 0
; TotalNumSgprs: 4
; NumVgprs: 0
; ScratchSize: 0
; MemoryBound: 0
; FloatMode: 240
; IeeeMode: 1
; LDSByteSize: 0 bytes/workgroup (compile time only)
; SGPRBlocks: 0
; VGPRBlocks: 0
; NumSGPRsForWavesPerEU: 4
; NumVGPRsForWavesPerEU: 1
; Occupancy: 10
; WaveLimiterHint : 0
; COMPUTE_PGM_RSRC2:SCRATCH_EN: 0
; COMPUTE_PGM_RSRC2:USER_SGPR: 6
; COMPUTE_PGM_RSRC2:TRAP_HANDLER: 0
; COMPUTE_PGM_RSRC2:TGID_X_EN: 1
; COMPUTE_PGM_RSRC2:TGID_Y_EN: 0
; COMPUTE_PGM_RSRC2:TGID_Z_EN: 0
; COMPUTE_PGM_RSRC2:TIDIG_COMP_CNT: 0
	.section	.text._ZN7rocprim17ROCPRIM_400000_NS6detail17trampoline_kernelINS0_14default_configENS1_20scan_config_selectorIfEEZZNS1_9scan_implILNS1_25lookback_scan_determinismE0ELb0ELb0ES3_PKfPffZZZN2at6native31launch_logcumsumexp_cuda_kernelERKNSB_10TensorBaseESF_lENKUlvE_clEvENKUlvE0_clEvEUlffE_fEEDaPvRmT3_T4_T5_mT6_P12ihipStream_tbENKUlT_T0_E_clISt17integral_constantIbLb1EESW_EEDaSR_SS_EUlSR_E0_NS1_11comp_targetILNS1_3genE9ELNS1_11target_archE1100ELNS1_3gpuE3ELNS1_3repE0EEENS1_30default_config_static_selectorELNS0_4arch9wavefront6targetE1EEEvT1_,"axG",@progbits,_ZN7rocprim17ROCPRIM_400000_NS6detail17trampoline_kernelINS0_14default_configENS1_20scan_config_selectorIfEEZZNS1_9scan_implILNS1_25lookback_scan_determinismE0ELb0ELb0ES3_PKfPffZZZN2at6native31launch_logcumsumexp_cuda_kernelERKNSB_10TensorBaseESF_lENKUlvE_clEvENKUlvE0_clEvEUlffE_fEEDaPvRmT3_T4_T5_mT6_P12ihipStream_tbENKUlT_T0_E_clISt17integral_constantIbLb1EESW_EEDaSR_SS_EUlSR_E0_NS1_11comp_targetILNS1_3genE9ELNS1_11target_archE1100ELNS1_3gpuE3ELNS1_3repE0EEENS1_30default_config_static_selectorELNS0_4arch9wavefront6targetE1EEEvT1_,comdat
	.globl	_ZN7rocprim17ROCPRIM_400000_NS6detail17trampoline_kernelINS0_14default_configENS1_20scan_config_selectorIfEEZZNS1_9scan_implILNS1_25lookback_scan_determinismE0ELb0ELb0ES3_PKfPffZZZN2at6native31launch_logcumsumexp_cuda_kernelERKNSB_10TensorBaseESF_lENKUlvE_clEvENKUlvE0_clEvEUlffE_fEEDaPvRmT3_T4_T5_mT6_P12ihipStream_tbENKUlT_T0_E_clISt17integral_constantIbLb1EESW_EEDaSR_SS_EUlSR_E0_NS1_11comp_targetILNS1_3genE9ELNS1_11target_archE1100ELNS1_3gpuE3ELNS1_3repE0EEENS1_30default_config_static_selectorELNS0_4arch9wavefront6targetE1EEEvT1_ ; -- Begin function _ZN7rocprim17ROCPRIM_400000_NS6detail17trampoline_kernelINS0_14default_configENS1_20scan_config_selectorIfEEZZNS1_9scan_implILNS1_25lookback_scan_determinismE0ELb0ELb0ES3_PKfPffZZZN2at6native31launch_logcumsumexp_cuda_kernelERKNSB_10TensorBaseESF_lENKUlvE_clEvENKUlvE0_clEvEUlffE_fEEDaPvRmT3_T4_T5_mT6_P12ihipStream_tbENKUlT_T0_E_clISt17integral_constantIbLb1EESW_EEDaSR_SS_EUlSR_E0_NS1_11comp_targetILNS1_3genE9ELNS1_11target_archE1100ELNS1_3gpuE3ELNS1_3repE0EEENS1_30default_config_static_selectorELNS0_4arch9wavefront6targetE1EEEvT1_
	.p2align	8
	.type	_ZN7rocprim17ROCPRIM_400000_NS6detail17trampoline_kernelINS0_14default_configENS1_20scan_config_selectorIfEEZZNS1_9scan_implILNS1_25lookback_scan_determinismE0ELb0ELb0ES3_PKfPffZZZN2at6native31launch_logcumsumexp_cuda_kernelERKNSB_10TensorBaseESF_lENKUlvE_clEvENKUlvE0_clEvEUlffE_fEEDaPvRmT3_T4_T5_mT6_P12ihipStream_tbENKUlT_T0_E_clISt17integral_constantIbLb1EESW_EEDaSR_SS_EUlSR_E0_NS1_11comp_targetILNS1_3genE9ELNS1_11target_archE1100ELNS1_3gpuE3ELNS1_3repE0EEENS1_30default_config_static_selectorELNS0_4arch9wavefront6targetE1EEEvT1_,@function
_ZN7rocprim17ROCPRIM_400000_NS6detail17trampoline_kernelINS0_14default_configENS1_20scan_config_selectorIfEEZZNS1_9scan_implILNS1_25lookback_scan_determinismE0ELb0ELb0ES3_PKfPffZZZN2at6native31launch_logcumsumexp_cuda_kernelERKNSB_10TensorBaseESF_lENKUlvE_clEvENKUlvE0_clEvEUlffE_fEEDaPvRmT3_T4_T5_mT6_P12ihipStream_tbENKUlT_T0_E_clISt17integral_constantIbLb1EESW_EEDaSR_SS_EUlSR_E0_NS1_11comp_targetILNS1_3genE9ELNS1_11target_archE1100ELNS1_3gpuE3ELNS1_3repE0EEENS1_30default_config_static_selectorELNS0_4arch9wavefront6targetE1EEEvT1_: ; @_ZN7rocprim17ROCPRIM_400000_NS6detail17trampoline_kernelINS0_14default_configENS1_20scan_config_selectorIfEEZZNS1_9scan_implILNS1_25lookback_scan_determinismE0ELb0ELb0ES3_PKfPffZZZN2at6native31launch_logcumsumexp_cuda_kernelERKNSB_10TensorBaseESF_lENKUlvE_clEvENKUlvE0_clEvEUlffE_fEEDaPvRmT3_T4_T5_mT6_P12ihipStream_tbENKUlT_T0_E_clISt17integral_constantIbLb1EESW_EEDaSR_SS_EUlSR_E0_NS1_11comp_targetILNS1_3genE9ELNS1_11target_archE1100ELNS1_3gpuE3ELNS1_3repE0EEENS1_30default_config_static_selectorELNS0_4arch9wavefront6targetE1EEEvT1_
; %bb.0:
	.section	.rodata,"a",@progbits
	.p2align	6, 0x0
	.amdhsa_kernel _ZN7rocprim17ROCPRIM_400000_NS6detail17trampoline_kernelINS0_14default_configENS1_20scan_config_selectorIfEEZZNS1_9scan_implILNS1_25lookback_scan_determinismE0ELb0ELb0ES3_PKfPffZZZN2at6native31launch_logcumsumexp_cuda_kernelERKNSB_10TensorBaseESF_lENKUlvE_clEvENKUlvE0_clEvEUlffE_fEEDaPvRmT3_T4_T5_mT6_P12ihipStream_tbENKUlT_T0_E_clISt17integral_constantIbLb1EESW_EEDaSR_SS_EUlSR_E0_NS1_11comp_targetILNS1_3genE9ELNS1_11target_archE1100ELNS1_3gpuE3ELNS1_3repE0EEENS1_30default_config_static_selectorELNS0_4arch9wavefront6targetE1EEEvT1_
		.amdhsa_group_segment_fixed_size 0
		.amdhsa_private_segment_fixed_size 0
		.amdhsa_kernarg_size 32
		.amdhsa_user_sgpr_count 6
		.amdhsa_user_sgpr_private_segment_buffer 1
		.amdhsa_user_sgpr_dispatch_ptr 0
		.amdhsa_user_sgpr_queue_ptr 0
		.amdhsa_user_sgpr_kernarg_segment_ptr 1
		.amdhsa_user_sgpr_dispatch_id 0
		.amdhsa_user_sgpr_flat_scratch_init 0
		.amdhsa_user_sgpr_private_segment_size 0
		.amdhsa_uses_dynamic_stack 0
		.amdhsa_system_sgpr_private_segment_wavefront_offset 0
		.amdhsa_system_sgpr_workgroup_id_x 1
		.amdhsa_system_sgpr_workgroup_id_y 0
		.amdhsa_system_sgpr_workgroup_id_z 0
		.amdhsa_system_sgpr_workgroup_info 0
		.amdhsa_system_vgpr_workitem_id 0
		.amdhsa_next_free_vgpr 1
		.amdhsa_next_free_sgpr 0
		.amdhsa_reserve_vcc 0
		.amdhsa_reserve_flat_scratch 0
		.amdhsa_float_round_mode_32 0
		.amdhsa_float_round_mode_16_64 0
		.amdhsa_float_denorm_mode_32 3
		.amdhsa_float_denorm_mode_16_64 3
		.amdhsa_dx10_clamp 1
		.amdhsa_ieee_mode 1
		.amdhsa_fp16_overflow 0
		.amdhsa_exception_fp_ieee_invalid_op 0
		.amdhsa_exception_fp_denorm_src 0
		.amdhsa_exception_fp_ieee_div_zero 0
		.amdhsa_exception_fp_ieee_overflow 0
		.amdhsa_exception_fp_ieee_underflow 0
		.amdhsa_exception_fp_ieee_inexact 0
		.amdhsa_exception_int_div_zero 0
	.end_amdhsa_kernel
	.section	.text._ZN7rocprim17ROCPRIM_400000_NS6detail17trampoline_kernelINS0_14default_configENS1_20scan_config_selectorIfEEZZNS1_9scan_implILNS1_25lookback_scan_determinismE0ELb0ELb0ES3_PKfPffZZZN2at6native31launch_logcumsumexp_cuda_kernelERKNSB_10TensorBaseESF_lENKUlvE_clEvENKUlvE0_clEvEUlffE_fEEDaPvRmT3_T4_T5_mT6_P12ihipStream_tbENKUlT_T0_E_clISt17integral_constantIbLb1EESW_EEDaSR_SS_EUlSR_E0_NS1_11comp_targetILNS1_3genE9ELNS1_11target_archE1100ELNS1_3gpuE3ELNS1_3repE0EEENS1_30default_config_static_selectorELNS0_4arch9wavefront6targetE1EEEvT1_,"axG",@progbits,_ZN7rocprim17ROCPRIM_400000_NS6detail17trampoline_kernelINS0_14default_configENS1_20scan_config_selectorIfEEZZNS1_9scan_implILNS1_25lookback_scan_determinismE0ELb0ELb0ES3_PKfPffZZZN2at6native31launch_logcumsumexp_cuda_kernelERKNSB_10TensorBaseESF_lENKUlvE_clEvENKUlvE0_clEvEUlffE_fEEDaPvRmT3_T4_T5_mT6_P12ihipStream_tbENKUlT_T0_E_clISt17integral_constantIbLb1EESW_EEDaSR_SS_EUlSR_E0_NS1_11comp_targetILNS1_3genE9ELNS1_11target_archE1100ELNS1_3gpuE3ELNS1_3repE0EEENS1_30default_config_static_selectorELNS0_4arch9wavefront6targetE1EEEvT1_,comdat
.Lfunc_end131:
	.size	_ZN7rocprim17ROCPRIM_400000_NS6detail17trampoline_kernelINS0_14default_configENS1_20scan_config_selectorIfEEZZNS1_9scan_implILNS1_25lookback_scan_determinismE0ELb0ELb0ES3_PKfPffZZZN2at6native31launch_logcumsumexp_cuda_kernelERKNSB_10TensorBaseESF_lENKUlvE_clEvENKUlvE0_clEvEUlffE_fEEDaPvRmT3_T4_T5_mT6_P12ihipStream_tbENKUlT_T0_E_clISt17integral_constantIbLb1EESW_EEDaSR_SS_EUlSR_E0_NS1_11comp_targetILNS1_3genE9ELNS1_11target_archE1100ELNS1_3gpuE3ELNS1_3repE0EEENS1_30default_config_static_selectorELNS0_4arch9wavefront6targetE1EEEvT1_, .Lfunc_end131-_ZN7rocprim17ROCPRIM_400000_NS6detail17trampoline_kernelINS0_14default_configENS1_20scan_config_selectorIfEEZZNS1_9scan_implILNS1_25lookback_scan_determinismE0ELb0ELb0ES3_PKfPffZZZN2at6native31launch_logcumsumexp_cuda_kernelERKNSB_10TensorBaseESF_lENKUlvE_clEvENKUlvE0_clEvEUlffE_fEEDaPvRmT3_T4_T5_mT6_P12ihipStream_tbENKUlT_T0_E_clISt17integral_constantIbLb1EESW_EEDaSR_SS_EUlSR_E0_NS1_11comp_targetILNS1_3genE9ELNS1_11target_archE1100ELNS1_3gpuE3ELNS1_3repE0EEENS1_30default_config_static_selectorELNS0_4arch9wavefront6targetE1EEEvT1_
                                        ; -- End function
	.set _ZN7rocprim17ROCPRIM_400000_NS6detail17trampoline_kernelINS0_14default_configENS1_20scan_config_selectorIfEEZZNS1_9scan_implILNS1_25lookback_scan_determinismE0ELb0ELb0ES3_PKfPffZZZN2at6native31launch_logcumsumexp_cuda_kernelERKNSB_10TensorBaseESF_lENKUlvE_clEvENKUlvE0_clEvEUlffE_fEEDaPvRmT3_T4_T5_mT6_P12ihipStream_tbENKUlT_T0_E_clISt17integral_constantIbLb1EESW_EEDaSR_SS_EUlSR_E0_NS1_11comp_targetILNS1_3genE9ELNS1_11target_archE1100ELNS1_3gpuE3ELNS1_3repE0EEENS1_30default_config_static_selectorELNS0_4arch9wavefront6targetE1EEEvT1_.num_vgpr, 0
	.set _ZN7rocprim17ROCPRIM_400000_NS6detail17trampoline_kernelINS0_14default_configENS1_20scan_config_selectorIfEEZZNS1_9scan_implILNS1_25lookback_scan_determinismE0ELb0ELb0ES3_PKfPffZZZN2at6native31launch_logcumsumexp_cuda_kernelERKNSB_10TensorBaseESF_lENKUlvE_clEvENKUlvE0_clEvEUlffE_fEEDaPvRmT3_T4_T5_mT6_P12ihipStream_tbENKUlT_T0_E_clISt17integral_constantIbLb1EESW_EEDaSR_SS_EUlSR_E0_NS1_11comp_targetILNS1_3genE9ELNS1_11target_archE1100ELNS1_3gpuE3ELNS1_3repE0EEENS1_30default_config_static_selectorELNS0_4arch9wavefront6targetE1EEEvT1_.num_agpr, 0
	.set _ZN7rocprim17ROCPRIM_400000_NS6detail17trampoline_kernelINS0_14default_configENS1_20scan_config_selectorIfEEZZNS1_9scan_implILNS1_25lookback_scan_determinismE0ELb0ELb0ES3_PKfPffZZZN2at6native31launch_logcumsumexp_cuda_kernelERKNSB_10TensorBaseESF_lENKUlvE_clEvENKUlvE0_clEvEUlffE_fEEDaPvRmT3_T4_T5_mT6_P12ihipStream_tbENKUlT_T0_E_clISt17integral_constantIbLb1EESW_EEDaSR_SS_EUlSR_E0_NS1_11comp_targetILNS1_3genE9ELNS1_11target_archE1100ELNS1_3gpuE3ELNS1_3repE0EEENS1_30default_config_static_selectorELNS0_4arch9wavefront6targetE1EEEvT1_.numbered_sgpr, 0
	.set _ZN7rocprim17ROCPRIM_400000_NS6detail17trampoline_kernelINS0_14default_configENS1_20scan_config_selectorIfEEZZNS1_9scan_implILNS1_25lookback_scan_determinismE0ELb0ELb0ES3_PKfPffZZZN2at6native31launch_logcumsumexp_cuda_kernelERKNSB_10TensorBaseESF_lENKUlvE_clEvENKUlvE0_clEvEUlffE_fEEDaPvRmT3_T4_T5_mT6_P12ihipStream_tbENKUlT_T0_E_clISt17integral_constantIbLb1EESW_EEDaSR_SS_EUlSR_E0_NS1_11comp_targetILNS1_3genE9ELNS1_11target_archE1100ELNS1_3gpuE3ELNS1_3repE0EEENS1_30default_config_static_selectorELNS0_4arch9wavefront6targetE1EEEvT1_.num_named_barrier, 0
	.set _ZN7rocprim17ROCPRIM_400000_NS6detail17trampoline_kernelINS0_14default_configENS1_20scan_config_selectorIfEEZZNS1_9scan_implILNS1_25lookback_scan_determinismE0ELb0ELb0ES3_PKfPffZZZN2at6native31launch_logcumsumexp_cuda_kernelERKNSB_10TensorBaseESF_lENKUlvE_clEvENKUlvE0_clEvEUlffE_fEEDaPvRmT3_T4_T5_mT6_P12ihipStream_tbENKUlT_T0_E_clISt17integral_constantIbLb1EESW_EEDaSR_SS_EUlSR_E0_NS1_11comp_targetILNS1_3genE9ELNS1_11target_archE1100ELNS1_3gpuE3ELNS1_3repE0EEENS1_30default_config_static_selectorELNS0_4arch9wavefront6targetE1EEEvT1_.private_seg_size, 0
	.set _ZN7rocprim17ROCPRIM_400000_NS6detail17trampoline_kernelINS0_14default_configENS1_20scan_config_selectorIfEEZZNS1_9scan_implILNS1_25lookback_scan_determinismE0ELb0ELb0ES3_PKfPffZZZN2at6native31launch_logcumsumexp_cuda_kernelERKNSB_10TensorBaseESF_lENKUlvE_clEvENKUlvE0_clEvEUlffE_fEEDaPvRmT3_T4_T5_mT6_P12ihipStream_tbENKUlT_T0_E_clISt17integral_constantIbLb1EESW_EEDaSR_SS_EUlSR_E0_NS1_11comp_targetILNS1_3genE9ELNS1_11target_archE1100ELNS1_3gpuE3ELNS1_3repE0EEENS1_30default_config_static_selectorELNS0_4arch9wavefront6targetE1EEEvT1_.uses_vcc, 0
	.set _ZN7rocprim17ROCPRIM_400000_NS6detail17trampoline_kernelINS0_14default_configENS1_20scan_config_selectorIfEEZZNS1_9scan_implILNS1_25lookback_scan_determinismE0ELb0ELb0ES3_PKfPffZZZN2at6native31launch_logcumsumexp_cuda_kernelERKNSB_10TensorBaseESF_lENKUlvE_clEvENKUlvE0_clEvEUlffE_fEEDaPvRmT3_T4_T5_mT6_P12ihipStream_tbENKUlT_T0_E_clISt17integral_constantIbLb1EESW_EEDaSR_SS_EUlSR_E0_NS1_11comp_targetILNS1_3genE9ELNS1_11target_archE1100ELNS1_3gpuE3ELNS1_3repE0EEENS1_30default_config_static_selectorELNS0_4arch9wavefront6targetE1EEEvT1_.uses_flat_scratch, 0
	.set _ZN7rocprim17ROCPRIM_400000_NS6detail17trampoline_kernelINS0_14default_configENS1_20scan_config_selectorIfEEZZNS1_9scan_implILNS1_25lookback_scan_determinismE0ELb0ELb0ES3_PKfPffZZZN2at6native31launch_logcumsumexp_cuda_kernelERKNSB_10TensorBaseESF_lENKUlvE_clEvENKUlvE0_clEvEUlffE_fEEDaPvRmT3_T4_T5_mT6_P12ihipStream_tbENKUlT_T0_E_clISt17integral_constantIbLb1EESW_EEDaSR_SS_EUlSR_E0_NS1_11comp_targetILNS1_3genE9ELNS1_11target_archE1100ELNS1_3gpuE3ELNS1_3repE0EEENS1_30default_config_static_selectorELNS0_4arch9wavefront6targetE1EEEvT1_.has_dyn_sized_stack, 0
	.set _ZN7rocprim17ROCPRIM_400000_NS6detail17trampoline_kernelINS0_14default_configENS1_20scan_config_selectorIfEEZZNS1_9scan_implILNS1_25lookback_scan_determinismE0ELb0ELb0ES3_PKfPffZZZN2at6native31launch_logcumsumexp_cuda_kernelERKNSB_10TensorBaseESF_lENKUlvE_clEvENKUlvE0_clEvEUlffE_fEEDaPvRmT3_T4_T5_mT6_P12ihipStream_tbENKUlT_T0_E_clISt17integral_constantIbLb1EESW_EEDaSR_SS_EUlSR_E0_NS1_11comp_targetILNS1_3genE9ELNS1_11target_archE1100ELNS1_3gpuE3ELNS1_3repE0EEENS1_30default_config_static_selectorELNS0_4arch9wavefront6targetE1EEEvT1_.has_recursion, 0
	.set _ZN7rocprim17ROCPRIM_400000_NS6detail17trampoline_kernelINS0_14default_configENS1_20scan_config_selectorIfEEZZNS1_9scan_implILNS1_25lookback_scan_determinismE0ELb0ELb0ES3_PKfPffZZZN2at6native31launch_logcumsumexp_cuda_kernelERKNSB_10TensorBaseESF_lENKUlvE_clEvENKUlvE0_clEvEUlffE_fEEDaPvRmT3_T4_T5_mT6_P12ihipStream_tbENKUlT_T0_E_clISt17integral_constantIbLb1EESW_EEDaSR_SS_EUlSR_E0_NS1_11comp_targetILNS1_3genE9ELNS1_11target_archE1100ELNS1_3gpuE3ELNS1_3repE0EEENS1_30default_config_static_selectorELNS0_4arch9wavefront6targetE1EEEvT1_.has_indirect_call, 0
	.section	.AMDGPU.csdata,"",@progbits
; Kernel info:
; codeLenInByte = 0
; TotalNumSgprs: 4
; NumVgprs: 0
; ScratchSize: 0
; MemoryBound: 0
; FloatMode: 240
; IeeeMode: 1
; LDSByteSize: 0 bytes/workgroup (compile time only)
; SGPRBlocks: 0
; VGPRBlocks: 0
; NumSGPRsForWavesPerEU: 4
; NumVGPRsForWavesPerEU: 1
; Occupancy: 10
; WaveLimiterHint : 0
; COMPUTE_PGM_RSRC2:SCRATCH_EN: 0
; COMPUTE_PGM_RSRC2:USER_SGPR: 6
; COMPUTE_PGM_RSRC2:TRAP_HANDLER: 0
; COMPUTE_PGM_RSRC2:TGID_X_EN: 1
; COMPUTE_PGM_RSRC2:TGID_Y_EN: 0
; COMPUTE_PGM_RSRC2:TGID_Z_EN: 0
; COMPUTE_PGM_RSRC2:TIDIG_COMP_CNT: 0
	.section	.text._ZN7rocprim17ROCPRIM_400000_NS6detail17trampoline_kernelINS0_14default_configENS1_20scan_config_selectorIfEEZZNS1_9scan_implILNS1_25lookback_scan_determinismE0ELb0ELb0ES3_PKfPffZZZN2at6native31launch_logcumsumexp_cuda_kernelERKNSB_10TensorBaseESF_lENKUlvE_clEvENKUlvE0_clEvEUlffE_fEEDaPvRmT3_T4_T5_mT6_P12ihipStream_tbENKUlT_T0_E_clISt17integral_constantIbLb1EESW_EEDaSR_SS_EUlSR_E0_NS1_11comp_targetILNS1_3genE8ELNS1_11target_archE1030ELNS1_3gpuE2ELNS1_3repE0EEENS1_30default_config_static_selectorELNS0_4arch9wavefront6targetE1EEEvT1_,"axG",@progbits,_ZN7rocprim17ROCPRIM_400000_NS6detail17trampoline_kernelINS0_14default_configENS1_20scan_config_selectorIfEEZZNS1_9scan_implILNS1_25lookback_scan_determinismE0ELb0ELb0ES3_PKfPffZZZN2at6native31launch_logcumsumexp_cuda_kernelERKNSB_10TensorBaseESF_lENKUlvE_clEvENKUlvE0_clEvEUlffE_fEEDaPvRmT3_T4_T5_mT6_P12ihipStream_tbENKUlT_T0_E_clISt17integral_constantIbLb1EESW_EEDaSR_SS_EUlSR_E0_NS1_11comp_targetILNS1_3genE8ELNS1_11target_archE1030ELNS1_3gpuE2ELNS1_3repE0EEENS1_30default_config_static_selectorELNS0_4arch9wavefront6targetE1EEEvT1_,comdat
	.globl	_ZN7rocprim17ROCPRIM_400000_NS6detail17trampoline_kernelINS0_14default_configENS1_20scan_config_selectorIfEEZZNS1_9scan_implILNS1_25lookback_scan_determinismE0ELb0ELb0ES3_PKfPffZZZN2at6native31launch_logcumsumexp_cuda_kernelERKNSB_10TensorBaseESF_lENKUlvE_clEvENKUlvE0_clEvEUlffE_fEEDaPvRmT3_T4_T5_mT6_P12ihipStream_tbENKUlT_T0_E_clISt17integral_constantIbLb1EESW_EEDaSR_SS_EUlSR_E0_NS1_11comp_targetILNS1_3genE8ELNS1_11target_archE1030ELNS1_3gpuE2ELNS1_3repE0EEENS1_30default_config_static_selectorELNS0_4arch9wavefront6targetE1EEEvT1_ ; -- Begin function _ZN7rocprim17ROCPRIM_400000_NS6detail17trampoline_kernelINS0_14default_configENS1_20scan_config_selectorIfEEZZNS1_9scan_implILNS1_25lookback_scan_determinismE0ELb0ELb0ES3_PKfPffZZZN2at6native31launch_logcumsumexp_cuda_kernelERKNSB_10TensorBaseESF_lENKUlvE_clEvENKUlvE0_clEvEUlffE_fEEDaPvRmT3_T4_T5_mT6_P12ihipStream_tbENKUlT_T0_E_clISt17integral_constantIbLb1EESW_EEDaSR_SS_EUlSR_E0_NS1_11comp_targetILNS1_3genE8ELNS1_11target_archE1030ELNS1_3gpuE2ELNS1_3repE0EEENS1_30default_config_static_selectorELNS0_4arch9wavefront6targetE1EEEvT1_
	.p2align	8
	.type	_ZN7rocprim17ROCPRIM_400000_NS6detail17trampoline_kernelINS0_14default_configENS1_20scan_config_selectorIfEEZZNS1_9scan_implILNS1_25lookback_scan_determinismE0ELb0ELb0ES3_PKfPffZZZN2at6native31launch_logcumsumexp_cuda_kernelERKNSB_10TensorBaseESF_lENKUlvE_clEvENKUlvE0_clEvEUlffE_fEEDaPvRmT3_T4_T5_mT6_P12ihipStream_tbENKUlT_T0_E_clISt17integral_constantIbLb1EESW_EEDaSR_SS_EUlSR_E0_NS1_11comp_targetILNS1_3genE8ELNS1_11target_archE1030ELNS1_3gpuE2ELNS1_3repE0EEENS1_30default_config_static_selectorELNS0_4arch9wavefront6targetE1EEEvT1_,@function
_ZN7rocprim17ROCPRIM_400000_NS6detail17trampoline_kernelINS0_14default_configENS1_20scan_config_selectorIfEEZZNS1_9scan_implILNS1_25lookback_scan_determinismE0ELb0ELb0ES3_PKfPffZZZN2at6native31launch_logcumsumexp_cuda_kernelERKNSB_10TensorBaseESF_lENKUlvE_clEvENKUlvE0_clEvEUlffE_fEEDaPvRmT3_T4_T5_mT6_P12ihipStream_tbENKUlT_T0_E_clISt17integral_constantIbLb1EESW_EEDaSR_SS_EUlSR_E0_NS1_11comp_targetILNS1_3genE8ELNS1_11target_archE1030ELNS1_3gpuE2ELNS1_3repE0EEENS1_30default_config_static_selectorELNS0_4arch9wavefront6targetE1EEEvT1_: ; @_ZN7rocprim17ROCPRIM_400000_NS6detail17trampoline_kernelINS0_14default_configENS1_20scan_config_selectorIfEEZZNS1_9scan_implILNS1_25lookback_scan_determinismE0ELb0ELb0ES3_PKfPffZZZN2at6native31launch_logcumsumexp_cuda_kernelERKNSB_10TensorBaseESF_lENKUlvE_clEvENKUlvE0_clEvEUlffE_fEEDaPvRmT3_T4_T5_mT6_P12ihipStream_tbENKUlT_T0_E_clISt17integral_constantIbLb1EESW_EEDaSR_SS_EUlSR_E0_NS1_11comp_targetILNS1_3genE8ELNS1_11target_archE1030ELNS1_3gpuE2ELNS1_3repE0EEENS1_30default_config_static_selectorELNS0_4arch9wavefront6targetE1EEEvT1_
; %bb.0:
	.section	.rodata,"a",@progbits
	.p2align	6, 0x0
	.amdhsa_kernel _ZN7rocprim17ROCPRIM_400000_NS6detail17trampoline_kernelINS0_14default_configENS1_20scan_config_selectorIfEEZZNS1_9scan_implILNS1_25lookback_scan_determinismE0ELb0ELb0ES3_PKfPffZZZN2at6native31launch_logcumsumexp_cuda_kernelERKNSB_10TensorBaseESF_lENKUlvE_clEvENKUlvE0_clEvEUlffE_fEEDaPvRmT3_T4_T5_mT6_P12ihipStream_tbENKUlT_T0_E_clISt17integral_constantIbLb1EESW_EEDaSR_SS_EUlSR_E0_NS1_11comp_targetILNS1_3genE8ELNS1_11target_archE1030ELNS1_3gpuE2ELNS1_3repE0EEENS1_30default_config_static_selectorELNS0_4arch9wavefront6targetE1EEEvT1_
		.amdhsa_group_segment_fixed_size 0
		.amdhsa_private_segment_fixed_size 0
		.amdhsa_kernarg_size 32
		.amdhsa_user_sgpr_count 6
		.amdhsa_user_sgpr_private_segment_buffer 1
		.amdhsa_user_sgpr_dispatch_ptr 0
		.amdhsa_user_sgpr_queue_ptr 0
		.amdhsa_user_sgpr_kernarg_segment_ptr 1
		.amdhsa_user_sgpr_dispatch_id 0
		.amdhsa_user_sgpr_flat_scratch_init 0
		.amdhsa_user_sgpr_private_segment_size 0
		.amdhsa_uses_dynamic_stack 0
		.amdhsa_system_sgpr_private_segment_wavefront_offset 0
		.amdhsa_system_sgpr_workgroup_id_x 1
		.amdhsa_system_sgpr_workgroup_id_y 0
		.amdhsa_system_sgpr_workgroup_id_z 0
		.amdhsa_system_sgpr_workgroup_info 0
		.amdhsa_system_vgpr_workitem_id 0
		.amdhsa_next_free_vgpr 1
		.amdhsa_next_free_sgpr 0
		.amdhsa_reserve_vcc 0
		.amdhsa_reserve_flat_scratch 0
		.amdhsa_float_round_mode_32 0
		.amdhsa_float_round_mode_16_64 0
		.amdhsa_float_denorm_mode_32 3
		.amdhsa_float_denorm_mode_16_64 3
		.amdhsa_dx10_clamp 1
		.amdhsa_ieee_mode 1
		.amdhsa_fp16_overflow 0
		.amdhsa_exception_fp_ieee_invalid_op 0
		.amdhsa_exception_fp_denorm_src 0
		.amdhsa_exception_fp_ieee_div_zero 0
		.amdhsa_exception_fp_ieee_overflow 0
		.amdhsa_exception_fp_ieee_underflow 0
		.amdhsa_exception_fp_ieee_inexact 0
		.amdhsa_exception_int_div_zero 0
	.end_amdhsa_kernel
	.section	.text._ZN7rocprim17ROCPRIM_400000_NS6detail17trampoline_kernelINS0_14default_configENS1_20scan_config_selectorIfEEZZNS1_9scan_implILNS1_25lookback_scan_determinismE0ELb0ELb0ES3_PKfPffZZZN2at6native31launch_logcumsumexp_cuda_kernelERKNSB_10TensorBaseESF_lENKUlvE_clEvENKUlvE0_clEvEUlffE_fEEDaPvRmT3_T4_T5_mT6_P12ihipStream_tbENKUlT_T0_E_clISt17integral_constantIbLb1EESW_EEDaSR_SS_EUlSR_E0_NS1_11comp_targetILNS1_3genE8ELNS1_11target_archE1030ELNS1_3gpuE2ELNS1_3repE0EEENS1_30default_config_static_selectorELNS0_4arch9wavefront6targetE1EEEvT1_,"axG",@progbits,_ZN7rocprim17ROCPRIM_400000_NS6detail17trampoline_kernelINS0_14default_configENS1_20scan_config_selectorIfEEZZNS1_9scan_implILNS1_25lookback_scan_determinismE0ELb0ELb0ES3_PKfPffZZZN2at6native31launch_logcumsumexp_cuda_kernelERKNSB_10TensorBaseESF_lENKUlvE_clEvENKUlvE0_clEvEUlffE_fEEDaPvRmT3_T4_T5_mT6_P12ihipStream_tbENKUlT_T0_E_clISt17integral_constantIbLb1EESW_EEDaSR_SS_EUlSR_E0_NS1_11comp_targetILNS1_3genE8ELNS1_11target_archE1030ELNS1_3gpuE2ELNS1_3repE0EEENS1_30default_config_static_selectorELNS0_4arch9wavefront6targetE1EEEvT1_,comdat
.Lfunc_end132:
	.size	_ZN7rocprim17ROCPRIM_400000_NS6detail17trampoline_kernelINS0_14default_configENS1_20scan_config_selectorIfEEZZNS1_9scan_implILNS1_25lookback_scan_determinismE0ELb0ELb0ES3_PKfPffZZZN2at6native31launch_logcumsumexp_cuda_kernelERKNSB_10TensorBaseESF_lENKUlvE_clEvENKUlvE0_clEvEUlffE_fEEDaPvRmT3_T4_T5_mT6_P12ihipStream_tbENKUlT_T0_E_clISt17integral_constantIbLb1EESW_EEDaSR_SS_EUlSR_E0_NS1_11comp_targetILNS1_3genE8ELNS1_11target_archE1030ELNS1_3gpuE2ELNS1_3repE0EEENS1_30default_config_static_selectorELNS0_4arch9wavefront6targetE1EEEvT1_, .Lfunc_end132-_ZN7rocprim17ROCPRIM_400000_NS6detail17trampoline_kernelINS0_14default_configENS1_20scan_config_selectorIfEEZZNS1_9scan_implILNS1_25lookback_scan_determinismE0ELb0ELb0ES3_PKfPffZZZN2at6native31launch_logcumsumexp_cuda_kernelERKNSB_10TensorBaseESF_lENKUlvE_clEvENKUlvE0_clEvEUlffE_fEEDaPvRmT3_T4_T5_mT6_P12ihipStream_tbENKUlT_T0_E_clISt17integral_constantIbLb1EESW_EEDaSR_SS_EUlSR_E0_NS1_11comp_targetILNS1_3genE8ELNS1_11target_archE1030ELNS1_3gpuE2ELNS1_3repE0EEENS1_30default_config_static_selectorELNS0_4arch9wavefront6targetE1EEEvT1_
                                        ; -- End function
	.set _ZN7rocprim17ROCPRIM_400000_NS6detail17trampoline_kernelINS0_14default_configENS1_20scan_config_selectorIfEEZZNS1_9scan_implILNS1_25lookback_scan_determinismE0ELb0ELb0ES3_PKfPffZZZN2at6native31launch_logcumsumexp_cuda_kernelERKNSB_10TensorBaseESF_lENKUlvE_clEvENKUlvE0_clEvEUlffE_fEEDaPvRmT3_T4_T5_mT6_P12ihipStream_tbENKUlT_T0_E_clISt17integral_constantIbLb1EESW_EEDaSR_SS_EUlSR_E0_NS1_11comp_targetILNS1_3genE8ELNS1_11target_archE1030ELNS1_3gpuE2ELNS1_3repE0EEENS1_30default_config_static_selectorELNS0_4arch9wavefront6targetE1EEEvT1_.num_vgpr, 0
	.set _ZN7rocprim17ROCPRIM_400000_NS6detail17trampoline_kernelINS0_14default_configENS1_20scan_config_selectorIfEEZZNS1_9scan_implILNS1_25lookback_scan_determinismE0ELb0ELb0ES3_PKfPffZZZN2at6native31launch_logcumsumexp_cuda_kernelERKNSB_10TensorBaseESF_lENKUlvE_clEvENKUlvE0_clEvEUlffE_fEEDaPvRmT3_T4_T5_mT6_P12ihipStream_tbENKUlT_T0_E_clISt17integral_constantIbLb1EESW_EEDaSR_SS_EUlSR_E0_NS1_11comp_targetILNS1_3genE8ELNS1_11target_archE1030ELNS1_3gpuE2ELNS1_3repE0EEENS1_30default_config_static_selectorELNS0_4arch9wavefront6targetE1EEEvT1_.num_agpr, 0
	.set _ZN7rocprim17ROCPRIM_400000_NS6detail17trampoline_kernelINS0_14default_configENS1_20scan_config_selectorIfEEZZNS1_9scan_implILNS1_25lookback_scan_determinismE0ELb0ELb0ES3_PKfPffZZZN2at6native31launch_logcumsumexp_cuda_kernelERKNSB_10TensorBaseESF_lENKUlvE_clEvENKUlvE0_clEvEUlffE_fEEDaPvRmT3_T4_T5_mT6_P12ihipStream_tbENKUlT_T0_E_clISt17integral_constantIbLb1EESW_EEDaSR_SS_EUlSR_E0_NS1_11comp_targetILNS1_3genE8ELNS1_11target_archE1030ELNS1_3gpuE2ELNS1_3repE0EEENS1_30default_config_static_selectorELNS0_4arch9wavefront6targetE1EEEvT1_.numbered_sgpr, 0
	.set _ZN7rocprim17ROCPRIM_400000_NS6detail17trampoline_kernelINS0_14default_configENS1_20scan_config_selectorIfEEZZNS1_9scan_implILNS1_25lookback_scan_determinismE0ELb0ELb0ES3_PKfPffZZZN2at6native31launch_logcumsumexp_cuda_kernelERKNSB_10TensorBaseESF_lENKUlvE_clEvENKUlvE0_clEvEUlffE_fEEDaPvRmT3_T4_T5_mT6_P12ihipStream_tbENKUlT_T0_E_clISt17integral_constantIbLb1EESW_EEDaSR_SS_EUlSR_E0_NS1_11comp_targetILNS1_3genE8ELNS1_11target_archE1030ELNS1_3gpuE2ELNS1_3repE0EEENS1_30default_config_static_selectorELNS0_4arch9wavefront6targetE1EEEvT1_.num_named_barrier, 0
	.set _ZN7rocprim17ROCPRIM_400000_NS6detail17trampoline_kernelINS0_14default_configENS1_20scan_config_selectorIfEEZZNS1_9scan_implILNS1_25lookback_scan_determinismE0ELb0ELb0ES3_PKfPffZZZN2at6native31launch_logcumsumexp_cuda_kernelERKNSB_10TensorBaseESF_lENKUlvE_clEvENKUlvE0_clEvEUlffE_fEEDaPvRmT3_T4_T5_mT6_P12ihipStream_tbENKUlT_T0_E_clISt17integral_constantIbLb1EESW_EEDaSR_SS_EUlSR_E0_NS1_11comp_targetILNS1_3genE8ELNS1_11target_archE1030ELNS1_3gpuE2ELNS1_3repE0EEENS1_30default_config_static_selectorELNS0_4arch9wavefront6targetE1EEEvT1_.private_seg_size, 0
	.set _ZN7rocprim17ROCPRIM_400000_NS6detail17trampoline_kernelINS0_14default_configENS1_20scan_config_selectorIfEEZZNS1_9scan_implILNS1_25lookback_scan_determinismE0ELb0ELb0ES3_PKfPffZZZN2at6native31launch_logcumsumexp_cuda_kernelERKNSB_10TensorBaseESF_lENKUlvE_clEvENKUlvE0_clEvEUlffE_fEEDaPvRmT3_T4_T5_mT6_P12ihipStream_tbENKUlT_T0_E_clISt17integral_constantIbLb1EESW_EEDaSR_SS_EUlSR_E0_NS1_11comp_targetILNS1_3genE8ELNS1_11target_archE1030ELNS1_3gpuE2ELNS1_3repE0EEENS1_30default_config_static_selectorELNS0_4arch9wavefront6targetE1EEEvT1_.uses_vcc, 0
	.set _ZN7rocprim17ROCPRIM_400000_NS6detail17trampoline_kernelINS0_14default_configENS1_20scan_config_selectorIfEEZZNS1_9scan_implILNS1_25lookback_scan_determinismE0ELb0ELb0ES3_PKfPffZZZN2at6native31launch_logcumsumexp_cuda_kernelERKNSB_10TensorBaseESF_lENKUlvE_clEvENKUlvE0_clEvEUlffE_fEEDaPvRmT3_T4_T5_mT6_P12ihipStream_tbENKUlT_T0_E_clISt17integral_constantIbLb1EESW_EEDaSR_SS_EUlSR_E0_NS1_11comp_targetILNS1_3genE8ELNS1_11target_archE1030ELNS1_3gpuE2ELNS1_3repE0EEENS1_30default_config_static_selectorELNS0_4arch9wavefront6targetE1EEEvT1_.uses_flat_scratch, 0
	.set _ZN7rocprim17ROCPRIM_400000_NS6detail17trampoline_kernelINS0_14default_configENS1_20scan_config_selectorIfEEZZNS1_9scan_implILNS1_25lookback_scan_determinismE0ELb0ELb0ES3_PKfPffZZZN2at6native31launch_logcumsumexp_cuda_kernelERKNSB_10TensorBaseESF_lENKUlvE_clEvENKUlvE0_clEvEUlffE_fEEDaPvRmT3_T4_T5_mT6_P12ihipStream_tbENKUlT_T0_E_clISt17integral_constantIbLb1EESW_EEDaSR_SS_EUlSR_E0_NS1_11comp_targetILNS1_3genE8ELNS1_11target_archE1030ELNS1_3gpuE2ELNS1_3repE0EEENS1_30default_config_static_selectorELNS0_4arch9wavefront6targetE1EEEvT1_.has_dyn_sized_stack, 0
	.set _ZN7rocprim17ROCPRIM_400000_NS6detail17trampoline_kernelINS0_14default_configENS1_20scan_config_selectorIfEEZZNS1_9scan_implILNS1_25lookback_scan_determinismE0ELb0ELb0ES3_PKfPffZZZN2at6native31launch_logcumsumexp_cuda_kernelERKNSB_10TensorBaseESF_lENKUlvE_clEvENKUlvE0_clEvEUlffE_fEEDaPvRmT3_T4_T5_mT6_P12ihipStream_tbENKUlT_T0_E_clISt17integral_constantIbLb1EESW_EEDaSR_SS_EUlSR_E0_NS1_11comp_targetILNS1_3genE8ELNS1_11target_archE1030ELNS1_3gpuE2ELNS1_3repE0EEENS1_30default_config_static_selectorELNS0_4arch9wavefront6targetE1EEEvT1_.has_recursion, 0
	.set _ZN7rocprim17ROCPRIM_400000_NS6detail17trampoline_kernelINS0_14default_configENS1_20scan_config_selectorIfEEZZNS1_9scan_implILNS1_25lookback_scan_determinismE0ELb0ELb0ES3_PKfPffZZZN2at6native31launch_logcumsumexp_cuda_kernelERKNSB_10TensorBaseESF_lENKUlvE_clEvENKUlvE0_clEvEUlffE_fEEDaPvRmT3_T4_T5_mT6_P12ihipStream_tbENKUlT_T0_E_clISt17integral_constantIbLb1EESW_EEDaSR_SS_EUlSR_E0_NS1_11comp_targetILNS1_3genE8ELNS1_11target_archE1030ELNS1_3gpuE2ELNS1_3repE0EEENS1_30default_config_static_selectorELNS0_4arch9wavefront6targetE1EEEvT1_.has_indirect_call, 0
	.section	.AMDGPU.csdata,"",@progbits
; Kernel info:
; codeLenInByte = 0
; TotalNumSgprs: 4
; NumVgprs: 0
; ScratchSize: 0
; MemoryBound: 0
; FloatMode: 240
; IeeeMode: 1
; LDSByteSize: 0 bytes/workgroup (compile time only)
; SGPRBlocks: 0
; VGPRBlocks: 0
; NumSGPRsForWavesPerEU: 4
; NumVGPRsForWavesPerEU: 1
; Occupancy: 10
; WaveLimiterHint : 0
; COMPUTE_PGM_RSRC2:SCRATCH_EN: 0
; COMPUTE_PGM_RSRC2:USER_SGPR: 6
; COMPUTE_PGM_RSRC2:TRAP_HANDLER: 0
; COMPUTE_PGM_RSRC2:TGID_X_EN: 1
; COMPUTE_PGM_RSRC2:TGID_Y_EN: 0
; COMPUTE_PGM_RSRC2:TGID_Z_EN: 0
; COMPUTE_PGM_RSRC2:TIDIG_COMP_CNT: 0
	.section	.text._ZN7rocprim17ROCPRIM_400000_NS6detail31init_lookback_scan_state_kernelINS1_19lookback_scan_stateIfLb1ELb1EEENS1_16block_id_wrapperIjLb0EEEEEvT_jT0_jPNS7_10value_typeE,"axG",@progbits,_ZN7rocprim17ROCPRIM_400000_NS6detail31init_lookback_scan_state_kernelINS1_19lookback_scan_stateIfLb1ELb1EEENS1_16block_id_wrapperIjLb0EEEEEvT_jT0_jPNS7_10value_typeE,comdat
	.protected	_ZN7rocprim17ROCPRIM_400000_NS6detail31init_lookback_scan_state_kernelINS1_19lookback_scan_stateIfLb1ELb1EEENS1_16block_id_wrapperIjLb0EEEEEvT_jT0_jPNS7_10value_typeE ; -- Begin function _ZN7rocprim17ROCPRIM_400000_NS6detail31init_lookback_scan_state_kernelINS1_19lookback_scan_stateIfLb1ELb1EEENS1_16block_id_wrapperIjLb0EEEEEvT_jT0_jPNS7_10value_typeE
	.globl	_ZN7rocprim17ROCPRIM_400000_NS6detail31init_lookback_scan_state_kernelINS1_19lookback_scan_stateIfLb1ELb1EEENS1_16block_id_wrapperIjLb0EEEEEvT_jT0_jPNS7_10value_typeE
	.p2align	8
	.type	_ZN7rocprim17ROCPRIM_400000_NS6detail31init_lookback_scan_state_kernelINS1_19lookback_scan_stateIfLb1ELb1EEENS1_16block_id_wrapperIjLb0EEEEEvT_jT0_jPNS7_10value_typeE,@function
_ZN7rocprim17ROCPRIM_400000_NS6detail31init_lookback_scan_state_kernelINS1_19lookback_scan_stateIfLb1ELb1EEENS1_16block_id_wrapperIjLb0EEEEEvT_jT0_jPNS7_10value_typeE: ; @_ZN7rocprim17ROCPRIM_400000_NS6detail31init_lookback_scan_state_kernelINS1_19lookback_scan_stateIfLb1ELb1EEENS1_16block_id_wrapperIjLb0EEEEEvT_jT0_jPNS7_10value_typeE
; %bb.0:
	s_load_dword s7, s[4:5], 0x2c
	s_load_dwordx2 s[2:3], s[4:5], 0x18
	s_load_dwordx2 s[0:1], s[4:5], 0x0
	s_load_dword s8, s[4:5], 0x8
	s_waitcnt lgkmcnt(0)
	s_and_b32 s7, s7, 0xffff
	s_mul_i32 s6, s6, s7
	s_cmp_eq_u64 s[2:3], 0
	v_add_u32_e32 v0, s6, v0
	s_cbranch_scc1 .LBB133_9
; %bb.1:
	s_load_dword s6, s[4:5], 0x10
	s_mov_b32 s7, 0
	s_waitcnt lgkmcnt(0)
	s_cmp_lt_u32 s6, s8
	s_cselect_b32 s4, s6, 0
	v_cmp_eq_u32_e32 vcc, s4, v0
	s_and_saveexec_b64 s[4:5], vcc
	s_cbranch_execz .LBB133_8
; %bb.2:
	s_add_i32 s6, s6, 64
	s_lshl_b64 s[6:7], s[6:7], 3
	s_add_u32 s6, s0, s6
	s_addc_u32 s7, s1, s7
	v_mov_b32_e32 v1, 0
	global_load_dwordx2 v[3:4], v1, s[6:7] glc
	s_waitcnt vmcnt(0)
	v_and_b32_e32 v2, 0xff, v4
	v_cmp_ne_u64_e32 vcc, 0, v[1:2]
	s_cbranch_vccnz .LBB133_7
; %bb.3:
	s_mov_b32 s9, 1
.LBB133_4:                              ; =>This Loop Header: Depth=1
                                        ;     Child Loop BB133_5 Depth 2
	s_mov_b32 s10, s9
.LBB133_5:                              ;   Parent Loop BB133_4 Depth=1
                                        ; =>  This Inner Loop Header: Depth=2
	s_add_i32 s10, s10, -1
	s_cmp_eq_u32 s10, 0
	s_sleep 1
	s_cbranch_scc0 .LBB133_5
; %bb.6:                                ;   in Loop: Header=BB133_4 Depth=1
	global_load_dwordx2 v[3:4], v1, s[6:7] glc
	s_cmp_lt_u32 s9, 32
	s_cselect_b64 s[10:11], -1, 0
	s_cmp_lg_u64 s[10:11], 0
	s_addc_u32 s9, s9, 0
	s_waitcnt vmcnt(0)
	v_and_b32_e32 v2, 0xff, v4
	v_cmp_ne_u64_e32 vcc, 0, v[1:2]
	s_cbranch_vccz .LBB133_4
.LBB133_7:
	v_mov_b32_e32 v1, 0
	global_store_dword v1, v3, s[2:3]
.LBB133_8:
	s_or_b64 exec, exec, s[4:5]
.LBB133_9:
	v_cmp_gt_u32_e32 vcc, s8, v0
	s_and_saveexec_b64 s[2:3], vcc
	s_cbranch_execnz .LBB133_12
; %bb.10:
	s_or_b64 exec, exec, s[2:3]
	v_cmp_gt_u32_e32 vcc, 64, v0
	s_and_saveexec_b64 s[2:3], vcc
	s_cbranch_execnz .LBB133_13
.LBB133_11:
	s_endpgm
.LBB133_12:
	v_add_u32_e32 v1, 64, v0
	v_mov_b32_e32 v2, 0
	v_lshlrev_b64 v[3:4], 3, v[1:2]
	v_mov_b32_e32 v1, s1
	v_add_co_u32_e32 v3, vcc, s0, v3
	v_addc_co_u32_e32 v4, vcc, v1, v4, vcc
	v_mov_b32_e32 v1, v2
	global_store_dwordx2 v[3:4], v[1:2], off
	s_or_b64 exec, exec, s[2:3]
	v_cmp_gt_u32_e32 vcc, 64, v0
	s_and_saveexec_b64 s[2:3], vcc
	s_cbranch_execz .LBB133_11
.LBB133_13:
	v_mov_b32_e32 v1, 0
	v_lshlrev_b64 v[2:3], 3, v[0:1]
	v_mov_b32_e32 v0, s1
	v_add_co_u32_e32 v2, vcc, s0, v2
	v_addc_co_u32_e32 v3, vcc, v0, v3, vcc
	v_mov_b32_e32 v5, 0xff
	v_mov_b32_e32 v4, v1
	global_store_dwordx2 v[2:3], v[4:5], off
	s_endpgm
	.section	.rodata,"a",@progbits
	.p2align	6, 0x0
	.amdhsa_kernel _ZN7rocprim17ROCPRIM_400000_NS6detail31init_lookback_scan_state_kernelINS1_19lookback_scan_stateIfLb1ELb1EEENS1_16block_id_wrapperIjLb0EEEEEvT_jT0_jPNS7_10value_typeE
		.amdhsa_group_segment_fixed_size 0
		.amdhsa_private_segment_fixed_size 0
		.amdhsa_kernarg_size 288
		.amdhsa_user_sgpr_count 6
		.amdhsa_user_sgpr_private_segment_buffer 1
		.amdhsa_user_sgpr_dispatch_ptr 0
		.amdhsa_user_sgpr_queue_ptr 0
		.amdhsa_user_sgpr_kernarg_segment_ptr 1
		.amdhsa_user_sgpr_dispatch_id 0
		.amdhsa_user_sgpr_flat_scratch_init 0
		.amdhsa_user_sgpr_private_segment_size 0
		.amdhsa_uses_dynamic_stack 0
		.amdhsa_system_sgpr_private_segment_wavefront_offset 0
		.amdhsa_system_sgpr_workgroup_id_x 1
		.amdhsa_system_sgpr_workgroup_id_y 0
		.amdhsa_system_sgpr_workgroup_id_z 0
		.amdhsa_system_sgpr_workgroup_info 0
		.amdhsa_system_vgpr_workitem_id 0
		.amdhsa_next_free_vgpr 6
		.amdhsa_next_free_sgpr 12
		.amdhsa_reserve_vcc 1
		.amdhsa_reserve_flat_scratch 0
		.amdhsa_float_round_mode_32 0
		.amdhsa_float_round_mode_16_64 0
		.amdhsa_float_denorm_mode_32 3
		.amdhsa_float_denorm_mode_16_64 3
		.amdhsa_dx10_clamp 1
		.amdhsa_ieee_mode 1
		.amdhsa_fp16_overflow 0
		.amdhsa_exception_fp_ieee_invalid_op 0
		.amdhsa_exception_fp_denorm_src 0
		.amdhsa_exception_fp_ieee_div_zero 0
		.amdhsa_exception_fp_ieee_overflow 0
		.amdhsa_exception_fp_ieee_underflow 0
		.amdhsa_exception_fp_ieee_inexact 0
		.amdhsa_exception_int_div_zero 0
	.end_amdhsa_kernel
	.section	.text._ZN7rocprim17ROCPRIM_400000_NS6detail31init_lookback_scan_state_kernelINS1_19lookback_scan_stateIfLb1ELb1EEENS1_16block_id_wrapperIjLb0EEEEEvT_jT0_jPNS7_10value_typeE,"axG",@progbits,_ZN7rocprim17ROCPRIM_400000_NS6detail31init_lookback_scan_state_kernelINS1_19lookback_scan_stateIfLb1ELb1EEENS1_16block_id_wrapperIjLb0EEEEEvT_jT0_jPNS7_10value_typeE,comdat
.Lfunc_end133:
	.size	_ZN7rocprim17ROCPRIM_400000_NS6detail31init_lookback_scan_state_kernelINS1_19lookback_scan_stateIfLb1ELb1EEENS1_16block_id_wrapperIjLb0EEEEEvT_jT0_jPNS7_10value_typeE, .Lfunc_end133-_ZN7rocprim17ROCPRIM_400000_NS6detail31init_lookback_scan_state_kernelINS1_19lookback_scan_stateIfLb1ELb1EEENS1_16block_id_wrapperIjLb0EEEEEvT_jT0_jPNS7_10value_typeE
                                        ; -- End function
	.set _ZN7rocprim17ROCPRIM_400000_NS6detail31init_lookback_scan_state_kernelINS1_19lookback_scan_stateIfLb1ELb1EEENS1_16block_id_wrapperIjLb0EEEEEvT_jT0_jPNS7_10value_typeE.num_vgpr, 6
	.set _ZN7rocprim17ROCPRIM_400000_NS6detail31init_lookback_scan_state_kernelINS1_19lookback_scan_stateIfLb1ELb1EEENS1_16block_id_wrapperIjLb0EEEEEvT_jT0_jPNS7_10value_typeE.num_agpr, 0
	.set _ZN7rocprim17ROCPRIM_400000_NS6detail31init_lookback_scan_state_kernelINS1_19lookback_scan_stateIfLb1ELb1EEENS1_16block_id_wrapperIjLb0EEEEEvT_jT0_jPNS7_10value_typeE.numbered_sgpr, 12
	.set _ZN7rocprim17ROCPRIM_400000_NS6detail31init_lookback_scan_state_kernelINS1_19lookback_scan_stateIfLb1ELb1EEENS1_16block_id_wrapperIjLb0EEEEEvT_jT0_jPNS7_10value_typeE.num_named_barrier, 0
	.set _ZN7rocprim17ROCPRIM_400000_NS6detail31init_lookback_scan_state_kernelINS1_19lookback_scan_stateIfLb1ELb1EEENS1_16block_id_wrapperIjLb0EEEEEvT_jT0_jPNS7_10value_typeE.private_seg_size, 0
	.set _ZN7rocprim17ROCPRIM_400000_NS6detail31init_lookback_scan_state_kernelINS1_19lookback_scan_stateIfLb1ELb1EEENS1_16block_id_wrapperIjLb0EEEEEvT_jT0_jPNS7_10value_typeE.uses_vcc, 1
	.set _ZN7rocprim17ROCPRIM_400000_NS6detail31init_lookback_scan_state_kernelINS1_19lookback_scan_stateIfLb1ELb1EEENS1_16block_id_wrapperIjLb0EEEEEvT_jT0_jPNS7_10value_typeE.uses_flat_scratch, 0
	.set _ZN7rocprim17ROCPRIM_400000_NS6detail31init_lookback_scan_state_kernelINS1_19lookback_scan_stateIfLb1ELb1EEENS1_16block_id_wrapperIjLb0EEEEEvT_jT0_jPNS7_10value_typeE.has_dyn_sized_stack, 0
	.set _ZN7rocprim17ROCPRIM_400000_NS6detail31init_lookback_scan_state_kernelINS1_19lookback_scan_stateIfLb1ELb1EEENS1_16block_id_wrapperIjLb0EEEEEvT_jT0_jPNS7_10value_typeE.has_recursion, 0
	.set _ZN7rocprim17ROCPRIM_400000_NS6detail31init_lookback_scan_state_kernelINS1_19lookback_scan_stateIfLb1ELb1EEENS1_16block_id_wrapperIjLb0EEEEEvT_jT0_jPNS7_10value_typeE.has_indirect_call, 0
	.section	.AMDGPU.csdata,"",@progbits
; Kernel info:
; codeLenInByte = 364
; TotalNumSgprs: 16
; NumVgprs: 6
; ScratchSize: 0
; MemoryBound: 0
; FloatMode: 240
; IeeeMode: 1
; LDSByteSize: 0 bytes/workgroup (compile time only)
; SGPRBlocks: 1
; VGPRBlocks: 1
; NumSGPRsForWavesPerEU: 16
; NumVGPRsForWavesPerEU: 6
; Occupancy: 10
; WaveLimiterHint : 0
; COMPUTE_PGM_RSRC2:SCRATCH_EN: 0
; COMPUTE_PGM_RSRC2:USER_SGPR: 6
; COMPUTE_PGM_RSRC2:TRAP_HANDLER: 0
; COMPUTE_PGM_RSRC2:TGID_X_EN: 1
; COMPUTE_PGM_RSRC2:TGID_Y_EN: 0
; COMPUTE_PGM_RSRC2:TGID_Z_EN: 0
; COMPUTE_PGM_RSRC2:TIDIG_COMP_CNT: 0
	.section	.text._ZN7rocprim17ROCPRIM_400000_NS6detail17trampoline_kernelINS0_14default_configENS1_20scan_config_selectorIfEEZZNS1_9scan_implILNS1_25lookback_scan_determinismE0ELb0ELb0ES3_PKfPffZZZN2at6native31launch_logcumsumexp_cuda_kernelERKNSB_10TensorBaseESF_lENKUlvE_clEvENKUlvE0_clEvEUlffE_fEEDaPvRmT3_T4_T5_mT6_P12ihipStream_tbENKUlT_T0_E_clISt17integral_constantIbLb1EESV_IbLb0EEEEDaSR_SS_EUlSR_E_NS1_11comp_targetILNS1_3genE0ELNS1_11target_archE4294967295ELNS1_3gpuE0ELNS1_3repE0EEENS1_30default_config_static_selectorELNS0_4arch9wavefront6targetE1EEEvT1_,"axG",@progbits,_ZN7rocprim17ROCPRIM_400000_NS6detail17trampoline_kernelINS0_14default_configENS1_20scan_config_selectorIfEEZZNS1_9scan_implILNS1_25lookback_scan_determinismE0ELb0ELb0ES3_PKfPffZZZN2at6native31launch_logcumsumexp_cuda_kernelERKNSB_10TensorBaseESF_lENKUlvE_clEvENKUlvE0_clEvEUlffE_fEEDaPvRmT3_T4_T5_mT6_P12ihipStream_tbENKUlT_T0_E_clISt17integral_constantIbLb1EESV_IbLb0EEEEDaSR_SS_EUlSR_E_NS1_11comp_targetILNS1_3genE0ELNS1_11target_archE4294967295ELNS1_3gpuE0ELNS1_3repE0EEENS1_30default_config_static_selectorELNS0_4arch9wavefront6targetE1EEEvT1_,comdat
	.globl	_ZN7rocprim17ROCPRIM_400000_NS6detail17trampoline_kernelINS0_14default_configENS1_20scan_config_selectorIfEEZZNS1_9scan_implILNS1_25lookback_scan_determinismE0ELb0ELb0ES3_PKfPffZZZN2at6native31launch_logcumsumexp_cuda_kernelERKNSB_10TensorBaseESF_lENKUlvE_clEvENKUlvE0_clEvEUlffE_fEEDaPvRmT3_T4_T5_mT6_P12ihipStream_tbENKUlT_T0_E_clISt17integral_constantIbLb1EESV_IbLb0EEEEDaSR_SS_EUlSR_E_NS1_11comp_targetILNS1_3genE0ELNS1_11target_archE4294967295ELNS1_3gpuE0ELNS1_3repE0EEENS1_30default_config_static_selectorELNS0_4arch9wavefront6targetE1EEEvT1_ ; -- Begin function _ZN7rocprim17ROCPRIM_400000_NS6detail17trampoline_kernelINS0_14default_configENS1_20scan_config_selectorIfEEZZNS1_9scan_implILNS1_25lookback_scan_determinismE0ELb0ELb0ES3_PKfPffZZZN2at6native31launch_logcumsumexp_cuda_kernelERKNSB_10TensorBaseESF_lENKUlvE_clEvENKUlvE0_clEvEUlffE_fEEDaPvRmT3_T4_T5_mT6_P12ihipStream_tbENKUlT_T0_E_clISt17integral_constantIbLb1EESV_IbLb0EEEEDaSR_SS_EUlSR_E_NS1_11comp_targetILNS1_3genE0ELNS1_11target_archE4294967295ELNS1_3gpuE0ELNS1_3repE0EEENS1_30default_config_static_selectorELNS0_4arch9wavefront6targetE1EEEvT1_
	.p2align	8
	.type	_ZN7rocprim17ROCPRIM_400000_NS6detail17trampoline_kernelINS0_14default_configENS1_20scan_config_selectorIfEEZZNS1_9scan_implILNS1_25lookback_scan_determinismE0ELb0ELb0ES3_PKfPffZZZN2at6native31launch_logcumsumexp_cuda_kernelERKNSB_10TensorBaseESF_lENKUlvE_clEvENKUlvE0_clEvEUlffE_fEEDaPvRmT3_T4_T5_mT6_P12ihipStream_tbENKUlT_T0_E_clISt17integral_constantIbLb1EESV_IbLb0EEEEDaSR_SS_EUlSR_E_NS1_11comp_targetILNS1_3genE0ELNS1_11target_archE4294967295ELNS1_3gpuE0ELNS1_3repE0EEENS1_30default_config_static_selectorELNS0_4arch9wavefront6targetE1EEEvT1_,@function
_ZN7rocprim17ROCPRIM_400000_NS6detail17trampoline_kernelINS0_14default_configENS1_20scan_config_selectorIfEEZZNS1_9scan_implILNS1_25lookback_scan_determinismE0ELb0ELb0ES3_PKfPffZZZN2at6native31launch_logcumsumexp_cuda_kernelERKNSB_10TensorBaseESF_lENKUlvE_clEvENKUlvE0_clEvEUlffE_fEEDaPvRmT3_T4_T5_mT6_P12ihipStream_tbENKUlT_T0_E_clISt17integral_constantIbLb1EESV_IbLb0EEEEDaSR_SS_EUlSR_E_NS1_11comp_targetILNS1_3genE0ELNS1_11target_archE4294967295ELNS1_3gpuE0ELNS1_3repE0EEENS1_30default_config_static_selectorELNS0_4arch9wavefront6targetE1EEEvT1_: ; @_ZN7rocprim17ROCPRIM_400000_NS6detail17trampoline_kernelINS0_14default_configENS1_20scan_config_selectorIfEEZZNS1_9scan_implILNS1_25lookback_scan_determinismE0ELb0ELb0ES3_PKfPffZZZN2at6native31launch_logcumsumexp_cuda_kernelERKNSB_10TensorBaseESF_lENKUlvE_clEvENKUlvE0_clEvEUlffE_fEEDaPvRmT3_T4_T5_mT6_P12ihipStream_tbENKUlT_T0_E_clISt17integral_constantIbLb1EESV_IbLb0EEEEDaSR_SS_EUlSR_E_NS1_11comp_targetILNS1_3genE0ELNS1_11target_archE4294967295ELNS1_3gpuE0ELNS1_3repE0EEENS1_30default_config_static_selectorELNS0_4arch9wavefront6targetE1EEEvT1_
; %bb.0:
	.section	.rodata,"a",@progbits
	.p2align	6, 0x0
	.amdhsa_kernel _ZN7rocprim17ROCPRIM_400000_NS6detail17trampoline_kernelINS0_14default_configENS1_20scan_config_selectorIfEEZZNS1_9scan_implILNS1_25lookback_scan_determinismE0ELb0ELb0ES3_PKfPffZZZN2at6native31launch_logcumsumexp_cuda_kernelERKNSB_10TensorBaseESF_lENKUlvE_clEvENKUlvE0_clEvEUlffE_fEEDaPvRmT3_T4_T5_mT6_P12ihipStream_tbENKUlT_T0_E_clISt17integral_constantIbLb1EESV_IbLb0EEEEDaSR_SS_EUlSR_E_NS1_11comp_targetILNS1_3genE0ELNS1_11target_archE4294967295ELNS1_3gpuE0ELNS1_3repE0EEENS1_30default_config_static_selectorELNS0_4arch9wavefront6targetE1EEEvT1_
		.amdhsa_group_segment_fixed_size 0
		.amdhsa_private_segment_fixed_size 0
		.amdhsa_kernarg_size 96
		.amdhsa_user_sgpr_count 6
		.amdhsa_user_sgpr_private_segment_buffer 1
		.amdhsa_user_sgpr_dispatch_ptr 0
		.amdhsa_user_sgpr_queue_ptr 0
		.amdhsa_user_sgpr_kernarg_segment_ptr 1
		.amdhsa_user_sgpr_dispatch_id 0
		.amdhsa_user_sgpr_flat_scratch_init 0
		.amdhsa_user_sgpr_private_segment_size 0
		.amdhsa_uses_dynamic_stack 0
		.amdhsa_system_sgpr_private_segment_wavefront_offset 0
		.amdhsa_system_sgpr_workgroup_id_x 1
		.amdhsa_system_sgpr_workgroup_id_y 0
		.amdhsa_system_sgpr_workgroup_id_z 0
		.amdhsa_system_sgpr_workgroup_info 0
		.amdhsa_system_vgpr_workitem_id 0
		.amdhsa_next_free_vgpr 1
		.amdhsa_next_free_sgpr 0
		.amdhsa_reserve_vcc 0
		.amdhsa_reserve_flat_scratch 0
		.amdhsa_float_round_mode_32 0
		.amdhsa_float_round_mode_16_64 0
		.amdhsa_float_denorm_mode_32 3
		.amdhsa_float_denorm_mode_16_64 3
		.amdhsa_dx10_clamp 1
		.amdhsa_ieee_mode 1
		.amdhsa_fp16_overflow 0
		.amdhsa_exception_fp_ieee_invalid_op 0
		.amdhsa_exception_fp_denorm_src 0
		.amdhsa_exception_fp_ieee_div_zero 0
		.amdhsa_exception_fp_ieee_overflow 0
		.amdhsa_exception_fp_ieee_underflow 0
		.amdhsa_exception_fp_ieee_inexact 0
		.amdhsa_exception_int_div_zero 0
	.end_amdhsa_kernel
	.section	.text._ZN7rocprim17ROCPRIM_400000_NS6detail17trampoline_kernelINS0_14default_configENS1_20scan_config_selectorIfEEZZNS1_9scan_implILNS1_25lookback_scan_determinismE0ELb0ELb0ES3_PKfPffZZZN2at6native31launch_logcumsumexp_cuda_kernelERKNSB_10TensorBaseESF_lENKUlvE_clEvENKUlvE0_clEvEUlffE_fEEDaPvRmT3_T4_T5_mT6_P12ihipStream_tbENKUlT_T0_E_clISt17integral_constantIbLb1EESV_IbLb0EEEEDaSR_SS_EUlSR_E_NS1_11comp_targetILNS1_3genE0ELNS1_11target_archE4294967295ELNS1_3gpuE0ELNS1_3repE0EEENS1_30default_config_static_selectorELNS0_4arch9wavefront6targetE1EEEvT1_,"axG",@progbits,_ZN7rocprim17ROCPRIM_400000_NS6detail17trampoline_kernelINS0_14default_configENS1_20scan_config_selectorIfEEZZNS1_9scan_implILNS1_25lookback_scan_determinismE0ELb0ELb0ES3_PKfPffZZZN2at6native31launch_logcumsumexp_cuda_kernelERKNSB_10TensorBaseESF_lENKUlvE_clEvENKUlvE0_clEvEUlffE_fEEDaPvRmT3_T4_T5_mT6_P12ihipStream_tbENKUlT_T0_E_clISt17integral_constantIbLb1EESV_IbLb0EEEEDaSR_SS_EUlSR_E_NS1_11comp_targetILNS1_3genE0ELNS1_11target_archE4294967295ELNS1_3gpuE0ELNS1_3repE0EEENS1_30default_config_static_selectorELNS0_4arch9wavefront6targetE1EEEvT1_,comdat
.Lfunc_end134:
	.size	_ZN7rocprim17ROCPRIM_400000_NS6detail17trampoline_kernelINS0_14default_configENS1_20scan_config_selectorIfEEZZNS1_9scan_implILNS1_25lookback_scan_determinismE0ELb0ELb0ES3_PKfPffZZZN2at6native31launch_logcumsumexp_cuda_kernelERKNSB_10TensorBaseESF_lENKUlvE_clEvENKUlvE0_clEvEUlffE_fEEDaPvRmT3_T4_T5_mT6_P12ihipStream_tbENKUlT_T0_E_clISt17integral_constantIbLb1EESV_IbLb0EEEEDaSR_SS_EUlSR_E_NS1_11comp_targetILNS1_3genE0ELNS1_11target_archE4294967295ELNS1_3gpuE0ELNS1_3repE0EEENS1_30default_config_static_selectorELNS0_4arch9wavefront6targetE1EEEvT1_, .Lfunc_end134-_ZN7rocprim17ROCPRIM_400000_NS6detail17trampoline_kernelINS0_14default_configENS1_20scan_config_selectorIfEEZZNS1_9scan_implILNS1_25lookback_scan_determinismE0ELb0ELb0ES3_PKfPffZZZN2at6native31launch_logcumsumexp_cuda_kernelERKNSB_10TensorBaseESF_lENKUlvE_clEvENKUlvE0_clEvEUlffE_fEEDaPvRmT3_T4_T5_mT6_P12ihipStream_tbENKUlT_T0_E_clISt17integral_constantIbLb1EESV_IbLb0EEEEDaSR_SS_EUlSR_E_NS1_11comp_targetILNS1_3genE0ELNS1_11target_archE4294967295ELNS1_3gpuE0ELNS1_3repE0EEENS1_30default_config_static_selectorELNS0_4arch9wavefront6targetE1EEEvT1_
                                        ; -- End function
	.set _ZN7rocprim17ROCPRIM_400000_NS6detail17trampoline_kernelINS0_14default_configENS1_20scan_config_selectorIfEEZZNS1_9scan_implILNS1_25lookback_scan_determinismE0ELb0ELb0ES3_PKfPffZZZN2at6native31launch_logcumsumexp_cuda_kernelERKNSB_10TensorBaseESF_lENKUlvE_clEvENKUlvE0_clEvEUlffE_fEEDaPvRmT3_T4_T5_mT6_P12ihipStream_tbENKUlT_T0_E_clISt17integral_constantIbLb1EESV_IbLb0EEEEDaSR_SS_EUlSR_E_NS1_11comp_targetILNS1_3genE0ELNS1_11target_archE4294967295ELNS1_3gpuE0ELNS1_3repE0EEENS1_30default_config_static_selectorELNS0_4arch9wavefront6targetE1EEEvT1_.num_vgpr, 0
	.set _ZN7rocprim17ROCPRIM_400000_NS6detail17trampoline_kernelINS0_14default_configENS1_20scan_config_selectorIfEEZZNS1_9scan_implILNS1_25lookback_scan_determinismE0ELb0ELb0ES3_PKfPffZZZN2at6native31launch_logcumsumexp_cuda_kernelERKNSB_10TensorBaseESF_lENKUlvE_clEvENKUlvE0_clEvEUlffE_fEEDaPvRmT3_T4_T5_mT6_P12ihipStream_tbENKUlT_T0_E_clISt17integral_constantIbLb1EESV_IbLb0EEEEDaSR_SS_EUlSR_E_NS1_11comp_targetILNS1_3genE0ELNS1_11target_archE4294967295ELNS1_3gpuE0ELNS1_3repE0EEENS1_30default_config_static_selectorELNS0_4arch9wavefront6targetE1EEEvT1_.num_agpr, 0
	.set _ZN7rocprim17ROCPRIM_400000_NS6detail17trampoline_kernelINS0_14default_configENS1_20scan_config_selectorIfEEZZNS1_9scan_implILNS1_25lookback_scan_determinismE0ELb0ELb0ES3_PKfPffZZZN2at6native31launch_logcumsumexp_cuda_kernelERKNSB_10TensorBaseESF_lENKUlvE_clEvENKUlvE0_clEvEUlffE_fEEDaPvRmT3_T4_T5_mT6_P12ihipStream_tbENKUlT_T0_E_clISt17integral_constantIbLb1EESV_IbLb0EEEEDaSR_SS_EUlSR_E_NS1_11comp_targetILNS1_3genE0ELNS1_11target_archE4294967295ELNS1_3gpuE0ELNS1_3repE0EEENS1_30default_config_static_selectorELNS0_4arch9wavefront6targetE1EEEvT1_.numbered_sgpr, 0
	.set _ZN7rocprim17ROCPRIM_400000_NS6detail17trampoline_kernelINS0_14default_configENS1_20scan_config_selectorIfEEZZNS1_9scan_implILNS1_25lookback_scan_determinismE0ELb0ELb0ES3_PKfPffZZZN2at6native31launch_logcumsumexp_cuda_kernelERKNSB_10TensorBaseESF_lENKUlvE_clEvENKUlvE0_clEvEUlffE_fEEDaPvRmT3_T4_T5_mT6_P12ihipStream_tbENKUlT_T0_E_clISt17integral_constantIbLb1EESV_IbLb0EEEEDaSR_SS_EUlSR_E_NS1_11comp_targetILNS1_3genE0ELNS1_11target_archE4294967295ELNS1_3gpuE0ELNS1_3repE0EEENS1_30default_config_static_selectorELNS0_4arch9wavefront6targetE1EEEvT1_.num_named_barrier, 0
	.set _ZN7rocprim17ROCPRIM_400000_NS6detail17trampoline_kernelINS0_14default_configENS1_20scan_config_selectorIfEEZZNS1_9scan_implILNS1_25lookback_scan_determinismE0ELb0ELb0ES3_PKfPffZZZN2at6native31launch_logcumsumexp_cuda_kernelERKNSB_10TensorBaseESF_lENKUlvE_clEvENKUlvE0_clEvEUlffE_fEEDaPvRmT3_T4_T5_mT6_P12ihipStream_tbENKUlT_T0_E_clISt17integral_constantIbLb1EESV_IbLb0EEEEDaSR_SS_EUlSR_E_NS1_11comp_targetILNS1_3genE0ELNS1_11target_archE4294967295ELNS1_3gpuE0ELNS1_3repE0EEENS1_30default_config_static_selectorELNS0_4arch9wavefront6targetE1EEEvT1_.private_seg_size, 0
	.set _ZN7rocprim17ROCPRIM_400000_NS6detail17trampoline_kernelINS0_14default_configENS1_20scan_config_selectorIfEEZZNS1_9scan_implILNS1_25lookback_scan_determinismE0ELb0ELb0ES3_PKfPffZZZN2at6native31launch_logcumsumexp_cuda_kernelERKNSB_10TensorBaseESF_lENKUlvE_clEvENKUlvE0_clEvEUlffE_fEEDaPvRmT3_T4_T5_mT6_P12ihipStream_tbENKUlT_T0_E_clISt17integral_constantIbLb1EESV_IbLb0EEEEDaSR_SS_EUlSR_E_NS1_11comp_targetILNS1_3genE0ELNS1_11target_archE4294967295ELNS1_3gpuE0ELNS1_3repE0EEENS1_30default_config_static_selectorELNS0_4arch9wavefront6targetE1EEEvT1_.uses_vcc, 0
	.set _ZN7rocprim17ROCPRIM_400000_NS6detail17trampoline_kernelINS0_14default_configENS1_20scan_config_selectorIfEEZZNS1_9scan_implILNS1_25lookback_scan_determinismE0ELb0ELb0ES3_PKfPffZZZN2at6native31launch_logcumsumexp_cuda_kernelERKNSB_10TensorBaseESF_lENKUlvE_clEvENKUlvE0_clEvEUlffE_fEEDaPvRmT3_T4_T5_mT6_P12ihipStream_tbENKUlT_T0_E_clISt17integral_constantIbLb1EESV_IbLb0EEEEDaSR_SS_EUlSR_E_NS1_11comp_targetILNS1_3genE0ELNS1_11target_archE4294967295ELNS1_3gpuE0ELNS1_3repE0EEENS1_30default_config_static_selectorELNS0_4arch9wavefront6targetE1EEEvT1_.uses_flat_scratch, 0
	.set _ZN7rocprim17ROCPRIM_400000_NS6detail17trampoline_kernelINS0_14default_configENS1_20scan_config_selectorIfEEZZNS1_9scan_implILNS1_25lookback_scan_determinismE0ELb0ELb0ES3_PKfPffZZZN2at6native31launch_logcumsumexp_cuda_kernelERKNSB_10TensorBaseESF_lENKUlvE_clEvENKUlvE0_clEvEUlffE_fEEDaPvRmT3_T4_T5_mT6_P12ihipStream_tbENKUlT_T0_E_clISt17integral_constantIbLb1EESV_IbLb0EEEEDaSR_SS_EUlSR_E_NS1_11comp_targetILNS1_3genE0ELNS1_11target_archE4294967295ELNS1_3gpuE0ELNS1_3repE0EEENS1_30default_config_static_selectorELNS0_4arch9wavefront6targetE1EEEvT1_.has_dyn_sized_stack, 0
	.set _ZN7rocprim17ROCPRIM_400000_NS6detail17trampoline_kernelINS0_14default_configENS1_20scan_config_selectorIfEEZZNS1_9scan_implILNS1_25lookback_scan_determinismE0ELb0ELb0ES3_PKfPffZZZN2at6native31launch_logcumsumexp_cuda_kernelERKNSB_10TensorBaseESF_lENKUlvE_clEvENKUlvE0_clEvEUlffE_fEEDaPvRmT3_T4_T5_mT6_P12ihipStream_tbENKUlT_T0_E_clISt17integral_constantIbLb1EESV_IbLb0EEEEDaSR_SS_EUlSR_E_NS1_11comp_targetILNS1_3genE0ELNS1_11target_archE4294967295ELNS1_3gpuE0ELNS1_3repE0EEENS1_30default_config_static_selectorELNS0_4arch9wavefront6targetE1EEEvT1_.has_recursion, 0
	.set _ZN7rocprim17ROCPRIM_400000_NS6detail17trampoline_kernelINS0_14default_configENS1_20scan_config_selectorIfEEZZNS1_9scan_implILNS1_25lookback_scan_determinismE0ELb0ELb0ES3_PKfPffZZZN2at6native31launch_logcumsumexp_cuda_kernelERKNSB_10TensorBaseESF_lENKUlvE_clEvENKUlvE0_clEvEUlffE_fEEDaPvRmT3_T4_T5_mT6_P12ihipStream_tbENKUlT_T0_E_clISt17integral_constantIbLb1EESV_IbLb0EEEEDaSR_SS_EUlSR_E_NS1_11comp_targetILNS1_3genE0ELNS1_11target_archE4294967295ELNS1_3gpuE0ELNS1_3repE0EEENS1_30default_config_static_selectorELNS0_4arch9wavefront6targetE1EEEvT1_.has_indirect_call, 0
	.section	.AMDGPU.csdata,"",@progbits
; Kernel info:
; codeLenInByte = 0
; TotalNumSgprs: 4
; NumVgprs: 0
; ScratchSize: 0
; MemoryBound: 0
; FloatMode: 240
; IeeeMode: 1
; LDSByteSize: 0 bytes/workgroup (compile time only)
; SGPRBlocks: 0
; VGPRBlocks: 0
; NumSGPRsForWavesPerEU: 4
; NumVGPRsForWavesPerEU: 1
; Occupancy: 10
; WaveLimiterHint : 0
; COMPUTE_PGM_RSRC2:SCRATCH_EN: 0
; COMPUTE_PGM_RSRC2:USER_SGPR: 6
; COMPUTE_PGM_RSRC2:TRAP_HANDLER: 0
; COMPUTE_PGM_RSRC2:TGID_X_EN: 1
; COMPUTE_PGM_RSRC2:TGID_Y_EN: 0
; COMPUTE_PGM_RSRC2:TGID_Z_EN: 0
; COMPUTE_PGM_RSRC2:TIDIG_COMP_CNT: 0
	.section	.text._ZN7rocprim17ROCPRIM_400000_NS6detail17trampoline_kernelINS0_14default_configENS1_20scan_config_selectorIfEEZZNS1_9scan_implILNS1_25lookback_scan_determinismE0ELb0ELb0ES3_PKfPffZZZN2at6native31launch_logcumsumexp_cuda_kernelERKNSB_10TensorBaseESF_lENKUlvE_clEvENKUlvE0_clEvEUlffE_fEEDaPvRmT3_T4_T5_mT6_P12ihipStream_tbENKUlT_T0_E_clISt17integral_constantIbLb1EESV_IbLb0EEEEDaSR_SS_EUlSR_E_NS1_11comp_targetILNS1_3genE5ELNS1_11target_archE942ELNS1_3gpuE9ELNS1_3repE0EEENS1_30default_config_static_selectorELNS0_4arch9wavefront6targetE1EEEvT1_,"axG",@progbits,_ZN7rocprim17ROCPRIM_400000_NS6detail17trampoline_kernelINS0_14default_configENS1_20scan_config_selectorIfEEZZNS1_9scan_implILNS1_25lookback_scan_determinismE0ELb0ELb0ES3_PKfPffZZZN2at6native31launch_logcumsumexp_cuda_kernelERKNSB_10TensorBaseESF_lENKUlvE_clEvENKUlvE0_clEvEUlffE_fEEDaPvRmT3_T4_T5_mT6_P12ihipStream_tbENKUlT_T0_E_clISt17integral_constantIbLb1EESV_IbLb0EEEEDaSR_SS_EUlSR_E_NS1_11comp_targetILNS1_3genE5ELNS1_11target_archE942ELNS1_3gpuE9ELNS1_3repE0EEENS1_30default_config_static_selectorELNS0_4arch9wavefront6targetE1EEEvT1_,comdat
	.globl	_ZN7rocprim17ROCPRIM_400000_NS6detail17trampoline_kernelINS0_14default_configENS1_20scan_config_selectorIfEEZZNS1_9scan_implILNS1_25lookback_scan_determinismE0ELb0ELb0ES3_PKfPffZZZN2at6native31launch_logcumsumexp_cuda_kernelERKNSB_10TensorBaseESF_lENKUlvE_clEvENKUlvE0_clEvEUlffE_fEEDaPvRmT3_T4_T5_mT6_P12ihipStream_tbENKUlT_T0_E_clISt17integral_constantIbLb1EESV_IbLb0EEEEDaSR_SS_EUlSR_E_NS1_11comp_targetILNS1_3genE5ELNS1_11target_archE942ELNS1_3gpuE9ELNS1_3repE0EEENS1_30default_config_static_selectorELNS0_4arch9wavefront6targetE1EEEvT1_ ; -- Begin function _ZN7rocprim17ROCPRIM_400000_NS6detail17trampoline_kernelINS0_14default_configENS1_20scan_config_selectorIfEEZZNS1_9scan_implILNS1_25lookback_scan_determinismE0ELb0ELb0ES3_PKfPffZZZN2at6native31launch_logcumsumexp_cuda_kernelERKNSB_10TensorBaseESF_lENKUlvE_clEvENKUlvE0_clEvEUlffE_fEEDaPvRmT3_T4_T5_mT6_P12ihipStream_tbENKUlT_T0_E_clISt17integral_constantIbLb1EESV_IbLb0EEEEDaSR_SS_EUlSR_E_NS1_11comp_targetILNS1_3genE5ELNS1_11target_archE942ELNS1_3gpuE9ELNS1_3repE0EEENS1_30default_config_static_selectorELNS0_4arch9wavefront6targetE1EEEvT1_
	.p2align	8
	.type	_ZN7rocprim17ROCPRIM_400000_NS6detail17trampoline_kernelINS0_14default_configENS1_20scan_config_selectorIfEEZZNS1_9scan_implILNS1_25lookback_scan_determinismE0ELb0ELb0ES3_PKfPffZZZN2at6native31launch_logcumsumexp_cuda_kernelERKNSB_10TensorBaseESF_lENKUlvE_clEvENKUlvE0_clEvEUlffE_fEEDaPvRmT3_T4_T5_mT6_P12ihipStream_tbENKUlT_T0_E_clISt17integral_constantIbLb1EESV_IbLb0EEEEDaSR_SS_EUlSR_E_NS1_11comp_targetILNS1_3genE5ELNS1_11target_archE942ELNS1_3gpuE9ELNS1_3repE0EEENS1_30default_config_static_selectorELNS0_4arch9wavefront6targetE1EEEvT1_,@function
_ZN7rocprim17ROCPRIM_400000_NS6detail17trampoline_kernelINS0_14default_configENS1_20scan_config_selectorIfEEZZNS1_9scan_implILNS1_25lookback_scan_determinismE0ELb0ELb0ES3_PKfPffZZZN2at6native31launch_logcumsumexp_cuda_kernelERKNSB_10TensorBaseESF_lENKUlvE_clEvENKUlvE0_clEvEUlffE_fEEDaPvRmT3_T4_T5_mT6_P12ihipStream_tbENKUlT_T0_E_clISt17integral_constantIbLb1EESV_IbLb0EEEEDaSR_SS_EUlSR_E_NS1_11comp_targetILNS1_3genE5ELNS1_11target_archE942ELNS1_3gpuE9ELNS1_3repE0EEENS1_30default_config_static_selectorELNS0_4arch9wavefront6targetE1EEEvT1_: ; @_ZN7rocprim17ROCPRIM_400000_NS6detail17trampoline_kernelINS0_14default_configENS1_20scan_config_selectorIfEEZZNS1_9scan_implILNS1_25lookback_scan_determinismE0ELb0ELb0ES3_PKfPffZZZN2at6native31launch_logcumsumexp_cuda_kernelERKNSB_10TensorBaseESF_lENKUlvE_clEvENKUlvE0_clEvEUlffE_fEEDaPvRmT3_T4_T5_mT6_P12ihipStream_tbENKUlT_T0_E_clISt17integral_constantIbLb1EESV_IbLb0EEEEDaSR_SS_EUlSR_E_NS1_11comp_targetILNS1_3genE5ELNS1_11target_archE942ELNS1_3gpuE9ELNS1_3repE0EEENS1_30default_config_static_selectorELNS0_4arch9wavefront6targetE1EEEvT1_
; %bb.0:
	.section	.rodata,"a",@progbits
	.p2align	6, 0x0
	.amdhsa_kernel _ZN7rocprim17ROCPRIM_400000_NS6detail17trampoline_kernelINS0_14default_configENS1_20scan_config_selectorIfEEZZNS1_9scan_implILNS1_25lookback_scan_determinismE0ELb0ELb0ES3_PKfPffZZZN2at6native31launch_logcumsumexp_cuda_kernelERKNSB_10TensorBaseESF_lENKUlvE_clEvENKUlvE0_clEvEUlffE_fEEDaPvRmT3_T4_T5_mT6_P12ihipStream_tbENKUlT_T0_E_clISt17integral_constantIbLb1EESV_IbLb0EEEEDaSR_SS_EUlSR_E_NS1_11comp_targetILNS1_3genE5ELNS1_11target_archE942ELNS1_3gpuE9ELNS1_3repE0EEENS1_30default_config_static_selectorELNS0_4arch9wavefront6targetE1EEEvT1_
		.amdhsa_group_segment_fixed_size 0
		.amdhsa_private_segment_fixed_size 0
		.amdhsa_kernarg_size 96
		.amdhsa_user_sgpr_count 6
		.amdhsa_user_sgpr_private_segment_buffer 1
		.amdhsa_user_sgpr_dispatch_ptr 0
		.amdhsa_user_sgpr_queue_ptr 0
		.amdhsa_user_sgpr_kernarg_segment_ptr 1
		.amdhsa_user_sgpr_dispatch_id 0
		.amdhsa_user_sgpr_flat_scratch_init 0
		.amdhsa_user_sgpr_private_segment_size 0
		.amdhsa_uses_dynamic_stack 0
		.amdhsa_system_sgpr_private_segment_wavefront_offset 0
		.amdhsa_system_sgpr_workgroup_id_x 1
		.amdhsa_system_sgpr_workgroup_id_y 0
		.amdhsa_system_sgpr_workgroup_id_z 0
		.amdhsa_system_sgpr_workgroup_info 0
		.amdhsa_system_vgpr_workitem_id 0
		.amdhsa_next_free_vgpr 1
		.amdhsa_next_free_sgpr 0
		.amdhsa_reserve_vcc 0
		.amdhsa_reserve_flat_scratch 0
		.amdhsa_float_round_mode_32 0
		.amdhsa_float_round_mode_16_64 0
		.amdhsa_float_denorm_mode_32 3
		.amdhsa_float_denorm_mode_16_64 3
		.amdhsa_dx10_clamp 1
		.amdhsa_ieee_mode 1
		.amdhsa_fp16_overflow 0
		.amdhsa_exception_fp_ieee_invalid_op 0
		.amdhsa_exception_fp_denorm_src 0
		.amdhsa_exception_fp_ieee_div_zero 0
		.amdhsa_exception_fp_ieee_overflow 0
		.amdhsa_exception_fp_ieee_underflow 0
		.amdhsa_exception_fp_ieee_inexact 0
		.amdhsa_exception_int_div_zero 0
	.end_amdhsa_kernel
	.section	.text._ZN7rocprim17ROCPRIM_400000_NS6detail17trampoline_kernelINS0_14default_configENS1_20scan_config_selectorIfEEZZNS1_9scan_implILNS1_25lookback_scan_determinismE0ELb0ELb0ES3_PKfPffZZZN2at6native31launch_logcumsumexp_cuda_kernelERKNSB_10TensorBaseESF_lENKUlvE_clEvENKUlvE0_clEvEUlffE_fEEDaPvRmT3_T4_T5_mT6_P12ihipStream_tbENKUlT_T0_E_clISt17integral_constantIbLb1EESV_IbLb0EEEEDaSR_SS_EUlSR_E_NS1_11comp_targetILNS1_3genE5ELNS1_11target_archE942ELNS1_3gpuE9ELNS1_3repE0EEENS1_30default_config_static_selectorELNS0_4arch9wavefront6targetE1EEEvT1_,"axG",@progbits,_ZN7rocprim17ROCPRIM_400000_NS6detail17trampoline_kernelINS0_14default_configENS1_20scan_config_selectorIfEEZZNS1_9scan_implILNS1_25lookback_scan_determinismE0ELb0ELb0ES3_PKfPffZZZN2at6native31launch_logcumsumexp_cuda_kernelERKNSB_10TensorBaseESF_lENKUlvE_clEvENKUlvE0_clEvEUlffE_fEEDaPvRmT3_T4_T5_mT6_P12ihipStream_tbENKUlT_T0_E_clISt17integral_constantIbLb1EESV_IbLb0EEEEDaSR_SS_EUlSR_E_NS1_11comp_targetILNS1_3genE5ELNS1_11target_archE942ELNS1_3gpuE9ELNS1_3repE0EEENS1_30default_config_static_selectorELNS0_4arch9wavefront6targetE1EEEvT1_,comdat
.Lfunc_end135:
	.size	_ZN7rocprim17ROCPRIM_400000_NS6detail17trampoline_kernelINS0_14default_configENS1_20scan_config_selectorIfEEZZNS1_9scan_implILNS1_25lookback_scan_determinismE0ELb0ELb0ES3_PKfPffZZZN2at6native31launch_logcumsumexp_cuda_kernelERKNSB_10TensorBaseESF_lENKUlvE_clEvENKUlvE0_clEvEUlffE_fEEDaPvRmT3_T4_T5_mT6_P12ihipStream_tbENKUlT_T0_E_clISt17integral_constantIbLb1EESV_IbLb0EEEEDaSR_SS_EUlSR_E_NS1_11comp_targetILNS1_3genE5ELNS1_11target_archE942ELNS1_3gpuE9ELNS1_3repE0EEENS1_30default_config_static_selectorELNS0_4arch9wavefront6targetE1EEEvT1_, .Lfunc_end135-_ZN7rocprim17ROCPRIM_400000_NS6detail17trampoline_kernelINS0_14default_configENS1_20scan_config_selectorIfEEZZNS1_9scan_implILNS1_25lookback_scan_determinismE0ELb0ELb0ES3_PKfPffZZZN2at6native31launch_logcumsumexp_cuda_kernelERKNSB_10TensorBaseESF_lENKUlvE_clEvENKUlvE0_clEvEUlffE_fEEDaPvRmT3_T4_T5_mT6_P12ihipStream_tbENKUlT_T0_E_clISt17integral_constantIbLb1EESV_IbLb0EEEEDaSR_SS_EUlSR_E_NS1_11comp_targetILNS1_3genE5ELNS1_11target_archE942ELNS1_3gpuE9ELNS1_3repE0EEENS1_30default_config_static_selectorELNS0_4arch9wavefront6targetE1EEEvT1_
                                        ; -- End function
	.set _ZN7rocprim17ROCPRIM_400000_NS6detail17trampoline_kernelINS0_14default_configENS1_20scan_config_selectorIfEEZZNS1_9scan_implILNS1_25lookback_scan_determinismE0ELb0ELb0ES3_PKfPffZZZN2at6native31launch_logcumsumexp_cuda_kernelERKNSB_10TensorBaseESF_lENKUlvE_clEvENKUlvE0_clEvEUlffE_fEEDaPvRmT3_T4_T5_mT6_P12ihipStream_tbENKUlT_T0_E_clISt17integral_constantIbLb1EESV_IbLb0EEEEDaSR_SS_EUlSR_E_NS1_11comp_targetILNS1_3genE5ELNS1_11target_archE942ELNS1_3gpuE9ELNS1_3repE0EEENS1_30default_config_static_selectorELNS0_4arch9wavefront6targetE1EEEvT1_.num_vgpr, 0
	.set _ZN7rocprim17ROCPRIM_400000_NS6detail17trampoline_kernelINS0_14default_configENS1_20scan_config_selectorIfEEZZNS1_9scan_implILNS1_25lookback_scan_determinismE0ELb0ELb0ES3_PKfPffZZZN2at6native31launch_logcumsumexp_cuda_kernelERKNSB_10TensorBaseESF_lENKUlvE_clEvENKUlvE0_clEvEUlffE_fEEDaPvRmT3_T4_T5_mT6_P12ihipStream_tbENKUlT_T0_E_clISt17integral_constantIbLb1EESV_IbLb0EEEEDaSR_SS_EUlSR_E_NS1_11comp_targetILNS1_3genE5ELNS1_11target_archE942ELNS1_3gpuE9ELNS1_3repE0EEENS1_30default_config_static_selectorELNS0_4arch9wavefront6targetE1EEEvT1_.num_agpr, 0
	.set _ZN7rocprim17ROCPRIM_400000_NS6detail17trampoline_kernelINS0_14default_configENS1_20scan_config_selectorIfEEZZNS1_9scan_implILNS1_25lookback_scan_determinismE0ELb0ELb0ES3_PKfPffZZZN2at6native31launch_logcumsumexp_cuda_kernelERKNSB_10TensorBaseESF_lENKUlvE_clEvENKUlvE0_clEvEUlffE_fEEDaPvRmT3_T4_T5_mT6_P12ihipStream_tbENKUlT_T0_E_clISt17integral_constantIbLb1EESV_IbLb0EEEEDaSR_SS_EUlSR_E_NS1_11comp_targetILNS1_3genE5ELNS1_11target_archE942ELNS1_3gpuE9ELNS1_3repE0EEENS1_30default_config_static_selectorELNS0_4arch9wavefront6targetE1EEEvT1_.numbered_sgpr, 0
	.set _ZN7rocprim17ROCPRIM_400000_NS6detail17trampoline_kernelINS0_14default_configENS1_20scan_config_selectorIfEEZZNS1_9scan_implILNS1_25lookback_scan_determinismE0ELb0ELb0ES3_PKfPffZZZN2at6native31launch_logcumsumexp_cuda_kernelERKNSB_10TensorBaseESF_lENKUlvE_clEvENKUlvE0_clEvEUlffE_fEEDaPvRmT3_T4_T5_mT6_P12ihipStream_tbENKUlT_T0_E_clISt17integral_constantIbLb1EESV_IbLb0EEEEDaSR_SS_EUlSR_E_NS1_11comp_targetILNS1_3genE5ELNS1_11target_archE942ELNS1_3gpuE9ELNS1_3repE0EEENS1_30default_config_static_selectorELNS0_4arch9wavefront6targetE1EEEvT1_.num_named_barrier, 0
	.set _ZN7rocprim17ROCPRIM_400000_NS6detail17trampoline_kernelINS0_14default_configENS1_20scan_config_selectorIfEEZZNS1_9scan_implILNS1_25lookback_scan_determinismE0ELb0ELb0ES3_PKfPffZZZN2at6native31launch_logcumsumexp_cuda_kernelERKNSB_10TensorBaseESF_lENKUlvE_clEvENKUlvE0_clEvEUlffE_fEEDaPvRmT3_T4_T5_mT6_P12ihipStream_tbENKUlT_T0_E_clISt17integral_constantIbLb1EESV_IbLb0EEEEDaSR_SS_EUlSR_E_NS1_11comp_targetILNS1_3genE5ELNS1_11target_archE942ELNS1_3gpuE9ELNS1_3repE0EEENS1_30default_config_static_selectorELNS0_4arch9wavefront6targetE1EEEvT1_.private_seg_size, 0
	.set _ZN7rocprim17ROCPRIM_400000_NS6detail17trampoline_kernelINS0_14default_configENS1_20scan_config_selectorIfEEZZNS1_9scan_implILNS1_25lookback_scan_determinismE0ELb0ELb0ES3_PKfPffZZZN2at6native31launch_logcumsumexp_cuda_kernelERKNSB_10TensorBaseESF_lENKUlvE_clEvENKUlvE0_clEvEUlffE_fEEDaPvRmT3_T4_T5_mT6_P12ihipStream_tbENKUlT_T0_E_clISt17integral_constantIbLb1EESV_IbLb0EEEEDaSR_SS_EUlSR_E_NS1_11comp_targetILNS1_3genE5ELNS1_11target_archE942ELNS1_3gpuE9ELNS1_3repE0EEENS1_30default_config_static_selectorELNS0_4arch9wavefront6targetE1EEEvT1_.uses_vcc, 0
	.set _ZN7rocprim17ROCPRIM_400000_NS6detail17trampoline_kernelINS0_14default_configENS1_20scan_config_selectorIfEEZZNS1_9scan_implILNS1_25lookback_scan_determinismE0ELb0ELb0ES3_PKfPffZZZN2at6native31launch_logcumsumexp_cuda_kernelERKNSB_10TensorBaseESF_lENKUlvE_clEvENKUlvE0_clEvEUlffE_fEEDaPvRmT3_T4_T5_mT6_P12ihipStream_tbENKUlT_T0_E_clISt17integral_constantIbLb1EESV_IbLb0EEEEDaSR_SS_EUlSR_E_NS1_11comp_targetILNS1_3genE5ELNS1_11target_archE942ELNS1_3gpuE9ELNS1_3repE0EEENS1_30default_config_static_selectorELNS0_4arch9wavefront6targetE1EEEvT1_.uses_flat_scratch, 0
	.set _ZN7rocprim17ROCPRIM_400000_NS6detail17trampoline_kernelINS0_14default_configENS1_20scan_config_selectorIfEEZZNS1_9scan_implILNS1_25lookback_scan_determinismE0ELb0ELb0ES3_PKfPffZZZN2at6native31launch_logcumsumexp_cuda_kernelERKNSB_10TensorBaseESF_lENKUlvE_clEvENKUlvE0_clEvEUlffE_fEEDaPvRmT3_T4_T5_mT6_P12ihipStream_tbENKUlT_T0_E_clISt17integral_constantIbLb1EESV_IbLb0EEEEDaSR_SS_EUlSR_E_NS1_11comp_targetILNS1_3genE5ELNS1_11target_archE942ELNS1_3gpuE9ELNS1_3repE0EEENS1_30default_config_static_selectorELNS0_4arch9wavefront6targetE1EEEvT1_.has_dyn_sized_stack, 0
	.set _ZN7rocprim17ROCPRIM_400000_NS6detail17trampoline_kernelINS0_14default_configENS1_20scan_config_selectorIfEEZZNS1_9scan_implILNS1_25lookback_scan_determinismE0ELb0ELb0ES3_PKfPffZZZN2at6native31launch_logcumsumexp_cuda_kernelERKNSB_10TensorBaseESF_lENKUlvE_clEvENKUlvE0_clEvEUlffE_fEEDaPvRmT3_T4_T5_mT6_P12ihipStream_tbENKUlT_T0_E_clISt17integral_constantIbLb1EESV_IbLb0EEEEDaSR_SS_EUlSR_E_NS1_11comp_targetILNS1_3genE5ELNS1_11target_archE942ELNS1_3gpuE9ELNS1_3repE0EEENS1_30default_config_static_selectorELNS0_4arch9wavefront6targetE1EEEvT1_.has_recursion, 0
	.set _ZN7rocprim17ROCPRIM_400000_NS6detail17trampoline_kernelINS0_14default_configENS1_20scan_config_selectorIfEEZZNS1_9scan_implILNS1_25lookback_scan_determinismE0ELb0ELb0ES3_PKfPffZZZN2at6native31launch_logcumsumexp_cuda_kernelERKNSB_10TensorBaseESF_lENKUlvE_clEvENKUlvE0_clEvEUlffE_fEEDaPvRmT3_T4_T5_mT6_P12ihipStream_tbENKUlT_T0_E_clISt17integral_constantIbLb1EESV_IbLb0EEEEDaSR_SS_EUlSR_E_NS1_11comp_targetILNS1_3genE5ELNS1_11target_archE942ELNS1_3gpuE9ELNS1_3repE0EEENS1_30default_config_static_selectorELNS0_4arch9wavefront6targetE1EEEvT1_.has_indirect_call, 0
	.section	.AMDGPU.csdata,"",@progbits
; Kernel info:
; codeLenInByte = 0
; TotalNumSgprs: 4
; NumVgprs: 0
; ScratchSize: 0
; MemoryBound: 0
; FloatMode: 240
; IeeeMode: 1
; LDSByteSize: 0 bytes/workgroup (compile time only)
; SGPRBlocks: 0
; VGPRBlocks: 0
; NumSGPRsForWavesPerEU: 4
; NumVGPRsForWavesPerEU: 1
; Occupancy: 10
; WaveLimiterHint : 0
; COMPUTE_PGM_RSRC2:SCRATCH_EN: 0
; COMPUTE_PGM_RSRC2:USER_SGPR: 6
; COMPUTE_PGM_RSRC2:TRAP_HANDLER: 0
; COMPUTE_PGM_RSRC2:TGID_X_EN: 1
; COMPUTE_PGM_RSRC2:TGID_Y_EN: 0
; COMPUTE_PGM_RSRC2:TGID_Z_EN: 0
; COMPUTE_PGM_RSRC2:TIDIG_COMP_CNT: 0
	.section	.text._ZN7rocprim17ROCPRIM_400000_NS6detail17trampoline_kernelINS0_14default_configENS1_20scan_config_selectorIfEEZZNS1_9scan_implILNS1_25lookback_scan_determinismE0ELb0ELb0ES3_PKfPffZZZN2at6native31launch_logcumsumexp_cuda_kernelERKNSB_10TensorBaseESF_lENKUlvE_clEvENKUlvE0_clEvEUlffE_fEEDaPvRmT3_T4_T5_mT6_P12ihipStream_tbENKUlT_T0_E_clISt17integral_constantIbLb1EESV_IbLb0EEEEDaSR_SS_EUlSR_E_NS1_11comp_targetILNS1_3genE4ELNS1_11target_archE910ELNS1_3gpuE8ELNS1_3repE0EEENS1_30default_config_static_selectorELNS0_4arch9wavefront6targetE1EEEvT1_,"axG",@progbits,_ZN7rocprim17ROCPRIM_400000_NS6detail17trampoline_kernelINS0_14default_configENS1_20scan_config_selectorIfEEZZNS1_9scan_implILNS1_25lookback_scan_determinismE0ELb0ELb0ES3_PKfPffZZZN2at6native31launch_logcumsumexp_cuda_kernelERKNSB_10TensorBaseESF_lENKUlvE_clEvENKUlvE0_clEvEUlffE_fEEDaPvRmT3_T4_T5_mT6_P12ihipStream_tbENKUlT_T0_E_clISt17integral_constantIbLb1EESV_IbLb0EEEEDaSR_SS_EUlSR_E_NS1_11comp_targetILNS1_3genE4ELNS1_11target_archE910ELNS1_3gpuE8ELNS1_3repE0EEENS1_30default_config_static_selectorELNS0_4arch9wavefront6targetE1EEEvT1_,comdat
	.globl	_ZN7rocprim17ROCPRIM_400000_NS6detail17trampoline_kernelINS0_14default_configENS1_20scan_config_selectorIfEEZZNS1_9scan_implILNS1_25lookback_scan_determinismE0ELb0ELb0ES3_PKfPffZZZN2at6native31launch_logcumsumexp_cuda_kernelERKNSB_10TensorBaseESF_lENKUlvE_clEvENKUlvE0_clEvEUlffE_fEEDaPvRmT3_T4_T5_mT6_P12ihipStream_tbENKUlT_T0_E_clISt17integral_constantIbLb1EESV_IbLb0EEEEDaSR_SS_EUlSR_E_NS1_11comp_targetILNS1_3genE4ELNS1_11target_archE910ELNS1_3gpuE8ELNS1_3repE0EEENS1_30default_config_static_selectorELNS0_4arch9wavefront6targetE1EEEvT1_ ; -- Begin function _ZN7rocprim17ROCPRIM_400000_NS6detail17trampoline_kernelINS0_14default_configENS1_20scan_config_selectorIfEEZZNS1_9scan_implILNS1_25lookback_scan_determinismE0ELb0ELb0ES3_PKfPffZZZN2at6native31launch_logcumsumexp_cuda_kernelERKNSB_10TensorBaseESF_lENKUlvE_clEvENKUlvE0_clEvEUlffE_fEEDaPvRmT3_T4_T5_mT6_P12ihipStream_tbENKUlT_T0_E_clISt17integral_constantIbLb1EESV_IbLb0EEEEDaSR_SS_EUlSR_E_NS1_11comp_targetILNS1_3genE4ELNS1_11target_archE910ELNS1_3gpuE8ELNS1_3repE0EEENS1_30default_config_static_selectorELNS0_4arch9wavefront6targetE1EEEvT1_
	.p2align	8
	.type	_ZN7rocprim17ROCPRIM_400000_NS6detail17trampoline_kernelINS0_14default_configENS1_20scan_config_selectorIfEEZZNS1_9scan_implILNS1_25lookback_scan_determinismE0ELb0ELb0ES3_PKfPffZZZN2at6native31launch_logcumsumexp_cuda_kernelERKNSB_10TensorBaseESF_lENKUlvE_clEvENKUlvE0_clEvEUlffE_fEEDaPvRmT3_T4_T5_mT6_P12ihipStream_tbENKUlT_T0_E_clISt17integral_constantIbLb1EESV_IbLb0EEEEDaSR_SS_EUlSR_E_NS1_11comp_targetILNS1_3genE4ELNS1_11target_archE910ELNS1_3gpuE8ELNS1_3repE0EEENS1_30default_config_static_selectorELNS0_4arch9wavefront6targetE1EEEvT1_,@function
_ZN7rocprim17ROCPRIM_400000_NS6detail17trampoline_kernelINS0_14default_configENS1_20scan_config_selectorIfEEZZNS1_9scan_implILNS1_25lookback_scan_determinismE0ELb0ELb0ES3_PKfPffZZZN2at6native31launch_logcumsumexp_cuda_kernelERKNSB_10TensorBaseESF_lENKUlvE_clEvENKUlvE0_clEvEUlffE_fEEDaPvRmT3_T4_T5_mT6_P12ihipStream_tbENKUlT_T0_E_clISt17integral_constantIbLb1EESV_IbLb0EEEEDaSR_SS_EUlSR_E_NS1_11comp_targetILNS1_3genE4ELNS1_11target_archE910ELNS1_3gpuE8ELNS1_3repE0EEENS1_30default_config_static_selectorELNS0_4arch9wavefront6targetE1EEEvT1_: ; @_ZN7rocprim17ROCPRIM_400000_NS6detail17trampoline_kernelINS0_14default_configENS1_20scan_config_selectorIfEEZZNS1_9scan_implILNS1_25lookback_scan_determinismE0ELb0ELb0ES3_PKfPffZZZN2at6native31launch_logcumsumexp_cuda_kernelERKNSB_10TensorBaseESF_lENKUlvE_clEvENKUlvE0_clEvEUlffE_fEEDaPvRmT3_T4_T5_mT6_P12ihipStream_tbENKUlT_T0_E_clISt17integral_constantIbLb1EESV_IbLb0EEEEDaSR_SS_EUlSR_E_NS1_11comp_targetILNS1_3genE4ELNS1_11target_archE910ELNS1_3gpuE8ELNS1_3repE0EEENS1_30default_config_static_selectorELNS0_4arch9wavefront6targetE1EEEvT1_
; %bb.0:
	.section	.rodata,"a",@progbits
	.p2align	6, 0x0
	.amdhsa_kernel _ZN7rocprim17ROCPRIM_400000_NS6detail17trampoline_kernelINS0_14default_configENS1_20scan_config_selectorIfEEZZNS1_9scan_implILNS1_25lookback_scan_determinismE0ELb0ELb0ES3_PKfPffZZZN2at6native31launch_logcumsumexp_cuda_kernelERKNSB_10TensorBaseESF_lENKUlvE_clEvENKUlvE0_clEvEUlffE_fEEDaPvRmT3_T4_T5_mT6_P12ihipStream_tbENKUlT_T0_E_clISt17integral_constantIbLb1EESV_IbLb0EEEEDaSR_SS_EUlSR_E_NS1_11comp_targetILNS1_3genE4ELNS1_11target_archE910ELNS1_3gpuE8ELNS1_3repE0EEENS1_30default_config_static_selectorELNS0_4arch9wavefront6targetE1EEEvT1_
		.amdhsa_group_segment_fixed_size 0
		.amdhsa_private_segment_fixed_size 0
		.amdhsa_kernarg_size 96
		.amdhsa_user_sgpr_count 6
		.amdhsa_user_sgpr_private_segment_buffer 1
		.amdhsa_user_sgpr_dispatch_ptr 0
		.amdhsa_user_sgpr_queue_ptr 0
		.amdhsa_user_sgpr_kernarg_segment_ptr 1
		.amdhsa_user_sgpr_dispatch_id 0
		.amdhsa_user_sgpr_flat_scratch_init 0
		.amdhsa_user_sgpr_private_segment_size 0
		.amdhsa_uses_dynamic_stack 0
		.amdhsa_system_sgpr_private_segment_wavefront_offset 0
		.amdhsa_system_sgpr_workgroup_id_x 1
		.amdhsa_system_sgpr_workgroup_id_y 0
		.amdhsa_system_sgpr_workgroup_id_z 0
		.amdhsa_system_sgpr_workgroup_info 0
		.amdhsa_system_vgpr_workitem_id 0
		.amdhsa_next_free_vgpr 1
		.amdhsa_next_free_sgpr 0
		.amdhsa_reserve_vcc 0
		.amdhsa_reserve_flat_scratch 0
		.amdhsa_float_round_mode_32 0
		.amdhsa_float_round_mode_16_64 0
		.amdhsa_float_denorm_mode_32 3
		.amdhsa_float_denorm_mode_16_64 3
		.amdhsa_dx10_clamp 1
		.amdhsa_ieee_mode 1
		.amdhsa_fp16_overflow 0
		.amdhsa_exception_fp_ieee_invalid_op 0
		.amdhsa_exception_fp_denorm_src 0
		.amdhsa_exception_fp_ieee_div_zero 0
		.amdhsa_exception_fp_ieee_overflow 0
		.amdhsa_exception_fp_ieee_underflow 0
		.amdhsa_exception_fp_ieee_inexact 0
		.amdhsa_exception_int_div_zero 0
	.end_amdhsa_kernel
	.section	.text._ZN7rocprim17ROCPRIM_400000_NS6detail17trampoline_kernelINS0_14default_configENS1_20scan_config_selectorIfEEZZNS1_9scan_implILNS1_25lookback_scan_determinismE0ELb0ELb0ES3_PKfPffZZZN2at6native31launch_logcumsumexp_cuda_kernelERKNSB_10TensorBaseESF_lENKUlvE_clEvENKUlvE0_clEvEUlffE_fEEDaPvRmT3_T4_T5_mT6_P12ihipStream_tbENKUlT_T0_E_clISt17integral_constantIbLb1EESV_IbLb0EEEEDaSR_SS_EUlSR_E_NS1_11comp_targetILNS1_3genE4ELNS1_11target_archE910ELNS1_3gpuE8ELNS1_3repE0EEENS1_30default_config_static_selectorELNS0_4arch9wavefront6targetE1EEEvT1_,"axG",@progbits,_ZN7rocprim17ROCPRIM_400000_NS6detail17trampoline_kernelINS0_14default_configENS1_20scan_config_selectorIfEEZZNS1_9scan_implILNS1_25lookback_scan_determinismE0ELb0ELb0ES3_PKfPffZZZN2at6native31launch_logcumsumexp_cuda_kernelERKNSB_10TensorBaseESF_lENKUlvE_clEvENKUlvE0_clEvEUlffE_fEEDaPvRmT3_T4_T5_mT6_P12ihipStream_tbENKUlT_T0_E_clISt17integral_constantIbLb1EESV_IbLb0EEEEDaSR_SS_EUlSR_E_NS1_11comp_targetILNS1_3genE4ELNS1_11target_archE910ELNS1_3gpuE8ELNS1_3repE0EEENS1_30default_config_static_selectorELNS0_4arch9wavefront6targetE1EEEvT1_,comdat
.Lfunc_end136:
	.size	_ZN7rocprim17ROCPRIM_400000_NS6detail17trampoline_kernelINS0_14default_configENS1_20scan_config_selectorIfEEZZNS1_9scan_implILNS1_25lookback_scan_determinismE0ELb0ELb0ES3_PKfPffZZZN2at6native31launch_logcumsumexp_cuda_kernelERKNSB_10TensorBaseESF_lENKUlvE_clEvENKUlvE0_clEvEUlffE_fEEDaPvRmT3_T4_T5_mT6_P12ihipStream_tbENKUlT_T0_E_clISt17integral_constantIbLb1EESV_IbLb0EEEEDaSR_SS_EUlSR_E_NS1_11comp_targetILNS1_3genE4ELNS1_11target_archE910ELNS1_3gpuE8ELNS1_3repE0EEENS1_30default_config_static_selectorELNS0_4arch9wavefront6targetE1EEEvT1_, .Lfunc_end136-_ZN7rocprim17ROCPRIM_400000_NS6detail17trampoline_kernelINS0_14default_configENS1_20scan_config_selectorIfEEZZNS1_9scan_implILNS1_25lookback_scan_determinismE0ELb0ELb0ES3_PKfPffZZZN2at6native31launch_logcumsumexp_cuda_kernelERKNSB_10TensorBaseESF_lENKUlvE_clEvENKUlvE0_clEvEUlffE_fEEDaPvRmT3_T4_T5_mT6_P12ihipStream_tbENKUlT_T0_E_clISt17integral_constantIbLb1EESV_IbLb0EEEEDaSR_SS_EUlSR_E_NS1_11comp_targetILNS1_3genE4ELNS1_11target_archE910ELNS1_3gpuE8ELNS1_3repE0EEENS1_30default_config_static_selectorELNS0_4arch9wavefront6targetE1EEEvT1_
                                        ; -- End function
	.set _ZN7rocprim17ROCPRIM_400000_NS6detail17trampoline_kernelINS0_14default_configENS1_20scan_config_selectorIfEEZZNS1_9scan_implILNS1_25lookback_scan_determinismE0ELb0ELb0ES3_PKfPffZZZN2at6native31launch_logcumsumexp_cuda_kernelERKNSB_10TensorBaseESF_lENKUlvE_clEvENKUlvE0_clEvEUlffE_fEEDaPvRmT3_T4_T5_mT6_P12ihipStream_tbENKUlT_T0_E_clISt17integral_constantIbLb1EESV_IbLb0EEEEDaSR_SS_EUlSR_E_NS1_11comp_targetILNS1_3genE4ELNS1_11target_archE910ELNS1_3gpuE8ELNS1_3repE0EEENS1_30default_config_static_selectorELNS0_4arch9wavefront6targetE1EEEvT1_.num_vgpr, 0
	.set _ZN7rocprim17ROCPRIM_400000_NS6detail17trampoline_kernelINS0_14default_configENS1_20scan_config_selectorIfEEZZNS1_9scan_implILNS1_25lookback_scan_determinismE0ELb0ELb0ES3_PKfPffZZZN2at6native31launch_logcumsumexp_cuda_kernelERKNSB_10TensorBaseESF_lENKUlvE_clEvENKUlvE0_clEvEUlffE_fEEDaPvRmT3_T4_T5_mT6_P12ihipStream_tbENKUlT_T0_E_clISt17integral_constantIbLb1EESV_IbLb0EEEEDaSR_SS_EUlSR_E_NS1_11comp_targetILNS1_3genE4ELNS1_11target_archE910ELNS1_3gpuE8ELNS1_3repE0EEENS1_30default_config_static_selectorELNS0_4arch9wavefront6targetE1EEEvT1_.num_agpr, 0
	.set _ZN7rocprim17ROCPRIM_400000_NS6detail17trampoline_kernelINS0_14default_configENS1_20scan_config_selectorIfEEZZNS1_9scan_implILNS1_25lookback_scan_determinismE0ELb0ELb0ES3_PKfPffZZZN2at6native31launch_logcumsumexp_cuda_kernelERKNSB_10TensorBaseESF_lENKUlvE_clEvENKUlvE0_clEvEUlffE_fEEDaPvRmT3_T4_T5_mT6_P12ihipStream_tbENKUlT_T0_E_clISt17integral_constantIbLb1EESV_IbLb0EEEEDaSR_SS_EUlSR_E_NS1_11comp_targetILNS1_3genE4ELNS1_11target_archE910ELNS1_3gpuE8ELNS1_3repE0EEENS1_30default_config_static_selectorELNS0_4arch9wavefront6targetE1EEEvT1_.numbered_sgpr, 0
	.set _ZN7rocprim17ROCPRIM_400000_NS6detail17trampoline_kernelINS0_14default_configENS1_20scan_config_selectorIfEEZZNS1_9scan_implILNS1_25lookback_scan_determinismE0ELb0ELb0ES3_PKfPffZZZN2at6native31launch_logcumsumexp_cuda_kernelERKNSB_10TensorBaseESF_lENKUlvE_clEvENKUlvE0_clEvEUlffE_fEEDaPvRmT3_T4_T5_mT6_P12ihipStream_tbENKUlT_T0_E_clISt17integral_constantIbLb1EESV_IbLb0EEEEDaSR_SS_EUlSR_E_NS1_11comp_targetILNS1_3genE4ELNS1_11target_archE910ELNS1_3gpuE8ELNS1_3repE0EEENS1_30default_config_static_selectorELNS0_4arch9wavefront6targetE1EEEvT1_.num_named_barrier, 0
	.set _ZN7rocprim17ROCPRIM_400000_NS6detail17trampoline_kernelINS0_14default_configENS1_20scan_config_selectorIfEEZZNS1_9scan_implILNS1_25lookback_scan_determinismE0ELb0ELb0ES3_PKfPffZZZN2at6native31launch_logcumsumexp_cuda_kernelERKNSB_10TensorBaseESF_lENKUlvE_clEvENKUlvE0_clEvEUlffE_fEEDaPvRmT3_T4_T5_mT6_P12ihipStream_tbENKUlT_T0_E_clISt17integral_constantIbLb1EESV_IbLb0EEEEDaSR_SS_EUlSR_E_NS1_11comp_targetILNS1_3genE4ELNS1_11target_archE910ELNS1_3gpuE8ELNS1_3repE0EEENS1_30default_config_static_selectorELNS0_4arch9wavefront6targetE1EEEvT1_.private_seg_size, 0
	.set _ZN7rocprim17ROCPRIM_400000_NS6detail17trampoline_kernelINS0_14default_configENS1_20scan_config_selectorIfEEZZNS1_9scan_implILNS1_25lookback_scan_determinismE0ELb0ELb0ES3_PKfPffZZZN2at6native31launch_logcumsumexp_cuda_kernelERKNSB_10TensorBaseESF_lENKUlvE_clEvENKUlvE0_clEvEUlffE_fEEDaPvRmT3_T4_T5_mT6_P12ihipStream_tbENKUlT_T0_E_clISt17integral_constantIbLb1EESV_IbLb0EEEEDaSR_SS_EUlSR_E_NS1_11comp_targetILNS1_3genE4ELNS1_11target_archE910ELNS1_3gpuE8ELNS1_3repE0EEENS1_30default_config_static_selectorELNS0_4arch9wavefront6targetE1EEEvT1_.uses_vcc, 0
	.set _ZN7rocprim17ROCPRIM_400000_NS6detail17trampoline_kernelINS0_14default_configENS1_20scan_config_selectorIfEEZZNS1_9scan_implILNS1_25lookback_scan_determinismE0ELb0ELb0ES3_PKfPffZZZN2at6native31launch_logcumsumexp_cuda_kernelERKNSB_10TensorBaseESF_lENKUlvE_clEvENKUlvE0_clEvEUlffE_fEEDaPvRmT3_T4_T5_mT6_P12ihipStream_tbENKUlT_T0_E_clISt17integral_constantIbLb1EESV_IbLb0EEEEDaSR_SS_EUlSR_E_NS1_11comp_targetILNS1_3genE4ELNS1_11target_archE910ELNS1_3gpuE8ELNS1_3repE0EEENS1_30default_config_static_selectorELNS0_4arch9wavefront6targetE1EEEvT1_.uses_flat_scratch, 0
	.set _ZN7rocprim17ROCPRIM_400000_NS6detail17trampoline_kernelINS0_14default_configENS1_20scan_config_selectorIfEEZZNS1_9scan_implILNS1_25lookback_scan_determinismE0ELb0ELb0ES3_PKfPffZZZN2at6native31launch_logcumsumexp_cuda_kernelERKNSB_10TensorBaseESF_lENKUlvE_clEvENKUlvE0_clEvEUlffE_fEEDaPvRmT3_T4_T5_mT6_P12ihipStream_tbENKUlT_T0_E_clISt17integral_constantIbLb1EESV_IbLb0EEEEDaSR_SS_EUlSR_E_NS1_11comp_targetILNS1_3genE4ELNS1_11target_archE910ELNS1_3gpuE8ELNS1_3repE0EEENS1_30default_config_static_selectorELNS0_4arch9wavefront6targetE1EEEvT1_.has_dyn_sized_stack, 0
	.set _ZN7rocprim17ROCPRIM_400000_NS6detail17trampoline_kernelINS0_14default_configENS1_20scan_config_selectorIfEEZZNS1_9scan_implILNS1_25lookback_scan_determinismE0ELb0ELb0ES3_PKfPffZZZN2at6native31launch_logcumsumexp_cuda_kernelERKNSB_10TensorBaseESF_lENKUlvE_clEvENKUlvE0_clEvEUlffE_fEEDaPvRmT3_T4_T5_mT6_P12ihipStream_tbENKUlT_T0_E_clISt17integral_constantIbLb1EESV_IbLb0EEEEDaSR_SS_EUlSR_E_NS1_11comp_targetILNS1_3genE4ELNS1_11target_archE910ELNS1_3gpuE8ELNS1_3repE0EEENS1_30default_config_static_selectorELNS0_4arch9wavefront6targetE1EEEvT1_.has_recursion, 0
	.set _ZN7rocprim17ROCPRIM_400000_NS6detail17trampoline_kernelINS0_14default_configENS1_20scan_config_selectorIfEEZZNS1_9scan_implILNS1_25lookback_scan_determinismE0ELb0ELb0ES3_PKfPffZZZN2at6native31launch_logcumsumexp_cuda_kernelERKNSB_10TensorBaseESF_lENKUlvE_clEvENKUlvE0_clEvEUlffE_fEEDaPvRmT3_T4_T5_mT6_P12ihipStream_tbENKUlT_T0_E_clISt17integral_constantIbLb1EESV_IbLb0EEEEDaSR_SS_EUlSR_E_NS1_11comp_targetILNS1_3genE4ELNS1_11target_archE910ELNS1_3gpuE8ELNS1_3repE0EEENS1_30default_config_static_selectorELNS0_4arch9wavefront6targetE1EEEvT1_.has_indirect_call, 0
	.section	.AMDGPU.csdata,"",@progbits
; Kernel info:
; codeLenInByte = 0
; TotalNumSgprs: 4
; NumVgprs: 0
; ScratchSize: 0
; MemoryBound: 0
; FloatMode: 240
; IeeeMode: 1
; LDSByteSize: 0 bytes/workgroup (compile time only)
; SGPRBlocks: 0
; VGPRBlocks: 0
; NumSGPRsForWavesPerEU: 4
; NumVGPRsForWavesPerEU: 1
; Occupancy: 10
; WaveLimiterHint : 0
; COMPUTE_PGM_RSRC2:SCRATCH_EN: 0
; COMPUTE_PGM_RSRC2:USER_SGPR: 6
; COMPUTE_PGM_RSRC2:TRAP_HANDLER: 0
; COMPUTE_PGM_RSRC2:TGID_X_EN: 1
; COMPUTE_PGM_RSRC2:TGID_Y_EN: 0
; COMPUTE_PGM_RSRC2:TGID_Z_EN: 0
; COMPUTE_PGM_RSRC2:TIDIG_COMP_CNT: 0
	.section	.text._ZN7rocprim17ROCPRIM_400000_NS6detail17trampoline_kernelINS0_14default_configENS1_20scan_config_selectorIfEEZZNS1_9scan_implILNS1_25lookback_scan_determinismE0ELb0ELb0ES3_PKfPffZZZN2at6native31launch_logcumsumexp_cuda_kernelERKNSB_10TensorBaseESF_lENKUlvE_clEvENKUlvE0_clEvEUlffE_fEEDaPvRmT3_T4_T5_mT6_P12ihipStream_tbENKUlT_T0_E_clISt17integral_constantIbLb1EESV_IbLb0EEEEDaSR_SS_EUlSR_E_NS1_11comp_targetILNS1_3genE3ELNS1_11target_archE908ELNS1_3gpuE7ELNS1_3repE0EEENS1_30default_config_static_selectorELNS0_4arch9wavefront6targetE1EEEvT1_,"axG",@progbits,_ZN7rocprim17ROCPRIM_400000_NS6detail17trampoline_kernelINS0_14default_configENS1_20scan_config_selectorIfEEZZNS1_9scan_implILNS1_25lookback_scan_determinismE0ELb0ELb0ES3_PKfPffZZZN2at6native31launch_logcumsumexp_cuda_kernelERKNSB_10TensorBaseESF_lENKUlvE_clEvENKUlvE0_clEvEUlffE_fEEDaPvRmT3_T4_T5_mT6_P12ihipStream_tbENKUlT_T0_E_clISt17integral_constantIbLb1EESV_IbLb0EEEEDaSR_SS_EUlSR_E_NS1_11comp_targetILNS1_3genE3ELNS1_11target_archE908ELNS1_3gpuE7ELNS1_3repE0EEENS1_30default_config_static_selectorELNS0_4arch9wavefront6targetE1EEEvT1_,comdat
	.globl	_ZN7rocprim17ROCPRIM_400000_NS6detail17trampoline_kernelINS0_14default_configENS1_20scan_config_selectorIfEEZZNS1_9scan_implILNS1_25lookback_scan_determinismE0ELb0ELb0ES3_PKfPffZZZN2at6native31launch_logcumsumexp_cuda_kernelERKNSB_10TensorBaseESF_lENKUlvE_clEvENKUlvE0_clEvEUlffE_fEEDaPvRmT3_T4_T5_mT6_P12ihipStream_tbENKUlT_T0_E_clISt17integral_constantIbLb1EESV_IbLb0EEEEDaSR_SS_EUlSR_E_NS1_11comp_targetILNS1_3genE3ELNS1_11target_archE908ELNS1_3gpuE7ELNS1_3repE0EEENS1_30default_config_static_selectorELNS0_4arch9wavefront6targetE1EEEvT1_ ; -- Begin function _ZN7rocprim17ROCPRIM_400000_NS6detail17trampoline_kernelINS0_14default_configENS1_20scan_config_selectorIfEEZZNS1_9scan_implILNS1_25lookback_scan_determinismE0ELb0ELb0ES3_PKfPffZZZN2at6native31launch_logcumsumexp_cuda_kernelERKNSB_10TensorBaseESF_lENKUlvE_clEvENKUlvE0_clEvEUlffE_fEEDaPvRmT3_T4_T5_mT6_P12ihipStream_tbENKUlT_T0_E_clISt17integral_constantIbLb1EESV_IbLb0EEEEDaSR_SS_EUlSR_E_NS1_11comp_targetILNS1_3genE3ELNS1_11target_archE908ELNS1_3gpuE7ELNS1_3repE0EEENS1_30default_config_static_selectorELNS0_4arch9wavefront6targetE1EEEvT1_
	.p2align	8
	.type	_ZN7rocprim17ROCPRIM_400000_NS6detail17trampoline_kernelINS0_14default_configENS1_20scan_config_selectorIfEEZZNS1_9scan_implILNS1_25lookback_scan_determinismE0ELb0ELb0ES3_PKfPffZZZN2at6native31launch_logcumsumexp_cuda_kernelERKNSB_10TensorBaseESF_lENKUlvE_clEvENKUlvE0_clEvEUlffE_fEEDaPvRmT3_T4_T5_mT6_P12ihipStream_tbENKUlT_T0_E_clISt17integral_constantIbLb1EESV_IbLb0EEEEDaSR_SS_EUlSR_E_NS1_11comp_targetILNS1_3genE3ELNS1_11target_archE908ELNS1_3gpuE7ELNS1_3repE0EEENS1_30default_config_static_selectorELNS0_4arch9wavefront6targetE1EEEvT1_,@function
_ZN7rocprim17ROCPRIM_400000_NS6detail17trampoline_kernelINS0_14default_configENS1_20scan_config_selectorIfEEZZNS1_9scan_implILNS1_25lookback_scan_determinismE0ELb0ELb0ES3_PKfPffZZZN2at6native31launch_logcumsumexp_cuda_kernelERKNSB_10TensorBaseESF_lENKUlvE_clEvENKUlvE0_clEvEUlffE_fEEDaPvRmT3_T4_T5_mT6_P12ihipStream_tbENKUlT_T0_E_clISt17integral_constantIbLb1EESV_IbLb0EEEEDaSR_SS_EUlSR_E_NS1_11comp_targetILNS1_3genE3ELNS1_11target_archE908ELNS1_3gpuE7ELNS1_3repE0EEENS1_30default_config_static_selectorELNS0_4arch9wavefront6targetE1EEEvT1_: ; @_ZN7rocprim17ROCPRIM_400000_NS6detail17trampoline_kernelINS0_14default_configENS1_20scan_config_selectorIfEEZZNS1_9scan_implILNS1_25lookback_scan_determinismE0ELb0ELb0ES3_PKfPffZZZN2at6native31launch_logcumsumexp_cuda_kernelERKNSB_10TensorBaseESF_lENKUlvE_clEvENKUlvE0_clEvEUlffE_fEEDaPvRmT3_T4_T5_mT6_P12ihipStream_tbENKUlT_T0_E_clISt17integral_constantIbLb1EESV_IbLb0EEEEDaSR_SS_EUlSR_E_NS1_11comp_targetILNS1_3genE3ELNS1_11target_archE908ELNS1_3gpuE7ELNS1_3repE0EEENS1_30default_config_static_selectorELNS0_4arch9wavefront6targetE1EEEvT1_
; %bb.0:
	.section	.rodata,"a",@progbits
	.p2align	6, 0x0
	.amdhsa_kernel _ZN7rocprim17ROCPRIM_400000_NS6detail17trampoline_kernelINS0_14default_configENS1_20scan_config_selectorIfEEZZNS1_9scan_implILNS1_25lookback_scan_determinismE0ELb0ELb0ES3_PKfPffZZZN2at6native31launch_logcumsumexp_cuda_kernelERKNSB_10TensorBaseESF_lENKUlvE_clEvENKUlvE0_clEvEUlffE_fEEDaPvRmT3_T4_T5_mT6_P12ihipStream_tbENKUlT_T0_E_clISt17integral_constantIbLb1EESV_IbLb0EEEEDaSR_SS_EUlSR_E_NS1_11comp_targetILNS1_3genE3ELNS1_11target_archE908ELNS1_3gpuE7ELNS1_3repE0EEENS1_30default_config_static_selectorELNS0_4arch9wavefront6targetE1EEEvT1_
		.amdhsa_group_segment_fixed_size 0
		.amdhsa_private_segment_fixed_size 0
		.amdhsa_kernarg_size 96
		.amdhsa_user_sgpr_count 6
		.amdhsa_user_sgpr_private_segment_buffer 1
		.amdhsa_user_sgpr_dispatch_ptr 0
		.amdhsa_user_sgpr_queue_ptr 0
		.amdhsa_user_sgpr_kernarg_segment_ptr 1
		.amdhsa_user_sgpr_dispatch_id 0
		.amdhsa_user_sgpr_flat_scratch_init 0
		.amdhsa_user_sgpr_private_segment_size 0
		.amdhsa_uses_dynamic_stack 0
		.amdhsa_system_sgpr_private_segment_wavefront_offset 0
		.amdhsa_system_sgpr_workgroup_id_x 1
		.amdhsa_system_sgpr_workgroup_id_y 0
		.amdhsa_system_sgpr_workgroup_id_z 0
		.amdhsa_system_sgpr_workgroup_info 0
		.amdhsa_system_vgpr_workitem_id 0
		.amdhsa_next_free_vgpr 1
		.amdhsa_next_free_sgpr 0
		.amdhsa_reserve_vcc 0
		.amdhsa_reserve_flat_scratch 0
		.amdhsa_float_round_mode_32 0
		.amdhsa_float_round_mode_16_64 0
		.amdhsa_float_denorm_mode_32 3
		.amdhsa_float_denorm_mode_16_64 3
		.amdhsa_dx10_clamp 1
		.amdhsa_ieee_mode 1
		.amdhsa_fp16_overflow 0
		.amdhsa_exception_fp_ieee_invalid_op 0
		.amdhsa_exception_fp_denorm_src 0
		.amdhsa_exception_fp_ieee_div_zero 0
		.amdhsa_exception_fp_ieee_overflow 0
		.amdhsa_exception_fp_ieee_underflow 0
		.amdhsa_exception_fp_ieee_inexact 0
		.amdhsa_exception_int_div_zero 0
	.end_amdhsa_kernel
	.section	.text._ZN7rocprim17ROCPRIM_400000_NS6detail17trampoline_kernelINS0_14default_configENS1_20scan_config_selectorIfEEZZNS1_9scan_implILNS1_25lookback_scan_determinismE0ELb0ELb0ES3_PKfPffZZZN2at6native31launch_logcumsumexp_cuda_kernelERKNSB_10TensorBaseESF_lENKUlvE_clEvENKUlvE0_clEvEUlffE_fEEDaPvRmT3_T4_T5_mT6_P12ihipStream_tbENKUlT_T0_E_clISt17integral_constantIbLb1EESV_IbLb0EEEEDaSR_SS_EUlSR_E_NS1_11comp_targetILNS1_3genE3ELNS1_11target_archE908ELNS1_3gpuE7ELNS1_3repE0EEENS1_30default_config_static_selectorELNS0_4arch9wavefront6targetE1EEEvT1_,"axG",@progbits,_ZN7rocprim17ROCPRIM_400000_NS6detail17trampoline_kernelINS0_14default_configENS1_20scan_config_selectorIfEEZZNS1_9scan_implILNS1_25lookback_scan_determinismE0ELb0ELb0ES3_PKfPffZZZN2at6native31launch_logcumsumexp_cuda_kernelERKNSB_10TensorBaseESF_lENKUlvE_clEvENKUlvE0_clEvEUlffE_fEEDaPvRmT3_T4_T5_mT6_P12ihipStream_tbENKUlT_T0_E_clISt17integral_constantIbLb1EESV_IbLb0EEEEDaSR_SS_EUlSR_E_NS1_11comp_targetILNS1_3genE3ELNS1_11target_archE908ELNS1_3gpuE7ELNS1_3repE0EEENS1_30default_config_static_selectorELNS0_4arch9wavefront6targetE1EEEvT1_,comdat
.Lfunc_end137:
	.size	_ZN7rocprim17ROCPRIM_400000_NS6detail17trampoline_kernelINS0_14default_configENS1_20scan_config_selectorIfEEZZNS1_9scan_implILNS1_25lookback_scan_determinismE0ELb0ELb0ES3_PKfPffZZZN2at6native31launch_logcumsumexp_cuda_kernelERKNSB_10TensorBaseESF_lENKUlvE_clEvENKUlvE0_clEvEUlffE_fEEDaPvRmT3_T4_T5_mT6_P12ihipStream_tbENKUlT_T0_E_clISt17integral_constantIbLb1EESV_IbLb0EEEEDaSR_SS_EUlSR_E_NS1_11comp_targetILNS1_3genE3ELNS1_11target_archE908ELNS1_3gpuE7ELNS1_3repE0EEENS1_30default_config_static_selectorELNS0_4arch9wavefront6targetE1EEEvT1_, .Lfunc_end137-_ZN7rocprim17ROCPRIM_400000_NS6detail17trampoline_kernelINS0_14default_configENS1_20scan_config_selectorIfEEZZNS1_9scan_implILNS1_25lookback_scan_determinismE0ELb0ELb0ES3_PKfPffZZZN2at6native31launch_logcumsumexp_cuda_kernelERKNSB_10TensorBaseESF_lENKUlvE_clEvENKUlvE0_clEvEUlffE_fEEDaPvRmT3_T4_T5_mT6_P12ihipStream_tbENKUlT_T0_E_clISt17integral_constantIbLb1EESV_IbLb0EEEEDaSR_SS_EUlSR_E_NS1_11comp_targetILNS1_3genE3ELNS1_11target_archE908ELNS1_3gpuE7ELNS1_3repE0EEENS1_30default_config_static_selectorELNS0_4arch9wavefront6targetE1EEEvT1_
                                        ; -- End function
	.set _ZN7rocprim17ROCPRIM_400000_NS6detail17trampoline_kernelINS0_14default_configENS1_20scan_config_selectorIfEEZZNS1_9scan_implILNS1_25lookback_scan_determinismE0ELb0ELb0ES3_PKfPffZZZN2at6native31launch_logcumsumexp_cuda_kernelERKNSB_10TensorBaseESF_lENKUlvE_clEvENKUlvE0_clEvEUlffE_fEEDaPvRmT3_T4_T5_mT6_P12ihipStream_tbENKUlT_T0_E_clISt17integral_constantIbLb1EESV_IbLb0EEEEDaSR_SS_EUlSR_E_NS1_11comp_targetILNS1_3genE3ELNS1_11target_archE908ELNS1_3gpuE7ELNS1_3repE0EEENS1_30default_config_static_selectorELNS0_4arch9wavefront6targetE1EEEvT1_.num_vgpr, 0
	.set _ZN7rocprim17ROCPRIM_400000_NS6detail17trampoline_kernelINS0_14default_configENS1_20scan_config_selectorIfEEZZNS1_9scan_implILNS1_25lookback_scan_determinismE0ELb0ELb0ES3_PKfPffZZZN2at6native31launch_logcumsumexp_cuda_kernelERKNSB_10TensorBaseESF_lENKUlvE_clEvENKUlvE0_clEvEUlffE_fEEDaPvRmT3_T4_T5_mT6_P12ihipStream_tbENKUlT_T0_E_clISt17integral_constantIbLb1EESV_IbLb0EEEEDaSR_SS_EUlSR_E_NS1_11comp_targetILNS1_3genE3ELNS1_11target_archE908ELNS1_3gpuE7ELNS1_3repE0EEENS1_30default_config_static_selectorELNS0_4arch9wavefront6targetE1EEEvT1_.num_agpr, 0
	.set _ZN7rocprim17ROCPRIM_400000_NS6detail17trampoline_kernelINS0_14default_configENS1_20scan_config_selectorIfEEZZNS1_9scan_implILNS1_25lookback_scan_determinismE0ELb0ELb0ES3_PKfPffZZZN2at6native31launch_logcumsumexp_cuda_kernelERKNSB_10TensorBaseESF_lENKUlvE_clEvENKUlvE0_clEvEUlffE_fEEDaPvRmT3_T4_T5_mT6_P12ihipStream_tbENKUlT_T0_E_clISt17integral_constantIbLb1EESV_IbLb0EEEEDaSR_SS_EUlSR_E_NS1_11comp_targetILNS1_3genE3ELNS1_11target_archE908ELNS1_3gpuE7ELNS1_3repE0EEENS1_30default_config_static_selectorELNS0_4arch9wavefront6targetE1EEEvT1_.numbered_sgpr, 0
	.set _ZN7rocprim17ROCPRIM_400000_NS6detail17trampoline_kernelINS0_14default_configENS1_20scan_config_selectorIfEEZZNS1_9scan_implILNS1_25lookback_scan_determinismE0ELb0ELb0ES3_PKfPffZZZN2at6native31launch_logcumsumexp_cuda_kernelERKNSB_10TensorBaseESF_lENKUlvE_clEvENKUlvE0_clEvEUlffE_fEEDaPvRmT3_T4_T5_mT6_P12ihipStream_tbENKUlT_T0_E_clISt17integral_constantIbLb1EESV_IbLb0EEEEDaSR_SS_EUlSR_E_NS1_11comp_targetILNS1_3genE3ELNS1_11target_archE908ELNS1_3gpuE7ELNS1_3repE0EEENS1_30default_config_static_selectorELNS0_4arch9wavefront6targetE1EEEvT1_.num_named_barrier, 0
	.set _ZN7rocprim17ROCPRIM_400000_NS6detail17trampoline_kernelINS0_14default_configENS1_20scan_config_selectorIfEEZZNS1_9scan_implILNS1_25lookback_scan_determinismE0ELb0ELb0ES3_PKfPffZZZN2at6native31launch_logcumsumexp_cuda_kernelERKNSB_10TensorBaseESF_lENKUlvE_clEvENKUlvE0_clEvEUlffE_fEEDaPvRmT3_T4_T5_mT6_P12ihipStream_tbENKUlT_T0_E_clISt17integral_constantIbLb1EESV_IbLb0EEEEDaSR_SS_EUlSR_E_NS1_11comp_targetILNS1_3genE3ELNS1_11target_archE908ELNS1_3gpuE7ELNS1_3repE0EEENS1_30default_config_static_selectorELNS0_4arch9wavefront6targetE1EEEvT1_.private_seg_size, 0
	.set _ZN7rocprim17ROCPRIM_400000_NS6detail17trampoline_kernelINS0_14default_configENS1_20scan_config_selectorIfEEZZNS1_9scan_implILNS1_25lookback_scan_determinismE0ELb0ELb0ES3_PKfPffZZZN2at6native31launch_logcumsumexp_cuda_kernelERKNSB_10TensorBaseESF_lENKUlvE_clEvENKUlvE0_clEvEUlffE_fEEDaPvRmT3_T4_T5_mT6_P12ihipStream_tbENKUlT_T0_E_clISt17integral_constantIbLb1EESV_IbLb0EEEEDaSR_SS_EUlSR_E_NS1_11comp_targetILNS1_3genE3ELNS1_11target_archE908ELNS1_3gpuE7ELNS1_3repE0EEENS1_30default_config_static_selectorELNS0_4arch9wavefront6targetE1EEEvT1_.uses_vcc, 0
	.set _ZN7rocprim17ROCPRIM_400000_NS6detail17trampoline_kernelINS0_14default_configENS1_20scan_config_selectorIfEEZZNS1_9scan_implILNS1_25lookback_scan_determinismE0ELb0ELb0ES3_PKfPffZZZN2at6native31launch_logcumsumexp_cuda_kernelERKNSB_10TensorBaseESF_lENKUlvE_clEvENKUlvE0_clEvEUlffE_fEEDaPvRmT3_T4_T5_mT6_P12ihipStream_tbENKUlT_T0_E_clISt17integral_constantIbLb1EESV_IbLb0EEEEDaSR_SS_EUlSR_E_NS1_11comp_targetILNS1_3genE3ELNS1_11target_archE908ELNS1_3gpuE7ELNS1_3repE0EEENS1_30default_config_static_selectorELNS0_4arch9wavefront6targetE1EEEvT1_.uses_flat_scratch, 0
	.set _ZN7rocprim17ROCPRIM_400000_NS6detail17trampoline_kernelINS0_14default_configENS1_20scan_config_selectorIfEEZZNS1_9scan_implILNS1_25lookback_scan_determinismE0ELb0ELb0ES3_PKfPffZZZN2at6native31launch_logcumsumexp_cuda_kernelERKNSB_10TensorBaseESF_lENKUlvE_clEvENKUlvE0_clEvEUlffE_fEEDaPvRmT3_T4_T5_mT6_P12ihipStream_tbENKUlT_T0_E_clISt17integral_constantIbLb1EESV_IbLb0EEEEDaSR_SS_EUlSR_E_NS1_11comp_targetILNS1_3genE3ELNS1_11target_archE908ELNS1_3gpuE7ELNS1_3repE0EEENS1_30default_config_static_selectorELNS0_4arch9wavefront6targetE1EEEvT1_.has_dyn_sized_stack, 0
	.set _ZN7rocprim17ROCPRIM_400000_NS6detail17trampoline_kernelINS0_14default_configENS1_20scan_config_selectorIfEEZZNS1_9scan_implILNS1_25lookback_scan_determinismE0ELb0ELb0ES3_PKfPffZZZN2at6native31launch_logcumsumexp_cuda_kernelERKNSB_10TensorBaseESF_lENKUlvE_clEvENKUlvE0_clEvEUlffE_fEEDaPvRmT3_T4_T5_mT6_P12ihipStream_tbENKUlT_T0_E_clISt17integral_constantIbLb1EESV_IbLb0EEEEDaSR_SS_EUlSR_E_NS1_11comp_targetILNS1_3genE3ELNS1_11target_archE908ELNS1_3gpuE7ELNS1_3repE0EEENS1_30default_config_static_selectorELNS0_4arch9wavefront6targetE1EEEvT1_.has_recursion, 0
	.set _ZN7rocprim17ROCPRIM_400000_NS6detail17trampoline_kernelINS0_14default_configENS1_20scan_config_selectorIfEEZZNS1_9scan_implILNS1_25lookback_scan_determinismE0ELb0ELb0ES3_PKfPffZZZN2at6native31launch_logcumsumexp_cuda_kernelERKNSB_10TensorBaseESF_lENKUlvE_clEvENKUlvE0_clEvEUlffE_fEEDaPvRmT3_T4_T5_mT6_P12ihipStream_tbENKUlT_T0_E_clISt17integral_constantIbLb1EESV_IbLb0EEEEDaSR_SS_EUlSR_E_NS1_11comp_targetILNS1_3genE3ELNS1_11target_archE908ELNS1_3gpuE7ELNS1_3repE0EEENS1_30default_config_static_selectorELNS0_4arch9wavefront6targetE1EEEvT1_.has_indirect_call, 0
	.section	.AMDGPU.csdata,"",@progbits
; Kernel info:
; codeLenInByte = 0
; TotalNumSgprs: 4
; NumVgprs: 0
; ScratchSize: 0
; MemoryBound: 0
; FloatMode: 240
; IeeeMode: 1
; LDSByteSize: 0 bytes/workgroup (compile time only)
; SGPRBlocks: 0
; VGPRBlocks: 0
; NumSGPRsForWavesPerEU: 4
; NumVGPRsForWavesPerEU: 1
; Occupancy: 10
; WaveLimiterHint : 0
; COMPUTE_PGM_RSRC2:SCRATCH_EN: 0
; COMPUTE_PGM_RSRC2:USER_SGPR: 6
; COMPUTE_PGM_RSRC2:TRAP_HANDLER: 0
; COMPUTE_PGM_RSRC2:TGID_X_EN: 1
; COMPUTE_PGM_RSRC2:TGID_Y_EN: 0
; COMPUTE_PGM_RSRC2:TGID_Z_EN: 0
; COMPUTE_PGM_RSRC2:TIDIG_COMP_CNT: 0
	.section	.text._ZN7rocprim17ROCPRIM_400000_NS6detail17trampoline_kernelINS0_14default_configENS1_20scan_config_selectorIfEEZZNS1_9scan_implILNS1_25lookback_scan_determinismE0ELb0ELb0ES3_PKfPffZZZN2at6native31launch_logcumsumexp_cuda_kernelERKNSB_10TensorBaseESF_lENKUlvE_clEvENKUlvE0_clEvEUlffE_fEEDaPvRmT3_T4_T5_mT6_P12ihipStream_tbENKUlT_T0_E_clISt17integral_constantIbLb1EESV_IbLb0EEEEDaSR_SS_EUlSR_E_NS1_11comp_targetILNS1_3genE2ELNS1_11target_archE906ELNS1_3gpuE6ELNS1_3repE0EEENS1_30default_config_static_selectorELNS0_4arch9wavefront6targetE1EEEvT1_,"axG",@progbits,_ZN7rocprim17ROCPRIM_400000_NS6detail17trampoline_kernelINS0_14default_configENS1_20scan_config_selectorIfEEZZNS1_9scan_implILNS1_25lookback_scan_determinismE0ELb0ELb0ES3_PKfPffZZZN2at6native31launch_logcumsumexp_cuda_kernelERKNSB_10TensorBaseESF_lENKUlvE_clEvENKUlvE0_clEvEUlffE_fEEDaPvRmT3_T4_T5_mT6_P12ihipStream_tbENKUlT_T0_E_clISt17integral_constantIbLb1EESV_IbLb0EEEEDaSR_SS_EUlSR_E_NS1_11comp_targetILNS1_3genE2ELNS1_11target_archE906ELNS1_3gpuE6ELNS1_3repE0EEENS1_30default_config_static_selectorELNS0_4arch9wavefront6targetE1EEEvT1_,comdat
	.globl	_ZN7rocprim17ROCPRIM_400000_NS6detail17trampoline_kernelINS0_14default_configENS1_20scan_config_selectorIfEEZZNS1_9scan_implILNS1_25lookback_scan_determinismE0ELb0ELb0ES3_PKfPffZZZN2at6native31launch_logcumsumexp_cuda_kernelERKNSB_10TensorBaseESF_lENKUlvE_clEvENKUlvE0_clEvEUlffE_fEEDaPvRmT3_T4_T5_mT6_P12ihipStream_tbENKUlT_T0_E_clISt17integral_constantIbLb1EESV_IbLb0EEEEDaSR_SS_EUlSR_E_NS1_11comp_targetILNS1_3genE2ELNS1_11target_archE906ELNS1_3gpuE6ELNS1_3repE0EEENS1_30default_config_static_selectorELNS0_4arch9wavefront6targetE1EEEvT1_ ; -- Begin function _ZN7rocprim17ROCPRIM_400000_NS6detail17trampoline_kernelINS0_14default_configENS1_20scan_config_selectorIfEEZZNS1_9scan_implILNS1_25lookback_scan_determinismE0ELb0ELb0ES3_PKfPffZZZN2at6native31launch_logcumsumexp_cuda_kernelERKNSB_10TensorBaseESF_lENKUlvE_clEvENKUlvE0_clEvEUlffE_fEEDaPvRmT3_T4_T5_mT6_P12ihipStream_tbENKUlT_T0_E_clISt17integral_constantIbLb1EESV_IbLb0EEEEDaSR_SS_EUlSR_E_NS1_11comp_targetILNS1_3genE2ELNS1_11target_archE906ELNS1_3gpuE6ELNS1_3repE0EEENS1_30default_config_static_selectorELNS0_4arch9wavefront6targetE1EEEvT1_
	.p2align	8
	.type	_ZN7rocprim17ROCPRIM_400000_NS6detail17trampoline_kernelINS0_14default_configENS1_20scan_config_selectorIfEEZZNS1_9scan_implILNS1_25lookback_scan_determinismE0ELb0ELb0ES3_PKfPffZZZN2at6native31launch_logcumsumexp_cuda_kernelERKNSB_10TensorBaseESF_lENKUlvE_clEvENKUlvE0_clEvEUlffE_fEEDaPvRmT3_T4_T5_mT6_P12ihipStream_tbENKUlT_T0_E_clISt17integral_constantIbLb1EESV_IbLb0EEEEDaSR_SS_EUlSR_E_NS1_11comp_targetILNS1_3genE2ELNS1_11target_archE906ELNS1_3gpuE6ELNS1_3repE0EEENS1_30default_config_static_selectorELNS0_4arch9wavefront6targetE1EEEvT1_,@function
_ZN7rocprim17ROCPRIM_400000_NS6detail17trampoline_kernelINS0_14default_configENS1_20scan_config_selectorIfEEZZNS1_9scan_implILNS1_25lookback_scan_determinismE0ELb0ELb0ES3_PKfPffZZZN2at6native31launch_logcumsumexp_cuda_kernelERKNSB_10TensorBaseESF_lENKUlvE_clEvENKUlvE0_clEvEUlffE_fEEDaPvRmT3_T4_T5_mT6_P12ihipStream_tbENKUlT_T0_E_clISt17integral_constantIbLb1EESV_IbLb0EEEEDaSR_SS_EUlSR_E_NS1_11comp_targetILNS1_3genE2ELNS1_11target_archE906ELNS1_3gpuE6ELNS1_3repE0EEENS1_30default_config_static_selectorELNS0_4arch9wavefront6targetE1EEEvT1_: ; @_ZN7rocprim17ROCPRIM_400000_NS6detail17trampoline_kernelINS0_14default_configENS1_20scan_config_selectorIfEEZZNS1_9scan_implILNS1_25lookback_scan_determinismE0ELb0ELb0ES3_PKfPffZZZN2at6native31launch_logcumsumexp_cuda_kernelERKNSB_10TensorBaseESF_lENKUlvE_clEvENKUlvE0_clEvEUlffE_fEEDaPvRmT3_T4_T5_mT6_P12ihipStream_tbENKUlT_T0_E_clISt17integral_constantIbLb1EESV_IbLb0EEEEDaSR_SS_EUlSR_E_NS1_11comp_targetILNS1_3genE2ELNS1_11target_archE906ELNS1_3gpuE6ELNS1_3repE0EEENS1_30default_config_static_selectorELNS0_4arch9wavefront6targetE1EEEvT1_
; %bb.0:
	s_endpgm
	.section	.rodata,"a",@progbits
	.p2align	6, 0x0
	.amdhsa_kernel _ZN7rocprim17ROCPRIM_400000_NS6detail17trampoline_kernelINS0_14default_configENS1_20scan_config_selectorIfEEZZNS1_9scan_implILNS1_25lookback_scan_determinismE0ELb0ELb0ES3_PKfPffZZZN2at6native31launch_logcumsumexp_cuda_kernelERKNSB_10TensorBaseESF_lENKUlvE_clEvENKUlvE0_clEvEUlffE_fEEDaPvRmT3_T4_T5_mT6_P12ihipStream_tbENKUlT_T0_E_clISt17integral_constantIbLb1EESV_IbLb0EEEEDaSR_SS_EUlSR_E_NS1_11comp_targetILNS1_3genE2ELNS1_11target_archE906ELNS1_3gpuE6ELNS1_3repE0EEENS1_30default_config_static_selectorELNS0_4arch9wavefront6targetE1EEEvT1_
		.amdhsa_group_segment_fixed_size 0
		.amdhsa_private_segment_fixed_size 0
		.amdhsa_kernarg_size 96
		.amdhsa_user_sgpr_count 6
		.amdhsa_user_sgpr_private_segment_buffer 1
		.amdhsa_user_sgpr_dispatch_ptr 0
		.amdhsa_user_sgpr_queue_ptr 0
		.amdhsa_user_sgpr_kernarg_segment_ptr 1
		.amdhsa_user_sgpr_dispatch_id 0
		.amdhsa_user_sgpr_flat_scratch_init 0
		.amdhsa_user_sgpr_private_segment_size 0
		.amdhsa_uses_dynamic_stack 0
		.amdhsa_system_sgpr_private_segment_wavefront_offset 0
		.amdhsa_system_sgpr_workgroup_id_x 1
		.amdhsa_system_sgpr_workgroup_id_y 0
		.amdhsa_system_sgpr_workgroup_id_z 0
		.amdhsa_system_sgpr_workgroup_info 0
		.amdhsa_system_vgpr_workitem_id 0
		.amdhsa_next_free_vgpr 1
		.amdhsa_next_free_sgpr 0
		.amdhsa_reserve_vcc 0
		.amdhsa_reserve_flat_scratch 0
		.amdhsa_float_round_mode_32 0
		.amdhsa_float_round_mode_16_64 0
		.amdhsa_float_denorm_mode_32 3
		.amdhsa_float_denorm_mode_16_64 3
		.amdhsa_dx10_clamp 1
		.amdhsa_ieee_mode 1
		.amdhsa_fp16_overflow 0
		.amdhsa_exception_fp_ieee_invalid_op 0
		.amdhsa_exception_fp_denorm_src 0
		.amdhsa_exception_fp_ieee_div_zero 0
		.amdhsa_exception_fp_ieee_overflow 0
		.amdhsa_exception_fp_ieee_underflow 0
		.amdhsa_exception_fp_ieee_inexact 0
		.amdhsa_exception_int_div_zero 0
	.end_amdhsa_kernel
	.section	.text._ZN7rocprim17ROCPRIM_400000_NS6detail17trampoline_kernelINS0_14default_configENS1_20scan_config_selectorIfEEZZNS1_9scan_implILNS1_25lookback_scan_determinismE0ELb0ELb0ES3_PKfPffZZZN2at6native31launch_logcumsumexp_cuda_kernelERKNSB_10TensorBaseESF_lENKUlvE_clEvENKUlvE0_clEvEUlffE_fEEDaPvRmT3_T4_T5_mT6_P12ihipStream_tbENKUlT_T0_E_clISt17integral_constantIbLb1EESV_IbLb0EEEEDaSR_SS_EUlSR_E_NS1_11comp_targetILNS1_3genE2ELNS1_11target_archE906ELNS1_3gpuE6ELNS1_3repE0EEENS1_30default_config_static_selectorELNS0_4arch9wavefront6targetE1EEEvT1_,"axG",@progbits,_ZN7rocprim17ROCPRIM_400000_NS6detail17trampoline_kernelINS0_14default_configENS1_20scan_config_selectorIfEEZZNS1_9scan_implILNS1_25lookback_scan_determinismE0ELb0ELb0ES3_PKfPffZZZN2at6native31launch_logcumsumexp_cuda_kernelERKNSB_10TensorBaseESF_lENKUlvE_clEvENKUlvE0_clEvEUlffE_fEEDaPvRmT3_T4_T5_mT6_P12ihipStream_tbENKUlT_T0_E_clISt17integral_constantIbLb1EESV_IbLb0EEEEDaSR_SS_EUlSR_E_NS1_11comp_targetILNS1_3genE2ELNS1_11target_archE906ELNS1_3gpuE6ELNS1_3repE0EEENS1_30default_config_static_selectorELNS0_4arch9wavefront6targetE1EEEvT1_,comdat
.Lfunc_end138:
	.size	_ZN7rocprim17ROCPRIM_400000_NS6detail17trampoline_kernelINS0_14default_configENS1_20scan_config_selectorIfEEZZNS1_9scan_implILNS1_25lookback_scan_determinismE0ELb0ELb0ES3_PKfPffZZZN2at6native31launch_logcumsumexp_cuda_kernelERKNSB_10TensorBaseESF_lENKUlvE_clEvENKUlvE0_clEvEUlffE_fEEDaPvRmT3_T4_T5_mT6_P12ihipStream_tbENKUlT_T0_E_clISt17integral_constantIbLb1EESV_IbLb0EEEEDaSR_SS_EUlSR_E_NS1_11comp_targetILNS1_3genE2ELNS1_11target_archE906ELNS1_3gpuE6ELNS1_3repE0EEENS1_30default_config_static_selectorELNS0_4arch9wavefront6targetE1EEEvT1_, .Lfunc_end138-_ZN7rocprim17ROCPRIM_400000_NS6detail17trampoline_kernelINS0_14default_configENS1_20scan_config_selectorIfEEZZNS1_9scan_implILNS1_25lookback_scan_determinismE0ELb0ELb0ES3_PKfPffZZZN2at6native31launch_logcumsumexp_cuda_kernelERKNSB_10TensorBaseESF_lENKUlvE_clEvENKUlvE0_clEvEUlffE_fEEDaPvRmT3_T4_T5_mT6_P12ihipStream_tbENKUlT_T0_E_clISt17integral_constantIbLb1EESV_IbLb0EEEEDaSR_SS_EUlSR_E_NS1_11comp_targetILNS1_3genE2ELNS1_11target_archE906ELNS1_3gpuE6ELNS1_3repE0EEENS1_30default_config_static_selectorELNS0_4arch9wavefront6targetE1EEEvT1_
                                        ; -- End function
	.set _ZN7rocprim17ROCPRIM_400000_NS6detail17trampoline_kernelINS0_14default_configENS1_20scan_config_selectorIfEEZZNS1_9scan_implILNS1_25lookback_scan_determinismE0ELb0ELb0ES3_PKfPffZZZN2at6native31launch_logcumsumexp_cuda_kernelERKNSB_10TensorBaseESF_lENKUlvE_clEvENKUlvE0_clEvEUlffE_fEEDaPvRmT3_T4_T5_mT6_P12ihipStream_tbENKUlT_T0_E_clISt17integral_constantIbLb1EESV_IbLb0EEEEDaSR_SS_EUlSR_E_NS1_11comp_targetILNS1_3genE2ELNS1_11target_archE906ELNS1_3gpuE6ELNS1_3repE0EEENS1_30default_config_static_selectorELNS0_4arch9wavefront6targetE1EEEvT1_.num_vgpr, 0
	.set _ZN7rocprim17ROCPRIM_400000_NS6detail17trampoline_kernelINS0_14default_configENS1_20scan_config_selectorIfEEZZNS1_9scan_implILNS1_25lookback_scan_determinismE0ELb0ELb0ES3_PKfPffZZZN2at6native31launch_logcumsumexp_cuda_kernelERKNSB_10TensorBaseESF_lENKUlvE_clEvENKUlvE0_clEvEUlffE_fEEDaPvRmT3_T4_T5_mT6_P12ihipStream_tbENKUlT_T0_E_clISt17integral_constantIbLb1EESV_IbLb0EEEEDaSR_SS_EUlSR_E_NS1_11comp_targetILNS1_3genE2ELNS1_11target_archE906ELNS1_3gpuE6ELNS1_3repE0EEENS1_30default_config_static_selectorELNS0_4arch9wavefront6targetE1EEEvT1_.num_agpr, 0
	.set _ZN7rocprim17ROCPRIM_400000_NS6detail17trampoline_kernelINS0_14default_configENS1_20scan_config_selectorIfEEZZNS1_9scan_implILNS1_25lookback_scan_determinismE0ELb0ELb0ES3_PKfPffZZZN2at6native31launch_logcumsumexp_cuda_kernelERKNSB_10TensorBaseESF_lENKUlvE_clEvENKUlvE0_clEvEUlffE_fEEDaPvRmT3_T4_T5_mT6_P12ihipStream_tbENKUlT_T0_E_clISt17integral_constantIbLb1EESV_IbLb0EEEEDaSR_SS_EUlSR_E_NS1_11comp_targetILNS1_3genE2ELNS1_11target_archE906ELNS1_3gpuE6ELNS1_3repE0EEENS1_30default_config_static_selectorELNS0_4arch9wavefront6targetE1EEEvT1_.numbered_sgpr, 0
	.set _ZN7rocprim17ROCPRIM_400000_NS6detail17trampoline_kernelINS0_14default_configENS1_20scan_config_selectorIfEEZZNS1_9scan_implILNS1_25lookback_scan_determinismE0ELb0ELb0ES3_PKfPffZZZN2at6native31launch_logcumsumexp_cuda_kernelERKNSB_10TensorBaseESF_lENKUlvE_clEvENKUlvE0_clEvEUlffE_fEEDaPvRmT3_T4_T5_mT6_P12ihipStream_tbENKUlT_T0_E_clISt17integral_constantIbLb1EESV_IbLb0EEEEDaSR_SS_EUlSR_E_NS1_11comp_targetILNS1_3genE2ELNS1_11target_archE906ELNS1_3gpuE6ELNS1_3repE0EEENS1_30default_config_static_selectorELNS0_4arch9wavefront6targetE1EEEvT1_.num_named_barrier, 0
	.set _ZN7rocprim17ROCPRIM_400000_NS6detail17trampoline_kernelINS0_14default_configENS1_20scan_config_selectorIfEEZZNS1_9scan_implILNS1_25lookback_scan_determinismE0ELb0ELb0ES3_PKfPffZZZN2at6native31launch_logcumsumexp_cuda_kernelERKNSB_10TensorBaseESF_lENKUlvE_clEvENKUlvE0_clEvEUlffE_fEEDaPvRmT3_T4_T5_mT6_P12ihipStream_tbENKUlT_T0_E_clISt17integral_constantIbLb1EESV_IbLb0EEEEDaSR_SS_EUlSR_E_NS1_11comp_targetILNS1_3genE2ELNS1_11target_archE906ELNS1_3gpuE6ELNS1_3repE0EEENS1_30default_config_static_selectorELNS0_4arch9wavefront6targetE1EEEvT1_.private_seg_size, 0
	.set _ZN7rocprim17ROCPRIM_400000_NS6detail17trampoline_kernelINS0_14default_configENS1_20scan_config_selectorIfEEZZNS1_9scan_implILNS1_25lookback_scan_determinismE0ELb0ELb0ES3_PKfPffZZZN2at6native31launch_logcumsumexp_cuda_kernelERKNSB_10TensorBaseESF_lENKUlvE_clEvENKUlvE0_clEvEUlffE_fEEDaPvRmT3_T4_T5_mT6_P12ihipStream_tbENKUlT_T0_E_clISt17integral_constantIbLb1EESV_IbLb0EEEEDaSR_SS_EUlSR_E_NS1_11comp_targetILNS1_3genE2ELNS1_11target_archE906ELNS1_3gpuE6ELNS1_3repE0EEENS1_30default_config_static_selectorELNS0_4arch9wavefront6targetE1EEEvT1_.uses_vcc, 0
	.set _ZN7rocprim17ROCPRIM_400000_NS6detail17trampoline_kernelINS0_14default_configENS1_20scan_config_selectorIfEEZZNS1_9scan_implILNS1_25lookback_scan_determinismE0ELb0ELb0ES3_PKfPffZZZN2at6native31launch_logcumsumexp_cuda_kernelERKNSB_10TensorBaseESF_lENKUlvE_clEvENKUlvE0_clEvEUlffE_fEEDaPvRmT3_T4_T5_mT6_P12ihipStream_tbENKUlT_T0_E_clISt17integral_constantIbLb1EESV_IbLb0EEEEDaSR_SS_EUlSR_E_NS1_11comp_targetILNS1_3genE2ELNS1_11target_archE906ELNS1_3gpuE6ELNS1_3repE0EEENS1_30default_config_static_selectorELNS0_4arch9wavefront6targetE1EEEvT1_.uses_flat_scratch, 0
	.set _ZN7rocprim17ROCPRIM_400000_NS6detail17trampoline_kernelINS0_14default_configENS1_20scan_config_selectorIfEEZZNS1_9scan_implILNS1_25lookback_scan_determinismE0ELb0ELb0ES3_PKfPffZZZN2at6native31launch_logcumsumexp_cuda_kernelERKNSB_10TensorBaseESF_lENKUlvE_clEvENKUlvE0_clEvEUlffE_fEEDaPvRmT3_T4_T5_mT6_P12ihipStream_tbENKUlT_T0_E_clISt17integral_constantIbLb1EESV_IbLb0EEEEDaSR_SS_EUlSR_E_NS1_11comp_targetILNS1_3genE2ELNS1_11target_archE906ELNS1_3gpuE6ELNS1_3repE0EEENS1_30default_config_static_selectorELNS0_4arch9wavefront6targetE1EEEvT1_.has_dyn_sized_stack, 0
	.set _ZN7rocprim17ROCPRIM_400000_NS6detail17trampoline_kernelINS0_14default_configENS1_20scan_config_selectorIfEEZZNS1_9scan_implILNS1_25lookback_scan_determinismE0ELb0ELb0ES3_PKfPffZZZN2at6native31launch_logcumsumexp_cuda_kernelERKNSB_10TensorBaseESF_lENKUlvE_clEvENKUlvE0_clEvEUlffE_fEEDaPvRmT3_T4_T5_mT6_P12ihipStream_tbENKUlT_T0_E_clISt17integral_constantIbLb1EESV_IbLb0EEEEDaSR_SS_EUlSR_E_NS1_11comp_targetILNS1_3genE2ELNS1_11target_archE906ELNS1_3gpuE6ELNS1_3repE0EEENS1_30default_config_static_selectorELNS0_4arch9wavefront6targetE1EEEvT1_.has_recursion, 0
	.set _ZN7rocprim17ROCPRIM_400000_NS6detail17trampoline_kernelINS0_14default_configENS1_20scan_config_selectorIfEEZZNS1_9scan_implILNS1_25lookback_scan_determinismE0ELb0ELb0ES3_PKfPffZZZN2at6native31launch_logcumsumexp_cuda_kernelERKNSB_10TensorBaseESF_lENKUlvE_clEvENKUlvE0_clEvEUlffE_fEEDaPvRmT3_T4_T5_mT6_P12ihipStream_tbENKUlT_T0_E_clISt17integral_constantIbLb1EESV_IbLb0EEEEDaSR_SS_EUlSR_E_NS1_11comp_targetILNS1_3genE2ELNS1_11target_archE906ELNS1_3gpuE6ELNS1_3repE0EEENS1_30default_config_static_selectorELNS0_4arch9wavefront6targetE1EEEvT1_.has_indirect_call, 0
	.section	.AMDGPU.csdata,"",@progbits
; Kernel info:
; codeLenInByte = 4
; TotalNumSgprs: 4
; NumVgprs: 0
; ScratchSize: 0
; MemoryBound: 0
; FloatMode: 240
; IeeeMode: 1
; LDSByteSize: 0 bytes/workgroup (compile time only)
; SGPRBlocks: 0
; VGPRBlocks: 0
; NumSGPRsForWavesPerEU: 4
; NumVGPRsForWavesPerEU: 1
; Occupancy: 10
; WaveLimiterHint : 0
; COMPUTE_PGM_RSRC2:SCRATCH_EN: 0
; COMPUTE_PGM_RSRC2:USER_SGPR: 6
; COMPUTE_PGM_RSRC2:TRAP_HANDLER: 0
; COMPUTE_PGM_RSRC2:TGID_X_EN: 1
; COMPUTE_PGM_RSRC2:TGID_Y_EN: 0
; COMPUTE_PGM_RSRC2:TGID_Z_EN: 0
; COMPUTE_PGM_RSRC2:TIDIG_COMP_CNT: 0
	.section	.text._ZN7rocprim17ROCPRIM_400000_NS6detail17trampoline_kernelINS0_14default_configENS1_20scan_config_selectorIfEEZZNS1_9scan_implILNS1_25lookback_scan_determinismE0ELb0ELb0ES3_PKfPffZZZN2at6native31launch_logcumsumexp_cuda_kernelERKNSB_10TensorBaseESF_lENKUlvE_clEvENKUlvE0_clEvEUlffE_fEEDaPvRmT3_T4_T5_mT6_P12ihipStream_tbENKUlT_T0_E_clISt17integral_constantIbLb1EESV_IbLb0EEEEDaSR_SS_EUlSR_E_NS1_11comp_targetILNS1_3genE10ELNS1_11target_archE1201ELNS1_3gpuE5ELNS1_3repE0EEENS1_30default_config_static_selectorELNS0_4arch9wavefront6targetE1EEEvT1_,"axG",@progbits,_ZN7rocprim17ROCPRIM_400000_NS6detail17trampoline_kernelINS0_14default_configENS1_20scan_config_selectorIfEEZZNS1_9scan_implILNS1_25lookback_scan_determinismE0ELb0ELb0ES3_PKfPffZZZN2at6native31launch_logcumsumexp_cuda_kernelERKNSB_10TensorBaseESF_lENKUlvE_clEvENKUlvE0_clEvEUlffE_fEEDaPvRmT3_T4_T5_mT6_P12ihipStream_tbENKUlT_T0_E_clISt17integral_constantIbLb1EESV_IbLb0EEEEDaSR_SS_EUlSR_E_NS1_11comp_targetILNS1_3genE10ELNS1_11target_archE1201ELNS1_3gpuE5ELNS1_3repE0EEENS1_30default_config_static_selectorELNS0_4arch9wavefront6targetE1EEEvT1_,comdat
	.globl	_ZN7rocprim17ROCPRIM_400000_NS6detail17trampoline_kernelINS0_14default_configENS1_20scan_config_selectorIfEEZZNS1_9scan_implILNS1_25lookback_scan_determinismE0ELb0ELb0ES3_PKfPffZZZN2at6native31launch_logcumsumexp_cuda_kernelERKNSB_10TensorBaseESF_lENKUlvE_clEvENKUlvE0_clEvEUlffE_fEEDaPvRmT3_T4_T5_mT6_P12ihipStream_tbENKUlT_T0_E_clISt17integral_constantIbLb1EESV_IbLb0EEEEDaSR_SS_EUlSR_E_NS1_11comp_targetILNS1_3genE10ELNS1_11target_archE1201ELNS1_3gpuE5ELNS1_3repE0EEENS1_30default_config_static_selectorELNS0_4arch9wavefront6targetE1EEEvT1_ ; -- Begin function _ZN7rocprim17ROCPRIM_400000_NS6detail17trampoline_kernelINS0_14default_configENS1_20scan_config_selectorIfEEZZNS1_9scan_implILNS1_25lookback_scan_determinismE0ELb0ELb0ES3_PKfPffZZZN2at6native31launch_logcumsumexp_cuda_kernelERKNSB_10TensorBaseESF_lENKUlvE_clEvENKUlvE0_clEvEUlffE_fEEDaPvRmT3_T4_T5_mT6_P12ihipStream_tbENKUlT_T0_E_clISt17integral_constantIbLb1EESV_IbLb0EEEEDaSR_SS_EUlSR_E_NS1_11comp_targetILNS1_3genE10ELNS1_11target_archE1201ELNS1_3gpuE5ELNS1_3repE0EEENS1_30default_config_static_selectorELNS0_4arch9wavefront6targetE1EEEvT1_
	.p2align	8
	.type	_ZN7rocprim17ROCPRIM_400000_NS6detail17trampoline_kernelINS0_14default_configENS1_20scan_config_selectorIfEEZZNS1_9scan_implILNS1_25lookback_scan_determinismE0ELb0ELb0ES3_PKfPffZZZN2at6native31launch_logcumsumexp_cuda_kernelERKNSB_10TensorBaseESF_lENKUlvE_clEvENKUlvE0_clEvEUlffE_fEEDaPvRmT3_T4_T5_mT6_P12ihipStream_tbENKUlT_T0_E_clISt17integral_constantIbLb1EESV_IbLb0EEEEDaSR_SS_EUlSR_E_NS1_11comp_targetILNS1_3genE10ELNS1_11target_archE1201ELNS1_3gpuE5ELNS1_3repE0EEENS1_30default_config_static_selectorELNS0_4arch9wavefront6targetE1EEEvT1_,@function
_ZN7rocprim17ROCPRIM_400000_NS6detail17trampoline_kernelINS0_14default_configENS1_20scan_config_selectorIfEEZZNS1_9scan_implILNS1_25lookback_scan_determinismE0ELb0ELb0ES3_PKfPffZZZN2at6native31launch_logcumsumexp_cuda_kernelERKNSB_10TensorBaseESF_lENKUlvE_clEvENKUlvE0_clEvEUlffE_fEEDaPvRmT3_T4_T5_mT6_P12ihipStream_tbENKUlT_T0_E_clISt17integral_constantIbLb1EESV_IbLb0EEEEDaSR_SS_EUlSR_E_NS1_11comp_targetILNS1_3genE10ELNS1_11target_archE1201ELNS1_3gpuE5ELNS1_3repE0EEENS1_30default_config_static_selectorELNS0_4arch9wavefront6targetE1EEEvT1_: ; @_ZN7rocprim17ROCPRIM_400000_NS6detail17trampoline_kernelINS0_14default_configENS1_20scan_config_selectorIfEEZZNS1_9scan_implILNS1_25lookback_scan_determinismE0ELb0ELb0ES3_PKfPffZZZN2at6native31launch_logcumsumexp_cuda_kernelERKNSB_10TensorBaseESF_lENKUlvE_clEvENKUlvE0_clEvEUlffE_fEEDaPvRmT3_T4_T5_mT6_P12ihipStream_tbENKUlT_T0_E_clISt17integral_constantIbLb1EESV_IbLb0EEEEDaSR_SS_EUlSR_E_NS1_11comp_targetILNS1_3genE10ELNS1_11target_archE1201ELNS1_3gpuE5ELNS1_3repE0EEENS1_30default_config_static_selectorELNS0_4arch9wavefront6targetE1EEEvT1_
; %bb.0:
	.section	.rodata,"a",@progbits
	.p2align	6, 0x0
	.amdhsa_kernel _ZN7rocprim17ROCPRIM_400000_NS6detail17trampoline_kernelINS0_14default_configENS1_20scan_config_selectorIfEEZZNS1_9scan_implILNS1_25lookback_scan_determinismE0ELb0ELb0ES3_PKfPffZZZN2at6native31launch_logcumsumexp_cuda_kernelERKNSB_10TensorBaseESF_lENKUlvE_clEvENKUlvE0_clEvEUlffE_fEEDaPvRmT3_T4_T5_mT6_P12ihipStream_tbENKUlT_T0_E_clISt17integral_constantIbLb1EESV_IbLb0EEEEDaSR_SS_EUlSR_E_NS1_11comp_targetILNS1_3genE10ELNS1_11target_archE1201ELNS1_3gpuE5ELNS1_3repE0EEENS1_30default_config_static_selectorELNS0_4arch9wavefront6targetE1EEEvT1_
		.amdhsa_group_segment_fixed_size 0
		.amdhsa_private_segment_fixed_size 0
		.amdhsa_kernarg_size 96
		.amdhsa_user_sgpr_count 6
		.amdhsa_user_sgpr_private_segment_buffer 1
		.amdhsa_user_sgpr_dispatch_ptr 0
		.amdhsa_user_sgpr_queue_ptr 0
		.amdhsa_user_sgpr_kernarg_segment_ptr 1
		.amdhsa_user_sgpr_dispatch_id 0
		.amdhsa_user_sgpr_flat_scratch_init 0
		.amdhsa_user_sgpr_private_segment_size 0
		.amdhsa_uses_dynamic_stack 0
		.amdhsa_system_sgpr_private_segment_wavefront_offset 0
		.amdhsa_system_sgpr_workgroup_id_x 1
		.amdhsa_system_sgpr_workgroup_id_y 0
		.amdhsa_system_sgpr_workgroup_id_z 0
		.amdhsa_system_sgpr_workgroup_info 0
		.amdhsa_system_vgpr_workitem_id 0
		.amdhsa_next_free_vgpr 1
		.amdhsa_next_free_sgpr 0
		.amdhsa_reserve_vcc 0
		.amdhsa_reserve_flat_scratch 0
		.amdhsa_float_round_mode_32 0
		.amdhsa_float_round_mode_16_64 0
		.amdhsa_float_denorm_mode_32 3
		.amdhsa_float_denorm_mode_16_64 3
		.amdhsa_dx10_clamp 1
		.amdhsa_ieee_mode 1
		.amdhsa_fp16_overflow 0
		.amdhsa_exception_fp_ieee_invalid_op 0
		.amdhsa_exception_fp_denorm_src 0
		.amdhsa_exception_fp_ieee_div_zero 0
		.amdhsa_exception_fp_ieee_overflow 0
		.amdhsa_exception_fp_ieee_underflow 0
		.amdhsa_exception_fp_ieee_inexact 0
		.amdhsa_exception_int_div_zero 0
	.end_amdhsa_kernel
	.section	.text._ZN7rocprim17ROCPRIM_400000_NS6detail17trampoline_kernelINS0_14default_configENS1_20scan_config_selectorIfEEZZNS1_9scan_implILNS1_25lookback_scan_determinismE0ELb0ELb0ES3_PKfPffZZZN2at6native31launch_logcumsumexp_cuda_kernelERKNSB_10TensorBaseESF_lENKUlvE_clEvENKUlvE0_clEvEUlffE_fEEDaPvRmT3_T4_T5_mT6_P12ihipStream_tbENKUlT_T0_E_clISt17integral_constantIbLb1EESV_IbLb0EEEEDaSR_SS_EUlSR_E_NS1_11comp_targetILNS1_3genE10ELNS1_11target_archE1201ELNS1_3gpuE5ELNS1_3repE0EEENS1_30default_config_static_selectorELNS0_4arch9wavefront6targetE1EEEvT1_,"axG",@progbits,_ZN7rocprim17ROCPRIM_400000_NS6detail17trampoline_kernelINS0_14default_configENS1_20scan_config_selectorIfEEZZNS1_9scan_implILNS1_25lookback_scan_determinismE0ELb0ELb0ES3_PKfPffZZZN2at6native31launch_logcumsumexp_cuda_kernelERKNSB_10TensorBaseESF_lENKUlvE_clEvENKUlvE0_clEvEUlffE_fEEDaPvRmT3_T4_T5_mT6_P12ihipStream_tbENKUlT_T0_E_clISt17integral_constantIbLb1EESV_IbLb0EEEEDaSR_SS_EUlSR_E_NS1_11comp_targetILNS1_3genE10ELNS1_11target_archE1201ELNS1_3gpuE5ELNS1_3repE0EEENS1_30default_config_static_selectorELNS0_4arch9wavefront6targetE1EEEvT1_,comdat
.Lfunc_end139:
	.size	_ZN7rocprim17ROCPRIM_400000_NS6detail17trampoline_kernelINS0_14default_configENS1_20scan_config_selectorIfEEZZNS1_9scan_implILNS1_25lookback_scan_determinismE0ELb0ELb0ES3_PKfPffZZZN2at6native31launch_logcumsumexp_cuda_kernelERKNSB_10TensorBaseESF_lENKUlvE_clEvENKUlvE0_clEvEUlffE_fEEDaPvRmT3_T4_T5_mT6_P12ihipStream_tbENKUlT_T0_E_clISt17integral_constantIbLb1EESV_IbLb0EEEEDaSR_SS_EUlSR_E_NS1_11comp_targetILNS1_3genE10ELNS1_11target_archE1201ELNS1_3gpuE5ELNS1_3repE0EEENS1_30default_config_static_selectorELNS0_4arch9wavefront6targetE1EEEvT1_, .Lfunc_end139-_ZN7rocprim17ROCPRIM_400000_NS6detail17trampoline_kernelINS0_14default_configENS1_20scan_config_selectorIfEEZZNS1_9scan_implILNS1_25lookback_scan_determinismE0ELb0ELb0ES3_PKfPffZZZN2at6native31launch_logcumsumexp_cuda_kernelERKNSB_10TensorBaseESF_lENKUlvE_clEvENKUlvE0_clEvEUlffE_fEEDaPvRmT3_T4_T5_mT6_P12ihipStream_tbENKUlT_T0_E_clISt17integral_constantIbLb1EESV_IbLb0EEEEDaSR_SS_EUlSR_E_NS1_11comp_targetILNS1_3genE10ELNS1_11target_archE1201ELNS1_3gpuE5ELNS1_3repE0EEENS1_30default_config_static_selectorELNS0_4arch9wavefront6targetE1EEEvT1_
                                        ; -- End function
	.set _ZN7rocprim17ROCPRIM_400000_NS6detail17trampoline_kernelINS0_14default_configENS1_20scan_config_selectorIfEEZZNS1_9scan_implILNS1_25lookback_scan_determinismE0ELb0ELb0ES3_PKfPffZZZN2at6native31launch_logcumsumexp_cuda_kernelERKNSB_10TensorBaseESF_lENKUlvE_clEvENKUlvE0_clEvEUlffE_fEEDaPvRmT3_T4_T5_mT6_P12ihipStream_tbENKUlT_T0_E_clISt17integral_constantIbLb1EESV_IbLb0EEEEDaSR_SS_EUlSR_E_NS1_11comp_targetILNS1_3genE10ELNS1_11target_archE1201ELNS1_3gpuE5ELNS1_3repE0EEENS1_30default_config_static_selectorELNS0_4arch9wavefront6targetE1EEEvT1_.num_vgpr, 0
	.set _ZN7rocprim17ROCPRIM_400000_NS6detail17trampoline_kernelINS0_14default_configENS1_20scan_config_selectorIfEEZZNS1_9scan_implILNS1_25lookback_scan_determinismE0ELb0ELb0ES3_PKfPffZZZN2at6native31launch_logcumsumexp_cuda_kernelERKNSB_10TensorBaseESF_lENKUlvE_clEvENKUlvE0_clEvEUlffE_fEEDaPvRmT3_T4_T5_mT6_P12ihipStream_tbENKUlT_T0_E_clISt17integral_constantIbLb1EESV_IbLb0EEEEDaSR_SS_EUlSR_E_NS1_11comp_targetILNS1_3genE10ELNS1_11target_archE1201ELNS1_3gpuE5ELNS1_3repE0EEENS1_30default_config_static_selectorELNS0_4arch9wavefront6targetE1EEEvT1_.num_agpr, 0
	.set _ZN7rocprim17ROCPRIM_400000_NS6detail17trampoline_kernelINS0_14default_configENS1_20scan_config_selectorIfEEZZNS1_9scan_implILNS1_25lookback_scan_determinismE0ELb0ELb0ES3_PKfPffZZZN2at6native31launch_logcumsumexp_cuda_kernelERKNSB_10TensorBaseESF_lENKUlvE_clEvENKUlvE0_clEvEUlffE_fEEDaPvRmT3_T4_T5_mT6_P12ihipStream_tbENKUlT_T0_E_clISt17integral_constantIbLb1EESV_IbLb0EEEEDaSR_SS_EUlSR_E_NS1_11comp_targetILNS1_3genE10ELNS1_11target_archE1201ELNS1_3gpuE5ELNS1_3repE0EEENS1_30default_config_static_selectorELNS0_4arch9wavefront6targetE1EEEvT1_.numbered_sgpr, 0
	.set _ZN7rocprim17ROCPRIM_400000_NS6detail17trampoline_kernelINS0_14default_configENS1_20scan_config_selectorIfEEZZNS1_9scan_implILNS1_25lookback_scan_determinismE0ELb0ELb0ES3_PKfPffZZZN2at6native31launch_logcumsumexp_cuda_kernelERKNSB_10TensorBaseESF_lENKUlvE_clEvENKUlvE0_clEvEUlffE_fEEDaPvRmT3_T4_T5_mT6_P12ihipStream_tbENKUlT_T0_E_clISt17integral_constantIbLb1EESV_IbLb0EEEEDaSR_SS_EUlSR_E_NS1_11comp_targetILNS1_3genE10ELNS1_11target_archE1201ELNS1_3gpuE5ELNS1_3repE0EEENS1_30default_config_static_selectorELNS0_4arch9wavefront6targetE1EEEvT1_.num_named_barrier, 0
	.set _ZN7rocprim17ROCPRIM_400000_NS6detail17trampoline_kernelINS0_14default_configENS1_20scan_config_selectorIfEEZZNS1_9scan_implILNS1_25lookback_scan_determinismE0ELb0ELb0ES3_PKfPffZZZN2at6native31launch_logcumsumexp_cuda_kernelERKNSB_10TensorBaseESF_lENKUlvE_clEvENKUlvE0_clEvEUlffE_fEEDaPvRmT3_T4_T5_mT6_P12ihipStream_tbENKUlT_T0_E_clISt17integral_constantIbLb1EESV_IbLb0EEEEDaSR_SS_EUlSR_E_NS1_11comp_targetILNS1_3genE10ELNS1_11target_archE1201ELNS1_3gpuE5ELNS1_3repE0EEENS1_30default_config_static_selectorELNS0_4arch9wavefront6targetE1EEEvT1_.private_seg_size, 0
	.set _ZN7rocprim17ROCPRIM_400000_NS6detail17trampoline_kernelINS0_14default_configENS1_20scan_config_selectorIfEEZZNS1_9scan_implILNS1_25lookback_scan_determinismE0ELb0ELb0ES3_PKfPffZZZN2at6native31launch_logcumsumexp_cuda_kernelERKNSB_10TensorBaseESF_lENKUlvE_clEvENKUlvE0_clEvEUlffE_fEEDaPvRmT3_T4_T5_mT6_P12ihipStream_tbENKUlT_T0_E_clISt17integral_constantIbLb1EESV_IbLb0EEEEDaSR_SS_EUlSR_E_NS1_11comp_targetILNS1_3genE10ELNS1_11target_archE1201ELNS1_3gpuE5ELNS1_3repE0EEENS1_30default_config_static_selectorELNS0_4arch9wavefront6targetE1EEEvT1_.uses_vcc, 0
	.set _ZN7rocprim17ROCPRIM_400000_NS6detail17trampoline_kernelINS0_14default_configENS1_20scan_config_selectorIfEEZZNS1_9scan_implILNS1_25lookback_scan_determinismE0ELb0ELb0ES3_PKfPffZZZN2at6native31launch_logcumsumexp_cuda_kernelERKNSB_10TensorBaseESF_lENKUlvE_clEvENKUlvE0_clEvEUlffE_fEEDaPvRmT3_T4_T5_mT6_P12ihipStream_tbENKUlT_T0_E_clISt17integral_constantIbLb1EESV_IbLb0EEEEDaSR_SS_EUlSR_E_NS1_11comp_targetILNS1_3genE10ELNS1_11target_archE1201ELNS1_3gpuE5ELNS1_3repE0EEENS1_30default_config_static_selectorELNS0_4arch9wavefront6targetE1EEEvT1_.uses_flat_scratch, 0
	.set _ZN7rocprim17ROCPRIM_400000_NS6detail17trampoline_kernelINS0_14default_configENS1_20scan_config_selectorIfEEZZNS1_9scan_implILNS1_25lookback_scan_determinismE0ELb0ELb0ES3_PKfPffZZZN2at6native31launch_logcumsumexp_cuda_kernelERKNSB_10TensorBaseESF_lENKUlvE_clEvENKUlvE0_clEvEUlffE_fEEDaPvRmT3_T4_T5_mT6_P12ihipStream_tbENKUlT_T0_E_clISt17integral_constantIbLb1EESV_IbLb0EEEEDaSR_SS_EUlSR_E_NS1_11comp_targetILNS1_3genE10ELNS1_11target_archE1201ELNS1_3gpuE5ELNS1_3repE0EEENS1_30default_config_static_selectorELNS0_4arch9wavefront6targetE1EEEvT1_.has_dyn_sized_stack, 0
	.set _ZN7rocprim17ROCPRIM_400000_NS6detail17trampoline_kernelINS0_14default_configENS1_20scan_config_selectorIfEEZZNS1_9scan_implILNS1_25lookback_scan_determinismE0ELb0ELb0ES3_PKfPffZZZN2at6native31launch_logcumsumexp_cuda_kernelERKNSB_10TensorBaseESF_lENKUlvE_clEvENKUlvE0_clEvEUlffE_fEEDaPvRmT3_T4_T5_mT6_P12ihipStream_tbENKUlT_T0_E_clISt17integral_constantIbLb1EESV_IbLb0EEEEDaSR_SS_EUlSR_E_NS1_11comp_targetILNS1_3genE10ELNS1_11target_archE1201ELNS1_3gpuE5ELNS1_3repE0EEENS1_30default_config_static_selectorELNS0_4arch9wavefront6targetE1EEEvT1_.has_recursion, 0
	.set _ZN7rocprim17ROCPRIM_400000_NS6detail17trampoline_kernelINS0_14default_configENS1_20scan_config_selectorIfEEZZNS1_9scan_implILNS1_25lookback_scan_determinismE0ELb0ELb0ES3_PKfPffZZZN2at6native31launch_logcumsumexp_cuda_kernelERKNSB_10TensorBaseESF_lENKUlvE_clEvENKUlvE0_clEvEUlffE_fEEDaPvRmT3_T4_T5_mT6_P12ihipStream_tbENKUlT_T0_E_clISt17integral_constantIbLb1EESV_IbLb0EEEEDaSR_SS_EUlSR_E_NS1_11comp_targetILNS1_3genE10ELNS1_11target_archE1201ELNS1_3gpuE5ELNS1_3repE0EEENS1_30default_config_static_selectorELNS0_4arch9wavefront6targetE1EEEvT1_.has_indirect_call, 0
	.section	.AMDGPU.csdata,"",@progbits
; Kernel info:
; codeLenInByte = 0
; TotalNumSgprs: 4
; NumVgprs: 0
; ScratchSize: 0
; MemoryBound: 0
; FloatMode: 240
; IeeeMode: 1
; LDSByteSize: 0 bytes/workgroup (compile time only)
; SGPRBlocks: 0
; VGPRBlocks: 0
; NumSGPRsForWavesPerEU: 4
; NumVGPRsForWavesPerEU: 1
; Occupancy: 10
; WaveLimiterHint : 0
; COMPUTE_PGM_RSRC2:SCRATCH_EN: 0
; COMPUTE_PGM_RSRC2:USER_SGPR: 6
; COMPUTE_PGM_RSRC2:TRAP_HANDLER: 0
; COMPUTE_PGM_RSRC2:TGID_X_EN: 1
; COMPUTE_PGM_RSRC2:TGID_Y_EN: 0
; COMPUTE_PGM_RSRC2:TGID_Z_EN: 0
; COMPUTE_PGM_RSRC2:TIDIG_COMP_CNT: 0
	.section	.text._ZN7rocprim17ROCPRIM_400000_NS6detail17trampoline_kernelINS0_14default_configENS1_20scan_config_selectorIfEEZZNS1_9scan_implILNS1_25lookback_scan_determinismE0ELb0ELb0ES3_PKfPffZZZN2at6native31launch_logcumsumexp_cuda_kernelERKNSB_10TensorBaseESF_lENKUlvE_clEvENKUlvE0_clEvEUlffE_fEEDaPvRmT3_T4_T5_mT6_P12ihipStream_tbENKUlT_T0_E_clISt17integral_constantIbLb1EESV_IbLb0EEEEDaSR_SS_EUlSR_E_NS1_11comp_targetILNS1_3genE10ELNS1_11target_archE1200ELNS1_3gpuE4ELNS1_3repE0EEENS1_30default_config_static_selectorELNS0_4arch9wavefront6targetE1EEEvT1_,"axG",@progbits,_ZN7rocprim17ROCPRIM_400000_NS6detail17trampoline_kernelINS0_14default_configENS1_20scan_config_selectorIfEEZZNS1_9scan_implILNS1_25lookback_scan_determinismE0ELb0ELb0ES3_PKfPffZZZN2at6native31launch_logcumsumexp_cuda_kernelERKNSB_10TensorBaseESF_lENKUlvE_clEvENKUlvE0_clEvEUlffE_fEEDaPvRmT3_T4_T5_mT6_P12ihipStream_tbENKUlT_T0_E_clISt17integral_constantIbLb1EESV_IbLb0EEEEDaSR_SS_EUlSR_E_NS1_11comp_targetILNS1_3genE10ELNS1_11target_archE1200ELNS1_3gpuE4ELNS1_3repE0EEENS1_30default_config_static_selectorELNS0_4arch9wavefront6targetE1EEEvT1_,comdat
	.globl	_ZN7rocprim17ROCPRIM_400000_NS6detail17trampoline_kernelINS0_14default_configENS1_20scan_config_selectorIfEEZZNS1_9scan_implILNS1_25lookback_scan_determinismE0ELb0ELb0ES3_PKfPffZZZN2at6native31launch_logcumsumexp_cuda_kernelERKNSB_10TensorBaseESF_lENKUlvE_clEvENKUlvE0_clEvEUlffE_fEEDaPvRmT3_T4_T5_mT6_P12ihipStream_tbENKUlT_T0_E_clISt17integral_constantIbLb1EESV_IbLb0EEEEDaSR_SS_EUlSR_E_NS1_11comp_targetILNS1_3genE10ELNS1_11target_archE1200ELNS1_3gpuE4ELNS1_3repE0EEENS1_30default_config_static_selectorELNS0_4arch9wavefront6targetE1EEEvT1_ ; -- Begin function _ZN7rocprim17ROCPRIM_400000_NS6detail17trampoline_kernelINS0_14default_configENS1_20scan_config_selectorIfEEZZNS1_9scan_implILNS1_25lookback_scan_determinismE0ELb0ELb0ES3_PKfPffZZZN2at6native31launch_logcumsumexp_cuda_kernelERKNSB_10TensorBaseESF_lENKUlvE_clEvENKUlvE0_clEvEUlffE_fEEDaPvRmT3_T4_T5_mT6_P12ihipStream_tbENKUlT_T0_E_clISt17integral_constantIbLb1EESV_IbLb0EEEEDaSR_SS_EUlSR_E_NS1_11comp_targetILNS1_3genE10ELNS1_11target_archE1200ELNS1_3gpuE4ELNS1_3repE0EEENS1_30default_config_static_selectorELNS0_4arch9wavefront6targetE1EEEvT1_
	.p2align	8
	.type	_ZN7rocprim17ROCPRIM_400000_NS6detail17trampoline_kernelINS0_14default_configENS1_20scan_config_selectorIfEEZZNS1_9scan_implILNS1_25lookback_scan_determinismE0ELb0ELb0ES3_PKfPffZZZN2at6native31launch_logcumsumexp_cuda_kernelERKNSB_10TensorBaseESF_lENKUlvE_clEvENKUlvE0_clEvEUlffE_fEEDaPvRmT3_T4_T5_mT6_P12ihipStream_tbENKUlT_T0_E_clISt17integral_constantIbLb1EESV_IbLb0EEEEDaSR_SS_EUlSR_E_NS1_11comp_targetILNS1_3genE10ELNS1_11target_archE1200ELNS1_3gpuE4ELNS1_3repE0EEENS1_30default_config_static_selectorELNS0_4arch9wavefront6targetE1EEEvT1_,@function
_ZN7rocprim17ROCPRIM_400000_NS6detail17trampoline_kernelINS0_14default_configENS1_20scan_config_selectorIfEEZZNS1_9scan_implILNS1_25lookback_scan_determinismE0ELb0ELb0ES3_PKfPffZZZN2at6native31launch_logcumsumexp_cuda_kernelERKNSB_10TensorBaseESF_lENKUlvE_clEvENKUlvE0_clEvEUlffE_fEEDaPvRmT3_T4_T5_mT6_P12ihipStream_tbENKUlT_T0_E_clISt17integral_constantIbLb1EESV_IbLb0EEEEDaSR_SS_EUlSR_E_NS1_11comp_targetILNS1_3genE10ELNS1_11target_archE1200ELNS1_3gpuE4ELNS1_3repE0EEENS1_30default_config_static_selectorELNS0_4arch9wavefront6targetE1EEEvT1_: ; @_ZN7rocprim17ROCPRIM_400000_NS6detail17trampoline_kernelINS0_14default_configENS1_20scan_config_selectorIfEEZZNS1_9scan_implILNS1_25lookback_scan_determinismE0ELb0ELb0ES3_PKfPffZZZN2at6native31launch_logcumsumexp_cuda_kernelERKNSB_10TensorBaseESF_lENKUlvE_clEvENKUlvE0_clEvEUlffE_fEEDaPvRmT3_T4_T5_mT6_P12ihipStream_tbENKUlT_T0_E_clISt17integral_constantIbLb1EESV_IbLb0EEEEDaSR_SS_EUlSR_E_NS1_11comp_targetILNS1_3genE10ELNS1_11target_archE1200ELNS1_3gpuE4ELNS1_3repE0EEENS1_30default_config_static_selectorELNS0_4arch9wavefront6targetE1EEEvT1_
; %bb.0:
	.section	.rodata,"a",@progbits
	.p2align	6, 0x0
	.amdhsa_kernel _ZN7rocprim17ROCPRIM_400000_NS6detail17trampoline_kernelINS0_14default_configENS1_20scan_config_selectorIfEEZZNS1_9scan_implILNS1_25lookback_scan_determinismE0ELb0ELb0ES3_PKfPffZZZN2at6native31launch_logcumsumexp_cuda_kernelERKNSB_10TensorBaseESF_lENKUlvE_clEvENKUlvE0_clEvEUlffE_fEEDaPvRmT3_T4_T5_mT6_P12ihipStream_tbENKUlT_T0_E_clISt17integral_constantIbLb1EESV_IbLb0EEEEDaSR_SS_EUlSR_E_NS1_11comp_targetILNS1_3genE10ELNS1_11target_archE1200ELNS1_3gpuE4ELNS1_3repE0EEENS1_30default_config_static_selectorELNS0_4arch9wavefront6targetE1EEEvT1_
		.amdhsa_group_segment_fixed_size 0
		.amdhsa_private_segment_fixed_size 0
		.amdhsa_kernarg_size 96
		.amdhsa_user_sgpr_count 6
		.amdhsa_user_sgpr_private_segment_buffer 1
		.amdhsa_user_sgpr_dispatch_ptr 0
		.amdhsa_user_sgpr_queue_ptr 0
		.amdhsa_user_sgpr_kernarg_segment_ptr 1
		.amdhsa_user_sgpr_dispatch_id 0
		.amdhsa_user_sgpr_flat_scratch_init 0
		.amdhsa_user_sgpr_private_segment_size 0
		.amdhsa_uses_dynamic_stack 0
		.amdhsa_system_sgpr_private_segment_wavefront_offset 0
		.amdhsa_system_sgpr_workgroup_id_x 1
		.amdhsa_system_sgpr_workgroup_id_y 0
		.amdhsa_system_sgpr_workgroup_id_z 0
		.amdhsa_system_sgpr_workgroup_info 0
		.amdhsa_system_vgpr_workitem_id 0
		.amdhsa_next_free_vgpr 1
		.amdhsa_next_free_sgpr 0
		.amdhsa_reserve_vcc 0
		.amdhsa_reserve_flat_scratch 0
		.amdhsa_float_round_mode_32 0
		.amdhsa_float_round_mode_16_64 0
		.amdhsa_float_denorm_mode_32 3
		.amdhsa_float_denorm_mode_16_64 3
		.amdhsa_dx10_clamp 1
		.amdhsa_ieee_mode 1
		.amdhsa_fp16_overflow 0
		.amdhsa_exception_fp_ieee_invalid_op 0
		.amdhsa_exception_fp_denorm_src 0
		.amdhsa_exception_fp_ieee_div_zero 0
		.amdhsa_exception_fp_ieee_overflow 0
		.amdhsa_exception_fp_ieee_underflow 0
		.amdhsa_exception_fp_ieee_inexact 0
		.amdhsa_exception_int_div_zero 0
	.end_amdhsa_kernel
	.section	.text._ZN7rocprim17ROCPRIM_400000_NS6detail17trampoline_kernelINS0_14default_configENS1_20scan_config_selectorIfEEZZNS1_9scan_implILNS1_25lookback_scan_determinismE0ELb0ELb0ES3_PKfPffZZZN2at6native31launch_logcumsumexp_cuda_kernelERKNSB_10TensorBaseESF_lENKUlvE_clEvENKUlvE0_clEvEUlffE_fEEDaPvRmT3_T4_T5_mT6_P12ihipStream_tbENKUlT_T0_E_clISt17integral_constantIbLb1EESV_IbLb0EEEEDaSR_SS_EUlSR_E_NS1_11comp_targetILNS1_3genE10ELNS1_11target_archE1200ELNS1_3gpuE4ELNS1_3repE0EEENS1_30default_config_static_selectorELNS0_4arch9wavefront6targetE1EEEvT1_,"axG",@progbits,_ZN7rocprim17ROCPRIM_400000_NS6detail17trampoline_kernelINS0_14default_configENS1_20scan_config_selectorIfEEZZNS1_9scan_implILNS1_25lookback_scan_determinismE0ELb0ELb0ES3_PKfPffZZZN2at6native31launch_logcumsumexp_cuda_kernelERKNSB_10TensorBaseESF_lENKUlvE_clEvENKUlvE0_clEvEUlffE_fEEDaPvRmT3_T4_T5_mT6_P12ihipStream_tbENKUlT_T0_E_clISt17integral_constantIbLb1EESV_IbLb0EEEEDaSR_SS_EUlSR_E_NS1_11comp_targetILNS1_3genE10ELNS1_11target_archE1200ELNS1_3gpuE4ELNS1_3repE0EEENS1_30default_config_static_selectorELNS0_4arch9wavefront6targetE1EEEvT1_,comdat
.Lfunc_end140:
	.size	_ZN7rocprim17ROCPRIM_400000_NS6detail17trampoline_kernelINS0_14default_configENS1_20scan_config_selectorIfEEZZNS1_9scan_implILNS1_25lookback_scan_determinismE0ELb0ELb0ES3_PKfPffZZZN2at6native31launch_logcumsumexp_cuda_kernelERKNSB_10TensorBaseESF_lENKUlvE_clEvENKUlvE0_clEvEUlffE_fEEDaPvRmT3_T4_T5_mT6_P12ihipStream_tbENKUlT_T0_E_clISt17integral_constantIbLb1EESV_IbLb0EEEEDaSR_SS_EUlSR_E_NS1_11comp_targetILNS1_3genE10ELNS1_11target_archE1200ELNS1_3gpuE4ELNS1_3repE0EEENS1_30default_config_static_selectorELNS0_4arch9wavefront6targetE1EEEvT1_, .Lfunc_end140-_ZN7rocprim17ROCPRIM_400000_NS6detail17trampoline_kernelINS0_14default_configENS1_20scan_config_selectorIfEEZZNS1_9scan_implILNS1_25lookback_scan_determinismE0ELb0ELb0ES3_PKfPffZZZN2at6native31launch_logcumsumexp_cuda_kernelERKNSB_10TensorBaseESF_lENKUlvE_clEvENKUlvE0_clEvEUlffE_fEEDaPvRmT3_T4_T5_mT6_P12ihipStream_tbENKUlT_T0_E_clISt17integral_constantIbLb1EESV_IbLb0EEEEDaSR_SS_EUlSR_E_NS1_11comp_targetILNS1_3genE10ELNS1_11target_archE1200ELNS1_3gpuE4ELNS1_3repE0EEENS1_30default_config_static_selectorELNS0_4arch9wavefront6targetE1EEEvT1_
                                        ; -- End function
	.set _ZN7rocprim17ROCPRIM_400000_NS6detail17trampoline_kernelINS0_14default_configENS1_20scan_config_selectorIfEEZZNS1_9scan_implILNS1_25lookback_scan_determinismE0ELb0ELb0ES3_PKfPffZZZN2at6native31launch_logcumsumexp_cuda_kernelERKNSB_10TensorBaseESF_lENKUlvE_clEvENKUlvE0_clEvEUlffE_fEEDaPvRmT3_T4_T5_mT6_P12ihipStream_tbENKUlT_T0_E_clISt17integral_constantIbLb1EESV_IbLb0EEEEDaSR_SS_EUlSR_E_NS1_11comp_targetILNS1_3genE10ELNS1_11target_archE1200ELNS1_3gpuE4ELNS1_3repE0EEENS1_30default_config_static_selectorELNS0_4arch9wavefront6targetE1EEEvT1_.num_vgpr, 0
	.set _ZN7rocprim17ROCPRIM_400000_NS6detail17trampoline_kernelINS0_14default_configENS1_20scan_config_selectorIfEEZZNS1_9scan_implILNS1_25lookback_scan_determinismE0ELb0ELb0ES3_PKfPffZZZN2at6native31launch_logcumsumexp_cuda_kernelERKNSB_10TensorBaseESF_lENKUlvE_clEvENKUlvE0_clEvEUlffE_fEEDaPvRmT3_T4_T5_mT6_P12ihipStream_tbENKUlT_T0_E_clISt17integral_constantIbLb1EESV_IbLb0EEEEDaSR_SS_EUlSR_E_NS1_11comp_targetILNS1_3genE10ELNS1_11target_archE1200ELNS1_3gpuE4ELNS1_3repE0EEENS1_30default_config_static_selectorELNS0_4arch9wavefront6targetE1EEEvT1_.num_agpr, 0
	.set _ZN7rocprim17ROCPRIM_400000_NS6detail17trampoline_kernelINS0_14default_configENS1_20scan_config_selectorIfEEZZNS1_9scan_implILNS1_25lookback_scan_determinismE0ELb0ELb0ES3_PKfPffZZZN2at6native31launch_logcumsumexp_cuda_kernelERKNSB_10TensorBaseESF_lENKUlvE_clEvENKUlvE0_clEvEUlffE_fEEDaPvRmT3_T4_T5_mT6_P12ihipStream_tbENKUlT_T0_E_clISt17integral_constantIbLb1EESV_IbLb0EEEEDaSR_SS_EUlSR_E_NS1_11comp_targetILNS1_3genE10ELNS1_11target_archE1200ELNS1_3gpuE4ELNS1_3repE0EEENS1_30default_config_static_selectorELNS0_4arch9wavefront6targetE1EEEvT1_.numbered_sgpr, 0
	.set _ZN7rocprim17ROCPRIM_400000_NS6detail17trampoline_kernelINS0_14default_configENS1_20scan_config_selectorIfEEZZNS1_9scan_implILNS1_25lookback_scan_determinismE0ELb0ELb0ES3_PKfPffZZZN2at6native31launch_logcumsumexp_cuda_kernelERKNSB_10TensorBaseESF_lENKUlvE_clEvENKUlvE0_clEvEUlffE_fEEDaPvRmT3_T4_T5_mT6_P12ihipStream_tbENKUlT_T0_E_clISt17integral_constantIbLb1EESV_IbLb0EEEEDaSR_SS_EUlSR_E_NS1_11comp_targetILNS1_3genE10ELNS1_11target_archE1200ELNS1_3gpuE4ELNS1_3repE0EEENS1_30default_config_static_selectorELNS0_4arch9wavefront6targetE1EEEvT1_.num_named_barrier, 0
	.set _ZN7rocprim17ROCPRIM_400000_NS6detail17trampoline_kernelINS0_14default_configENS1_20scan_config_selectorIfEEZZNS1_9scan_implILNS1_25lookback_scan_determinismE0ELb0ELb0ES3_PKfPffZZZN2at6native31launch_logcumsumexp_cuda_kernelERKNSB_10TensorBaseESF_lENKUlvE_clEvENKUlvE0_clEvEUlffE_fEEDaPvRmT3_T4_T5_mT6_P12ihipStream_tbENKUlT_T0_E_clISt17integral_constantIbLb1EESV_IbLb0EEEEDaSR_SS_EUlSR_E_NS1_11comp_targetILNS1_3genE10ELNS1_11target_archE1200ELNS1_3gpuE4ELNS1_3repE0EEENS1_30default_config_static_selectorELNS0_4arch9wavefront6targetE1EEEvT1_.private_seg_size, 0
	.set _ZN7rocprim17ROCPRIM_400000_NS6detail17trampoline_kernelINS0_14default_configENS1_20scan_config_selectorIfEEZZNS1_9scan_implILNS1_25lookback_scan_determinismE0ELb0ELb0ES3_PKfPffZZZN2at6native31launch_logcumsumexp_cuda_kernelERKNSB_10TensorBaseESF_lENKUlvE_clEvENKUlvE0_clEvEUlffE_fEEDaPvRmT3_T4_T5_mT6_P12ihipStream_tbENKUlT_T0_E_clISt17integral_constantIbLb1EESV_IbLb0EEEEDaSR_SS_EUlSR_E_NS1_11comp_targetILNS1_3genE10ELNS1_11target_archE1200ELNS1_3gpuE4ELNS1_3repE0EEENS1_30default_config_static_selectorELNS0_4arch9wavefront6targetE1EEEvT1_.uses_vcc, 0
	.set _ZN7rocprim17ROCPRIM_400000_NS6detail17trampoline_kernelINS0_14default_configENS1_20scan_config_selectorIfEEZZNS1_9scan_implILNS1_25lookback_scan_determinismE0ELb0ELb0ES3_PKfPffZZZN2at6native31launch_logcumsumexp_cuda_kernelERKNSB_10TensorBaseESF_lENKUlvE_clEvENKUlvE0_clEvEUlffE_fEEDaPvRmT3_T4_T5_mT6_P12ihipStream_tbENKUlT_T0_E_clISt17integral_constantIbLb1EESV_IbLb0EEEEDaSR_SS_EUlSR_E_NS1_11comp_targetILNS1_3genE10ELNS1_11target_archE1200ELNS1_3gpuE4ELNS1_3repE0EEENS1_30default_config_static_selectorELNS0_4arch9wavefront6targetE1EEEvT1_.uses_flat_scratch, 0
	.set _ZN7rocprim17ROCPRIM_400000_NS6detail17trampoline_kernelINS0_14default_configENS1_20scan_config_selectorIfEEZZNS1_9scan_implILNS1_25lookback_scan_determinismE0ELb0ELb0ES3_PKfPffZZZN2at6native31launch_logcumsumexp_cuda_kernelERKNSB_10TensorBaseESF_lENKUlvE_clEvENKUlvE0_clEvEUlffE_fEEDaPvRmT3_T4_T5_mT6_P12ihipStream_tbENKUlT_T0_E_clISt17integral_constantIbLb1EESV_IbLb0EEEEDaSR_SS_EUlSR_E_NS1_11comp_targetILNS1_3genE10ELNS1_11target_archE1200ELNS1_3gpuE4ELNS1_3repE0EEENS1_30default_config_static_selectorELNS0_4arch9wavefront6targetE1EEEvT1_.has_dyn_sized_stack, 0
	.set _ZN7rocprim17ROCPRIM_400000_NS6detail17trampoline_kernelINS0_14default_configENS1_20scan_config_selectorIfEEZZNS1_9scan_implILNS1_25lookback_scan_determinismE0ELb0ELb0ES3_PKfPffZZZN2at6native31launch_logcumsumexp_cuda_kernelERKNSB_10TensorBaseESF_lENKUlvE_clEvENKUlvE0_clEvEUlffE_fEEDaPvRmT3_T4_T5_mT6_P12ihipStream_tbENKUlT_T0_E_clISt17integral_constantIbLb1EESV_IbLb0EEEEDaSR_SS_EUlSR_E_NS1_11comp_targetILNS1_3genE10ELNS1_11target_archE1200ELNS1_3gpuE4ELNS1_3repE0EEENS1_30default_config_static_selectorELNS0_4arch9wavefront6targetE1EEEvT1_.has_recursion, 0
	.set _ZN7rocprim17ROCPRIM_400000_NS6detail17trampoline_kernelINS0_14default_configENS1_20scan_config_selectorIfEEZZNS1_9scan_implILNS1_25lookback_scan_determinismE0ELb0ELb0ES3_PKfPffZZZN2at6native31launch_logcumsumexp_cuda_kernelERKNSB_10TensorBaseESF_lENKUlvE_clEvENKUlvE0_clEvEUlffE_fEEDaPvRmT3_T4_T5_mT6_P12ihipStream_tbENKUlT_T0_E_clISt17integral_constantIbLb1EESV_IbLb0EEEEDaSR_SS_EUlSR_E_NS1_11comp_targetILNS1_3genE10ELNS1_11target_archE1200ELNS1_3gpuE4ELNS1_3repE0EEENS1_30default_config_static_selectorELNS0_4arch9wavefront6targetE1EEEvT1_.has_indirect_call, 0
	.section	.AMDGPU.csdata,"",@progbits
; Kernel info:
; codeLenInByte = 0
; TotalNumSgprs: 4
; NumVgprs: 0
; ScratchSize: 0
; MemoryBound: 0
; FloatMode: 240
; IeeeMode: 1
; LDSByteSize: 0 bytes/workgroup (compile time only)
; SGPRBlocks: 0
; VGPRBlocks: 0
; NumSGPRsForWavesPerEU: 4
; NumVGPRsForWavesPerEU: 1
; Occupancy: 10
; WaveLimiterHint : 0
; COMPUTE_PGM_RSRC2:SCRATCH_EN: 0
; COMPUTE_PGM_RSRC2:USER_SGPR: 6
; COMPUTE_PGM_RSRC2:TRAP_HANDLER: 0
; COMPUTE_PGM_RSRC2:TGID_X_EN: 1
; COMPUTE_PGM_RSRC2:TGID_Y_EN: 0
; COMPUTE_PGM_RSRC2:TGID_Z_EN: 0
; COMPUTE_PGM_RSRC2:TIDIG_COMP_CNT: 0
	.section	.text._ZN7rocprim17ROCPRIM_400000_NS6detail17trampoline_kernelINS0_14default_configENS1_20scan_config_selectorIfEEZZNS1_9scan_implILNS1_25lookback_scan_determinismE0ELb0ELb0ES3_PKfPffZZZN2at6native31launch_logcumsumexp_cuda_kernelERKNSB_10TensorBaseESF_lENKUlvE_clEvENKUlvE0_clEvEUlffE_fEEDaPvRmT3_T4_T5_mT6_P12ihipStream_tbENKUlT_T0_E_clISt17integral_constantIbLb1EESV_IbLb0EEEEDaSR_SS_EUlSR_E_NS1_11comp_targetILNS1_3genE9ELNS1_11target_archE1100ELNS1_3gpuE3ELNS1_3repE0EEENS1_30default_config_static_selectorELNS0_4arch9wavefront6targetE1EEEvT1_,"axG",@progbits,_ZN7rocprim17ROCPRIM_400000_NS6detail17trampoline_kernelINS0_14default_configENS1_20scan_config_selectorIfEEZZNS1_9scan_implILNS1_25lookback_scan_determinismE0ELb0ELb0ES3_PKfPffZZZN2at6native31launch_logcumsumexp_cuda_kernelERKNSB_10TensorBaseESF_lENKUlvE_clEvENKUlvE0_clEvEUlffE_fEEDaPvRmT3_T4_T5_mT6_P12ihipStream_tbENKUlT_T0_E_clISt17integral_constantIbLb1EESV_IbLb0EEEEDaSR_SS_EUlSR_E_NS1_11comp_targetILNS1_3genE9ELNS1_11target_archE1100ELNS1_3gpuE3ELNS1_3repE0EEENS1_30default_config_static_selectorELNS0_4arch9wavefront6targetE1EEEvT1_,comdat
	.globl	_ZN7rocprim17ROCPRIM_400000_NS6detail17trampoline_kernelINS0_14default_configENS1_20scan_config_selectorIfEEZZNS1_9scan_implILNS1_25lookback_scan_determinismE0ELb0ELb0ES3_PKfPffZZZN2at6native31launch_logcumsumexp_cuda_kernelERKNSB_10TensorBaseESF_lENKUlvE_clEvENKUlvE0_clEvEUlffE_fEEDaPvRmT3_T4_T5_mT6_P12ihipStream_tbENKUlT_T0_E_clISt17integral_constantIbLb1EESV_IbLb0EEEEDaSR_SS_EUlSR_E_NS1_11comp_targetILNS1_3genE9ELNS1_11target_archE1100ELNS1_3gpuE3ELNS1_3repE0EEENS1_30default_config_static_selectorELNS0_4arch9wavefront6targetE1EEEvT1_ ; -- Begin function _ZN7rocprim17ROCPRIM_400000_NS6detail17trampoline_kernelINS0_14default_configENS1_20scan_config_selectorIfEEZZNS1_9scan_implILNS1_25lookback_scan_determinismE0ELb0ELb0ES3_PKfPffZZZN2at6native31launch_logcumsumexp_cuda_kernelERKNSB_10TensorBaseESF_lENKUlvE_clEvENKUlvE0_clEvEUlffE_fEEDaPvRmT3_T4_T5_mT6_P12ihipStream_tbENKUlT_T0_E_clISt17integral_constantIbLb1EESV_IbLb0EEEEDaSR_SS_EUlSR_E_NS1_11comp_targetILNS1_3genE9ELNS1_11target_archE1100ELNS1_3gpuE3ELNS1_3repE0EEENS1_30default_config_static_selectorELNS0_4arch9wavefront6targetE1EEEvT1_
	.p2align	8
	.type	_ZN7rocprim17ROCPRIM_400000_NS6detail17trampoline_kernelINS0_14default_configENS1_20scan_config_selectorIfEEZZNS1_9scan_implILNS1_25lookback_scan_determinismE0ELb0ELb0ES3_PKfPffZZZN2at6native31launch_logcumsumexp_cuda_kernelERKNSB_10TensorBaseESF_lENKUlvE_clEvENKUlvE0_clEvEUlffE_fEEDaPvRmT3_T4_T5_mT6_P12ihipStream_tbENKUlT_T0_E_clISt17integral_constantIbLb1EESV_IbLb0EEEEDaSR_SS_EUlSR_E_NS1_11comp_targetILNS1_3genE9ELNS1_11target_archE1100ELNS1_3gpuE3ELNS1_3repE0EEENS1_30default_config_static_selectorELNS0_4arch9wavefront6targetE1EEEvT1_,@function
_ZN7rocprim17ROCPRIM_400000_NS6detail17trampoline_kernelINS0_14default_configENS1_20scan_config_selectorIfEEZZNS1_9scan_implILNS1_25lookback_scan_determinismE0ELb0ELb0ES3_PKfPffZZZN2at6native31launch_logcumsumexp_cuda_kernelERKNSB_10TensorBaseESF_lENKUlvE_clEvENKUlvE0_clEvEUlffE_fEEDaPvRmT3_T4_T5_mT6_P12ihipStream_tbENKUlT_T0_E_clISt17integral_constantIbLb1EESV_IbLb0EEEEDaSR_SS_EUlSR_E_NS1_11comp_targetILNS1_3genE9ELNS1_11target_archE1100ELNS1_3gpuE3ELNS1_3repE0EEENS1_30default_config_static_selectorELNS0_4arch9wavefront6targetE1EEEvT1_: ; @_ZN7rocprim17ROCPRIM_400000_NS6detail17trampoline_kernelINS0_14default_configENS1_20scan_config_selectorIfEEZZNS1_9scan_implILNS1_25lookback_scan_determinismE0ELb0ELb0ES3_PKfPffZZZN2at6native31launch_logcumsumexp_cuda_kernelERKNSB_10TensorBaseESF_lENKUlvE_clEvENKUlvE0_clEvEUlffE_fEEDaPvRmT3_T4_T5_mT6_P12ihipStream_tbENKUlT_T0_E_clISt17integral_constantIbLb1EESV_IbLb0EEEEDaSR_SS_EUlSR_E_NS1_11comp_targetILNS1_3genE9ELNS1_11target_archE1100ELNS1_3gpuE3ELNS1_3repE0EEENS1_30default_config_static_selectorELNS0_4arch9wavefront6targetE1EEEvT1_
; %bb.0:
	.section	.rodata,"a",@progbits
	.p2align	6, 0x0
	.amdhsa_kernel _ZN7rocprim17ROCPRIM_400000_NS6detail17trampoline_kernelINS0_14default_configENS1_20scan_config_selectorIfEEZZNS1_9scan_implILNS1_25lookback_scan_determinismE0ELb0ELb0ES3_PKfPffZZZN2at6native31launch_logcumsumexp_cuda_kernelERKNSB_10TensorBaseESF_lENKUlvE_clEvENKUlvE0_clEvEUlffE_fEEDaPvRmT3_T4_T5_mT6_P12ihipStream_tbENKUlT_T0_E_clISt17integral_constantIbLb1EESV_IbLb0EEEEDaSR_SS_EUlSR_E_NS1_11comp_targetILNS1_3genE9ELNS1_11target_archE1100ELNS1_3gpuE3ELNS1_3repE0EEENS1_30default_config_static_selectorELNS0_4arch9wavefront6targetE1EEEvT1_
		.amdhsa_group_segment_fixed_size 0
		.amdhsa_private_segment_fixed_size 0
		.amdhsa_kernarg_size 96
		.amdhsa_user_sgpr_count 6
		.amdhsa_user_sgpr_private_segment_buffer 1
		.amdhsa_user_sgpr_dispatch_ptr 0
		.amdhsa_user_sgpr_queue_ptr 0
		.amdhsa_user_sgpr_kernarg_segment_ptr 1
		.amdhsa_user_sgpr_dispatch_id 0
		.amdhsa_user_sgpr_flat_scratch_init 0
		.amdhsa_user_sgpr_private_segment_size 0
		.amdhsa_uses_dynamic_stack 0
		.amdhsa_system_sgpr_private_segment_wavefront_offset 0
		.amdhsa_system_sgpr_workgroup_id_x 1
		.amdhsa_system_sgpr_workgroup_id_y 0
		.amdhsa_system_sgpr_workgroup_id_z 0
		.amdhsa_system_sgpr_workgroup_info 0
		.amdhsa_system_vgpr_workitem_id 0
		.amdhsa_next_free_vgpr 1
		.amdhsa_next_free_sgpr 0
		.amdhsa_reserve_vcc 0
		.amdhsa_reserve_flat_scratch 0
		.amdhsa_float_round_mode_32 0
		.amdhsa_float_round_mode_16_64 0
		.amdhsa_float_denorm_mode_32 3
		.amdhsa_float_denorm_mode_16_64 3
		.amdhsa_dx10_clamp 1
		.amdhsa_ieee_mode 1
		.amdhsa_fp16_overflow 0
		.amdhsa_exception_fp_ieee_invalid_op 0
		.amdhsa_exception_fp_denorm_src 0
		.amdhsa_exception_fp_ieee_div_zero 0
		.amdhsa_exception_fp_ieee_overflow 0
		.amdhsa_exception_fp_ieee_underflow 0
		.amdhsa_exception_fp_ieee_inexact 0
		.amdhsa_exception_int_div_zero 0
	.end_amdhsa_kernel
	.section	.text._ZN7rocprim17ROCPRIM_400000_NS6detail17trampoline_kernelINS0_14default_configENS1_20scan_config_selectorIfEEZZNS1_9scan_implILNS1_25lookback_scan_determinismE0ELb0ELb0ES3_PKfPffZZZN2at6native31launch_logcumsumexp_cuda_kernelERKNSB_10TensorBaseESF_lENKUlvE_clEvENKUlvE0_clEvEUlffE_fEEDaPvRmT3_T4_T5_mT6_P12ihipStream_tbENKUlT_T0_E_clISt17integral_constantIbLb1EESV_IbLb0EEEEDaSR_SS_EUlSR_E_NS1_11comp_targetILNS1_3genE9ELNS1_11target_archE1100ELNS1_3gpuE3ELNS1_3repE0EEENS1_30default_config_static_selectorELNS0_4arch9wavefront6targetE1EEEvT1_,"axG",@progbits,_ZN7rocprim17ROCPRIM_400000_NS6detail17trampoline_kernelINS0_14default_configENS1_20scan_config_selectorIfEEZZNS1_9scan_implILNS1_25lookback_scan_determinismE0ELb0ELb0ES3_PKfPffZZZN2at6native31launch_logcumsumexp_cuda_kernelERKNSB_10TensorBaseESF_lENKUlvE_clEvENKUlvE0_clEvEUlffE_fEEDaPvRmT3_T4_T5_mT6_P12ihipStream_tbENKUlT_T0_E_clISt17integral_constantIbLb1EESV_IbLb0EEEEDaSR_SS_EUlSR_E_NS1_11comp_targetILNS1_3genE9ELNS1_11target_archE1100ELNS1_3gpuE3ELNS1_3repE0EEENS1_30default_config_static_selectorELNS0_4arch9wavefront6targetE1EEEvT1_,comdat
.Lfunc_end141:
	.size	_ZN7rocprim17ROCPRIM_400000_NS6detail17trampoline_kernelINS0_14default_configENS1_20scan_config_selectorIfEEZZNS1_9scan_implILNS1_25lookback_scan_determinismE0ELb0ELb0ES3_PKfPffZZZN2at6native31launch_logcumsumexp_cuda_kernelERKNSB_10TensorBaseESF_lENKUlvE_clEvENKUlvE0_clEvEUlffE_fEEDaPvRmT3_T4_T5_mT6_P12ihipStream_tbENKUlT_T0_E_clISt17integral_constantIbLb1EESV_IbLb0EEEEDaSR_SS_EUlSR_E_NS1_11comp_targetILNS1_3genE9ELNS1_11target_archE1100ELNS1_3gpuE3ELNS1_3repE0EEENS1_30default_config_static_selectorELNS0_4arch9wavefront6targetE1EEEvT1_, .Lfunc_end141-_ZN7rocprim17ROCPRIM_400000_NS6detail17trampoline_kernelINS0_14default_configENS1_20scan_config_selectorIfEEZZNS1_9scan_implILNS1_25lookback_scan_determinismE0ELb0ELb0ES3_PKfPffZZZN2at6native31launch_logcumsumexp_cuda_kernelERKNSB_10TensorBaseESF_lENKUlvE_clEvENKUlvE0_clEvEUlffE_fEEDaPvRmT3_T4_T5_mT6_P12ihipStream_tbENKUlT_T0_E_clISt17integral_constantIbLb1EESV_IbLb0EEEEDaSR_SS_EUlSR_E_NS1_11comp_targetILNS1_3genE9ELNS1_11target_archE1100ELNS1_3gpuE3ELNS1_3repE0EEENS1_30default_config_static_selectorELNS0_4arch9wavefront6targetE1EEEvT1_
                                        ; -- End function
	.set _ZN7rocprim17ROCPRIM_400000_NS6detail17trampoline_kernelINS0_14default_configENS1_20scan_config_selectorIfEEZZNS1_9scan_implILNS1_25lookback_scan_determinismE0ELb0ELb0ES3_PKfPffZZZN2at6native31launch_logcumsumexp_cuda_kernelERKNSB_10TensorBaseESF_lENKUlvE_clEvENKUlvE0_clEvEUlffE_fEEDaPvRmT3_T4_T5_mT6_P12ihipStream_tbENKUlT_T0_E_clISt17integral_constantIbLb1EESV_IbLb0EEEEDaSR_SS_EUlSR_E_NS1_11comp_targetILNS1_3genE9ELNS1_11target_archE1100ELNS1_3gpuE3ELNS1_3repE0EEENS1_30default_config_static_selectorELNS0_4arch9wavefront6targetE1EEEvT1_.num_vgpr, 0
	.set _ZN7rocprim17ROCPRIM_400000_NS6detail17trampoline_kernelINS0_14default_configENS1_20scan_config_selectorIfEEZZNS1_9scan_implILNS1_25lookback_scan_determinismE0ELb0ELb0ES3_PKfPffZZZN2at6native31launch_logcumsumexp_cuda_kernelERKNSB_10TensorBaseESF_lENKUlvE_clEvENKUlvE0_clEvEUlffE_fEEDaPvRmT3_T4_T5_mT6_P12ihipStream_tbENKUlT_T0_E_clISt17integral_constantIbLb1EESV_IbLb0EEEEDaSR_SS_EUlSR_E_NS1_11comp_targetILNS1_3genE9ELNS1_11target_archE1100ELNS1_3gpuE3ELNS1_3repE0EEENS1_30default_config_static_selectorELNS0_4arch9wavefront6targetE1EEEvT1_.num_agpr, 0
	.set _ZN7rocprim17ROCPRIM_400000_NS6detail17trampoline_kernelINS0_14default_configENS1_20scan_config_selectorIfEEZZNS1_9scan_implILNS1_25lookback_scan_determinismE0ELb0ELb0ES3_PKfPffZZZN2at6native31launch_logcumsumexp_cuda_kernelERKNSB_10TensorBaseESF_lENKUlvE_clEvENKUlvE0_clEvEUlffE_fEEDaPvRmT3_T4_T5_mT6_P12ihipStream_tbENKUlT_T0_E_clISt17integral_constantIbLb1EESV_IbLb0EEEEDaSR_SS_EUlSR_E_NS1_11comp_targetILNS1_3genE9ELNS1_11target_archE1100ELNS1_3gpuE3ELNS1_3repE0EEENS1_30default_config_static_selectorELNS0_4arch9wavefront6targetE1EEEvT1_.numbered_sgpr, 0
	.set _ZN7rocprim17ROCPRIM_400000_NS6detail17trampoline_kernelINS0_14default_configENS1_20scan_config_selectorIfEEZZNS1_9scan_implILNS1_25lookback_scan_determinismE0ELb0ELb0ES3_PKfPffZZZN2at6native31launch_logcumsumexp_cuda_kernelERKNSB_10TensorBaseESF_lENKUlvE_clEvENKUlvE0_clEvEUlffE_fEEDaPvRmT3_T4_T5_mT6_P12ihipStream_tbENKUlT_T0_E_clISt17integral_constantIbLb1EESV_IbLb0EEEEDaSR_SS_EUlSR_E_NS1_11comp_targetILNS1_3genE9ELNS1_11target_archE1100ELNS1_3gpuE3ELNS1_3repE0EEENS1_30default_config_static_selectorELNS0_4arch9wavefront6targetE1EEEvT1_.num_named_barrier, 0
	.set _ZN7rocprim17ROCPRIM_400000_NS6detail17trampoline_kernelINS0_14default_configENS1_20scan_config_selectorIfEEZZNS1_9scan_implILNS1_25lookback_scan_determinismE0ELb0ELb0ES3_PKfPffZZZN2at6native31launch_logcumsumexp_cuda_kernelERKNSB_10TensorBaseESF_lENKUlvE_clEvENKUlvE0_clEvEUlffE_fEEDaPvRmT3_T4_T5_mT6_P12ihipStream_tbENKUlT_T0_E_clISt17integral_constantIbLb1EESV_IbLb0EEEEDaSR_SS_EUlSR_E_NS1_11comp_targetILNS1_3genE9ELNS1_11target_archE1100ELNS1_3gpuE3ELNS1_3repE0EEENS1_30default_config_static_selectorELNS0_4arch9wavefront6targetE1EEEvT1_.private_seg_size, 0
	.set _ZN7rocprim17ROCPRIM_400000_NS6detail17trampoline_kernelINS0_14default_configENS1_20scan_config_selectorIfEEZZNS1_9scan_implILNS1_25lookback_scan_determinismE0ELb0ELb0ES3_PKfPffZZZN2at6native31launch_logcumsumexp_cuda_kernelERKNSB_10TensorBaseESF_lENKUlvE_clEvENKUlvE0_clEvEUlffE_fEEDaPvRmT3_T4_T5_mT6_P12ihipStream_tbENKUlT_T0_E_clISt17integral_constantIbLb1EESV_IbLb0EEEEDaSR_SS_EUlSR_E_NS1_11comp_targetILNS1_3genE9ELNS1_11target_archE1100ELNS1_3gpuE3ELNS1_3repE0EEENS1_30default_config_static_selectorELNS0_4arch9wavefront6targetE1EEEvT1_.uses_vcc, 0
	.set _ZN7rocprim17ROCPRIM_400000_NS6detail17trampoline_kernelINS0_14default_configENS1_20scan_config_selectorIfEEZZNS1_9scan_implILNS1_25lookback_scan_determinismE0ELb0ELb0ES3_PKfPffZZZN2at6native31launch_logcumsumexp_cuda_kernelERKNSB_10TensorBaseESF_lENKUlvE_clEvENKUlvE0_clEvEUlffE_fEEDaPvRmT3_T4_T5_mT6_P12ihipStream_tbENKUlT_T0_E_clISt17integral_constantIbLb1EESV_IbLb0EEEEDaSR_SS_EUlSR_E_NS1_11comp_targetILNS1_3genE9ELNS1_11target_archE1100ELNS1_3gpuE3ELNS1_3repE0EEENS1_30default_config_static_selectorELNS0_4arch9wavefront6targetE1EEEvT1_.uses_flat_scratch, 0
	.set _ZN7rocprim17ROCPRIM_400000_NS6detail17trampoline_kernelINS0_14default_configENS1_20scan_config_selectorIfEEZZNS1_9scan_implILNS1_25lookback_scan_determinismE0ELb0ELb0ES3_PKfPffZZZN2at6native31launch_logcumsumexp_cuda_kernelERKNSB_10TensorBaseESF_lENKUlvE_clEvENKUlvE0_clEvEUlffE_fEEDaPvRmT3_T4_T5_mT6_P12ihipStream_tbENKUlT_T0_E_clISt17integral_constantIbLb1EESV_IbLb0EEEEDaSR_SS_EUlSR_E_NS1_11comp_targetILNS1_3genE9ELNS1_11target_archE1100ELNS1_3gpuE3ELNS1_3repE0EEENS1_30default_config_static_selectorELNS0_4arch9wavefront6targetE1EEEvT1_.has_dyn_sized_stack, 0
	.set _ZN7rocprim17ROCPRIM_400000_NS6detail17trampoline_kernelINS0_14default_configENS1_20scan_config_selectorIfEEZZNS1_9scan_implILNS1_25lookback_scan_determinismE0ELb0ELb0ES3_PKfPffZZZN2at6native31launch_logcumsumexp_cuda_kernelERKNSB_10TensorBaseESF_lENKUlvE_clEvENKUlvE0_clEvEUlffE_fEEDaPvRmT3_T4_T5_mT6_P12ihipStream_tbENKUlT_T0_E_clISt17integral_constantIbLb1EESV_IbLb0EEEEDaSR_SS_EUlSR_E_NS1_11comp_targetILNS1_3genE9ELNS1_11target_archE1100ELNS1_3gpuE3ELNS1_3repE0EEENS1_30default_config_static_selectorELNS0_4arch9wavefront6targetE1EEEvT1_.has_recursion, 0
	.set _ZN7rocprim17ROCPRIM_400000_NS6detail17trampoline_kernelINS0_14default_configENS1_20scan_config_selectorIfEEZZNS1_9scan_implILNS1_25lookback_scan_determinismE0ELb0ELb0ES3_PKfPffZZZN2at6native31launch_logcumsumexp_cuda_kernelERKNSB_10TensorBaseESF_lENKUlvE_clEvENKUlvE0_clEvEUlffE_fEEDaPvRmT3_T4_T5_mT6_P12ihipStream_tbENKUlT_T0_E_clISt17integral_constantIbLb1EESV_IbLb0EEEEDaSR_SS_EUlSR_E_NS1_11comp_targetILNS1_3genE9ELNS1_11target_archE1100ELNS1_3gpuE3ELNS1_3repE0EEENS1_30default_config_static_selectorELNS0_4arch9wavefront6targetE1EEEvT1_.has_indirect_call, 0
	.section	.AMDGPU.csdata,"",@progbits
; Kernel info:
; codeLenInByte = 0
; TotalNumSgprs: 4
; NumVgprs: 0
; ScratchSize: 0
; MemoryBound: 0
; FloatMode: 240
; IeeeMode: 1
; LDSByteSize: 0 bytes/workgroup (compile time only)
; SGPRBlocks: 0
; VGPRBlocks: 0
; NumSGPRsForWavesPerEU: 4
; NumVGPRsForWavesPerEU: 1
; Occupancy: 10
; WaveLimiterHint : 0
; COMPUTE_PGM_RSRC2:SCRATCH_EN: 0
; COMPUTE_PGM_RSRC2:USER_SGPR: 6
; COMPUTE_PGM_RSRC2:TRAP_HANDLER: 0
; COMPUTE_PGM_RSRC2:TGID_X_EN: 1
; COMPUTE_PGM_RSRC2:TGID_Y_EN: 0
; COMPUTE_PGM_RSRC2:TGID_Z_EN: 0
; COMPUTE_PGM_RSRC2:TIDIG_COMP_CNT: 0
	.section	.text._ZN7rocprim17ROCPRIM_400000_NS6detail17trampoline_kernelINS0_14default_configENS1_20scan_config_selectorIfEEZZNS1_9scan_implILNS1_25lookback_scan_determinismE0ELb0ELb0ES3_PKfPffZZZN2at6native31launch_logcumsumexp_cuda_kernelERKNSB_10TensorBaseESF_lENKUlvE_clEvENKUlvE0_clEvEUlffE_fEEDaPvRmT3_T4_T5_mT6_P12ihipStream_tbENKUlT_T0_E_clISt17integral_constantIbLb1EESV_IbLb0EEEEDaSR_SS_EUlSR_E_NS1_11comp_targetILNS1_3genE8ELNS1_11target_archE1030ELNS1_3gpuE2ELNS1_3repE0EEENS1_30default_config_static_selectorELNS0_4arch9wavefront6targetE1EEEvT1_,"axG",@progbits,_ZN7rocprim17ROCPRIM_400000_NS6detail17trampoline_kernelINS0_14default_configENS1_20scan_config_selectorIfEEZZNS1_9scan_implILNS1_25lookback_scan_determinismE0ELb0ELb0ES3_PKfPffZZZN2at6native31launch_logcumsumexp_cuda_kernelERKNSB_10TensorBaseESF_lENKUlvE_clEvENKUlvE0_clEvEUlffE_fEEDaPvRmT3_T4_T5_mT6_P12ihipStream_tbENKUlT_T0_E_clISt17integral_constantIbLb1EESV_IbLb0EEEEDaSR_SS_EUlSR_E_NS1_11comp_targetILNS1_3genE8ELNS1_11target_archE1030ELNS1_3gpuE2ELNS1_3repE0EEENS1_30default_config_static_selectorELNS0_4arch9wavefront6targetE1EEEvT1_,comdat
	.globl	_ZN7rocprim17ROCPRIM_400000_NS6detail17trampoline_kernelINS0_14default_configENS1_20scan_config_selectorIfEEZZNS1_9scan_implILNS1_25lookback_scan_determinismE0ELb0ELb0ES3_PKfPffZZZN2at6native31launch_logcumsumexp_cuda_kernelERKNSB_10TensorBaseESF_lENKUlvE_clEvENKUlvE0_clEvEUlffE_fEEDaPvRmT3_T4_T5_mT6_P12ihipStream_tbENKUlT_T0_E_clISt17integral_constantIbLb1EESV_IbLb0EEEEDaSR_SS_EUlSR_E_NS1_11comp_targetILNS1_3genE8ELNS1_11target_archE1030ELNS1_3gpuE2ELNS1_3repE0EEENS1_30default_config_static_selectorELNS0_4arch9wavefront6targetE1EEEvT1_ ; -- Begin function _ZN7rocprim17ROCPRIM_400000_NS6detail17trampoline_kernelINS0_14default_configENS1_20scan_config_selectorIfEEZZNS1_9scan_implILNS1_25lookback_scan_determinismE0ELb0ELb0ES3_PKfPffZZZN2at6native31launch_logcumsumexp_cuda_kernelERKNSB_10TensorBaseESF_lENKUlvE_clEvENKUlvE0_clEvEUlffE_fEEDaPvRmT3_T4_T5_mT6_P12ihipStream_tbENKUlT_T0_E_clISt17integral_constantIbLb1EESV_IbLb0EEEEDaSR_SS_EUlSR_E_NS1_11comp_targetILNS1_3genE8ELNS1_11target_archE1030ELNS1_3gpuE2ELNS1_3repE0EEENS1_30default_config_static_selectorELNS0_4arch9wavefront6targetE1EEEvT1_
	.p2align	8
	.type	_ZN7rocprim17ROCPRIM_400000_NS6detail17trampoline_kernelINS0_14default_configENS1_20scan_config_selectorIfEEZZNS1_9scan_implILNS1_25lookback_scan_determinismE0ELb0ELb0ES3_PKfPffZZZN2at6native31launch_logcumsumexp_cuda_kernelERKNSB_10TensorBaseESF_lENKUlvE_clEvENKUlvE0_clEvEUlffE_fEEDaPvRmT3_T4_T5_mT6_P12ihipStream_tbENKUlT_T0_E_clISt17integral_constantIbLb1EESV_IbLb0EEEEDaSR_SS_EUlSR_E_NS1_11comp_targetILNS1_3genE8ELNS1_11target_archE1030ELNS1_3gpuE2ELNS1_3repE0EEENS1_30default_config_static_selectorELNS0_4arch9wavefront6targetE1EEEvT1_,@function
_ZN7rocprim17ROCPRIM_400000_NS6detail17trampoline_kernelINS0_14default_configENS1_20scan_config_selectorIfEEZZNS1_9scan_implILNS1_25lookback_scan_determinismE0ELb0ELb0ES3_PKfPffZZZN2at6native31launch_logcumsumexp_cuda_kernelERKNSB_10TensorBaseESF_lENKUlvE_clEvENKUlvE0_clEvEUlffE_fEEDaPvRmT3_T4_T5_mT6_P12ihipStream_tbENKUlT_T0_E_clISt17integral_constantIbLb1EESV_IbLb0EEEEDaSR_SS_EUlSR_E_NS1_11comp_targetILNS1_3genE8ELNS1_11target_archE1030ELNS1_3gpuE2ELNS1_3repE0EEENS1_30default_config_static_selectorELNS0_4arch9wavefront6targetE1EEEvT1_: ; @_ZN7rocprim17ROCPRIM_400000_NS6detail17trampoline_kernelINS0_14default_configENS1_20scan_config_selectorIfEEZZNS1_9scan_implILNS1_25lookback_scan_determinismE0ELb0ELb0ES3_PKfPffZZZN2at6native31launch_logcumsumexp_cuda_kernelERKNSB_10TensorBaseESF_lENKUlvE_clEvENKUlvE0_clEvEUlffE_fEEDaPvRmT3_T4_T5_mT6_P12ihipStream_tbENKUlT_T0_E_clISt17integral_constantIbLb1EESV_IbLb0EEEEDaSR_SS_EUlSR_E_NS1_11comp_targetILNS1_3genE8ELNS1_11target_archE1030ELNS1_3gpuE2ELNS1_3repE0EEENS1_30default_config_static_selectorELNS0_4arch9wavefront6targetE1EEEvT1_
; %bb.0:
	.section	.rodata,"a",@progbits
	.p2align	6, 0x0
	.amdhsa_kernel _ZN7rocprim17ROCPRIM_400000_NS6detail17trampoline_kernelINS0_14default_configENS1_20scan_config_selectorIfEEZZNS1_9scan_implILNS1_25lookback_scan_determinismE0ELb0ELb0ES3_PKfPffZZZN2at6native31launch_logcumsumexp_cuda_kernelERKNSB_10TensorBaseESF_lENKUlvE_clEvENKUlvE0_clEvEUlffE_fEEDaPvRmT3_T4_T5_mT6_P12ihipStream_tbENKUlT_T0_E_clISt17integral_constantIbLb1EESV_IbLb0EEEEDaSR_SS_EUlSR_E_NS1_11comp_targetILNS1_3genE8ELNS1_11target_archE1030ELNS1_3gpuE2ELNS1_3repE0EEENS1_30default_config_static_selectorELNS0_4arch9wavefront6targetE1EEEvT1_
		.amdhsa_group_segment_fixed_size 0
		.amdhsa_private_segment_fixed_size 0
		.amdhsa_kernarg_size 96
		.amdhsa_user_sgpr_count 6
		.amdhsa_user_sgpr_private_segment_buffer 1
		.amdhsa_user_sgpr_dispatch_ptr 0
		.amdhsa_user_sgpr_queue_ptr 0
		.amdhsa_user_sgpr_kernarg_segment_ptr 1
		.amdhsa_user_sgpr_dispatch_id 0
		.amdhsa_user_sgpr_flat_scratch_init 0
		.amdhsa_user_sgpr_private_segment_size 0
		.amdhsa_uses_dynamic_stack 0
		.amdhsa_system_sgpr_private_segment_wavefront_offset 0
		.amdhsa_system_sgpr_workgroup_id_x 1
		.amdhsa_system_sgpr_workgroup_id_y 0
		.amdhsa_system_sgpr_workgroup_id_z 0
		.amdhsa_system_sgpr_workgroup_info 0
		.amdhsa_system_vgpr_workitem_id 0
		.amdhsa_next_free_vgpr 1
		.amdhsa_next_free_sgpr 0
		.amdhsa_reserve_vcc 0
		.amdhsa_reserve_flat_scratch 0
		.amdhsa_float_round_mode_32 0
		.amdhsa_float_round_mode_16_64 0
		.amdhsa_float_denorm_mode_32 3
		.amdhsa_float_denorm_mode_16_64 3
		.amdhsa_dx10_clamp 1
		.amdhsa_ieee_mode 1
		.amdhsa_fp16_overflow 0
		.amdhsa_exception_fp_ieee_invalid_op 0
		.amdhsa_exception_fp_denorm_src 0
		.amdhsa_exception_fp_ieee_div_zero 0
		.amdhsa_exception_fp_ieee_overflow 0
		.amdhsa_exception_fp_ieee_underflow 0
		.amdhsa_exception_fp_ieee_inexact 0
		.amdhsa_exception_int_div_zero 0
	.end_amdhsa_kernel
	.section	.text._ZN7rocprim17ROCPRIM_400000_NS6detail17trampoline_kernelINS0_14default_configENS1_20scan_config_selectorIfEEZZNS1_9scan_implILNS1_25lookback_scan_determinismE0ELb0ELb0ES3_PKfPffZZZN2at6native31launch_logcumsumexp_cuda_kernelERKNSB_10TensorBaseESF_lENKUlvE_clEvENKUlvE0_clEvEUlffE_fEEDaPvRmT3_T4_T5_mT6_P12ihipStream_tbENKUlT_T0_E_clISt17integral_constantIbLb1EESV_IbLb0EEEEDaSR_SS_EUlSR_E_NS1_11comp_targetILNS1_3genE8ELNS1_11target_archE1030ELNS1_3gpuE2ELNS1_3repE0EEENS1_30default_config_static_selectorELNS0_4arch9wavefront6targetE1EEEvT1_,"axG",@progbits,_ZN7rocprim17ROCPRIM_400000_NS6detail17trampoline_kernelINS0_14default_configENS1_20scan_config_selectorIfEEZZNS1_9scan_implILNS1_25lookback_scan_determinismE0ELb0ELb0ES3_PKfPffZZZN2at6native31launch_logcumsumexp_cuda_kernelERKNSB_10TensorBaseESF_lENKUlvE_clEvENKUlvE0_clEvEUlffE_fEEDaPvRmT3_T4_T5_mT6_P12ihipStream_tbENKUlT_T0_E_clISt17integral_constantIbLb1EESV_IbLb0EEEEDaSR_SS_EUlSR_E_NS1_11comp_targetILNS1_3genE8ELNS1_11target_archE1030ELNS1_3gpuE2ELNS1_3repE0EEENS1_30default_config_static_selectorELNS0_4arch9wavefront6targetE1EEEvT1_,comdat
.Lfunc_end142:
	.size	_ZN7rocprim17ROCPRIM_400000_NS6detail17trampoline_kernelINS0_14default_configENS1_20scan_config_selectorIfEEZZNS1_9scan_implILNS1_25lookback_scan_determinismE0ELb0ELb0ES3_PKfPffZZZN2at6native31launch_logcumsumexp_cuda_kernelERKNSB_10TensorBaseESF_lENKUlvE_clEvENKUlvE0_clEvEUlffE_fEEDaPvRmT3_T4_T5_mT6_P12ihipStream_tbENKUlT_T0_E_clISt17integral_constantIbLb1EESV_IbLb0EEEEDaSR_SS_EUlSR_E_NS1_11comp_targetILNS1_3genE8ELNS1_11target_archE1030ELNS1_3gpuE2ELNS1_3repE0EEENS1_30default_config_static_selectorELNS0_4arch9wavefront6targetE1EEEvT1_, .Lfunc_end142-_ZN7rocprim17ROCPRIM_400000_NS6detail17trampoline_kernelINS0_14default_configENS1_20scan_config_selectorIfEEZZNS1_9scan_implILNS1_25lookback_scan_determinismE0ELb0ELb0ES3_PKfPffZZZN2at6native31launch_logcumsumexp_cuda_kernelERKNSB_10TensorBaseESF_lENKUlvE_clEvENKUlvE0_clEvEUlffE_fEEDaPvRmT3_T4_T5_mT6_P12ihipStream_tbENKUlT_T0_E_clISt17integral_constantIbLb1EESV_IbLb0EEEEDaSR_SS_EUlSR_E_NS1_11comp_targetILNS1_3genE8ELNS1_11target_archE1030ELNS1_3gpuE2ELNS1_3repE0EEENS1_30default_config_static_selectorELNS0_4arch9wavefront6targetE1EEEvT1_
                                        ; -- End function
	.set _ZN7rocprim17ROCPRIM_400000_NS6detail17trampoline_kernelINS0_14default_configENS1_20scan_config_selectorIfEEZZNS1_9scan_implILNS1_25lookback_scan_determinismE0ELb0ELb0ES3_PKfPffZZZN2at6native31launch_logcumsumexp_cuda_kernelERKNSB_10TensorBaseESF_lENKUlvE_clEvENKUlvE0_clEvEUlffE_fEEDaPvRmT3_T4_T5_mT6_P12ihipStream_tbENKUlT_T0_E_clISt17integral_constantIbLb1EESV_IbLb0EEEEDaSR_SS_EUlSR_E_NS1_11comp_targetILNS1_3genE8ELNS1_11target_archE1030ELNS1_3gpuE2ELNS1_3repE0EEENS1_30default_config_static_selectorELNS0_4arch9wavefront6targetE1EEEvT1_.num_vgpr, 0
	.set _ZN7rocprim17ROCPRIM_400000_NS6detail17trampoline_kernelINS0_14default_configENS1_20scan_config_selectorIfEEZZNS1_9scan_implILNS1_25lookback_scan_determinismE0ELb0ELb0ES3_PKfPffZZZN2at6native31launch_logcumsumexp_cuda_kernelERKNSB_10TensorBaseESF_lENKUlvE_clEvENKUlvE0_clEvEUlffE_fEEDaPvRmT3_T4_T5_mT6_P12ihipStream_tbENKUlT_T0_E_clISt17integral_constantIbLb1EESV_IbLb0EEEEDaSR_SS_EUlSR_E_NS1_11comp_targetILNS1_3genE8ELNS1_11target_archE1030ELNS1_3gpuE2ELNS1_3repE0EEENS1_30default_config_static_selectorELNS0_4arch9wavefront6targetE1EEEvT1_.num_agpr, 0
	.set _ZN7rocprim17ROCPRIM_400000_NS6detail17trampoline_kernelINS0_14default_configENS1_20scan_config_selectorIfEEZZNS1_9scan_implILNS1_25lookback_scan_determinismE0ELb0ELb0ES3_PKfPffZZZN2at6native31launch_logcumsumexp_cuda_kernelERKNSB_10TensorBaseESF_lENKUlvE_clEvENKUlvE0_clEvEUlffE_fEEDaPvRmT3_T4_T5_mT6_P12ihipStream_tbENKUlT_T0_E_clISt17integral_constantIbLb1EESV_IbLb0EEEEDaSR_SS_EUlSR_E_NS1_11comp_targetILNS1_3genE8ELNS1_11target_archE1030ELNS1_3gpuE2ELNS1_3repE0EEENS1_30default_config_static_selectorELNS0_4arch9wavefront6targetE1EEEvT1_.numbered_sgpr, 0
	.set _ZN7rocprim17ROCPRIM_400000_NS6detail17trampoline_kernelINS0_14default_configENS1_20scan_config_selectorIfEEZZNS1_9scan_implILNS1_25lookback_scan_determinismE0ELb0ELb0ES3_PKfPffZZZN2at6native31launch_logcumsumexp_cuda_kernelERKNSB_10TensorBaseESF_lENKUlvE_clEvENKUlvE0_clEvEUlffE_fEEDaPvRmT3_T4_T5_mT6_P12ihipStream_tbENKUlT_T0_E_clISt17integral_constantIbLb1EESV_IbLb0EEEEDaSR_SS_EUlSR_E_NS1_11comp_targetILNS1_3genE8ELNS1_11target_archE1030ELNS1_3gpuE2ELNS1_3repE0EEENS1_30default_config_static_selectorELNS0_4arch9wavefront6targetE1EEEvT1_.num_named_barrier, 0
	.set _ZN7rocprim17ROCPRIM_400000_NS6detail17trampoline_kernelINS0_14default_configENS1_20scan_config_selectorIfEEZZNS1_9scan_implILNS1_25lookback_scan_determinismE0ELb0ELb0ES3_PKfPffZZZN2at6native31launch_logcumsumexp_cuda_kernelERKNSB_10TensorBaseESF_lENKUlvE_clEvENKUlvE0_clEvEUlffE_fEEDaPvRmT3_T4_T5_mT6_P12ihipStream_tbENKUlT_T0_E_clISt17integral_constantIbLb1EESV_IbLb0EEEEDaSR_SS_EUlSR_E_NS1_11comp_targetILNS1_3genE8ELNS1_11target_archE1030ELNS1_3gpuE2ELNS1_3repE0EEENS1_30default_config_static_selectorELNS0_4arch9wavefront6targetE1EEEvT1_.private_seg_size, 0
	.set _ZN7rocprim17ROCPRIM_400000_NS6detail17trampoline_kernelINS0_14default_configENS1_20scan_config_selectorIfEEZZNS1_9scan_implILNS1_25lookback_scan_determinismE0ELb0ELb0ES3_PKfPffZZZN2at6native31launch_logcumsumexp_cuda_kernelERKNSB_10TensorBaseESF_lENKUlvE_clEvENKUlvE0_clEvEUlffE_fEEDaPvRmT3_T4_T5_mT6_P12ihipStream_tbENKUlT_T0_E_clISt17integral_constantIbLb1EESV_IbLb0EEEEDaSR_SS_EUlSR_E_NS1_11comp_targetILNS1_3genE8ELNS1_11target_archE1030ELNS1_3gpuE2ELNS1_3repE0EEENS1_30default_config_static_selectorELNS0_4arch9wavefront6targetE1EEEvT1_.uses_vcc, 0
	.set _ZN7rocprim17ROCPRIM_400000_NS6detail17trampoline_kernelINS0_14default_configENS1_20scan_config_selectorIfEEZZNS1_9scan_implILNS1_25lookback_scan_determinismE0ELb0ELb0ES3_PKfPffZZZN2at6native31launch_logcumsumexp_cuda_kernelERKNSB_10TensorBaseESF_lENKUlvE_clEvENKUlvE0_clEvEUlffE_fEEDaPvRmT3_T4_T5_mT6_P12ihipStream_tbENKUlT_T0_E_clISt17integral_constantIbLb1EESV_IbLb0EEEEDaSR_SS_EUlSR_E_NS1_11comp_targetILNS1_3genE8ELNS1_11target_archE1030ELNS1_3gpuE2ELNS1_3repE0EEENS1_30default_config_static_selectorELNS0_4arch9wavefront6targetE1EEEvT1_.uses_flat_scratch, 0
	.set _ZN7rocprim17ROCPRIM_400000_NS6detail17trampoline_kernelINS0_14default_configENS1_20scan_config_selectorIfEEZZNS1_9scan_implILNS1_25lookback_scan_determinismE0ELb0ELb0ES3_PKfPffZZZN2at6native31launch_logcumsumexp_cuda_kernelERKNSB_10TensorBaseESF_lENKUlvE_clEvENKUlvE0_clEvEUlffE_fEEDaPvRmT3_T4_T5_mT6_P12ihipStream_tbENKUlT_T0_E_clISt17integral_constantIbLb1EESV_IbLb0EEEEDaSR_SS_EUlSR_E_NS1_11comp_targetILNS1_3genE8ELNS1_11target_archE1030ELNS1_3gpuE2ELNS1_3repE0EEENS1_30default_config_static_selectorELNS0_4arch9wavefront6targetE1EEEvT1_.has_dyn_sized_stack, 0
	.set _ZN7rocprim17ROCPRIM_400000_NS6detail17trampoline_kernelINS0_14default_configENS1_20scan_config_selectorIfEEZZNS1_9scan_implILNS1_25lookback_scan_determinismE0ELb0ELb0ES3_PKfPffZZZN2at6native31launch_logcumsumexp_cuda_kernelERKNSB_10TensorBaseESF_lENKUlvE_clEvENKUlvE0_clEvEUlffE_fEEDaPvRmT3_T4_T5_mT6_P12ihipStream_tbENKUlT_T0_E_clISt17integral_constantIbLb1EESV_IbLb0EEEEDaSR_SS_EUlSR_E_NS1_11comp_targetILNS1_3genE8ELNS1_11target_archE1030ELNS1_3gpuE2ELNS1_3repE0EEENS1_30default_config_static_selectorELNS0_4arch9wavefront6targetE1EEEvT1_.has_recursion, 0
	.set _ZN7rocprim17ROCPRIM_400000_NS6detail17trampoline_kernelINS0_14default_configENS1_20scan_config_selectorIfEEZZNS1_9scan_implILNS1_25lookback_scan_determinismE0ELb0ELb0ES3_PKfPffZZZN2at6native31launch_logcumsumexp_cuda_kernelERKNSB_10TensorBaseESF_lENKUlvE_clEvENKUlvE0_clEvEUlffE_fEEDaPvRmT3_T4_T5_mT6_P12ihipStream_tbENKUlT_T0_E_clISt17integral_constantIbLb1EESV_IbLb0EEEEDaSR_SS_EUlSR_E_NS1_11comp_targetILNS1_3genE8ELNS1_11target_archE1030ELNS1_3gpuE2ELNS1_3repE0EEENS1_30default_config_static_selectorELNS0_4arch9wavefront6targetE1EEEvT1_.has_indirect_call, 0
	.section	.AMDGPU.csdata,"",@progbits
; Kernel info:
; codeLenInByte = 0
; TotalNumSgprs: 4
; NumVgprs: 0
; ScratchSize: 0
; MemoryBound: 0
; FloatMode: 240
; IeeeMode: 1
; LDSByteSize: 0 bytes/workgroup (compile time only)
; SGPRBlocks: 0
; VGPRBlocks: 0
; NumSGPRsForWavesPerEU: 4
; NumVGPRsForWavesPerEU: 1
; Occupancy: 10
; WaveLimiterHint : 0
; COMPUTE_PGM_RSRC2:SCRATCH_EN: 0
; COMPUTE_PGM_RSRC2:USER_SGPR: 6
; COMPUTE_PGM_RSRC2:TRAP_HANDLER: 0
; COMPUTE_PGM_RSRC2:TGID_X_EN: 1
; COMPUTE_PGM_RSRC2:TGID_Y_EN: 0
; COMPUTE_PGM_RSRC2:TGID_Z_EN: 0
; COMPUTE_PGM_RSRC2:TIDIG_COMP_CNT: 0
	.section	.text._ZN7rocprim17ROCPRIM_400000_NS6detail17trampoline_kernelINS0_14default_configENS1_20scan_config_selectorIfEEZZNS1_9scan_implILNS1_25lookback_scan_determinismE0ELb0ELb0ES3_PKfPffZZZN2at6native31launch_logcumsumexp_cuda_kernelERKNSB_10TensorBaseESF_lENKUlvE_clEvENKUlvE0_clEvEUlffE_fEEDaPvRmT3_T4_T5_mT6_P12ihipStream_tbENKUlT_T0_E_clISt17integral_constantIbLb1EESV_IbLb0EEEEDaSR_SS_EUlSR_E0_NS1_11comp_targetILNS1_3genE0ELNS1_11target_archE4294967295ELNS1_3gpuE0ELNS1_3repE0EEENS1_30default_config_static_selectorELNS0_4arch9wavefront6targetE1EEEvT1_,"axG",@progbits,_ZN7rocprim17ROCPRIM_400000_NS6detail17trampoline_kernelINS0_14default_configENS1_20scan_config_selectorIfEEZZNS1_9scan_implILNS1_25lookback_scan_determinismE0ELb0ELb0ES3_PKfPffZZZN2at6native31launch_logcumsumexp_cuda_kernelERKNSB_10TensorBaseESF_lENKUlvE_clEvENKUlvE0_clEvEUlffE_fEEDaPvRmT3_T4_T5_mT6_P12ihipStream_tbENKUlT_T0_E_clISt17integral_constantIbLb1EESV_IbLb0EEEEDaSR_SS_EUlSR_E0_NS1_11comp_targetILNS1_3genE0ELNS1_11target_archE4294967295ELNS1_3gpuE0ELNS1_3repE0EEENS1_30default_config_static_selectorELNS0_4arch9wavefront6targetE1EEEvT1_,comdat
	.globl	_ZN7rocprim17ROCPRIM_400000_NS6detail17trampoline_kernelINS0_14default_configENS1_20scan_config_selectorIfEEZZNS1_9scan_implILNS1_25lookback_scan_determinismE0ELb0ELb0ES3_PKfPffZZZN2at6native31launch_logcumsumexp_cuda_kernelERKNSB_10TensorBaseESF_lENKUlvE_clEvENKUlvE0_clEvEUlffE_fEEDaPvRmT3_T4_T5_mT6_P12ihipStream_tbENKUlT_T0_E_clISt17integral_constantIbLb1EESV_IbLb0EEEEDaSR_SS_EUlSR_E0_NS1_11comp_targetILNS1_3genE0ELNS1_11target_archE4294967295ELNS1_3gpuE0ELNS1_3repE0EEENS1_30default_config_static_selectorELNS0_4arch9wavefront6targetE1EEEvT1_ ; -- Begin function _ZN7rocprim17ROCPRIM_400000_NS6detail17trampoline_kernelINS0_14default_configENS1_20scan_config_selectorIfEEZZNS1_9scan_implILNS1_25lookback_scan_determinismE0ELb0ELb0ES3_PKfPffZZZN2at6native31launch_logcumsumexp_cuda_kernelERKNSB_10TensorBaseESF_lENKUlvE_clEvENKUlvE0_clEvEUlffE_fEEDaPvRmT3_T4_T5_mT6_P12ihipStream_tbENKUlT_T0_E_clISt17integral_constantIbLb1EESV_IbLb0EEEEDaSR_SS_EUlSR_E0_NS1_11comp_targetILNS1_3genE0ELNS1_11target_archE4294967295ELNS1_3gpuE0ELNS1_3repE0EEENS1_30default_config_static_selectorELNS0_4arch9wavefront6targetE1EEEvT1_
	.p2align	8
	.type	_ZN7rocprim17ROCPRIM_400000_NS6detail17trampoline_kernelINS0_14default_configENS1_20scan_config_selectorIfEEZZNS1_9scan_implILNS1_25lookback_scan_determinismE0ELb0ELb0ES3_PKfPffZZZN2at6native31launch_logcumsumexp_cuda_kernelERKNSB_10TensorBaseESF_lENKUlvE_clEvENKUlvE0_clEvEUlffE_fEEDaPvRmT3_T4_T5_mT6_P12ihipStream_tbENKUlT_T0_E_clISt17integral_constantIbLb1EESV_IbLb0EEEEDaSR_SS_EUlSR_E0_NS1_11comp_targetILNS1_3genE0ELNS1_11target_archE4294967295ELNS1_3gpuE0ELNS1_3repE0EEENS1_30default_config_static_selectorELNS0_4arch9wavefront6targetE1EEEvT1_,@function
_ZN7rocprim17ROCPRIM_400000_NS6detail17trampoline_kernelINS0_14default_configENS1_20scan_config_selectorIfEEZZNS1_9scan_implILNS1_25lookback_scan_determinismE0ELb0ELb0ES3_PKfPffZZZN2at6native31launch_logcumsumexp_cuda_kernelERKNSB_10TensorBaseESF_lENKUlvE_clEvENKUlvE0_clEvEUlffE_fEEDaPvRmT3_T4_T5_mT6_P12ihipStream_tbENKUlT_T0_E_clISt17integral_constantIbLb1EESV_IbLb0EEEEDaSR_SS_EUlSR_E0_NS1_11comp_targetILNS1_3genE0ELNS1_11target_archE4294967295ELNS1_3gpuE0ELNS1_3repE0EEENS1_30default_config_static_selectorELNS0_4arch9wavefront6targetE1EEEvT1_: ; @_ZN7rocprim17ROCPRIM_400000_NS6detail17trampoline_kernelINS0_14default_configENS1_20scan_config_selectorIfEEZZNS1_9scan_implILNS1_25lookback_scan_determinismE0ELb0ELb0ES3_PKfPffZZZN2at6native31launch_logcumsumexp_cuda_kernelERKNSB_10TensorBaseESF_lENKUlvE_clEvENKUlvE0_clEvEUlffE_fEEDaPvRmT3_T4_T5_mT6_P12ihipStream_tbENKUlT_T0_E_clISt17integral_constantIbLb1EESV_IbLb0EEEEDaSR_SS_EUlSR_E0_NS1_11comp_targetILNS1_3genE0ELNS1_11target_archE4294967295ELNS1_3gpuE0ELNS1_3repE0EEENS1_30default_config_static_selectorELNS0_4arch9wavefront6targetE1EEEvT1_
; %bb.0:
	.section	.rodata,"a",@progbits
	.p2align	6, 0x0
	.amdhsa_kernel _ZN7rocprim17ROCPRIM_400000_NS6detail17trampoline_kernelINS0_14default_configENS1_20scan_config_selectorIfEEZZNS1_9scan_implILNS1_25lookback_scan_determinismE0ELb0ELb0ES3_PKfPffZZZN2at6native31launch_logcumsumexp_cuda_kernelERKNSB_10TensorBaseESF_lENKUlvE_clEvENKUlvE0_clEvEUlffE_fEEDaPvRmT3_T4_T5_mT6_P12ihipStream_tbENKUlT_T0_E_clISt17integral_constantIbLb1EESV_IbLb0EEEEDaSR_SS_EUlSR_E0_NS1_11comp_targetILNS1_3genE0ELNS1_11target_archE4294967295ELNS1_3gpuE0ELNS1_3repE0EEENS1_30default_config_static_selectorELNS0_4arch9wavefront6targetE1EEEvT1_
		.amdhsa_group_segment_fixed_size 0
		.amdhsa_private_segment_fixed_size 0
		.amdhsa_kernarg_size 32
		.amdhsa_user_sgpr_count 6
		.amdhsa_user_sgpr_private_segment_buffer 1
		.amdhsa_user_sgpr_dispatch_ptr 0
		.amdhsa_user_sgpr_queue_ptr 0
		.amdhsa_user_sgpr_kernarg_segment_ptr 1
		.amdhsa_user_sgpr_dispatch_id 0
		.amdhsa_user_sgpr_flat_scratch_init 0
		.amdhsa_user_sgpr_private_segment_size 0
		.amdhsa_uses_dynamic_stack 0
		.amdhsa_system_sgpr_private_segment_wavefront_offset 0
		.amdhsa_system_sgpr_workgroup_id_x 1
		.amdhsa_system_sgpr_workgroup_id_y 0
		.amdhsa_system_sgpr_workgroup_id_z 0
		.amdhsa_system_sgpr_workgroup_info 0
		.amdhsa_system_vgpr_workitem_id 0
		.amdhsa_next_free_vgpr 1
		.amdhsa_next_free_sgpr 0
		.amdhsa_reserve_vcc 0
		.amdhsa_reserve_flat_scratch 0
		.amdhsa_float_round_mode_32 0
		.amdhsa_float_round_mode_16_64 0
		.amdhsa_float_denorm_mode_32 3
		.amdhsa_float_denorm_mode_16_64 3
		.amdhsa_dx10_clamp 1
		.amdhsa_ieee_mode 1
		.amdhsa_fp16_overflow 0
		.amdhsa_exception_fp_ieee_invalid_op 0
		.amdhsa_exception_fp_denorm_src 0
		.amdhsa_exception_fp_ieee_div_zero 0
		.amdhsa_exception_fp_ieee_overflow 0
		.amdhsa_exception_fp_ieee_underflow 0
		.amdhsa_exception_fp_ieee_inexact 0
		.amdhsa_exception_int_div_zero 0
	.end_amdhsa_kernel
	.section	.text._ZN7rocprim17ROCPRIM_400000_NS6detail17trampoline_kernelINS0_14default_configENS1_20scan_config_selectorIfEEZZNS1_9scan_implILNS1_25lookback_scan_determinismE0ELb0ELb0ES3_PKfPffZZZN2at6native31launch_logcumsumexp_cuda_kernelERKNSB_10TensorBaseESF_lENKUlvE_clEvENKUlvE0_clEvEUlffE_fEEDaPvRmT3_T4_T5_mT6_P12ihipStream_tbENKUlT_T0_E_clISt17integral_constantIbLb1EESV_IbLb0EEEEDaSR_SS_EUlSR_E0_NS1_11comp_targetILNS1_3genE0ELNS1_11target_archE4294967295ELNS1_3gpuE0ELNS1_3repE0EEENS1_30default_config_static_selectorELNS0_4arch9wavefront6targetE1EEEvT1_,"axG",@progbits,_ZN7rocprim17ROCPRIM_400000_NS6detail17trampoline_kernelINS0_14default_configENS1_20scan_config_selectorIfEEZZNS1_9scan_implILNS1_25lookback_scan_determinismE0ELb0ELb0ES3_PKfPffZZZN2at6native31launch_logcumsumexp_cuda_kernelERKNSB_10TensorBaseESF_lENKUlvE_clEvENKUlvE0_clEvEUlffE_fEEDaPvRmT3_T4_T5_mT6_P12ihipStream_tbENKUlT_T0_E_clISt17integral_constantIbLb1EESV_IbLb0EEEEDaSR_SS_EUlSR_E0_NS1_11comp_targetILNS1_3genE0ELNS1_11target_archE4294967295ELNS1_3gpuE0ELNS1_3repE0EEENS1_30default_config_static_selectorELNS0_4arch9wavefront6targetE1EEEvT1_,comdat
.Lfunc_end143:
	.size	_ZN7rocprim17ROCPRIM_400000_NS6detail17trampoline_kernelINS0_14default_configENS1_20scan_config_selectorIfEEZZNS1_9scan_implILNS1_25lookback_scan_determinismE0ELb0ELb0ES3_PKfPffZZZN2at6native31launch_logcumsumexp_cuda_kernelERKNSB_10TensorBaseESF_lENKUlvE_clEvENKUlvE0_clEvEUlffE_fEEDaPvRmT3_T4_T5_mT6_P12ihipStream_tbENKUlT_T0_E_clISt17integral_constantIbLb1EESV_IbLb0EEEEDaSR_SS_EUlSR_E0_NS1_11comp_targetILNS1_3genE0ELNS1_11target_archE4294967295ELNS1_3gpuE0ELNS1_3repE0EEENS1_30default_config_static_selectorELNS0_4arch9wavefront6targetE1EEEvT1_, .Lfunc_end143-_ZN7rocprim17ROCPRIM_400000_NS6detail17trampoline_kernelINS0_14default_configENS1_20scan_config_selectorIfEEZZNS1_9scan_implILNS1_25lookback_scan_determinismE0ELb0ELb0ES3_PKfPffZZZN2at6native31launch_logcumsumexp_cuda_kernelERKNSB_10TensorBaseESF_lENKUlvE_clEvENKUlvE0_clEvEUlffE_fEEDaPvRmT3_T4_T5_mT6_P12ihipStream_tbENKUlT_T0_E_clISt17integral_constantIbLb1EESV_IbLb0EEEEDaSR_SS_EUlSR_E0_NS1_11comp_targetILNS1_3genE0ELNS1_11target_archE4294967295ELNS1_3gpuE0ELNS1_3repE0EEENS1_30default_config_static_selectorELNS0_4arch9wavefront6targetE1EEEvT1_
                                        ; -- End function
	.set _ZN7rocprim17ROCPRIM_400000_NS6detail17trampoline_kernelINS0_14default_configENS1_20scan_config_selectorIfEEZZNS1_9scan_implILNS1_25lookback_scan_determinismE0ELb0ELb0ES3_PKfPffZZZN2at6native31launch_logcumsumexp_cuda_kernelERKNSB_10TensorBaseESF_lENKUlvE_clEvENKUlvE0_clEvEUlffE_fEEDaPvRmT3_T4_T5_mT6_P12ihipStream_tbENKUlT_T0_E_clISt17integral_constantIbLb1EESV_IbLb0EEEEDaSR_SS_EUlSR_E0_NS1_11comp_targetILNS1_3genE0ELNS1_11target_archE4294967295ELNS1_3gpuE0ELNS1_3repE0EEENS1_30default_config_static_selectorELNS0_4arch9wavefront6targetE1EEEvT1_.num_vgpr, 0
	.set _ZN7rocprim17ROCPRIM_400000_NS6detail17trampoline_kernelINS0_14default_configENS1_20scan_config_selectorIfEEZZNS1_9scan_implILNS1_25lookback_scan_determinismE0ELb0ELb0ES3_PKfPffZZZN2at6native31launch_logcumsumexp_cuda_kernelERKNSB_10TensorBaseESF_lENKUlvE_clEvENKUlvE0_clEvEUlffE_fEEDaPvRmT3_T4_T5_mT6_P12ihipStream_tbENKUlT_T0_E_clISt17integral_constantIbLb1EESV_IbLb0EEEEDaSR_SS_EUlSR_E0_NS1_11comp_targetILNS1_3genE0ELNS1_11target_archE4294967295ELNS1_3gpuE0ELNS1_3repE0EEENS1_30default_config_static_selectorELNS0_4arch9wavefront6targetE1EEEvT1_.num_agpr, 0
	.set _ZN7rocprim17ROCPRIM_400000_NS6detail17trampoline_kernelINS0_14default_configENS1_20scan_config_selectorIfEEZZNS1_9scan_implILNS1_25lookback_scan_determinismE0ELb0ELb0ES3_PKfPffZZZN2at6native31launch_logcumsumexp_cuda_kernelERKNSB_10TensorBaseESF_lENKUlvE_clEvENKUlvE0_clEvEUlffE_fEEDaPvRmT3_T4_T5_mT6_P12ihipStream_tbENKUlT_T0_E_clISt17integral_constantIbLb1EESV_IbLb0EEEEDaSR_SS_EUlSR_E0_NS1_11comp_targetILNS1_3genE0ELNS1_11target_archE4294967295ELNS1_3gpuE0ELNS1_3repE0EEENS1_30default_config_static_selectorELNS0_4arch9wavefront6targetE1EEEvT1_.numbered_sgpr, 0
	.set _ZN7rocprim17ROCPRIM_400000_NS6detail17trampoline_kernelINS0_14default_configENS1_20scan_config_selectorIfEEZZNS1_9scan_implILNS1_25lookback_scan_determinismE0ELb0ELb0ES3_PKfPffZZZN2at6native31launch_logcumsumexp_cuda_kernelERKNSB_10TensorBaseESF_lENKUlvE_clEvENKUlvE0_clEvEUlffE_fEEDaPvRmT3_T4_T5_mT6_P12ihipStream_tbENKUlT_T0_E_clISt17integral_constantIbLb1EESV_IbLb0EEEEDaSR_SS_EUlSR_E0_NS1_11comp_targetILNS1_3genE0ELNS1_11target_archE4294967295ELNS1_3gpuE0ELNS1_3repE0EEENS1_30default_config_static_selectorELNS0_4arch9wavefront6targetE1EEEvT1_.num_named_barrier, 0
	.set _ZN7rocprim17ROCPRIM_400000_NS6detail17trampoline_kernelINS0_14default_configENS1_20scan_config_selectorIfEEZZNS1_9scan_implILNS1_25lookback_scan_determinismE0ELb0ELb0ES3_PKfPffZZZN2at6native31launch_logcumsumexp_cuda_kernelERKNSB_10TensorBaseESF_lENKUlvE_clEvENKUlvE0_clEvEUlffE_fEEDaPvRmT3_T4_T5_mT6_P12ihipStream_tbENKUlT_T0_E_clISt17integral_constantIbLb1EESV_IbLb0EEEEDaSR_SS_EUlSR_E0_NS1_11comp_targetILNS1_3genE0ELNS1_11target_archE4294967295ELNS1_3gpuE0ELNS1_3repE0EEENS1_30default_config_static_selectorELNS0_4arch9wavefront6targetE1EEEvT1_.private_seg_size, 0
	.set _ZN7rocprim17ROCPRIM_400000_NS6detail17trampoline_kernelINS0_14default_configENS1_20scan_config_selectorIfEEZZNS1_9scan_implILNS1_25lookback_scan_determinismE0ELb0ELb0ES3_PKfPffZZZN2at6native31launch_logcumsumexp_cuda_kernelERKNSB_10TensorBaseESF_lENKUlvE_clEvENKUlvE0_clEvEUlffE_fEEDaPvRmT3_T4_T5_mT6_P12ihipStream_tbENKUlT_T0_E_clISt17integral_constantIbLb1EESV_IbLb0EEEEDaSR_SS_EUlSR_E0_NS1_11comp_targetILNS1_3genE0ELNS1_11target_archE4294967295ELNS1_3gpuE0ELNS1_3repE0EEENS1_30default_config_static_selectorELNS0_4arch9wavefront6targetE1EEEvT1_.uses_vcc, 0
	.set _ZN7rocprim17ROCPRIM_400000_NS6detail17trampoline_kernelINS0_14default_configENS1_20scan_config_selectorIfEEZZNS1_9scan_implILNS1_25lookback_scan_determinismE0ELb0ELb0ES3_PKfPffZZZN2at6native31launch_logcumsumexp_cuda_kernelERKNSB_10TensorBaseESF_lENKUlvE_clEvENKUlvE0_clEvEUlffE_fEEDaPvRmT3_T4_T5_mT6_P12ihipStream_tbENKUlT_T0_E_clISt17integral_constantIbLb1EESV_IbLb0EEEEDaSR_SS_EUlSR_E0_NS1_11comp_targetILNS1_3genE0ELNS1_11target_archE4294967295ELNS1_3gpuE0ELNS1_3repE0EEENS1_30default_config_static_selectorELNS0_4arch9wavefront6targetE1EEEvT1_.uses_flat_scratch, 0
	.set _ZN7rocprim17ROCPRIM_400000_NS6detail17trampoline_kernelINS0_14default_configENS1_20scan_config_selectorIfEEZZNS1_9scan_implILNS1_25lookback_scan_determinismE0ELb0ELb0ES3_PKfPffZZZN2at6native31launch_logcumsumexp_cuda_kernelERKNSB_10TensorBaseESF_lENKUlvE_clEvENKUlvE0_clEvEUlffE_fEEDaPvRmT3_T4_T5_mT6_P12ihipStream_tbENKUlT_T0_E_clISt17integral_constantIbLb1EESV_IbLb0EEEEDaSR_SS_EUlSR_E0_NS1_11comp_targetILNS1_3genE0ELNS1_11target_archE4294967295ELNS1_3gpuE0ELNS1_3repE0EEENS1_30default_config_static_selectorELNS0_4arch9wavefront6targetE1EEEvT1_.has_dyn_sized_stack, 0
	.set _ZN7rocprim17ROCPRIM_400000_NS6detail17trampoline_kernelINS0_14default_configENS1_20scan_config_selectorIfEEZZNS1_9scan_implILNS1_25lookback_scan_determinismE0ELb0ELb0ES3_PKfPffZZZN2at6native31launch_logcumsumexp_cuda_kernelERKNSB_10TensorBaseESF_lENKUlvE_clEvENKUlvE0_clEvEUlffE_fEEDaPvRmT3_T4_T5_mT6_P12ihipStream_tbENKUlT_T0_E_clISt17integral_constantIbLb1EESV_IbLb0EEEEDaSR_SS_EUlSR_E0_NS1_11comp_targetILNS1_3genE0ELNS1_11target_archE4294967295ELNS1_3gpuE0ELNS1_3repE0EEENS1_30default_config_static_selectorELNS0_4arch9wavefront6targetE1EEEvT1_.has_recursion, 0
	.set _ZN7rocprim17ROCPRIM_400000_NS6detail17trampoline_kernelINS0_14default_configENS1_20scan_config_selectorIfEEZZNS1_9scan_implILNS1_25lookback_scan_determinismE0ELb0ELb0ES3_PKfPffZZZN2at6native31launch_logcumsumexp_cuda_kernelERKNSB_10TensorBaseESF_lENKUlvE_clEvENKUlvE0_clEvEUlffE_fEEDaPvRmT3_T4_T5_mT6_P12ihipStream_tbENKUlT_T0_E_clISt17integral_constantIbLb1EESV_IbLb0EEEEDaSR_SS_EUlSR_E0_NS1_11comp_targetILNS1_3genE0ELNS1_11target_archE4294967295ELNS1_3gpuE0ELNS1_3repE0EEENS1_30default_config_static_selectorELNS0_4arch9wavefront6targetE1EEEvT1_.has_indirect_call, 0
	.section	.AMDGPU.csdata,"",@progbits
; Kernel info:
; codeLenInByte = 0
; TotalNumSgprs: 4
; NumVgprs: 0
; ScratchSize: 0
; MemoryBound: 0
; FloatMode: 240
; IeeeMode: 1
; LDSByteSize: 0 bytes/workgroup (compile time only)
; SGPRBlocks: 0
; VGPRBlocks: 0
; NumSGPRsForWavesPerEU: 4
; NumVGPRsForWavesPerEU: 1
; Occupancy: 10
; WaveLimiterHint : 0
; COMPUTE_PGM_RSRC2:SCRATCH_EN: 0
; COMPUTE_PGM_RSRC2:USER_SGPR: 6
; COMPUTE_PGM_RSRC2:TRAP_HANDLER: 0
; COMPUTE_PGM_RSRC2:TGID_X_EN: 1
; COMPUTE_PGM_RSRC2:TGID_Y_EN: 0
; COMPUTE_PGM_RSRC2:TGID_Z_EN: 0
; COMPUTE_PGM_RSRC2:TIDIG_COMP_CNT: 0
	.section	.text._ZN7rocprim17ROCPRIM_400000_NS6detail17trampoline_kernelINS0_14default_configENS1_20scan_config_selectorIfEEZZNS1_9scan_implILNS1_25lookback_scan_determinismE0ELb0ELb0ES3_PKfPffZZZN2at6native31launch_logcumsumexp_cuda_kernelERKNSB_10TensorBaseESF_lENKUlvE_clEvENKUlvE0_clEvEUlffE_fEEDaPvRmT3_T4_T5_mT6_P12ihipStream_tbENKUlT_T0_E_clISt17integral_constantIbLb1EESV_IbLb0EEEEDaSR_SS_EUlSR_E0_NS1_11comp_targetILNS1_3genE5ELNS1_11target_archE942ELNS1_3gpuE9ELNS1_3repE0EEENS1_30default_config_static_selectorELNS0_4arch9wavefront6targetE1EEEvT1_,"axG",@progbits,_ZN7rocprim17ROCPRIM_400000_NS6detail17trampoline_kernelINS0_14default_configENS1_20scan_config_selectorIfEEZZNS1_9scan_implILNS1_25lookback_scan_determinismE0ELb0ELb0ES3_PKfPffZZZN2at6native31launch_logcumsumexp_cuda_kernelERKNSB_10TensorBaseESF_lENKUlvE_clEvENKUlvE0_clEvEUlffE_fEEDaPvRmT3_T4_T5_mT6_P12ihipStream_tbENKUlT_T0_E_clISt17integral_constantIbLb1EESV_IbLb0EEEEDaSR_SS_EUlSR_E0_NS1_11comp_targetILNS1_3genE5ELNS1_11target_archE942ELNS1_3gpuE9ELNS1_3repE0EEENS1_30default_config_static_selectorELNS0_4arch9wavefront6targetE1EEEvT1_,comdat
	.globl	_ZN7rocprim17ROCPRIM_400000_NS6detail17trampoline_kernelINS0_14default_configENS1_20scan_config_selectorIfEEZZNS1_9scan_implILNS1_25lookback_scan_determinismE0ELb0ELb0ES3_PKfPffZZZN2at6native31launch_logcumsumexp_cuda_kernelERKNSB_10TensorBaseESF_lENKUlvE_clEvENKUlvE0_clEvEUlffE_fEEDaPvRmT3_T4_T5_mT6_P12ihipStream_tbENKUlT_T0_E_clISt17integral_constantIbLb1EESV_IbLb0EEEEDaSR_SS_EUlSR_E0_NS1_11comp_targetILNS1_3genE5ELNS1_11target_archE942ELNS1_3gpuE9ELNS1_3repE0EEENS1_30default_config_static_selectorELNS0_4arch9wavefront6targetE1EEEvT1_ ; -- Begin function _ZN7rocprim17ROCPRIM_400000_NS6detail17trampoline_kernelINS0_14default_configENS1_20scan_config_selectorIfEEZZNS1_9scan_implILNS1_25lookback_scan_determinismE0ELb0ELb0ES3_PKfPffZZZN2at6native31launch_logcumsumexp_cuda_kernelERKNSB_10TensorBaseESF_lENKUlvE_clEvENKUlvE0_clEvEUlffE_fEEDaPvRmT3_T4_T5_mT6_P12ihipStream_tbENKUlT_T0_E_clISt17integral_constantIbLb1EESV_IbLb0EEEEDaSR_SS_EUlSR_E0_NS1_11comp_targetILNS1_3genE5ELNS1_11target_archE942ELNS1_3gpuE9ELNS1_3repE0EEENS1_30default_config_static_selectorELNS0_4arch9wavefront6targetE1EEEvT1_
	.p2align	8
	.type	_ZN7rocprim17ROCPRIM_400000_NS6detail17trampoline_kernelINS0_14default_configENS1_20scan_config_selectorIfEEZZNS1_9scan_implILNS1_25lookback_scan_determinismE0ELb0ELb0ES3_PKfPffZZZN2at6native31launch_logcumsumexp_cuda_kernelERKNSB_10TensorBaseESF_lENKUlvE_clEvENKUlvE0_clEvEUlffE_fEEDaPvRmT3_T4_T5_mT6_P12ihipStream_tbENKUlT_T0_E_clISt17integral_constantIbLb1EESV_IbLb0EEEEDaSR_SS_EUlSR_E0_NS1_11comp_targetILNS1_3genE5ELNS1_11target_archE942ELNS1_3gpuE9ELNS1_3repE0EEENS1_30default_config_static_selectorELNS0_4arch9wavefront6targetE1EEEvT1_,@function
_ZN7rocprim17ROCPRIM_400000_NS6detail17trampoline_kernelINS0_14default_configENS1_20scan_config_selectorIfEEZZNS1_9scan_implILNS1_25lookback_scan_determinismE0ELb0ELb0ES3_PKfPffZZZN2at6native31launch_logcumsumexp_cuda_kernelERKNSB_10TensorBaseESF_lENKUlvE_clEvENKUlvE0_clEvEUlffE_fEEDaPvRmT3_T4_T5_mT6_P12ihipStream_tbENKUlT_T0_E_clISt17integral_constantIbLb1EESV_IbLb0EEEEDaSR_SS_EUlSR_E0_NS1_11comp_targetILNS1_3genE5ELNS1_11target_archE942ELNS1_3gpuE9ELNS1_3repE0EEENS1_30default_config_static_selectorELNS0_4arch9wavefront6targetE1EEEvT1_: ; @_ZN7rocprim17ROCPRIM_400000_NS6detail17trampoline_kernelINS0_14default_configENS1_20scan_config_selectorIfEEZZNS1_9scan_implILNS1_25lookback_scan_determinismE0ELb0ELb0ES3_PKfPffZZZN2at6native31launch_logcumsumexp_cuda_kernelERKNSB_10TensorBaseESF_lENKUlvE_clEvENKUlvE0_clEvEUlffE_fEEDaPvRmT3_T4_T5_mT6_P12ihipStream_tbENKUlT_T0_E_clISt17integral_constantIbLb1EESV_IbLb0EEEEDaSR_SS_EUlSR_E0_NS1_11comp_targetILNS1_3genE5ELNS1_11target_archE942ELNS1_3gpuE9ELNS1_3repE0EEENS1_30default_config_static_selectorELNS0_4arch9wavefront6targetE1EEEvT1_
; %bb.0:
	.section	.rodata,"a",@progbits
	.p2align	6, 0x0
	.amdhsa_kernel _ZN7rocprim17ROCPRIM_400000_NS6detail17trampoline_kernelINS0_14default_configENS1_20scan_config_selectorIfEEZZNS1_9scan_implILNS1_25lookback_scan_determinismE0ELb0ELb0ES3_PKfPffZZZN2at6native31launch_logcumsumexp_cuda_kernelERKNSB_10TensorBaseESF_lENKUlvE_clEvENKUlvE0_clEvEUlffE_fEEDaPvRmT3_T4_T5_mT6_P12ihipStream_tbENKUlT_T0_E_clISt17integral_constantIbLb1EESV_IbLb0EEEEDaSR_SS_EUlSR_E0_NS1_11comp_targetILNS1_3genE5ELNS1_11target_archE942ELNS1_3gpuE9ELNS1_3repE0EEENS1_30default_config_static_selectorELNS0_4arch9wavefront6targetE1EEEvT1_
		.amdhsa_group_segment_fixed_size 0
		.amdhsa_private_segment_fixed_size 0
		.amdhsa_kernarg_size 32
		.amdhsa_user_sgpr_count 6
		.amdhsa_user_sgpr_private_segment_buffer 1
		.amdhsa_user_sgpr_dispatch_ptr 0
		.amdhsa_user_sgpr_queue_ptr 0
		.amdhsa_user_sgpr_kernarg_segment_ptr 1
		.amdhsa_user_sgpr_dispatch_id 0
		.amdhsa_user_sgpr_flat_scratch_init 0
		.amdhsa_user_sgpr_private_segment_size 0
		.amdhsa_uses_dynamic_stack 0
		.amdhsa_system_sgpr_private_segment_wavefront_offset 0
		.amdhsa_system_sgpr_workgroup_id_x 1
		.amdhsa_system_sgpr_workgroup_id_y 0
		.amdhsa_system_sgpr_workgroup_id_z 0
		.amdhsa_system_sgpr_workgroup_info 0
		.amdhsa_system_vgpr_workitem_id 0
		.amdhsa_next_free_vgpr 1
		.amdhsa_next_free_sgpr 0
		.amdhsa_reserve_vcc 0
		.amdhsa_reserve_flat_scratch 0
		.amdhsa_float_round_mode_32 0
		.amdhsa_float_round_mode_16_64 0
		.amdhsa_float_denorm_mode_32 3
		.amdhsa_float_denorm_mode_16_64 3
		.amdhsa_dx10_clamp 1
		.amdhsa_ieee_mode 1
		.amdhsa_fp16_overflow 0
		.amdhsa_exception_fp_ieee_invalid_op 0
		.amdhsa_exception_fp_denorm_src 0
		.amdhsa_exception_fp_ieee_div_zero 0
		.amdhsa_exception_fp_ieee_overflow 0
		.amdhsa_exception_fp_ieee_underflow 0
		.amdhsa_exception_fp_ieee_inexact 0
		.amdhsa_exception_int_div_zero 0
	.end_amdhsa_kernel
	.section	.text._ZN7rocprim17ROCPRIM_400000_NS6detail17trampoline_kernelINS0_14default_configENS1_20scan_config_selectorIfEEZZNS1_9scan_implILNS1_25lookback_scan_determinismE0ELb0ELb0ES3_PKfPffZZZN2at6native31launch_logcumsumexp_cuda_kernelERKNSB_10TensorBaseESF_lENKUlvE_clEvENKUlvE0_clEvEUlffE_fEEDaPvRmT3_T4_T5_mT6_P12ihipStream_tbENKUlT_T0_E_clISt17integral_constantIbLb1EESV_IbLb0EEEEDaSR_SS_EUlSR_E0_NS1_11comp_targetILNS1_3genE5ELNS1_11target_archE942ELNS1_3gpuE9ELNS1_3repE0EEENS1_30default_config_static_selectorELNS0_4arch9wavefront6targetE1EEEvT1_,"axG",@progbits,_ZN7rocprim17ROCPRIM_400000_NS6detail17trampoline_kernelINS0_14default_configENS1_20scan_config_selectorIfEEZZNS1_9scan_implILNS1_25lookback_scan_determinismE0ELb0ELb0ES3_PKfPffZZZN2at6native31launch_logcumsumexp_cuda_kernelERKNSB_10TensorBaseESF_lENKUlvE_clEvENKUlvE0_clEvEUlffE_fEEDaPvRmT3_T4_T5_mT6_P12ihipStream_tbENKUlT_T0_E_clISt17integral_constantIbLb1EESV_IbLb0EEEEDaSR_SS_EUlSR_E0_NS1_11comp_targetILNS1_3genE5ELNS1_11target_archE942ELNS1_3gpuE9ELNS1_3repE0EEENS1_30default_config_static_selectorELNS0_4arch9wavefront6targetE1EEEvT1_,comdat
.Lfunc_end144:
	.size	_ZN7rocprim17ROCPRIM_400000_NS6detail17trampoline_kernelINS0_14default_configENS1_20scan_config_selectorIfEEZZNS1_9scan_implILNS1_25lookback_scan_determinismE0ELb0ELb0ES3_PKfPffZZZN2at6native31launch_logcumsumexp_cuda_kernelERKNSB_10TensorBaseESF_lENKUlvE_clEvENKUlvE0_clEvEUlffE_fEEDaPvRmT3_T4_T5_mT6_P12ihipStream_tbENKUlT_T0_E_clISt17integral_constantIbLb1EESV_IbLb0EEEEDaSR_SS_EUlSR_E0_NS1_11comp_targetILNS1_3genE5ELNS1_11target_archE942ELNS1_3gpuE9ELNS1_3repE0EEENS1_30default_config_static_selectorELNS0_4arch9wavefront6targetE1EEEvT1_, .Lfunc_end144-_ZN7rocprim17ROCPRIM_400000_NS6detail17trampoline_kernelINS0_14default_configENS1_20scan_config_selectorIfEEZZNS1_9scan_implILNS1_25lookback_scan_determinismE0ELb0ELb0ES3_PKfPffZZZN2at6native31launch_logcumsumexp_cuda_kernelERKNSB_10TensorBaseESF_lENKUlvE_clEvENKUlvE0_clEvEUlffE_fEEDaPvRmT3_T4_T5_mT6_P12ihipStream_tbENKUlT_T0_E_clISt17integral_constantIbLb1EESV_IbLb0EEEEDaSR_SS_EUlSR_E0_NS1_11comp_targetILNS1_3genE5ELNS1_11target_archE942ELNS1_3gpuE9ELNS1_3repE0EEENS1_30default_config_static_selectorELNS0_4arch9wavefront6targetE1EEEvT1_
                                        ; -- End function
	.set _ZN7rocprim17ROCPRIM_400000_NS6detail17trampoline_kernelINS0_14default_configENS1_20scan_config_selectorIfEEZZNS1_9scan_implILNS1_25lookback_scan_determinismE0ELb0ELb0ES3_PKfPffZZZN2at6native31launch_logcumsumexp_cuda_kernelERKNSB_10TensorBaseESF_lENKUlvE_clEvENKUlvE0_clEvEUlffE_fEEDaPvRmT3_T4_T5_mT6_P12ihipStream_tbENKUlT_T0_E_clISt17integral_constantIbLb1EESV_IbLb0EEEEDaSR_SS_EUlSR_E0_NS1_11comp_targetILNS1_3genE5ELNS1_11target_archE942ELNS1_3gpuE9ELNS1_3repE0EEENS1_30default_config_static_selectorELNS0_4arch9wavefront6targetE1EEEvT1_.num_vgpr, 0
	.set _ZN7rocprim17ROCPRIM_400000_NS6detail17trampoline_kernelINS0_14default_configENS1_20scan_config_selectorIfEEZZNS1_9scan_implILNS1_25lookback_scan_determinismE0ELb0ELb0ES3_PKfPffZZZN2at6native31launch_logcumsumexp_cuda_kernelERKNSB_10TensorBaseESF_lENKUlvE_clEvENKUlvE0_clEvEUlffE_fEEDaPvRmT3_T4_T5_mT6_P12ihipStream_tbENKUlT_T0_E_clISt17integral_constantIbLb1EESV_IbLb0EEEEDaSR_SS_EUlSR_E0_NS1_11comp_targetILNS1_3genE5ELNS1_11target_archE942ELNS1_3gpuE9ELNS1_3repE0EEENS1_30default_config_static_selectorELNS0_4arch9wavefront6targetE1EEEvT1_.num_agpr, 0
	.set _ZN7rocprim17ROCPRIM_400000_NS6detail17trampoline_kernelINS0_14default_configENS1_20scan_config_selectorIfEEZZNS1_9scan_implILNS1_25lookback_scan_determinismE0ELb0ELb0ES3_PKfPffZZZN2at6native31launch_logcumsumexp_cuda_kernelERKNSB_10TensorBaseESF_lENKUlvE_clEvENKUlvE0_clEvEUlffE_fEEDaPvRmT3_T4_T5_mT6_P12ihipStream_tbENKUlT_T0_E_clISt17integral_constantIbLb1EESV_IbLb0EEEEDaSR_SS_EUlSR_E0_NS1_11comp_targetILNS1_3genE5ELNS1_11target_archE942ELNS1_3gpuE9ELNS1_3repE0EEENS1_30default_config_static_selectorELNS0_4arch9wavefront6targetE1EEEvT1_.numbered_sgpr, 0
	.set _ZN7rocprim17ROCPRIM_400000_NS6detail17trampoline_kernelINS0_14default_configENS1_20scan_config_selectorIfEEZZNS1_9scan_implILNS1_25lookback_scan_determinismE0ELb0ELb0ES3_PKfPffZZZN2at6native31launch_logcumsumexp_cuda_kernelERKNSB_10TensorBaseESF_lENKUlvE_clEvENKUlvE0_clEvEUlffE_fEEDaPvRmT3_T4_T5_mT6_P12ihipStream_tbENKUlT_T0_E_clISt17integral_constantIbLb1EESV_IbLb0EEEEDaSR_SS_EUlSR_E0_NS1_11comp_targetILNS1_3genE5ELNS1_11target_archE942ELNS1_3gpuE9ELNS1_3repE0EEENS1_30default_config_static_selectorELNS0_4arch9wavefront6targetE1EEEvT1_.num_named_barrier, 0
	.set _ZN7rocprim17ROCPRIM_400000_NS6detail17trampoline_kernelINS0_14default_configENS1_20scan_config_selectorIfEEZZNS1_9scan_implILNS1_25lookback_scan_determinismE0ELb0ELb0ES3_PKfPffZZZN2at6native31launch_logcumsumexp_cuda_kernelERKNSB_10TensorBaseESF_lENKUlvE_clEvENKUlvE0_clEvEUlffE_fEEDaPvRmT3_T4_T5_mT6_P12ihipStream_tbENKUlT_T0_E_clISt17integral_constantIbLb1EESV_IbLb0EEEEDaSR_SS_EUlSR_E0_NS1_11comp_targetILNS1_3genE5ELNS1_11target_archE942ELNS1_3gpuE9ELNS1_3repE0EEENS1_30default_config_static_selectorELNS0_4arch9wavefront6targetE1EEEvT1_.private_seg_size, 0
	.set _ZN7rocprim17ROCPRIM_400000_NS6detail17trampoline_kernelINS0_14default_configENS1_20scan_config_selectorIfEEZZNS1_9scan_implILNS1_25lookback_scan_determinismE0ELb0ELb0ES3_PKfPffZZZN2at6native31launch_logcumsumexp_cuda_kernelERKNSB_10TensorBaseESF_lENKUlvE_clEvENKUlvE0_clEvEUlffE_fEEDaPvRmT3_T4_T5_mT6_P12ihipStream_tbENKUlT_T0_E_clISt17integral_constantIbLb1EESV_IbLb0EEEEDaSR_SS_EUlSR_E0_NS1_11comp_targetILNS1_3genE5ELNS1_11target_archE942ELNS1_3gpuE9ELNS1_3repE0EEENS1_30default_config_static_selectorELNS0_4arch9wavefront6targetE1EEEvT1_.uses_vcc, 0
	.set _ZN7rocprim17ROCPRIM_400000_NS6detail17trampoline_kernelINS0_14default_configENS1_20scan_config_selectorIfEEZZNS1_9scan_implILNS1_25lookback_scan_determinismE0ELb0ELb0ES3_PKfPffZZZN2at6native31launch_logcumsumexp_cuda_kernelERKNSB_10TensorBaseESF_lENKUlvE_clEvENKUlvE0_clEvEUlffE_fEEDaPvRmT3_T4_T5_mT6_P12ihipStream_tbENKUlT_T0_E_clISt17integral_constantIbLb1EESV_IbLb0EEEEDaSR_SS_EUlSR_E0_NS1_11comp_targetILNS1_3genE5ELNS1_11target_archE942ELNS1_3gpuE9ELNS1_3repE0EEENS1_30default_config_static_selectorELNS0_4arch9wavefront6targetE1EEEvT1_.uses_flat_scratch, 0
	.set _ZN7rocprim17ROCPRIM_400000_NS6detail17trampoline_kernelINS0_14default_configENS1_20scan_config_selectorIfEEZZNS1_9scan_implILNS1_25lookback_scan_determinismE0ELb0ELb0ES3_PKfPffZZZN2at6native31launch_logcumsumexp_cuda_kernelERKNSB_10TensorBaseESF_lENKUlvE_clEvENKUlvE0_clEvEUlffE_fEEDaPvRmT3_T4_T5_mT6_P12ihipStream_tbENKUlT_T0_E_clISt17integral_constantIbLb1EESV_IbLb0EEEEDaSR_SS_EUlSR_E0_NS1_11comp_targetILNS1_3genE5ELNS1_11target_archE942ELNS1_3gpuE9ELNS1_3repE0EEENS1_30default_config_static_selectorELNS0_4arch9wavefront6targetE1EEEvT1_.has_dyn_sized_stack, 0
	.set _ZN7rocprim17ROCPRIM_400000_NS6detail17trampoline_kernelINS0_14default_configENS1_20scan_config_selectorIfEEZZNS1_9scan_implILNS1_25lookback_scan_determinismE0ELb0ELb0ES3_PKfPffZZZN2at6native31launch_logcumsumexp_cuda_kernelERKNSB_10TensorBaseESF_lENKUlvE_clEvENKUlvE0_clEvEUlffE_fEEDaPvRmT3_T4_T5_mT6_P12ihipStream_tbENKUlT_T0_E_clISt17integral_constantIbLb1EESV_IbLb0EEEEDaSR_SS_EUlSR_E0_NS1_11comp_targetILNS1_3genE5ELNS1_11target_archE942ELNS1_3gpuE9ELNS1_3repE0EEENS1_30default_config_static_selectorELNS0_4arch9wavefront6targetE1EEEvT1_.has_recursion, 0
	.set _ZN7rocprim17ROCPRIM_400000_NS6detail17trampoline_kernelINS0_14default_configENS1_20scan_config_selectorIfEEZZNS1_9scan_implILNS1_25lookback_scan_determinismE0ELb0ELb0ES3_PKfPffZZZN2at6native31launch_logcumsumexp_cuda_kernelERKNSB_10TensorBaseESF_lENKUlvE_clEvENKUlvE0_clEvEUlffE_fEEDaPvRmT3_T4_T5_mT6_P12ihipStream_tbENKUlT_T0_E_clISt17integral_constantIbLb1EESV_IbLb0EEEEDaSR_SS_EUlSR_E0_NS1_11comp_targetILNS1_3genE5ELNS1_11target_archE942ELNS1_3gpuE9ELNS1_3repE0EEENS1_30default_config_static_selectorELNS0_4arch9wavefront6targetE1EEEvT1_.has_indirect_call, 0
	.section	.AMDGPU.csdata,"",@progbits
; Kernel info:
; codeLenInByte = 0
; TotalNumSgprs: 4
; NumVgprs: 0
; ScratchSize: 0
; MemoryBound: 0
; FloatMode: 240
; IeeeMode: 1
; LDSByteSize: 0 bytes/workgroup (compile time only)
; SGPRBlocks: 0
; VGPRBlocks: 0
; NumSGPRsForWavesPerEU: 4
; NumVGPRsForWavesPerEU: 1
; Occupancy: 10
; WaveLimiterHint : 0
; COMPUTE_PGM_RSRC2:SCRATCH_EN: 0
; COMPUTE_PGM_RSRC2:USER_SGPR: 6
; COMPUTE_PGM_RSRC2:TRAP_HANDLER: 0
; COMPUTE_PGM_RSRC2:TGID_X_EN: 1
; COMPUTE_PGM_RSRC2:TGID_Y_EN: 0
; COMPUTE_PGM_RSRC2:TGID_Z_EN: 0
; COMPUTE_PGM_RSRC2:TIDIG_COMP_CNT: 0
	.section	.text._ZN7rocprim17ROCPRIM_400000_NS6detail17trampoline_kernelINS0_14default_configENS1_20scan_config_selectorIfEEZZNS1_9scan_implILNS1_25lookback_scan_determinismE0ELb0ELb0ES3_PKfPffZZZN2at6native31launch_logcumsumexp_cuda_kernelERKNSB_10TensorBaseESF_lENKUlvE_clEvENKUlvE0_clEvEUlffE_fEEDaPvRmT3_T4_T5_mT6_P12ihipStream_tbENKUlT_T0_E_clISt17integral_constantIbLb1EESV_IbLb0EEEEDaSR_SS_EUlSR_E0_NS1_11comp_targetILNS1_3genE4ELNS1_11target_archE910ELNS1_3gpuE8ELNS1_3repE0EEENS1_30default_config_static_selectorELNS0_4arch9wavefront6targetE1EEEvT1_,"axG",@progbits,_ZN7rocprim17ROCPRIM_400000_NS6detail17trampoline_kernelINS0_14default_configENS1_20scan_config_selectorIfEEZZNS1_9scan_implILNS1_25lookback_scan_determinismE0ELb0ELb0ES3_PKfPffZZZN2at6native31launch_logcumsumexp_cuda_kernelERKNSB_10TensorBaseESF_lENKUlvE_clEvENKUlvE0_clEvEUlffE_fEEDaPvRmT3_T4_T5_mT6_P12ihipStream_tbENKUlT_T0_E_clISt17integral_constantIbLb1EESV_IbLb0EEEEDaSR_SS_EUlSR_E0_NS1_11comp_targetILNS1_3genE4ELNS1_11target_archE910ELNS1_3gpuE8ELNS1_3repE0EEENS1_30default_config_static_selectorELNS0_4arch9wavefront6targetE1EEEvT1_,comdat
	.globl	_ZN7rocprim17ROCPRIM_400000_NS6detail17trampoline_kernelINS0_14default_configENS1_20scan_config_selectorIfEEZZNS1_9scan_implILNS1_25lookback_scan_determinismE0ELb0ELb0ES3_PKfPffZZZN2at6native31launch_logcumsumexp_cuda_kernelERKNSB_10TensorBaseESF_lENKUlvE_clEvENKUlvE0_clEvEUlffE_fEEDaPvRmT3_T4_T5_mT6_P12ihipStream_tbENKUlT_T0_E_clISt17integral_constantIbLb1EESV_IbLb0EEEEDaSR_SS_EUlSR_E0_NS1_11comp_targetILNS1_3genE4ELNS1_11target_archE910ELNS1_3gpuE8ELNS1_3repE0EEENS1_30default_config_static_selectorELNS0_4arch9wavefront6targetE1EEEvT1_ ; -- Begin function _ZN7rocprim17ROCPRIM_400000_NS6detail17trampoline_kernelINS0_14default_configENS1_20scan_config_selectorIfEEZZNS1_9scan_implILNS1_25lookback_scan_determinismE0ELb0ELb0ES3_PKfPffZZZN2at6native31launch_logcumsumexp_cuda_kernelERKNSB_10TensorBaseESF_lENKUlvE_clEvENKUlvE0_clEvEUlffE_fEEDaPvRmT3_T4_T5_mT6_P12ihipStream_tbENKUlT_T0_E_clISt17integral_constantIbLb1EESV_IbLb0EEEEDaSR_SS_EUlSR_E0_NS1_11comp_targetILNS1_3genE4ELNS1_11target_archE910ELNS1_3gpuE8ELNS1_3repE0EEENS1_30default_config_static_selectorELNS0_4arch9wavefront6targetE1EEEvT1_
	.p2align	8
	.type	_ZN7rocprim17ROCPRIM_400000_NS6detail17trampoline_kernelINS0_14default_configENS1_20scan_config_selectorIfEEZZNS1_9scan_implILNS1_25lookback_scan_determinismE0ELb0ELb0ES3_PKfPffZZZN2at6native31launch_logcumsumexp_cuda_kernelERKNSB_10TensorBaseESF_lENKUlvE_clEvENKUlvE0_clEvEUlffE_fEEDaPvRmT3_T4_T5_mT6_P12ihipStream_tbENKUlT_T0_E_clISt17integral_constantIbLb1EESV_IbLb0EEEEDaSR_SS_EUlSR_E0_NS1_11comp_targetILNS1_3genE4ELNS1_11target_archE910ELNS1_3gpuE8ELNS1_3repE0EEENS1_30default_config_static_selectorELNS0_4arch9wavefront6targetE1EEEvT1_,@function
_ZN7rocprim17ROCPRIM_400000_NS6detail17trampoline_kernelINS0_14default_configENS1_20scan_config_selectorIfEEZZNS1_9scan_implILNS1_25lookback_scan_determinismE0ELb0ELb0ES3_PKfPffZZZN2at6native31launch_logcumsumexp_cuda_kernelERKNSB_10TensorBaseESF_lENKUlvE_clEvENKUlvE0_clEvEUlffE_fEEDaPvRmT3_T4_T5_mT6_P12ihipStream_tbENKUlT_T0_E_clISt17integral_constantIbLb1EESV_IbLb0EEEEDaSR_SS_EUlSR_E0_NS1_11comp_targetILNS1_3genE4ELNS1_11target_archE910ELNS1_3gpuE8ELNS1_3repE0EEENS1_30default_config_static_selectorELNS0_4arch9wavefront6targetE1EEEvT1_: ; @_ZN7rocprim17ROCPRIM_400000_NS6detail17trampoline_kernelINS0_14default_configENS1_20scan_config_selectorIfEEZZNS1_9scan_implILNS1_25lookback_scan_determinismE0ELb0ELb0ES3_PKfPffZZZN2at6native31launch_logcumsumexp_cuda_kernelERKNSB_10TensorBaseESF_lENKUlvE_clEvENKUlvE0_clEvEUlffE_fEEDaPvRmT3_T4_T5_mT6_P12ihipStream_tbENKUlT_T0_E_clISt17integral_constantIbLb1EESV_IbLb0EEEEDaSR_SS_EUlSR_E0_NS1_11comp_targetILNS1_3genE4ELNS1_11target_archE910ELNS1_3gpuE8ELNS1_3repE0EEENS1_30default_config_static_selectorELNS0_4arch9wavefront6targetE1EEEvT1_
; %bb.0:
	.section	.rodata,"a",@progbits
	.p2align	6, 0x0
	.amdhsa_kernel _ZN7rocprim17ROCPRIM_400000_NS6detail17trampoline_kernelINS0_14default_configENS1_20scan_config_selectorIfEEZZNS1_9scan_implILNS1_25lookback_scan_determinismE0ELb0ELb0ES3_PKfPffZZZN2at6native31launch_logcumsumexp_cuda_kernelERKNSB_10TensorBaseESF_lENKUlvE_clEvENKUlvE0_clEvEUlffE_fEEDaPvRmT3_T4_T5_mT6_P12ihipStream_tbENKUlT_T0_E_clISt17integral_constantIbLb1EESV_IbLb0EEEEDaSR_SS_EUlSR_E0_NS1_11comp_targetILNS1_3genE4ELNS1_11target_archE910ELNS1_3gpuE8ELNS1_3repE0EEENS1_30default_config_static_selectorELNS0_4arch9wavefront6targetE1EEEvT1_
		.amdhsa_group_segment_fixed_size 0
		.amdhsa_private_segment_fixed_size 0
		.amdhsa_kernarg_size 32
		.amdhsa_user_sgpr_count 6
		.amdhsa_user_sgpr_private_segment_buffer 1
		.amdhsa_user_sgpr_dispatch_ptr 0
		.amdhsa_user_sgpr_queue_ptr 0
		.amdhsa_user_sgpr_kernarg_segment_ptr 1
		.amdhsa_user_sgpr_dispatch_id 0
		.amdhsa_user_sgpr_flat_scratch_init 0
		.amdhsa_user_sgpr_private_segment_size 0
		.amdhsa_uses_dynamic_stack 0
		.amdhsa_system_sgpr_private_segment_wavefront_offset 0
		.amdhsa_system_sgpr_workgroup_id_x 1
		.amdhsa_system_sgpr_workgroup_id_y 0
		.amdhsa_system_sgpr_workgroup_id_z 0
		.amdhsa_system_sgpr_workgroup_info 0
		.amdhsa_system_vgpr_workitem_id 0
		.amdhsa_next_free_vgpr 1
		.amdhsa_next_free_sgpr 0
		.amdhsa_reserve_vcc 0
		.amdhsa_reserve_flat_scratch 0
		.amdhsa_float_round_mode_32 0
		.amdhsa_float_round_mode_16_64 0
		.amdhsa_float_denorm_mode_32 3
		.amdhsa_float_denorm_mode_16_64 3
		.amdhsa_dx10_clamp 1
		.amdhsa_ieee_mode 1
		.amdhsa_fp16_overflow 0
		.amdhsa_exception_fp_ieee_invalid_op 0
		.amdhsa_exception_fp_denorm_src 0
		.amdhsa_exception_fp_ieee_div_zero 0
		.amdhsa_exception_fp_ieee_overflow 0
		.amdhsa_exception_fp_ieee_underflow 0
		.amdhsa_exception_fp_ieee_inexact 0
		.amdhsa_exception_int_div_zero 0
	.end_amdhsa_kernel
	.section	.text._ZN7rocprim17ROCPRIM_400000_NS6detail17trampoline_kernelINS0_14default_configENS1_20scan_config_selectorIfEEZZNS1_9scan_implILNS1_25lookback_scan_determinismE0ELb0ELb0ES3_PKfPffZZZN2at6native31launch_logcumsumexp_cuda_kernelERKNSB_10TensorBaseESF_lENKUlvE_clEvENKUlvE0_clEvEUlffE_fEEDaPvRmT3_T4_T5_mT6_P12ihipStream_tbENKUlT_T0_E_clISt17integral_constantIbLb1EESV_IbLb0EEEEDaSR_SS_EUlSR_E0_NS1_11comp_targetILNS1_3genE4ELNS1_11target_archE910ELNS1_3gpuE8ELNS1_3repE0EEENS1_30default_config_static_selectorELNS0_4arch9wavefront6targetE1EEEvT1_,"axG",@progbits,_ZN7rocprim17ROCPRIM_400000_NS6detail17trampoline_kernelINS0_14default_configENS1_20scan_config_selectorIfEEZZNS1_9scan_implILNS1_25lookback_scan_determinismE0ELb0ELb0ES3_PKfPffZZZN2at6native31launch_logcumsumexp_cuda_kernelERKNSB_10TensorBaseESF_lENKUlvE_clEvENKUlvE0_clEvEUlffE_fEEDaPvRmT3_T4_T5_mT6_P12ihipStream_tbENKUlT_T0_E_clISt17integral_constantIbLb1EESV_IbLb0EEEEDaSR_SS_EUlSR_E0_NS1_11comp_targetILNS1_3genE4ELNS1_11target_archE910ELNS1_3gpuE8ELNS1_3repE0EEENS1_30default_config_static_selectorELNS0_4arch9wavefront6targetE1EEEvT1_,comdat
.Lfunc_end145:
	.size	_ZN7rocprim17ROCPRIM_400000_NS6detail17trampoline_kernelINS0_14default_configENS1_20scan_config_selectorIfEEZZNS1_9scan_implILNS1_25lookback_scan_determinismE0ELb0ELb0ES3_PKfPffZZZN2at6native31launch_logcumsumexp_cuda_kernelERKNSB_10TensorBaseESF_lENKUlvE_clEvENKUlvE0_clEvEUlffE_fEEDaPvRmT3_T4_T5_mT6_P12ihipStream_tbENKUlT_T0_E_clISt17integral_constantIbLb1EESV_IbLb0EEEEDaSR_SS_EUlSR_E0_NS1_11comp_targetILNS1_3genE4ELNS1_11target_archE910ELNS1_3gpuE8ELNS1_3repE0EEENS1_30default_config_static_selectorELNS0_4arch9wavefront6targetE1EEEvT1_, .Lfunc_end145-_ZN7rocprim17ROCPRIM_400000_NS6detail17trampoline_kernelINS0_14default_configENS1_20scan_config_selectorIfEEZZNS1_9scan_implILNS1_25lookback_scan_determinismE0ELb0ELb0ES3_PKfPffZZZN2at6native31launch_logcumsumexp_cuda_kernelERKNSB_10TensorBaseESF_lENKUlvE_clEvENKUlvE0_clEvEUlffE_fEEDaPvRmT3_T4_T5_mT6_P12ihipStream_tbENKUlT_T0_E_clISt17integral_constantIbLb1EESV_IbLb0EEEEDaSR_SS_EUlSR_E0_NS1_11comp_targetILNS1_3genE4ELNS1_11target_archE910ELNS1_3gpuE8ELNS1_3repE0EEENS1_30default_config_static_selectorELNS0_4arch9wavefront6targetE1EEEvT1_
                                        ; -- End function
	.set _ZN7rocprim17ROCPRIM_400000_NS6detail17trampoline_kernelINS0_14default_configENS1_20scan_config_selectorIfEEZZNS1_9scan_implILNS1_25lookback_scan_determinismE0ELb0ELb0ES3_PKfPffZZZN2at6native31launch_logcumsumexp_cuda_kernelERKNSB_10TensorBaseESF_lENKUlvE_clEvENKUlvE0_clEvEUlffE_fEEDaPvRmT3_T4_T5_mT6_P12ihipStream_tbENKUlT_T0_E_clISt17integral_constantIbLb1EESV_IbLb0EEEEDaSR_SS_EUlSR_E0_NS1_11comp_targetILNS1_3genE4ELNS1_11target_archE910ELNS1_3gpuE8ELNS1_3repE0EEENS1_30default_config_static_selectorELNS0_4arch9wavefront6targetE1EEEvT1_.num_vgpr, 0
	.set _ZN7rocprim17ROCPRIM_400000_NS6detail17trampoline_kernelINS0_14default_configENS1_20scan_config_selectorIfEEZZNS1_9scan_implILNS1_25lookback_scan_determinismE0ELb0ELb0ES3_PKfPffZZZN2at6native31launch_logcumsumexp_cuda_kernelERKNSB_10TensorBaseESF_lENKUlvE_clEvENKUlvE0_clEvEUlffE_fEEDaPvRmT3_T4_T5_mT6_P12ihipStream_tbENKUlT_T0_E_clISt17integral_constantIbLb1EESV_IbLb0EEEEDaSR_SS_EUlSR_E0_NS1_11comp_targetILNS1_3genE4ELNS1_11target_archE910ELNS1_3gpuE8ELNS1_3repE0EEENS1_30default_config_static_selectorELNS0_4arch9wavefront6targetE1EEEvT1_.num_agpr, 0
	.set _ZN7rocprim17ROCPRIM_400000_NS6detail17trampoline_kernelINS0_14default_configENS1_20scan_config_selectorIfEEZZNS1_9scan_implILNS1_25lookback_scan_determinismE0ELb0ELb0ES3_PKfPffZZZN2at6native31launch_logcumsumexp_cuda_kernelERKNSB_10TensorBaseESF_lENKUlvE_clEvENKUlvE0_clEvEUlffE_fEEDaPvRmT3_T4_T5_mT6_P12ihipStream_tbENKUlT_T0_E_clISt17integral_constantIbLb1EESV_IbLb0EEEEDaSR_SS_EUlSR_E0_NS1_11comp_targetILNS1_3genE4ELNS1_11target_archE910ELNS1_3gpuE8ELNS1_3repE0EEENS1_30default_config_static_selectorELNS0_4arch9wavefront6targetE1EEEvT1_.numbered_sgpr, 0
	.set _ZN7rocprim17ROCPRIM_400000_NS6detail17trampoline_kernelINS0_14default_configENS1_20scan_config_selectorIfEEZZNS1_9scan_implILNS1_25lookback_scan_determinismE0ELb0ELb0ES3_PKfPffZZZN2at6native31launch_logcumsumexp_cuda_kernelERKNSB_10TensorBaseESF_lENKUlvE_clEvENKUlvE0_clEvEUlffE_fEEDaPvRmT3_T4_T5_mT6_P12ihipStream_tbENKUlT_T0_E_clISt17integral_constantIbLb1EESV_IbLb0EEEEDaSR_SS_EUlSR_E0_NS1_11comp_targetILNS1_3genE4ELNS1_11target_archE910ELNS1_3gpuE8ELNS1_3repE0EEENS1_30default_config_static_selectorELNS0_4arch9wavefront6targetE1EEEvT1_.num_named_barrier, 0
	.set _ZN7rocprim17ROCPRIM_400000_NS6detail17trampoline_kernelINS0_14default_configENS1_20scan_config_selectorIfEEZZNS1_9scan_implILNS1_25lookback_scan_determinismE0ELb0ELb0ES3_PKfPffZZZN2at6native31launch_logcumsumexp_cuda_kernelERKNSB_10TensorBaseESF_lENKUlvE_clEvENKUlvE0_clEvEUlffE_fEEDaPvRmT3_T4_T5_mT6_P12ihipStream_tbENKUlT_T0_E_clISt17integral_constantIbLb1EESV_IbLb0EEEEDaSR_SS_EUlSR_E0_NS1_11comp_targetILNS1_3genE4ELNS1_11target_archE910ELNS1_3gpuE8ELNS1_3repE0EEENS1_30default_config_static_selectorELNS0_4arch9wavefront6targetE1EEEvT1_.private_seg_size, 0
	.set _ZN7rocprim17ROCPRIM_400000_NS6detail17trampoline_kernelINS0_14default_configENS1_20scan_config_selectorIfEEZZNS1_9scan_implILNS1_25lookback_scan_determinismE0ELb0ELb0ES3_PKfPffZZZN2at6native31launch_logcumsumexp_cuda_kernelERKNSB_10TensorBaseESF_lENKUlvE_clEvENKUlvE0_clEvEUlffE_fEEDaPvRmT3_T4_T5_mT6_P12ihipStream_tbENKUlT_T0_E_clISt17integral_constantIbLb1EESV_IbLb0EEEEDaSR_SS_EUlSR_E0_NS1_11comp_targetILNS1_3genE4ELNS1_11target_archE910ELNS1_3gpuE8ELNS1_3repE0EEENS1_30default_config_static_selectorELNS0_4arch9wavefront6targetE1EEEvT1_.uses_vcc, 0
	.set _ZN7rocprim17ROCPRIM_400000_NS6detail17trampoline_kernelINS0_14default_configENS1_20scan_config_selectorIfEEZZNS1_9scan_implILNS1_25lookback_scan_determinismE0ELb0ELb0ES3_PKfPffZZZN2at6native31launch_logcumsumexp_cuda_kernelERKNSB_10TensorBaseESF_lENKUlvE_clEvENKUlvE0_clEvEUlffE_fEEDaPvRmT3_T4_T5_mT6_P12ihipStream_tbENKUlT_T0_E_clISt17integral_constantIbLb1EESV_IbLb0EEEEDaSR_SS_EUlSR_E0_NS1_11comp_targetILNS1_3genE4ELNS1_11target_archE910ELNS1_3gpuE8ELNS1_3repE0EEENS1_30default_config_static_selectorELNS0_4arch9wavefront6targetE1EEEvT1_.uses_flat_scratch, 0
	.set _ZN7rocprim17ROCPRIM_400000_NS6detail17trampoline_kernelINS0_14default_configENS1_20scan_config_selectorIfEEZZNS1_9scan_implILNS1_25lookback_scan_determinismE0ELb0ELb0ES3_PKfPffZZZN2at6native31launch_logcumsumexp_cuda_kernelERKNSB_10TensorBaseESF_lENKUlvE_clEvENKUlvE0_clEvEUlffE_fEEDaPvRmT3_T4_T5_mT6_P12ihipStream_tbENKUlT_T0_E_clISt17integral_constantIbLb1EESV_IbLb0EEEEDaSR_SS_EUlSR_E0_NS1_11comp_targetILNS1_3genE4ELNS1_11target_archE910ELNS1_3gpuE8ELNS1_3repE0EEENS1_30default_config_static_selectorELNS0_4arch9wavefront6targetE1EEEvT1_.has_dyn_sized_stack, 0
	.set _ZN7rocprim17ROCPRIM_400000_NS6detail17trampoline_kernelINS0_14default_configENS1_20scan_config_selectorIfEEZZNS1_9scan_implILNS1_25lookback_scan_determinismE0ELb0ELb0ES3_PKfPffZZZN2at6native31launch_logcumsumexp_cuda_kernelERKNSB_10TensorBaseESF_lENKUlvE_clEvENKUlvE0_clEvEUlffE_fEEDaPvRmT3_T4_T5_mT6_P12ihipStream_tbENKUlT_T0_E_clISt17integral_constantIbLb1EESV_IbLb0EEEEDaSR_SS_EUlSR_E0_NS1_11comp_targetILNS1_3genE4ELNS1_11target_archE910ELNS1_3gpuE8ELNS1_3repE0EEENS1_30default_config_static_selectorELNS0_4arch9wavefront6targetE1EEEvT1_.has_recursion, 0
	.set _ZN7rocprim17ROCPRIM_400000_NS6detail17trampoline_kernelINS0_14default_configENS1_20scan_config_selectorIfEEZZNS1_9scan_implILNS1_25lookback_scan_determinismE0ELb0ELb0ES3_PKfPffZZZN2at6native31launch_logcumsumexp_cuda_kernelERKNSB_10TensorBaseESF_lENKUlvE_clEvENKUlvE0_clEvEUlffE_fEEDaPvRmT3_T4_T5_mT6_P12ihipStream_tbENKUlT_T0_E_clISt17integral_constantIbLb1EESV_IbLb0EEEEDaSR_SS_EUlSR_E0_NS1_11comp_targetILNS1_3genE4ELNS1_11target_archE910ELNS1_3gpuE8ELNS1_3repE0EEENS1_30default_config_static_selectorELNS0_4arch9wavefront6targetE1EEEvT1_.has_indirect_call, 0
	.section	.AMDGPU.csdata,"",@progbits
; Kernel info:
; codeLenInByte = 0
; TotalNumSgprs: 4
; NumVgprs: 0
; ScratchSize: 0
; MemoryBound: 0
; FloatMode: 240
; IeeeMode: 1
; LDSByteSize: 0 bytes/workgroup (compile time only)
; SGPRBlocks: 0
; VGPRBlocks: 0
; NumSGPRsForWavesPerEU: 4
; NumVGPRsForWavesPerEU: 1
; Occupancy: 10
; WaveLimiterHint : 0
; COMPUTE_PGM_RSRC2:SCRATCH_EN: 0
; COMPUTE_PGM_RSRC2:USER_SGPR: 6
; COMPUTE_PGM_RSRC2:TRAP_HANDLER: 0
; COMPUTE_PGM_RSRC2:TGID_X_EN: 1
; COMPUTE_PGM_RSRC2:TGID_Y_EN: 0
; COMPUTE_PGM_RSRC2:TGID_Z_EN: 0
; COMPUTE_PGM_RSRC2:TIDIG_COMP_CNT: 0
	.section	.text._ZN7rocprim17ROCPRIM_400000_NS6detail17trampoline_kernelINS0_14default_configENS1_20scan_config_selectorIfEEZZNS1_9scan_implILNS1_25lookback_scan_determinismE0ELb0ELb0ES3_PKfPffZZZN2at6native31launch_logcumsumexp_cuda_kernelERKNSB_10TensorBaseESF_lENKUlvE_clEvENKUlvE0_clEvEUlffE_fEEDaPvRmT3_T4_T5_mT6_P12ihipStream_tbENKUlT_T0_E_clISt17integral_constantIbLb1EESV_IbLb0EEEEDaSR_SS_EUlSR_E0_NS1_11comp_targetILNS1_3genE3ELNS1_11target_archE908ELNS1_3gpuE7ELNS1_3repE0EEENS1_30default_config_static_selectorELNS0_4arch9wavefront6targetE1EEEvT1_,"axG",@progbits,_ZN7rocprim17ROCPRIM_400000_NS6detail17trampoline_kernelINS0_14default_configENS1_20scan_config_selectorIfEEZZNS1_9scan_implILNS1_25lookback_scan_determinismE0ELb0ELb0ES3_PKfPffZZZN2at6native31launch_logcumsumexp_cuda_kernelERKNSB_10TensorBaseESF_lENKUlvE_clEvENKUlvE0_clEvEUlffE_fEEDaPvRmT3_T4_T5_mT6_P12ihipStream_tbENKUlT_T0_E_clISt17integral_constantIbLb1EESV_IbLb0EEEEDaSR_SS_EUlSR_E0_NS1_11comp_targetILNS1_3genE3ELNS1_11target_archE908ELNS1_3gpuE7ELNS1_3repE0EEENS1_30default_config_static_selectorELNS0_4arch9wavefront6targetE1EEEvT1_,comdat
	.globl	_ZN7rocprim17ROCPRIM_400000_NS6detail17trampoline_kernelINS0_14default_configENS1_20scan_config_selectorIfEEZZNS1_9scan_implILNS1_25lookback_scan_determinismE0ELb0ELb0ES3_PKfPffZZZN2at6native31launch_logcumsumexp_cuda_kernelERKNSB_10TensorBaseESF_lENKUlvE_clEvENKUlvE0_clEvEUlffE_fEEDaPvRmT3_T4_T5_mT6_P12ihipStream_tbENKUlT_T0_E_clISt17integral_constantIbLb1EESV_IbLb0EEEEDaSR_SS_EUlSR_E0_NS1_11comp_targetILNS1_3genE3ELNS1_11target_archE908ELNS1_3gpuE7ELNS1_3repE0EEENS1_30default_config_static_selectorELNS0_4arch9wavefront6targetE1EEEvT1_ ; -- Begin function _ZN7rocprim17ROCPRIM_400000_NS6detail17trampoline_kernelINS0_14default_configENS1_20scan_config_selectorIfEEZZNS1_9scan_implILNS1_25lookback_scan_determinismE0ELb0ELb0ES3_PKfPffZZZN2at6native31launch_logcumsumexp_cuda_kernelERKNSB_10TensorBaseESF_lENKUlvE_clEvENKUlvE0_clEvEUlffE_fEEDaPvRmT3_T4_T5_mT6_P12ihipStream_tbENKUlT_T0_E_clISt17integral_constantIbLb1EESV_IbLb0EEEEDaSR_SS_EUlSR_E0_NS1_11comp_targetILNS1_3genE3ELNS1_11target_archE908ELNS1_3gpuE7ELNS1_3repE0EEENS1_30default_config_static_selectorELNS0_4arch9wavefront6targetE1EEEvT1_
	.p2align	8
	.type	_ZN7rocprim17ROCPRIM_400000_NS6detail17trampoline_kernelINS0_14default_configENS1_20scan_config_selectorIfEEZZNS1_9scan_implILNS1_25lookback_scan_determinismE0ELb0ELb0ES3_PKfPffZZZN2at6native31launch_logcumsumexp_cuda_kernelERKNSB_10TensorBaseESF_lENKUlvE_clEvENKUlvE0_clEvEUlffE_fEEDaPvRmT3_T4_T5_mT6_P12ihipStream_tbENKUlT_T0_E_clISt17integral_constantIbLb1EESV_IbLb0EEEEDaSR_SS_EUlSR_E0_NS1_11comp_targetILNS1_3genE3ELNS1_11target_archE908ELNS1_3gpuE7ELNS1_3repE0EEENS1_30default_config_static_selectorELNS0_4arch9wavefront6targetE1EEEvT1_,@function
_ZN7rocprim17ROCPRIM_400000_NS6detail17trampoline_kernelINS0_14default_configENS1_20scan_config_selectorIfEEZZNS1_9scan_implILNS1_25lookback_scan_determinismE0ELb0ELb0ES3_PKfPffZZZN2at6native31launch_logcumsumexp_cuda_kernelERKNSB_10TensorBaseESF_lENKUlvE_clEvENKUlvE0_clEvEUlffE_fEEDaPvRmT3_T4_T5_mT6_P12ihipStream_tbENKUlT_T0_E_clISt17integral_constantIbLb1EESV_IbLb0EEEEDaSR_SS_EUlSR_E0_NS1_11comp_targetILNS1_3genE3ELNS1_11target_archE908ELNS1_3gpuE7ELNS1_3repE0EEENS1_30default_config_static_selectorELNS0_4arch9wavefront6targetE1EEEvT1_: ; @_ZN7rocprim17ROCPRIM_400000_NS6detail17trampoline_kernelINS0_14default_configENS1_20scan_config_selectorIfEEZZNS1_9scan_implILNS1_25lookback_scan_determinismE0ELb0ELb0ES3_PKfPffZZZN2at6native31launch_logcumsumexp_cuda_kernelERKNSB_10TensorBaseESF_lENKUlvE_clEvENKUlvE0_clEvEUlffE_fEEDaPvRmT3_T4_T5_mT6_P12ihipStream_tbENKUlT_T0_E_clISt17integral_constantIbLb1EESV_IbLb0EEEEDaSR_SS_EUlSR_E0_NS1_11comp_targetILNS1_3genE3ELNS1_11target_archE908ELNS1_3gpuE7ELNS1_3repE0EEENS1_30default_config_static_selectorELNS0_4arch9wavefront6targetE1EEEvT1_
; %bb.0:
	.section	.rodata,"a",@progbits
	.p2align	6, 0x0
	.amdhsa_kernel _ZN7rocprim17ROCPRIM_400000_NS6detail17trampoline_kernelINS0_14default_configENS1_20scan_config_selectorIfEEZZNS1_9scan_implILNS1_25lookback_scan_determinismE0ELb0ELb0ES3_PKfPffZZZN2at6native31launch_logcumsumexp_cuda_kernelERKNSB_10TensorBaseESF_lENKUlvE_clEvENKUlvE0_clEvEUlffE_fEEDaPvRmT3_T4_T5_mT6_P12ihipStream_tbENKUlT_T0_E_clISt17integral_constantIbLb1EESV_IbLb0EEEEDaSR_SS_EUlSR_E0_NS1_11comp_targetILNS1_3genE3ELNS1_11target_archE908ELNS1_3gpuE7ELNS1_3repE0EEENS1_30default_config_static_selectorELNS0_4arch9wavefront6targetE1EEEvT1_
		.amdhsa_group_segment_fixed_size 0
		.amdhsa_private_segment_fixed_size 0
		.amdhsa_kernarg_size 32
		.amdhsa_user_sgpr_count 6
		.amdhsa_user_sgpr_private_segment_buffer 1
		.amdhsa_user_sgpr_dispatch_ptr 0
		.amdhsa_user_sgpr_queue_ptr 0
		.amdhsa_user_sgpr_kernarg_segment_ptr 1
		.amdhsa_user_sgpr_dispatch_id 0
		.amdhsa_user_sgpr_flat_scratch_init 0
		.amdhsa_user_sgpr_private_segment_size 0
		.amdhsa_uses_dynamic_stack 0
		.amdhsa_system_sgpr_private_segment_wavefront_offset 0
		.amdhsa_system_sgpr_workgroup_id_x 1
		.amdhsa_system_sgpr_workgroup_id_y 0
		.amdhsa_system_sgpr_workgroup_id_z 0
		.amdhsa_system_sgpr_workgroup_info 0
		.amdhsa_system_vgpr_workitem_id 0
		.amdhsa_next_free_vgpr 1
		.amdhsa_next_free_sgpr 0
		.amdhsa_reserve_vcc 0
		.amdhsa_reserve_flat_scratch 0
		.amdhsa_float_round_mode_32 0
		.amdhsa_float_round_mode_16_64 0
		.amdhsa_float_denorm_mode_32 3
		.amdhsa_float_denorm_mode_16_64 3
		.amdhsa_dx10_clamp 1
		.amdhsa_ieee_mode 1
		.amdhsa_fp16_overflow 0
		.amdhsa_exception_fp_ieee_invalid_op 0
		.amdhsa_exception_fp_denorm_src 0
		.amdhsa_exception_fp_ieee_div_zero 0
		.amdhsa_exception_fp_ieee_overflow 0
		.amdhsa_exception_fp_ieee_underflow 0
		.amdhsa_exception_fp_ieee_inexact 0
		.amdhsa_exception_int_div_zero 0
	.end_amdhsa_kernel
	.section	.text._ZN7rocprim17ROCPRIM_400000_NS6detail17trampoline_kernelINS0_14default_configENS1_20scan_config_selectorIfEEZZNS1_9scan_implILNS1_25lookback_scan_determinismE0ELb0ELb0ES3_PKfPffZZZN2at6native31launch_logcumsumexp_cuda_kernelERKNSB_10TensorBaseESF_lENKUlvE_clEvENKUlvE0_clEvEUlffE_fEEDaPvRmT3_T4_T5_mT6_P12ihipStream_tbENKUlT_T0_E_clISt17integral_constantIbLb1EESV_IbLb0EEEEDaSR_SS_EUlSR_E0_NS1_11comp_targetILNS1_3genE3ELNS1_11target_archE908ELNS1_3gpuE7ELNS1_3repE0EEENS1_30default_config_static_selectorELNS0_4arch9wavefront6targetE1EEEvT1_,"axG",@progbits,_ZN7rocprim17ROCPRIM_400000_NS6detail17trampoline_kernelINS0_14default_configENS1_20scan_config_selectorIfEEZZNS1_9scan_implILNS1_25lookback_scan_determinismE0ELb0ELb0ES3_PKfPffZZZN2at6native31launch_logcumsumexp_cuda_kernelERKNSB_10TensorBaseESF_lENKUlvE_clEvENKUlvE0_clEvEUlffE_fEEDaPvRmT3_T4_T5_mT6_P12ihipStream_tbENKUlT_T0_E_clISt17integral_constantIbLb1EESV_IbLb0EEEEDaSR_SS_EUlSR_E0_NS1_11comp_targetILNS1_3genE3ELNS1_11target_archE908ELNS1_3gpuE7ELNS1_3repE0EEENS1_30default_config_static_selectorELNS0_4arch9wavefront6targetE1EEEvT1_,comdat
.Lfunc_end146:
	.size	_ZN7rocprim17ROCPRIM_400000_NS6detail17trampoline_kernelINS0_14default_configENS1_20scan_config_selectorIfEEZZNS1_9scan_implILNS1_25lookback_scan_determinismE0ELb0ELb0ES3_PKfPffZZZN2at6native31launch_logcumsumexp_cuda_kernelERKNSB_10TensorBaseESF_lENKUlvE_clEvENKUlvE0_clEvEUlffE_fEEDaPvRmT3_T4_T5_mT6_P12ihipStream_tbENKUlT_T0_E_clISt17integral_constantIbLb1EESV_IbLb0EEEEDaSR_SS_EUlSR_E0_NS1_11comp_targetILNS1_3genE3ELNS1_11target_archE908ELNS1_3gpuE7ELNS1_3repE0EEENS1_30default_config_static_selectorELNS0_4arch9wavefront6targetE1EEEvT1_, .Lfunc_end146-_ZN7rocprim17ROCPRIM_400000_NS6detail17trampoline_kernelINS0_14default_configENS1_20scan_config_selectorIfEEZZNS1_9scan_implILNS1_25lookback_scan_determinismE0ELb0ELb0ES3_PKfPffZZZN2at6native31launch_logcumsumexp_cuda_kernelERKNSB_10TensorBaseESF_lENKUlvE_clEvENKUlvE0_clEvEUlffE_fEEDaPvRmT3_T4_T5_mT6_P12ihipStream_tbENKUlT_T0_E_clISt17integral_constantIbLb1EESV_IbLb0EEEEDaSR_SS_EUlSR_E0_NS1_11comp_targetILNS1_3genE3ELNS1_11target_archE908ELNS1_3gpuE7ELNS1_3repE0EEENS1_30default_config_static_selectorELNS0_4arch9wavefront6targetE1EEEvT1_
                                        ; -- End function
	.set _ZN7rocprim17ROCPRIM_400000_NS6detail17trampoline_kernelINS0_14default_configENS1_20scan_config_selectorIfEEZZNS1_9scan_implILNS1_25lookback_scan_determinismE0ELb0ELb0ES3_PKfPffZZZN2at6native31launch_logcumsumexp_cuda_kernelERKNSB_10TensorBaseESF_lENKUlvE_clEvENKUlvE0_clEvEUlffE_fEEDaPvRmT3_T4_T5_mT6_P12ihipStream_tbENKUlT_T0_E_clISt17integral_constantIbLb1EESV_IbLb0EEEEDaSR_SS_EUlSR_E0_NS1_11comp_targetILNS1_3genE3ELNS1_11target_archE908ELNS1_3gpuE7ELNS1_3repE0EEENS1_30default_config_static_selectorELNS0_4arch9wavefront6targetE1EEEvT1_.num_vgpr, 0
	.set _ZN7rocprim17ROCPRIM_400000_NS6detail17trampoline_kernelINS0_14default_configENS1_20scan_config_selectorIfEEZZNS1_9scan_implILNS1_25lookback_scan_determinismE0ELb0ELb0ES3_PKfPffZZZN2at6native31launch_logcumsumexp_cuda_kernelERKNSB_10TensorBaseESF_lENKUlvE_clEvENKUlvE0_clEvEUlffE_fEEDaPvRmT3_T4_T5_mT6_P12ihipStream_tbENKUlT_T0_E_clISt17integral_constantIbLb1EESV_IbLb0EEEEDaSR_SS_EUlSR_E0_NS1_11comp_targetILNS1_3genE3ELNS1_11target_archE908ELNS1_3gpuE7ELNS1_3repE0EEENS1_30default_config_static_selectorELNS0_4arch9wavefront6targetE1EEEvT1_.num_agpr, 0
	.set _ZN7rocprim17ROCPRIM_400000_NS6detail17trampoline_kernelINS0_14default_configENS1_20scan_config_selectorIfEEZZNS1_9scan_implILNS1_25lookback_scan_determinismE0ELb0ELb0ES3_PKfPffZZZN2at6native31launch_logcumsumexp_cuda_kernelERKNSB_10TensorBaseESF_lENKUlvE_clEvENKUlvE0_clEvEUlffE_fEEDaPvRmT3_T4_T5_mT6_P12ihipStream_tbENKUlT_T0_E_clISt17integral_constantIbLb1EESV_IbLb0EEEEDaSR_SS_EUlSR_E0_NS1_11comp_targetILNS1_3genE3ELNS1_11target_archE908ELNS1_3gpuE7ELNS1_3repE0EEENS1_30default_config_static_selectorELNS0_4arch9wavefront6targetE1EEEvT1_.numbered_sgpr, 0
	.set _ZN7rocprim17ROCPRIM_400000_NS6detail17trampoline_kernelINS0_14default_configENS1_20scan_config_selectorIfEEZZNS1_9scan_implILNS1_25lookback_scan_determinismE0ELb0ELb0ES3_PKfPffZZZN2at6native31launch_logcumsumexp_cuda_kernelERKNSB_10TensorBaseESF_lENKUlvE_clEvENKUlvE0_clEvEUlffE_fEEDaPvRmT3_T4_T5_mT6_P12ihipStream_tbENKUlT_T0_E_clISt17integral_constantIbLb1EESV_IbLb0EEEEDaSR_SS_EUlSR_E0_NS1_11comp_targetILNS1_3genE3ELNS1_11target_archE908ELNS1_3gpuE7ELNS1_3repE0EEENS1_30default_config_static_selectorELNS0_4arch9wavefront6targetE1EEEvT1_.num_named_barrier, 0
	.set _ZN7rocprim17ROCPRIM_400000_NS6detail17trampoline_kernelINS0_14default_configENS1_20scan_config_selectorIfEEZZNS1_9scan_implILNS1_25lookback_scan_determinismE0ELb0ELb0ES3_PKfPffZZZN2at6native31launch_logcumsumexp_cuda_kernelERKNSB_10TensorBaseESF_lENKUlvE_clEvENKUlvE0_clEvEUlffE_fEEDaPvRmT3_T4_T5_mT6_P12ihipStream_tbENKUlT_T0_E_clISt17integral_constantIbLb1EESV_IbLb0EEEEDaSR_SS_EUlSR_E0_NS1_11comp_targetILNS1_3genE3ELNS1_11target_archE908ELNS1_3gpuE7ELNS1_3repE0EEENS1_30default_config_static_selectorELNS0_4arch9wavefront6targetE1EEEvT1_.private_seg_size, 0
	.set _ZN7rocprim17ROCPRIM_400000_NS6detail17trampoline_kernelINS0_14default_configENS1_20scan_config_selectorIfEEZZNS1_9scan_implILNS1_25lookback_scan_determinismE0ELb0ELb0ES3_PKfPffZZZN2at6native31launch_logcumsumexp_cuda_kernelERKNSB_10TensorBaseESF_lENKUlvE_clEvENKUlvE0_clEvEUlffE_fEEDaPvRmT3_T4_T5_mT6_P12ihipStream_tbENKUlT_T0_E_clISt17integral_constantIbLb1EESV_IbLb0EEEEDaSR_SS_EUlSR_E0_NS1_11comp_targetILNS1_3genE3ELNS1_11target_archE908ELNS1_3gpuE7ELNS1_3repE0EEENS1_30default_config_static_selectorELNS0_4arch9wavefront6targetE1EEEvT1_.uses_vcc, 0
	.set _ZN7rocprim17ROCPRIM_400000_NS6detail17trampoline_kernelINS0_14default_configENS1_20scan_config_selectorIfEEZZNS1_9scan_implILNS1_25lookback_scan_determinismE0ELb0ELb0ES3_PKfPffZZZN2at6native31launch_logcumsumexp_cuda_kernelERKNSB_10TensorBaseESF_lENKUlvE_clEvENKUlvE0_clEvEUlffE_fEEDaPvRmT3_T4_T5_mT6_P12ihipStream_tbENKUlT_T0_E_clISt17integral_constantIbLb1EESV_IbLb0EEEEDaSR_SS_EUlSR_E0_NS1_11comp_targetILNS1_3genE3ELNS1_11target_archE908ELNS1_3gpuE7ELNS1_3repE0EEENS1_30default_config_static_selectorELNS0_4arch9wavefront6targetE1EEEvT1_.uses_flat_scratch, 0
	.set _ZN7rocprim17ROCPRIM_400000_NS6detail17trampoline_kernelINS0_14default_configENS1_20scan_config_selectorIfEEZZNS1_9scan_implILNS1_25lookback_scan_determinismE0ELb0ELb0ES3_PKfPffZZZN2at6native31launch_logcumsumexp_cuda_kernelERKNSB_10TensorBaseESF_lENKUlvE_clEvENKUlvE0_clEvEUlffE_fEEDaPvRmT3_T4_T5_mT6_P12ihipStream_tbENKUlT_T0_E_clISt17integral_constantIbLb1EESV_IbLb0EEEEDaSR_SS_EUlSR_E0_NS1_11comp_targetILNS1_3genE3ELNS1_11target_archE908ELNS1_3gpuE7ELNS1_3repE0EEENS1_30default_config_static_selectorELNS0_4arch9wavefront6targetE1EEEvT1_.has_dyn_sized_stack, 0
	.set _ZN7rocprim17ROCPRIM_400000_NS6detail17trampoline_kernelINS0_14default_configENS1_20scan_config_selectorIfEEZZNS1_9scan_implILNS1_25lookback_scan_determinismE0ELb0ELb0ES3_PKfPffZZZN2at6native31launch_logcumsumexp_cuda_kernelERKNSB_10TensorBaseESF_lENKUlvE_clEvENKUlvE0_clEvEUlffE_fEEDaPvRmT3_T4_T5_mT6_P12ihipStream_tbENKUlT_T0_E_clISt17integral_constantIbLb1EESV_IbLb0EEEEDaSR_SS_EUlSR_E0_NS1_11comp_targetILNS1_3genE3ELNS1_11target_archE908ELNS1_3gpuE7ELNS1_3repE0EEENS1_30default_config_static_selectorELNS0_4arch9wavefront6targetE1EEEvT1_.has_recursion, 0
	.set _ZN7rocprim17ROCPRIM_400000_NS6detail17trampoline_kernelINS0_14default_configENS1_20scan_config_selectorIfEEZZNS1_9scan_implILNS1_25lookback_scan_determinismE0ELb0ELb0ES3_PKfPffZZZN2at6native31launch_logcumsumexp_cuda_kernelERKNSB_10TensorBaseESF_lENKUlvE_clEvENKUlvE0_clEvEUlffE_fEEDaPvRmT3_T4_T5_mT6_P12ihipStream_tbENKUlT_T0_E_clISt17integral_constantIbLb1EESV_IbLb0EEEEDaSR_SS_EUlSR_E0_NS1_11comp_targetILNS1_3genE3ELNS1_11target_archE908ELNS1_3gpuE7ELNS1_3repE0EEENS1_30default_config_static_selectorELNS0_4arch9wavefront6targetE1EEEvT1_.has_indirect_call, 0
	.section	.AMDGPU.csdata,"",@progbits
; Kernel info:
; codeLenInByte = 0
; TotalNumSgprs: 4
; NumVgprs: 0
; ScratchSize: 0
; MemoryBound: 0
; FloatMode: 240
; IeeeMode: 1
; LDSByteSize: 0 bytes/workgroup (compile time only)
; SGPRBlocks: 0
; VGPRBlocks: 0
; NumSGPRsForWavesPerEU: 4
; NumVGPRsForWavesPerEU: 1
; Occupancy: 10
; WaveLimiterHint : 0
; COMPUTE_PGM_RSRC2:SCRATCH_EN: 0
; COMPUTE_PGM_RSRC2:USER_SGPR: 6
; COMPUTE_PGM_RSRC2:TRAP_HANDLER: 0
; COMPUTE_PGM_RSRC2:TGID_X_EN: 1
; COMPUTE_PGM_RSRC2:TGID_Y_EN: 0
; COMPUTE_PGM_RSRC2:TGID_Z_EN: 0
; COMPUTE_PGM_RSRC2:TIDIG_COMP_CNT: 0
	.section	.text._ZN7rocprim17ROCPRIM_400000_NS6detail17trampoline_kernelINS0_14default_configENS1_20scan_config_selectorIfEEZZNS1_9scan_implILNS1_25lookback_scan_determinismE0ELb0ELb0ES3_PKfPffZZZN2at6native31launch_logcumsumexp_cuda_kernelERKNSB_10TensorBaseESF_lENKUlvE_clEvENKUlvE0_clEvEUlffE_fEEDaPvRmT3_T4_T5_mT6_P12ihipStream_tbENKUlT_T0_E_clISt17integral_constantIbLb1EESV_IbLb0EEEEDaSR_SS_EUlSR_E0_NS1_11comp_targetILNS1_3genE2ELNS1_11target_archE906ELNS1_3gpuE6ELNS1_3repE0EEENS1_30default_config_static_selectorELNS0_4arch9wavefront6targetE1EEEvT1_,"axG",@progbits,_ZN7rocprim17ROCPRIM_400000_NS6detail17trampoline_kernelINS0_14default_configENS1_20scan_config_selectorIfEEZZNS1_9scan_implILNS1_25lookback_scan_determinismE0ELb0ELb0ES3_PKfPffZZZN2at6native31launch_logcumsumexp_cuda_kernelERKNSB_10TensorBaseESF_lENKUlvE_clEvENKUlvE0_clEvEUlffE_fEEDaPvRmT3_T4_T5_mT6_P12ihipStream_tbENKUlT_T0_E_clISt17integral_constantIbLb1EESV_IbLb0EEEEDaSR_SS_EUlSR_E0_NS1_11comp_targetILNS1_3genE2ELNS1_11target_archE906ELNS1_3gpuE6ELNS1_3repE0EEENS1_30default_config_static_selectorELNS0_4arch9wavefront6targetE1EEEvT1_,comdat
	.globl	_ZN7rocprim17ROCPRIM_400000_NS6detail17trampoline_kernelINS0_14default_configENS1_20scan_config_selectorIfEEZZNS1_9scan_implILNS1_25lookback_scan_determinismE0ELb0ELb0ES3_PKfPffZZZN2at6native31launch_logcumsumexp_cuda_kernelERKNSB_10TensorBaseESF_lENKUlvE_clEvENKUlvE0_clEvEUlffE_fEEDaPvRmT3_T4_T5_mT6_P12ihipStream_tbENKUlT_T0_E_clISt17integral_constantIbLb1EESV_IbLb0EEEEDaSR_SS_EUlSR_E0_NS1_11comp_targetILNS1_3genE2ELNS1_11target_archE906ELNS1_3gpuE6ELNS1_3repE0EEENS1_30default_config_static_selectorELNS0_4arch9wavefront6targetE1EEEvT1_ ; -- Begin function _ZN7rocprim17ROCPRIM_400000_NS6detail17trampoline_kernelINS0_14default_configENS1_20scan_config_selectorIfEEZZNS1_9scan_implILNS1_25lookback_scan_determinismE0ELb0ELb0ES3_PKfPffZZZN2at6native31launch_logcumsumexp_cuda_kernelERKNSB_10TensorBaseESF_lENKUlvE_clEvENKUlvE0_clEvEUlffE_fEEDaPvRmT3_T4_T5_mT6_P12ihipStream_tbENKUlT_T0_E_clISt17integral_constantIbLb1EESV_IbLb0EEEEDaSR_SS_EUlSR_E0_NS1_11comp_targetILNS1_3genE2ELNS1_11target_archE906ELNS1_3gpuE6ELNS1_3repE0EEENS1_30default_config_static_selectorELNS0_4arch9wavefront6targetE1EEEvT1_
	.p2align	8
	.type	_ZN7rocprim17ROCPRIM_400000_NS6detail17trampoline_kernelINS0_14default_configENS1_20scan_config_selectorIfEEZZNS1_9scan_implILNS1_25lookback_scan_determinismE0ELb0ELb0ES3_PKfPffZZZN2at6native31launch_logcumsumexp_cuda_kernelERKNSB_10TensorBaseESF_lENKUlvE_clEvENKUlvE0_clEvEUlffE_fEEDaPvRmT3_T4_T5_mT6_P12ihipStream_tbENKUlT_T0_E_clISt17integral_constantIbLb1EESV_IbLb0EEEEDaSR_SS_EUlSR_E0_NS1_11comp_targetILNS1_3genE2ELNS1_11target_archE906ELNS1_3gpuE6ELNS1_3repE0EEENS1_30default_config_static_selectorELNS0_4arch9wavefront6targetE1EEEvT1_,@function
_ZN7rocprim17ROCPRIM_400000_NS6detail17trampoline_kernelINS0_14default_configENS1_20scan_config_selectorIfEEZZNS1_9scan_implILNS1_25lookback_scan_determinismE0ELb0ELb0ES3_PKfPffZZZN2at6native31launch_logcumsumexp_cuda_kernelERKNSB_10TensorBaseESF_lENKUlvE_clEvENKUlvE0_clEvEUlffE_fEEDaPvRmT3_T4_T5_mT6_P12ihipStream_tbENKUlT_T0_E_clISt17integral_constantIbLb1EESV_IbLb0EEEEDaSR_SS_EUlSR_E0_NS1_11comp_targetILNS1_3genE2ELNS1_11target_archE906ELNS1_3gpuE6ELNS1_3repE0EEENS1_30default_config_static_selectorELNS0_4arch9wavefront6targetE1EEEvT1_: ; @_ZN7rocprim17ROCPRIM_400000_NS6detail17trampoline_kernelINS0_14default_configENS1_20scan_config_selectorIfEEZZNS1_9scan_implILNS1_25lookback_scan_determinismE0ELb0ELb0ES3_PKfPffZZZN2at6native31launch_logcumsumexp_cuda_kernelERKNSB_10TensorBaseESF_lENKUlvE_clEvENKUlvE0_clEvEUlffE_fEEDaPvRmT3_T4_T5_mT6_P12ihipStream_tbENKUlT_T0_E_clISt17integral_constantIbLb1EESV_IbLb0EEEEDaSR_SS_EUlSR_E0_NS1_11comp_targetILNS1_3genE2ELNS1_11target_archE906ELNS1_3gpuE6ELNS1_3repE0EEENS1_30default_config_static_selectorELNS0_4arch9wavefront6targetE1EEEvT1_
; %bb.0:
	s_load_dwordx4 s[28:31], s[4:5], 0x0
	v_lshlrev_b32_e32 v16, 2, v0
	s_waitcnt lgkmcnt(0)
	s_load_dword s31, s[28:29], 0x0
	v_cmp_gt_u32_e32 vcc, s30, v0
	s_waitcnt lgkmcnt(0)
	v_mov_b32_e32 v1, s31
	s_and_saveexec_b64 s[0:1], vcc
	s_cbranch_execz .LBB147_2
; %bb.1:
	global_load_dword v1, v16, s[28:29]
.LBB147_2:
	s_or_b64 exec, exec, s[0:1]
	v_or_b32_e32 v2, 0x100, v0
	v_cmp_gt_u32_e64 s[0:1], s30, v2
	v_mov_b32_e32 v2, s31
	s_and_saveexec_b64 s[2:3], s[0:1]
	s_cbranch_execz .LBB147_4
; %bb.3:
	global_load_dword v2, v16, s[28:29] offset:1024
.LBB147_4:
	s_or_b64 exec, exec, s[2:3]
	v_or_b32_e32 v3, 0x200, v0
	v_cmp_gt_u32_e64 s[2:3], s30, v3
	v_mov_b32_e32 v3, s31
	s_and_saveexec_b64 s[6:7], s[2:3]
	s_cbranch_execz .LBB147_6
; %bb.5:
	global_load_dword v3, v16, s[28:29] offset:2048
.LBB147_6:
	;; [unrolled: 9-line block ×3, first 2 shown]
	s_or_b64 exec, exec, s[6:7]
	v_or_b32_e32 v6, 0x400, v0
	v_cmp_gt_u32_e64 s[6:7], s30, v6
	v_mov_b32_e32 v5, s31
	s_and_saveexec_b64 s[8:9], s[6:7]
	s_cbranch_execz .LBB147_10
; %bb.9:
	v_lshlrev_b32_e32 v5, 2, v6
	global_load_dword v5, v5, s[28:29]
.LBB147_10:
	s_or_b64 exec, exec, s[8:9]
	v_or_b32_e32 v7, 0x500, v0
	v_cmp_gt_u32_e64 s[8:9], s30, v7
	v_mov_b32_e32 v6, s31
	s_and_saveexec_b64 s[10:11], s[8:9]
	s_cbranch_execz .LBB147_12
; %bb.11:
	v_lshlrev_b32_e32 v6, 2, v7
	global_load_dword v6, v6, s[28:29]
.LBB147_12:
	;; [unrolled: 10-line block ×11, first 2 shown]
	s_or_b64 exec, exec, s[30:31]
	s_waitcnt vmcnt(0)
	ds_write2st64_b32 v16, v1, v2 offset1:4
	ds_write2st64_b32 v16, v3, v4 offset0:8 offset1:12
	ds_write2st64_b32 v16, v5, v6 offset0:16 offset1:20
	;; [unrolled: 1-line block ×6, first 2 shown]
	ds_write_b32 v16, v15 offset:14336
	v_mad_u32_u24 v15, v0, 56, v16
	s_waitcnt lgkmcnt(0)
	s_barrier
	ds_read2_b32 v[1:2], v15 offset1:1
	ds_read2_b32 v[13:14], v15 offset0:2 offset1:3
	ds_read2_b32 v[11:12], v15 offset0:4 offset1:5
	;; [unrolled: 1-line block ×6, first 2 shown]
	ds_read_b32 v15, v15 offset:56
	s_waitcnt lgkmcnt(7)
	v_max_f32_e32 v23, v2, v2
	v_max_f32_e32 v32, v1, v1
	v_min_f32_e32 v31, v32, v23
	v_cmp_u_f32_e64 s[58:59], v1, v1
	v_cndmask_b32_e64 v17, v31, v1, s[58:59]
	v_cmp_u_f32_e64 s[28:29], v2, v2
	v_max_f32_e32 v33, v32, v23
	v_cndmask_b32_e64 v18, v17, v2, s[28:29]
	v_cndmask_b32_e64 v17, v33, v1, s[58:59]
	;; [unrolled: 1-line block ×3, first 2 shown]
	s_movk_i32 s33, 0x1f8
	v_cmp_neq_f32_e64 s[30:31], v18, v17
	v_cmp_class_f32_e64 s[34:35], v18, s33
	s_or_b64 s[30:31], s[30:31], s[34:35]
	v_mov_b32_e32 v36, v1
	s_waitcnt lgkmcnt(0)
	s_barrier
	s_and_saveexec_b64 s[34:35], s[30:31]
	s_cbranch_execz .LBB147_32
; %bb.31:
	v_sub_f32_e32 v18, v18, v17
	s_mov_b32 s30, 0x3fb8aa3b
	v_mul_f32_e32 v19, 0x3fb8aa3b, v18
	v_fma_f32 v20, v18, s30, -v19
	v_rndne_f32_e32 v21, v19
	v_fmac_f32_e32 v20, 0x32a5705f, v18
	v_sub_f32_e32 v19, v19, v21
	v_add_f32_e32 v19, v19, v20
	v_exp_f32_e32 v19, v19
	v_cvt_i32_f32_e32 v20, v21
	s_mov_b32 s30, 0xc2ce8ed0
	v_cmp_ngt_f32_e64 s[30:31], s30, v18
	s_mov_b32 s36, 0x7f800000
	v_ldexp_f32 v19, v19, v20
	v_cndmask_b32_e64 v19, 0, v19, s[30:31]
	s_mov_b32 s30, 0x42b17218
	v_mov_b32_e32 v20, 0x7f800000
	v_cmp_nlt_f32_e64 s[30:31], s30, v18
	v_cndmask_b32_e64 v21, v20, v19, s[30:31]
	v_add_f32_e32 v22, 1.0, v21
	v_cvt_f64_f32_e32 v[18:19], v22
	v_add_f32_e32 v24, -1.0, v22
	v_sub_f32_e32 v25, v24, v22
	v_sub_f32_e32 v24, v21, v24
	v_frexp_exp_i32_f64_e32 v18, v[18:19]
	v_add_f32_e32 v19, 1.0, v25
	v_add_f32_e32 v19, v24, v19
	v_frexp_mant_f32_e32 v24, v22
	s_mov_b32 s30, 0x3f2aaaab
	v_cmp_gt_f32_e64 s[30:31], s30, v24
	v_subbrev_co_u32_e64 v18, s[30:31], 0, v18, s[30:31]
	v_sub_u32_e32 v24, 0, v18
	v_ldexp_f32 v22, v22, v24
	v_ldexp_f32 v19, v19, v24
	v_add_f32_e32 v24, -1.0, v22
	v_add_f32_e32 v27, 1.0, v22
	v_add_f32_e32 v25, 1.0, v24
	v_add_f32_e32 v28, -1.0, v27
	v_sub_f32_e32 v25, v22, v25
	v_sub_f32_e32 v22, v22, v28
	v_add_f32_e32 v25, v19, v25
	v_add_f32_e32 v19, v19, v22
	;; [unrolled: 1-line block ×3, first 2 shown]
	v_rcp_f32_e32 v28, v22
	v_add_f32_e32 v26, v24, v25
	v_sub_f32_e32 v24, v24, v26
	v_add_f32_e32 v24, v25, v24
	v_sub_f32_e32 v25, v27, v22
	v_add_f32_e32 v19, v19, v25
	v_mul_f32_e32 v25, v26, v28
	v_mul_f32_e32 v27, v22, v25
	v_fma_f32 v29, v25, v22, -v27
	v_fmac_f32_e32 v29, v25, v19
	v_add_f32_e32 v30, v27, v29
	v_sub_f32_e32 v34, v26, v30
	v_sub_f32_e32 v26, v26, v34
	;; [unrolled: 1-line block ×4, first 2 shown]
	v_add_f32_e32 v24, v24, v26
	v_sub_f32_e32 v26, v27, v29
	v_add_f32_e32 v24, v26, v24
	v_add_f32_e32 v26, v34, v24
	v_mul_f32_e32 v27, v28, v26
	v_mul_f32_e32 v29, v22, v27
	v_fma_f32 v22, v27, v22, -v29
	v_fmac_f32_e32 v22, v27, v19
	v_sub_f32_e32 v19, v34, v26
	v_add_f32_e32 v19, v24, v19
	v_add_f32_e32 v24, v29, v22
	v_sub_f32_e32 v30, v26, v24
	v_sub_f32_e32 v26, v26, v30
	;; [unrolled: 1-line block ×4, first 2 shown]
	v_add_f32_e32 v19, v19, v24
	v_sub_f32_e32 v22, v29, v22
	v_add_f32_e32 v19, v22, v19
	v_add_f32_e32 v22, v25, v27
	;; [unrolled: 1-line block ×3, first 2 shown]
	v_sub_f32_e32 v24, v22, v25
	v_mul_f32_e32 v19, v28, v19
	v_sub_f32_e32 v24, v27, v24
	v_add_f32_e32 v19, v24, v19
	v_cvt_f32_i32_e32 v18, v18
	v_add_f32_e32 v24, v22, v19
	v_mul_f32_e32 v25, v24, v24
	v_mov_b32_e32 v26, 0x3ecc95a3
	v_fmac_f32_e32 v26, 0x3e9b6dac, v25
	v_mov_b32_e32 v27, 0x3f2aaada
	v_fmac_f32_e32 v27, v25, v26
	s_mov_b32 s30, 0x3f317218
	v_mul_f32_e32 v26, 0x3f317218, v18
	v_fma_f32 v28, v18, s30, -v26
	v_fmac_f32_e32 v28, 0xb102e308, v18
	v_sub_f32_e32 v18, v24, v22
	v_sub_f32_e32 v18, v19, v18
	v_add_f32_e32 v19, v26, v28
	v_sub_f32_e32 v22, v19, v26
	v_ldexp_f32 v26, v24, 1
	v_mul_f32_e32 v24, v24, v25
	v_mul_f32_e32 v24, v24, v27
	v_add_f32_e32 v25, v26, v24
	v_sub_f32_e32 v26, v25, v26
	v_ldexp_f32 v18, v18, 1
	v_sub_f32_e32 v24, v24, v26
	v_add_f32_e32 v18, v18, v24
	v_add_f32_e32 v24, v25, v18
	v_sub_f32_e32 v25, v24, v25
	v_sub_f32_e32 v18, v18, v25
	v_add_f32_e32 v25, v19, v24
	v_sub_f32_e32 v26, v25, v19
	v_sub_f32_e32 v27, v25, v26
	;; [unrolled: 1-line block ×5, first 2 shown]
	v_add_f32_e32 v19, v24, v19
	v_add_f32_e32 v24, v22, v18
	v_sub_f32_e32 v26, v24, v22
	v_sub_f32_e32 v27, v24, v26
	v_sub_f32_e32 v22, v22, v27
	v_sub_f32_e32 v18, v18, v26
	v_add_f32_e32 v19, v24, v19
	v_add_f32_e32 v18, v18, v22
	;; [unrolled: 1-line block ×3, first 2 shown]
	v_sub_f32_e32 v24, v22, v25
	v_sub_f32_e32 v19, v19, v24
	v_add_f32_e32 v18, v18, v19
	v_add_f32_e32 v18, v22, v18
	v_cmp_neq_f32_e64 s[30:31], s36, v21
	v_cndmask_b32_e64 v18, v20, v18, s[30:31]
	s_mov_b32 s30, 0x33800000
	v_cmp_lt_f32_e64 s[30:31], |v21|, s30
	v_cndmask_b32_e64 v18, v18, v21, s[30:31]
	v_add_f32_e32 v36, v17, v18
.LBB147_32:
	s_or_b64 exec, exec, s[34:35]
	v_max_f32_e32 v18, v36, v36
	v_max_f32_e32 v17, v13, v13
	v_min_f32_e32 v19, v18, v17
	v_cmp_u_f32_e64 s[34:35], v36, v36
	v_max_f32_e32 v18, v18, v17
	v_cndmask_b32_e64 v19, v19, v36, s[34:35]
	v_cmp_u_f32_e64 s[30:31], v13, v13
	v_cndmask_b32_e64 v18, v18, v36, s[34:35]
	v_cndmask_b32_e64 v19, v19, v13, s[30:31]
	;; [unrolled: 1-line block ×3, first 2 shown]
	v_cmp_neq_f32_e64 s[34:35], v19, v18
	v_cmp_class_f32_e64 s[36:37], v19, s33
	s_or_b64 s[34:35], s[34:35], s[36:37]
	s_and_saveexec_b64 s[36:37], s[34:35]
	s_cbranch_execz .LBB147_34
; %bb.33:
	v_sub_f32_e32 v19, v19, v18
	s_mov_b32 s33, 0x3fb8aa3b
	v_mul_f32_e32 v20, 0x3fb8aa3b, v19
	v_fma_f32 v21, v19, s33, -v20
	v_rndne_f32_e32 v22, v20
	v_fmac_f32_e32 v21, 0x32a5705f, v19
	v_sub_f32_e32 v20, v20, v22
	v_add_f32_e32 v20, v20, v21
	v_exp_f32_e32 v20, v20
	v_cvt_i32_f32_e32 v21, v22
	s_mov_b32 s33, 0xc2ce8ed0
	v_cmp_ngt_f32_e64 s[34:35], s33, v19
	s_mov_b32 s33, 0x42b17218
	v_ldexp_f32 v20, v20, v21
	v_cndmask_b32_e64 v20, 0, v20, s[34:35]
	v_mov_b32_e32 v21, 0x7f800000
	v_cmp_nlt_f32_e64 s[34:35], s33, v19
	v_cndmask_b32_e64 v22, v21, v20, s[34:35]
	v_add_f32_e32 v24, 1.0, v22
	v_cvt_f64_f32_e32 v[19:20], v24
	v_add_f32_e32 v25, -1.0, v24
	v_sub_f32_e32 v26, v25, v24
	v_sub_f32_e32 v25, v22, v25
	v_frexp_exp_i32_f64_e32 v19, v[19:20]
	v_add_f32_e32 v20, 1.0, v26
	v_add_f32_e32 v20, v25, v20
	v_frexp_mant_f32_e32 v25, v24
	s_mov_b32 s34, 0x3f2aaaab
	v_cmp_gt_f32_e64 s[34:35], s34, v25
	s_mov_b32 s33, 0x7f800000
	v_subbrev_co_u32_e64 v19, s[34:35], 0, v19, s[34:35]
	v_sub_u32_e32 v25, 0, v19
	v_ldexp_f32 v24, v24, v25
	v_ldexp_f32 v20, v20, v25
	v_add_f32_e32 v25, -1.0, v24
	v_add_f32_e32 v28, 1.0, v24
	v_add_f32_e32 v26, 1.0, v25
	v_add_f32_e32 v29, -1.0, v28
	v_sub_f32_e32 v26, v24, v26
	v_sub_f32_e32 v24, v24, v29
	v_add_f32_e32 v26, v20, v26
	v_add_f32_e32 v20, v20, v24
	;; [unrolled: 1-line block ×3, first 2 shown]
	v_rcp_f32_e32 v29, v24
	v_add_f32_e32 v27, v25, v26
	v_sub_f32_e32 v25, v25, v27
	v_add_f32_e32 v25, v26, v25
	v_sub_f32_e32 v26, v28, v24
	v_add_f32_e32 v20, v20, v26
	v_mul_f32_e32 v26, v27, v29
	v_mul_f32_e32 v28, v24, v26
	v_fma_f32 v30, v26, v24, -v28
	v_fmac_f32_e32 v30, v26, v20
	v_add_f32_e32 v34, v28, v30
	v_sub_f32_e32 v35, v27, v34
	v_sub_f32_e32 v27, v27, v35
	;; [unrolled: 1-line block ×4, first 2 shown]
	v_add_f32_e32 v25, v25, v27
	v_sub_f32_e32 v27, v28, v30
	v_add_f32_e32 v25, v27, v25
	v_add_f32_e32 v27, v35, v25
	v_mul_f32_e32 v28, v29, v27
	v_mul_f32_e32 v30, v24, v28
	v_fma_f32 v24, v28, v24, -v30
	v_fmac_f32_e32 v24, v28, v20
	v_sub_f32_e32 v20, v35, v27
	v_add_f32_e32 v20, v25, v20
	v_add_f32_e32 v25, v30, v24
	v_sub_f32_e32 v34, v27, v25
	v_sub_f32_e32 v27, v27, v34
	;; [unrolled: 1-line block ×4, first 2 shown]
	v_add_f32_e32 v20, v20, v25
	v_sub_f32_e32 v24, v30, v24
	v_add_f32_e32 v20, v24, v20
	v_add_f32_e32 v24, v26, v28
	;; [unrolled: 1-line block ×3, first 2 shown]
	v_sub_f32_e32 v25, v24, v26
	v_mul_f32_e32 v20, v29, v20
	v_sub_f32_e32 v25, v28, v25
	v_add_f32_e32 v20, v25, v20
	v_cvt_f32_i32_e32 v19, v19
	v_add_f32_e32 v25, v24, v20
	v_mul_f32_e32 v26, v25, v25
	v_mov_b32_e32 v27, 0x3ecc95a3
	v_fmac_f32_e32 v27, 0x3e9b6dac, v26
	v_mov_b32_e32 v28, 0x3f2aaada
	v_fmac_f32_e32 v28, v26, v27
	s_mov_b32 s34, 0x3f317218
	v_mul_f32_e32 v27, 0x3f317218, v19
	v_fma_f32 v29, v19, s34, -v27
	v_fmac_f32_e32 v29, 0xb102e308, v19
	v_sub_f32_e32 v19, v25, v24
	v_sub_f32_e32 v19, v20, v19
	v_add_f32_e32 v20, v27, v29
	v_sub_f32_e32 v24, v20, v27
	v_ldexp_f32 v27, v25, 1
	v_mul_f32_e32 v25, v25, v26
	v_mul_f32_e32 v25, v25, v28
	v_add_f32_e32 v26, v27, v25
	v_sub_f32_e32 v27, v26, v27
	v_ldexp_f32 v19, v19, 1
	v_sub_f32_e32 v25, v25, v27
	v_add_f32_e32 v19, v19, v25
	v_add_f32_e32 v25, v26, v19
	v_sub_f32_e32 v26, v25, v26
	v_sub_f32_e32 v19, v19, v26
	v_add_f32_e32 v26, v20, v25
	v_sub_f32_e32 v27, v26, v20
	v_sub_f32_e32 v28, v26, v27
	;; [unrolled: 1-line block ×5, first 2 shown]
	v_add_f32_e32 v20, v25, v20
	v_add_f32_e32 v25, v24, v19
	v_sub_f32_e32 v27, v25, v24
	v_sub_f32_e32 v28, v25, v27
	;; [unrolled: 1-line block ×4, first 2 shown]
	v_add_f32_e32 v20, v25, v20
	v_add_f32_e32 v19, v19, v24
	;; [unrolled: 1-line block ×3, first 2 shown]
	v_sub_f32_e32 v25, v24, v26
	v_sub_f32_e32 v20, v20, v25
	v_add_f32_e32 v19, v19, v20
	v_add_f32_e32 v19, v24, v19
	v_cmp_neq_f32_e64 s[34:35], s33, v22
	s_mov_b32 s33, 0x33800000
	v_cndmask_b32_e64 v19, v21, v19, s[34:35]
	v_cmp_lt_f32_e64 s[34:35], |v22|, s33
	v_cndmask_b32_e64 v19, v19, v22, s[34:35]
	v_add_f32_e32 v36, v18, v19
.LBB147_34:
	s_or_b64 exec, exec, s[36:37]
	v_max_f32_e32 v19, v36, v36
	v_max_f32_e32 v18, v14, v14
	v_min_f32_e32 v20, v19, v18
	v_cmp_u_f32_e64 s[36:37], v36, v36
	v_max_f32_e32 v19, v19, v18
	v_cndmask_b32_e64 v20, v20, v36, s[36:37]
	v_cmp_u_f32_e64 s[34:35], v14, v14
	v_cndmask_b32_e64 v19, v19, v36, s[36:37]
	v_cndmask_b32_e64 v20, v20, v14, s[34:35]
	v_cndmask_b32_e64 v19, v19, v14, s[34:35]
	s_movk_i32 s33, 0x1f8
	v_cmp_neq_f32_e64 s[36:37], v20, v19
	v_cmp_class_f32_e64 s[38:39], v20, s33
	s_or_b64 s[36:37], s[36:37], s[38:39]
	s_and_saveexec_b64 s[38:39], s[36:37]
	s_cbranch_execz .LBB147_36
; %bb.35:
	v_sub_f32_e32 v20, v20, v19
	s_mov_b32 s36, 0x3fb8aa3b
	v_mul_f32_e32 v21, 0x3fb8aa3b, v20
	v_fma_f32 v22, v20, s36, -v21
	v_rndne_f32_e32 v24, v21
	v_fmac_f32_e32 v22, 0x32a5705f, v20
	v_sub_f32_e32 v21, v21, v24
	v_add_f32_e32 v21, v21, v22
	v_exp_f32_e32 v21, v21
	v_cvt_i32_f32_e32 v22, v24
	s_mov_b32 s36, 0xc2ce8ed0
	v_cmp_ngt_f32_e64 s[36:37], s36, v20
	s_mov_b32 s40, 0x7f800000
	v_ldexp_f32 v21, v21, v22
	v_cndmask_b32_e64 v21, 0, v21, s[36:37]
	s_mov_b32 s36, 0x42b17218
	v_mov_b32_e32 v22, 0x7f800000
	v_cmp_nlt_f32_e64 s[36:37], s36, v20
	v_cndmask_b32_e64 v24, v22, v21, s[36:37]
	v_add_f32_e32 v25, 1.0, v24
	v_cvt_f64_f32_e32 v[20:21], v25
	v_add_f32_e32 v26, -1.0, v25
	v_sub_f32_e32 v27, v26, v25
	v_sub_f32_e32 v26, v24, v26
	v_frexp_exp_i32_f64_e32 v20, v[20:21]
	v_add_f32_e32 v21, 1.0, v27
	v_add_f32_e32 v21, v26, v21
	v_frexp_mant_f32_e32 v26, v25
	s_mov_b32 s36, 0x3f2aaaab
	v_cmp_gt_f32_e64 s[36:37], s36, v26
	v_subbrev_co_u32_e64 v20, s[36:37], 0, v20, s[36:37]
	v_sub_u32_e32 v26, 0, v20
	v_ldexp_f32 v25, v25, v26
	v_ldexp_f32 v21, v21, v26
	v_add_f32_e32 v26, -1.0, v25
	v_add_f32_e32 v29, 1.0, v25
	v_add_f32_e32 v27, 1.0, v26
	v_add_f32_e32 v30, -1.0, v29
	v_sub_f32_e32 v27, v25, v27
	v_sub_f32_e32 v25, v25, v30
	v_add_f32_e32 v27, v21, v27
	v_add_f32_e32 v21, v21, v25
	;; [unrolled: 1-line block ×3, first 2 shown]
	v_rcp_f32_e32 v30, v25
	v_add_f32_e32 v28, v26, v27
	v_sub_f32_e32 v26, v26, v28
	v_add_f32_e32 v26, v27, v26
	v_sub_f32_e32 v27, v29, v25
	v_add_f32_e32 v21, v21, v27
	v_mul_f32_e32 v27, v28, v30
	v_mul_f32_e32 v29, v25, v27
	v_fma_f32 v34, v27, v25, -v29
	v_fmac_f32_e32 v34, v27, v21
	v_add_f32_e32 v35, v29, v34
	v_sub_f32_e32 v36, v28, v35
	v_sub_f32_e32 v28, v28, v36
	;; [unrolled: 1-line block ×4, first 2 shown]
	v_add_f32_e32 v26, v26, v28
	v_sub_f32_e32 v28, v29, v34
	v_add_f32_e32 v26, v28, v26
	v_add_f32_e32 v28, v36, v26
	v_mul_f32_e32 v29, v30, v28
	v_mul_f32_e32 v34, v25, v29
	v_fma_f32 v25, v29, v25, -v34
	v_fmac_f32_e32 v25, v29, v21
	v_sub_f32_e32 v21, v36, v28
	v_add_f32_e32 v21, v26, v21
	v_add_f32_e32 v26, v34, v25
	v_sub_f32_e32 v35, v28, v26
	v_sub_f32_e32 v28, v28, v35
	;; [unrolled: 1-line block ×4, first 2 shown]
	v_add_f32_e32 v21, v21, v26
	v_sub_f32_e32 v25, v34, v25
	v_add_f32_e32 v21, v25, v21
	v_add_f32_e32 v25, v27, v29
	;; [unrolled: 1-line block ×3, first 2 shown]
	v_sub_f32_e32 v26, v25, v27
	v_mul_f32_e32 v21, v30, v21
	v_sub_f32_e32 v26, v29, v26
	v_add_f32_e32 v21, v26, v21
	v_cvt_f32_i32_e32 v20, v20
	v_add_f32_e32 v26, v25, v21
	v_mul_f32_e32 v27, v26, v26
	v_mov_b32_e32 v28, 0x3ecc95a3
	v_fmac_f32_e32 v28, 0x3e9b6dac, v27
	v_mov_b32_e32 v29, 0x3f2aaada
	v_fmac_f32_e32 v29, v27, v28
	s_mov_b32 s36, 0x3f317218
	v_mul_f32_e32 v28, 0x3f317218, v20
	v_fma_f32 v30, v20, s36, -v28
	v_fmac_f32_e32 v30, 0xb102e308, v20
	v_sub_f32_e32 v20, v26, v25
	v_sub_f32_e32 v20, v21, v20
	v_add_f32_e32 v21, v28, v30
	v_sub_f32_e32 v25, v21, v28
	v_ldexp_f32 v28, v26, 1
	v_mul_f32_e32 v26, v26, v27
	v_mul_f32_e32 v26, v26, v29
	v_add_f32_e32 v27, v28, v26
	v_sub_f32_e32 v28, v27, v28
	v_ldexp_f32 v20, v20, 1
	v_sub_f32_e32 v26, v26, v28
	v_add_f32_e32 v20, v20, v26
	v_add_f32_e32 v26, v27, v20
	v_sub_f32_e32 v27, v26, v27
	v_sub_f32_e32 v20, v20, v27
	v_add_f32_e32 v27, v21, v26
	v_sub_f32_e32 v28, v27, v21
	v_sub_f32_e32 v29, v27, v28
	v_sub_f32_e32 v25, v30, v25
	v_sub_f32_e32 v21, v21, v29
	v_sub_f32_e32 v26, v26, v28
	v_add_f32_e32 v21, v26, v21
	v_add_f32_e32 v26, v25, v20
	v_sub_f32_e32 v28, v26, v25
	v_sub_f32_e32 v29, v26, v28
	;; [unrolled: 1-line block ×4, first 2 shown]
	v_add_f32_e32 v21, v26, v21
	v_add_f32_e32 v20, v20, v25
	;; [unrolled: 1-line block ×3, first 2 shown]
	v_sub_f32_e32 v26, v25, v27
	v_sub_f32_e32 v21, v21, v26
	v_add_f32_e32 v20, v20, v21
	v_add_f32_e32 v20, v25, v20
	v_cmp_neq_f32_e64 s[36:37], s40, v24
	v_cndmask_b32_e64 v20, v22, v20, s[36:37]
	s_mov_b32 s36, 0x33800000
	v_cmp_lt_f32_e64 s[36:37], |v24|, s36
	v_cndmask_b32_e64 v20, v20, v24, s[36:37]
	v_add_f32_e32 v36, v19, v20
.LBB147_36:
	s_or_b64 exec, exec, s[38:39]
	v_max_f32_e32 v20, v36, v36
	v_max_f32_e32 v19, v11, v11
	v_min_f32_e32 v21, v20, v19
	v_cmp_u_f32_e64 s[38:39], v36, v36
	v_max_f32_e32 v20, v20, v19
	v_cndmask_b32_e64 v21, v21, v36, s[38:39]
	v_cmp_u_f32_e64 s[36:37], v11, v11
	v_cndmask_b32_e64 v20, v20, v36, s[38:39]
	v_cndmask_b32_e64 v21, v21, v11, s[36:37]
	;; [unrolled: 1-line block ×3, first 2 shown]
	v_cmp_neq_f32_e64 s[38:39], v21, v20
	v_cmp_class_f32_e64 s[40:41], v21, s33
	s_or_b64 s[38:39], s[38:39], s[40:41]
	s_and_saveexec_b64 s[40:41], s[38:39]
	s_cbranch_execz .LBB147_38
; %bb.37:
	v_sub_f32_e32 v21, v21, v20
	s_mov_b32 s33, 0x3fb8aa3b
	v_mul_f32_e32 v22, 0x3fb8aa3b, v21
	v_fma_f32 v24, v21, s33, -v22
	v_rndne_f32_e32 v25, v22
	v_fmac_f32_e32 v24, 0x32a5705f, v21
	v_sub_f32_e32 v22, v22, v25
	v_add_f32_e32 v22, v22, v24
	v_exp_f32_e32 v22, v22
	v_cvt_i32_f32_e32 v24, v25
	s_mov_b32 s33, 0xc2ce8ed0
	v_cmp_ngt_f32_e64 s[38:39], s33, v21
	s_mov_b32 s33, 0x42b17218
	v_ldexp_f32 v22, v22, v24
	v_cndmask_b32_e64 v22, 0, v22, s[38:39]
	v_mov_b32_e32 v24, 0x7f800000
	v_cmp_nlt_f32_e64 s[38:39], s33, v21
	v_cndmask_b32_e64 v25, v24, v22, s[38:39]
	v_add_f32_e32 v26, 1.0, v25
	v_cvt_f64_f32_e32 v[21:22], v26
	v_add_f32_e32 v27, -1.0, v26
	v_sub_f32_e32 v28, v27, v26
	v_sub_f32_e32 v27, v25, v27
	v_frexp_exp_i32_f64_e32 v21, v[21:22]
	v_add_f32_e32 v22, 1.0, v28
	v_add_f32_e32 v22, v27, v22
	v_frexp_mant_f32_e32 v27, v26
	s_mov_b32 s38, 0x3f2aaaab
	v_cmp_gt_f32_e64 s[38:39], s38, v27
	s_mov_b32 s33, 0x7f800000
	v_subbrev_co_u32_e64 v21, s[38:39], 0, v21, s[38:39]
	v_sub_u32_e32 v27, 0, v21
	v_ldexp_f32 v26, v26, v27
	v_ldexp_f32 v22, v22, v27
	v_add_f32_e32 v27, -1.0, v26
	v_add_f32_e32 v30, 1.0, v26
	v_add_f32_e32 v28, 1.0, v27
	v_add_f32_e32 v34, -1.0, v30
	v_sub_f32_e32 v28, v26, v28
	v_sub_f32_e32 v26, v26, v34
	v_add_f32_e32 v28, v22, v28
	v_add_f32_e32 v22, v22, v26
	;; [unrolled: 1-line block ×3, first 2 shown]
	v_rcp_f32_e32 v34, v26
	v_add_f32_e32 v29, v27, v28
	v_sub_f32_e32 v27, v27, v29
	v_add_f32_e32 v27, v28, v27
	v_sub_f32_e32 v28, v30, v26
	v_add_f32_e32 v22, v22, v28
	v_mul_f32_e32 v28, v29, v34
	v_mul_f32_e32 v30, v26, v28
	v_fma_f32 v35, v28, v26, -v30
	v_fmac_f32_e32 v35, v28, v22
	v_add_f32_e32 v36, v30, v35
	v_sub_f32_e32 v37, v29, v36
	v_sub_f32_e32 v29, v29, v37
	;; [unrolled: 1-line block ×4, first 2 shown]
	v_add_f32_e32 v27, v27, v29
	v_sub_f32_e32 v29, v30, v35
	v_add_f32_e32 v27, v29, v27
	v_add_f32_e32 v29, v37, v27
	v_mul_f32_e32 v30, v34, v29
	v_mul_f32_e32 v35, v26, v30
	v_fma_f32 v26, v30, v26, -v35
	v_fmac_f32_e32 v26, v30, v22
	v_sub_f32_e32 v22, v37, v29
	v_add_f32_e32 v22, v27, v22
	v_add_f32_e32 v27, v35, v26
	v_sub_f32_e32 v36, v29, v27
	v_sub_f32_e32 v29, v29, v36
	;; [unrolled: 1-line block ×4, first 2 shown]
	v_add_f32_e32 v22, v22, v27
	v_sub_f32_e32 v26, v35, v26
	v_add_f32_e32 v22, v26, v22
	v_add_f32_e32 v26, v28, v30
	;; [unrolled: 1-line block ×3, first 2 shown]
	v_sub_f32_e32 v27, v26, v28
	v_mul_f32_e32 v22, v34, v22
	v_sub_f32_e32 v27, v30, v27
	v_add_f32_e32 v22, v27, v22
	v_cvt_f32_i32_e32 v21, v21
	v_add_f32_e32 v27, v26, v22
	v_mul_f32_e32 v28, v27, v27
	v_mov_b32_e32 v29, 0x3ecc95a3
	v_fmac_f32_e32 v29, 0x3e9b6dac, v28
	v_mov_b32_e32 v30, 0x3f2aaada
	v_fmac_f32_e32 v30, v28, v29
	s_mov_b32 s38, 0x3f317218
	v_mul_f32_e32 v29, 0x3f317218, v21
	v_fma_f32 v34, v21, s38, -v29
	v_fmac_f32_e32 v34, 0xb102e308, v21
	v_sub_f32_e32 v21, v27, v26
	v_sub_f32_e32 v21, v22, v21
	v_add_f32_e32 v22, v29, v34
	v_sub_f32_e32 v26, v22, v29
	v_ldexp_f32 v29, v27, 1
	v_mul_f32_e32 v27, v27, v28
	v_mul_f32_e32 v27, v27, v30
	v_add_f32_e32 v28, v29, v27
	v_sub_f32_e32 v29, v28, v29
	v_ldexp_f32 v21, v21, 1
	v_sub_f32_e32 v27, v27, v29
	v_add_f32_e32 v21, v21, v27
	v_add_f32_e32 v27, v28, v21
	v_sub_f32_e32 v28, v27, v28
	v_sub_f32_e32 v21, v21, v28
	v_add_f32_e32 v28, v22, v27
	v_sub_f32_e32 v29, v28, v22
	v_sub_f32_e32 v30, v28, v29
	;; [unrolled: 1-line block ×5, first 2 shown]
	v_add_f32_e32 v22, v27, v22
	v_add_f32_e32 v27, v26, v21
	v_sub_f32_e32 v29, v27, v26
	v_sub_f32_e32 v30, v27, v29
	v_sub_f32_e32 v26, v26, v30
	v_sub_f32_e32 v21, v21, v29
	v_add_f32_e32 v22, v27, v22
	v_add_f32_e32 v21, v21, v26
	;; [unrolled: 1-line block ×3, first 2 shown]
	v_sub_f32_e32 v27, v26, v28
	v_sub_f32_e32 v22, v22, v27
	v_add_f32_e32 v21, v21, v22
	v_add_f32_e32 v21, v26, v21
	v_cmp_neq_f32_e64 s[38:39], s33, v25
	s_mov_b32 s33, 0x33800000
	v_cndmask_b32_e64 v21, v24, v21, s[38:39]
	v_cmp_lt_f32_e64 s[38:39], |v25|, s33
	v_cndmask_b32_e64 v21, v21, v25, s[38:39]
	v_add_f32_e32 v36, v20, v21
.LBB147_38:
	s_or_b64 exec, exec, s[40:41]
	v_max_f32_e32 v21, v36, v36
	v_max_f32_e32 v20, v12, v12
	v_min_f32_e32 v22, v21, v20
	v_cmp_u_f32_e64 s[40:41], v36, v36
	v_max_f32_e32 v21, v21, v20
	v_cndmask_b32_e64 v22, v22, v36, s[40:41]
	v_cmp_u_f32_e64 s[38:39], v12, v12
	v_cndmask_b32_e64 v21, v21, v36, s[40:41]
	v_cndmask_b32_e64 v22, v22, v12, s[38:39]
	;; [unrolled: 1-line block ×3, first 2 shown]
	s_movk_i32 s33, 0x1f8
	v_cmp_neq_f32_e64 s[40:41], v22, v21
	v_cmp_class_f32_e64 s[42:43], v22, s33
	s_or_b64 s[40:41], s[40:41], s[42:43]
	s_and_saveexec_b64 s[42:43], s[40:41]
	s_cbranch_execz .LBB147_40
; %bb.39:
	v_sub_f32_e32 v22, v22, v21
	s_mov_b32 s40, 0x3fb8aa3b
	v_mul_f32_e32 v24, 0x3fb8aa3b, v22
	v_fma_f32 v25, v22, s40, -v24
	v_rndne_f32_e32 v26, v24
	v_fmac_f32_e32 v25, 0x32a5705f, v22
	v_sub_f32_e32 v24, v24, v26
	v_add_f32_e32 v24, v24, v25
	v_exp_f32_e32 v24, v24
	v_cvt_i32_f32_e32 v25, v26
	s_mov_b32 s40, 0xc2ce8ed0
	v_cmp_ngt_f32_e64 s[40:41], s40, v22
	v_mov_b32_e32 v26, 0x7f800000
	v_ldexp_f32 v24, v24, v25
	v_cndmask_b32_e64 v24, 0, v24, s[40:41]
	s_mov_b32 s40, 0x42b17218
	v_cmp_nlt_f32_e64 s[40:41], s40, v22
	v_cndmask_b32_e64 v22, v26, v24, s[40:41]
	v_add_f32_e32 v27, 1.0, v22
	v_cvt_f64_f32_e32 v[24:25], v27
	v_add_f32_e32 v28, -1.0, v27
	v_sub_f32_e32 v29, v28, v27
	v_sub_f32_e32 v28, v22, v28
	v_frexp_exp_i32_f64_e32 v24, v[24:25]
	v_add_f32_e32 v25, 1.0, v29
	v_add_f32_e32 v25, v28, v25
	v_frexp_mant_f32_e32 v28, v27
	s_mov_b32 s40, 0x3f2aaaab
	v_cmp_gt_f32_e64 s[40:41], s40, v28
	s_mov_b32 s44, 0x7f800000
	v_subbrev_co_u32_e64 v24, s[40:41], 0, v24, s[40:41]
	v_sub_u32_e32 v28, 0, v24
	v_ldexp_f32 v27, v27, v28
	v_ldexp_f32 v25, v25, v28
	v_add_f32_e32 v28, -1.0, v27
	v_add_f32_e32 v34, 1.0, v27
	v_add_f32_e32 v29, 1.0, v28
	v_add_f32_e32 v35, -1.0, v34
	v_sub_f32_e32 v29, v27, v29
	v_sub_f32_e32 v27, v27, v35
	v_add_f32_e32 v29, v25, v29
	v_add_f32_e32 v25, v25, v27
	;; [unrolled: 1-line block ×3, first 2 shown]
	v_rcp_f32_e32 v35, v27
	v_add_f32_e32 v30, v28, v29
	v_sub_f32_e32 v28, v28, v30
	v_add_f32_e32 v28, v29, v28
	v_sub_f32_e32 v29, v34, v27
	v_add_f32_e32 v25, v25, v29
	v_mul_f32_e32 v29, v30, v35
	v_mul_f32_e32 v34, v27, v29
	v_fma_f32 v36, v29, v27, -v34
	v_fmac_f32_e32 v36, v29, v25
	v_add_f32_e32 v37, v34, v36
	v_sub_f32_e32 v38, v30, v37
	v_sub_f32_e32 v30, v30, v38
	;; [unrolled: 1-line block ×4, first 2 shown]
	v_add_f32_e32 v28, v28, v30
	v_sub_f32_e32 v30, v34, v36
	v_add_f32_e32 v28, v30, v28
	v_add_f32_e32 v30, v38, v28
	v_mul_f32_e32 v34, v35, v30
	v_mul_f32_e32 v36, v27, v34
	v_fma_f32 v27, v34, v27, -v36
	v_fmac_f32_e32 v27, v34, v25
	v_sub_f32_e32 v25, v38, v30
	v_add_f32_e32 v25, v28, v25
	v_add_f32_e32 v28, v36, v27
	v_sub_f32_e32 v37, v30, v28
	v_sub_f32_e32 v30, v30, v37
	;; [unrolled: 1-line block ×4, first 2 shown]
	v_add_f32_e32 v25, v25, v28
	v_sub_f32_e32 v27, v36, v27
	v_add_f32_e32 v25, v27, v25
	v_add_f32_e32 v27, v29, v34
	;; [unrolled: 1-line block ×3, first 2 shown]
	v_sub_f32_e32 v28, v27, v29
	v_mul_f32_e32 v25, v35, v25
	v_sub_f32_e32 v28, v34, v28
	v_add_f32_e32 v25, v28, v25
	v_cvt_f32_i32_e32 v24, v24
	v_add_f32_e32 v28, v27, v25
	v_mul_f32_e32 v29, v28, v28
	v_mov_b32_e32 v30, 0x3ecc95a3
	v_fmac_f32_e32 v30, 0x3e9b6dac, v29
	v_mov_b32_e32 v34, 0x3f2aaada
	v_fmac_f32_e32 v34, v29, v30
	s_mov_b32 s40, 0x3f317218
	v_mul_f32_e32 v30, 0x3f317218, v24
	v_fma_f32 v35, v24, s40, -v30
	v_fmac_f32_e32 v35, 0xb102e308, v24
	v_sub_f32_e32 v24, v28, v27
	v_sub_f32_e32 v24, v25, v24
	v_add_f32_e32 v25, v30, v35
	v_sub_f32_e32 v27, v25, v30
	v_ldexp_f32 v30, v28, 1
	v_mul_f32_e32 v28, v28, v29
	v_mul_f32_e32 v28, v28, v34
	v_add_f32_e32 v29, v30, v28
	v_sub_f32_e32 v30, v29, v30
	v_ldexp_f32 v24, v24, 1
	v_sub_f32_e32 v28, v28, v30
	v_add_f32_e32 v24, v24, v28
	v_add_f32_e32 v28, v29, v24
	v_sub_f32_e32 v29, v28, v29
	v_sub_f32_e32 v24, v24, v29
	v_add_f32_e32 v29, v25, v28
	v_sub_f32_e32 v30, v29, v25
	v_sub_f32_e32 v34, v29, v30
	;; [unrolled: 1-line block ×5, first 2 shown]
	v_add_f32_e32 v25, v28, v25
	v_add_f32_e32 v28, v27, v24
	v_sub_f32_e32 v30, v28, v27
	v_sub_f32_e32 v34, v28, v30
	;; [unrolled: 1-line block ×4, first 2 shown]
	v_add_f32_e32 v25, v28, v25
	v_add_f32_e32 v24, v24, v27
	;; [unrolled: 1-line block ×3, first 2 shown]
	v_sub_f32_e32 v28, v27, v29
	v_sub_f32_e32 v25, v25, v28
	v_add_f32_e32 v24, v24, v25
	v_add_f32_e32 v24, v27, v24
	v_cmp_neq_f32_e64 s[40:41], s44, v22
	v_cndmask_b32_e64 v24, v26, v24, s[40:41]
	s_mov_b32 s40, 0x33800000
	v_cmp_lt_f32_e64 s[40:41], |v22|, s40
	v_cndmask_b32_e64 v22, v24, v22, s[40:41]
	v_add_f32_e32 v36, v21, v22
.LBB147_40:
	s_or_b64 exec, exec, s[42:43]
	v_max_f32_e32 v22, v36, v36
	v_max_f32_e32 v21, v9, v9
	v_min_f32_e32 v24, v22, v21
	v_cmp_u_f32_e64 s[42:43], v36, v36
	v_max_f32_e32 v22, v22, v21
	v_cndmask_b32_e64 v24, v24, v36, s[42:43]
	v_cmp_u_f32_e64 s[40:41], v9, v9
	v_cndmask_b32_e64 v22, v22, v36, s[42:43]
	v_cndmask_b32_e64 v24, v24, v9, s[40:41]
	;; [unrolled: 1-line block ×3, first 2 shown]
	v_cmp_neq_f32_e64 s[42:43], v24, v22
	v_cmp_class_f32_e64 s[44:45], v24, s33
	s_or_b64 s[42:43], s[42:43], s[44:45]
	s_and_saveexec_b64 s[44:45], s[42:43]
	s_cbranch_execz .LBB147_42
; %bb.41:
	v_sub_f32_e32 v24, v24, v22
	s_mov_b32 s33, 0x3fb8aa3b
	v_mul_f32_e32 v25, 0x3fb8aa3b, v24
	v_fma_f32 v26, v24, s33, -v25
	v_rndne_f32_e32 v27, v25
	v_fmac_f32_e32 v26, 0x32a5705f, v24
	v_sub_f32_e32 v25, v25, v27
	v_add_f32_e32 v25, v25, v26
	v_exp_f32_e32 v25, v25
	v_cvt_i32_f32_e32 v26, v27
	s_mov_b32 s33, 0xc2ce8ed0
	v_cmp_ngt_f32_e64 s[42:43], s33, v24
	s_mov_b32 s33, 0x42b17218
	v_ldexp_f32 v25, v25, v26
	v_cndmask_b32_e64 v25, 0, v25, s[42:43]
	v_mov_b32_e32 v26, 0x7f800000
	v_cmp_nlt_f32_e64 s[42:43], s33, v24
	v_cndmask_b32_e64 v27, v26, v25, s[42:43]
	v_add_f32_e32 v28, 1.0, v27
	v_cvt_f64_f32_e32 v[24:25], v28
	v_add_f32_e32 v29, -1.0, v28
	v_sub_f32_e32 v30, v29, v28
	v_sub_f32_e32 v29, v27, v29
	v_frexp_exp_i32_f64_e32 v24, v[24:25]
	v_add_f32_e32 v25, 1.0, v30
	v_add_f32_e32 v25, v29, v25
	v_frexp_mant_f32_e32 v29, v28
	s_mov_b32 s42, 0x3f2aaaab
	v_cmp_gt_f32_e64 s[42:43], s42, v29
	s_mov_b32 s33, 0x7f800000
	v_subbrev_co_u32_e64 v24, s[42:43], 0, v24, s[42:43]
	v_sub_u32_e32 v29, 0, v24
	v_ldexp_f32 v28, v28, v29
	v_ldexp_f32 v25, v25, v29
	v_add_f32_e32 v29, -1.0, v28
	v_add_f32_e32 v35, 1.0, v28
	v_add_f32_e32 v30, 1.0, v29
	v_add_f32_e32 v36, -1.0, v35
	v_sub_f32_e32 v30, v28, v30
	v_sub_f32_e32 v28, v28, v36
	v_add_f32_e32 v30, v25, v30
	v_add_f32_e32 v25, v25, v28
	v_add_f32_e32 v28, v35, v25
	v_rcp_f32_e32 v36, v28
	v_add_f32_e32 v34, v29, v30
	v_sub_f32_e32 v29, v29, v34
	v_add_f32_e32 v29, v30, v29
	v_sub_f32_e32 v30, v35, v28
	v_add_f32_e32 v25, v25, v30
	v_mul_f32_e32 v30, v34, v36
	v_mul_f32_e32 v35, v28, v30
	v_fma_f32 v37, v30, v28, -v35
	v_fmac_f32_e32 v37, v30, v25
	v_add_f32_e32 v38, v35, v37
	v_sub_f32_e32 v39, v34, v38
	v_sub_f32_e32 v34, v34, v39
	;; [unrolled: 1-line block ×4, first 2 shown]
	v_add_f32_e32 v29, v29, v34
	v_sub_f32_e32 v34, v35, v37
	v_add_f32_e32 v29, v34, v29
	v_add_f32_e32 v34, v39, v29
	v_mul_f32_e32 v35, v36, v34
	v_mul_f32_e32 v37, v28, v35
	v_fma_f32 v28, v35, v28, -v37
	v_fmac_f32_e32 v28, v35, v25
	v_sub_f32_e32 v25, v39, v34
	v_add_f32_e32 v25, v29, v25
	v_add_f32_e32 v29, v37, v28
	v_sub_f32_e32 v38, v34, v29
	v_sub_f32_e32 v34, v34, v38
	;; [unrolled: 1-line block ×4, first 2 shown]
	v_add_f32_e32 v25, v25, v29
	v_sub_f32_e32 v28, v37, v28
	v_add_f32_e32 v25, v28, v25
	v_add_f32_e32 v28, v30, v35
	;; [unrolled: 1-line block ×3, first 2 shown]
	v_sub_f32_e32 v29, v28, v30
	v_mul_f32_e32 v25, v36, v25
	v_sub_f32_e32 v29, v35, v29
	v_add_f32_e32 v25, v29, v25
	v_cvt_f32_i32_e32 v24, v24
	v_add_f32_e32 v29, v28, v25
	v_mul_f32_e32 v30, v29, v29
	v_mov_b32_e32 v34, 0x3ecc95a3
	v_fmac_f32_e32 v34, 0x3e9b6dac, v30
	v_mov_b32_e32 v35, 0x3f2aaada
	v_fmac_f32_e32 v35, v30, v34
	s_mov_b32 s42, 0x3f317218
	v_mul_f32_e32 v34, 0x3f317218, v24
	v_fma_f32 v36, v24, s42, -v34
	v_fmac_f32_e32 v36, 0xb102e308, v24
	v_sub_f32_e32 v24, v29, v28
	v_sub_f32_e32 v24, v25, v24
	v_add_f32_e32 v25, v34, v36
	v_sub_f32_e32 v28, v25, v34
	v_ldexp_f32 v34, v29, 1
	v_mul_f32_e32 v29, v29, v30
	v_mul_f32_e32 v29, v29, v35
	v_add_f32_e32 v30, v34, v29
	v_sub_f32_e32 v34, v30, v34
	v_ldexp_f32 v24, v24, 1
	v_sub_f32_e32 v29, v29, v34
	v_add_f32_e32 v24, v24, v29
	v_add_f32_e32 v29, v30, v24
	v_sub_f32_e32 v30, v29, v30
	v_sub_f32_e32 v24, v24, v30
	v_add_f32_e32 v30, v25, v29
	v_sub_f32_e32 v34, v30, v25
	v_sub_f32_e32 v35, v30, v34
	;; [unrolled: 1-line block ×5, first 2 shown]
	v_add_f32_e32 v25, v29, v25
	v_add_f32_e32 v29, v28, v24
	v_sub_f32_e32 v34, v29, v28
	v_sub_f32_e32 v35, v29, v34
	;; [unrolled: 1-line block ×4, first 2 shown]
	v_add_f32_e32 v25, v29, v25
	v_add_f32_e32 v24, v24, v28
	;; [unrolled: 1-line block ×3, first 2 shown]
	v_sub_f32_e32 v29, v28, v30
	v_sub_f32_e32 v25, v25, v29
	v_add_f32_e32 v24, v24, v25
	v_add_f32_e32 v24, v28, v24
	v_cmp_neq_f32_e64 s[42:43], s33, v27
	s_mov_b32 s33, 0x33800000
	v_cndmask_b32_e64 v24, v26, v24, s[42:43]
	v_cmp_lt_f32_e64 s[42:43], |v27|, s33
	v_cndmask_b32_e64 v24, v24, v27, s[42:43]
	v_add_f32_e32 v36, v22, v24
.LBB147_42:
	s_or_b64 exec, exec, s[44:45]
	v_max_f32_e32 v24, v36, v36
	v_max_f32_e32 v22, v10, v10
	v_min_f32_e32 v25, v24, v22
	v_cmp_u_f32_e64 s[44:45], v36, v36
	v_max_f32_e32 v24, v24, v22
	v_cndmask_b32_e64 v25, v25, v36, s[44:45]
	v_cmp_u_f32_e64 s[42:43], v10, v10
	v_cndmask_b32_e64 v24, v24, v36, s[44:45]
	v_cndmask_b32_e64 v25, v25, v10, s[42:43]
	;; [unrolled: 1-line block ×3, first 2 shown]
	s_movk_i32 s33, 0x1f8
	v_cmp_neq_f32_e64 s[44:45], v25, v24
	v_cmp_class_f32_e64 s[46:47], v25, s33
	s_or_b64 s[44:45], s[44:45], s[46:47]
	s_and_saveexec_b64 s[46:47], s[44:45]
	s_cbranch_execz .LBB147_44
; %bb.43:
	v_sub_f32_e32 v25, v25, v24
	s_mov_b32 s44, 0x3fb8aa3b
	v_mul_f32_e32 v26, 0x3fb8aa3b, v25
	v_fma_f32 v27, v25, s44, -v26
	v_rndne_f32_e32 v28, v26
	v_fmac_f32_e32 v27, 0x32a5705f, v25
	v_sub_f32_e32 v26, v26, v28
	v_add_f32_e32 v26, v26, v27
	v_exp_f32_e32 v26, v26
	v_cvt_i32_f32_e32 v27, v28
	s_mov_b32 s44, 0xc2ce8ed0
	v_cmp_ngt_f32_e64 s[44:45], s44, v25
	s_mov_b32 s48, 0x7f800000
	v_ldexp_f32 v26, v26, v27
	v_cndmask_b32_e64 v26, 0, v26, s[44:45]
	s_mov_b32 s44, 0x42b17218
	v_mov_b32_e32 v27, 0x7f800000
	v_cmp_nlt_f32_e64 s[44:45], s44, v25
	v_cndmask_b32_e64 v28, v27, v26, s[44:45]
	v_add_f32_e32 v29, 1.0, v28
	v_cvt_f64_f32_e32 v[25:26], v29
	v_add_f32_e32 v30, -1.0, v29
	v_sub_f32_e32 v34, v30, v29
	v_sub_f32_e32 v30, v28, v30
	v_frexp_exp_i32_f64_e32 v25, v[25:26]
	v_add_f32_e32 v26, 1.0, v34
	v_add_f32_e32 v26, v30, v26
	v_frexp_mant_f32_e32 v30, v29
	s_mov_b32 s44, 0x3f2aaaab
	v_cmp_gt_f32_e64 s[44:45], s44, v30
	v_subbrev_co_u32_e64 v25, s[44:45], 0, v25, s[44:45]
	v_sub_u32_e32 v30, 0, v25
	v_ldexp_f32 v29, v29, v30
	v_ldexp_f32 v26, v26, v30
	v_add_f32_e32 v30, -1.0, v29
	v_add_f32_e32 v36, 1.0, v29
	v_add_f32_e32 v34, 1.0, v30
	v_add_f32_e32 v37, -1.0, v36
	v_sub_f32_e32 v34, v29, v34
	v_sub_f32_e32 v29, v29, v37
	v_add_f32_e32 v34, v26, v34
	v_add_f32_e32 v26, v26, v29
	;; [unrolled: 1-line block ×3, first 2 shown]
	v_rcp_f32_e32 v37, v29
	v_add_f32_e32 v35, v30, v34
	v_sub_f32_e32 v30, v30, v35
	v_add_f32_e32 v30, v34, v30
	v_sub_f32_e32 v34, v36, v29
	v_add_f32_e32 v26, v26, v34
	v_mul_f32_e32 v34, v35, v37
	v_mul_f32_e32 v36, v29, v34
	v_fma_f32 v38, v34, v29, -v36
	v_fmac_f32_e32 v38, v34, v26
	v_add_f32_e32 v39, v36, v38
	v_sub_f32_e32 v40, v35, v39
	v_sub_f32_e32 v35, v35, v40
	;; [unrolled: 1-line block ×4, first 2 shown]
	v_add_f32_e32 v30, v30, v35
	v_sub_f32_e32 v35, v36, v38
	v_add_f32_e32 v30, v35, v30
	v_add_f32_e32 v35, v40, v30
	v_mul_f32_e32 v36, v37, v35
	v_mul_f32_e32 v38, v29, v36
	v_fma_f32 v29, v36, v29, -v38
	v_fmac_f32_e32 v29, v36, v26
	v_sub_f32_e32 v26, v40, v35
	v_add_f32_e32 v26, v30, v26
	v_add_f32_e32 v30, v38, v29
	v_sub_f32_e32 v39, v35, v30
	v_sub_f32_e32 v35, v35, v39
	v_sub_f32_e32 v38, v30, v38
	v_sub_f32_e32 v30, v35, v30
	v_add_f32_e32 v26, v26, v30
	v_sub_f32_e32 v29, v38, v29
	v_add_f32_e32 v26, v29, v26
	v_add_f32_e32 v29, v34, v36
	v_add_f32_e32 v26, v39, v26
	v_sub_f32_e32 v30, v29, v34
	v_mul_f32_e32 v26, v37, v26
	v_sub_f32_e32 v30, v36, v30
	v_add_f32_e32 v26, v30, v26
	v_cvt_f32_i32_e32 v25, v25
	v_add_f32_e32 v30, v29, v26
	v_mul_f32_e32 v34, v30, v30
	v_mov_b32_e32 v35, 0x3ecc95a3
	v_fmac_f32_e32 v35, 0x3e9b6dac, v34
	v_mov_b32_e32 v36, 0x3f2aaada
	v_fmac_f32_e32 v36, v34, v35
	s_mov_b32 s44, 0x3f317218
	v_mul_f32_e32 v35, 0x3f317218, v25
	v_fma_f32 v37, v25, s44, -v35
	v_fmac_f32_e32 v37, 0xb102e308, v25
	v_sub_f32_e32 v25, v30, v29
	v_sub_f32_e32 v25, v26, v25
	v_add_f32_e32 v26, v35, v37
	v_sub_f32_e32 v29, v26, v35
	v_ldexp_f32 v35, v30, 1
	v_mul_f32_e32 v30, v30, v34
	v_mul_f32_e32 v30, v30, v36
	v_add_f32_e32 v34, v35, v30
	v_sub_f32_e32 v35, v34, v35
	v_ldexp_f32 v25, v25, 1
	v_sub_f32_e32 v30, v30, v35
	v_add_f32_e32 v25, v25, v30
	v_add_f32_e32 v30, v34, v25
	v_sub_f32_e32 v34, v30, v34
	v_sub_f32_e32 v25, v25, v34
	v_add_f32_e32 v34, v26, v30
	v_sub_f32_e32 v35, v34, v26
	v_sub_f32_e32 v36, v34, v35
	;; [unrolled: 1-line block ×5, first 2 shown]
	v_add_f32_e32 v26, v30, v26
	v_add_f32_e32 v30, v29, v25
	v_sub_f32_e32 v35, v30, v29
	v_sub_f32_e32 v36, v30, v35
	;; [unrolled: 1-line block ×4, first 2 shown]
	v_add_f32_e32 v26, v30, v26
	v_add_f32_e32 v25, v25, v29
	;; [unrolled: 1-line block ×3, first 2 shown]
	v_sub_f32_e32 v30, v29, v34
	v_sub_f32_e32 v26, v26, v30
	v_add_f32_e32 v25, v25, v26
	v_add_f32_e32 v25, v29, v25
	v_cmp_neq_f32_e64 s[44:45], s48, v28
	v_cndmask_b32_e64 v25, v27, v25, s[44:45]
	s_mov_b32 s44, 0x33800000
	v_cmp_lt_f32_e64 s[44:45], |v28|, s44
	v_cndmask_b32_e64 v25, v25, v28, s[44:45]
	v_add_f32_e32 v36, v24, v25
.LBB147_44:
	s_or_b64 exec, exec, s[46:47]
	v_max_f32_e32 v25, v36, v36
	v_max_f32_e32 v24, v7, v7
	v_min_f32_e32 v26, v25, v24
	v_cmp_u_f32_e64 s[46:47], v36, v36
	v_max_f32_e32 v25, v25, v24
	v_cndmask_b32_e64 v26, v26, v36, s[46:47]
	v_cmp_u_f32_e64 s[44:45], v7, v7
	v_cndmask_b32_e64 v25, v25, v36, s[46:47]
	v_cndmask_b32_e64 v26, v26, v7, s[44:45]
	;; [unrolled: 1-line block ×3, first 2 shown]
	v_cmp_neq_f32_e64 s[46:47], v26, v25
	v_cmp_class_f32_e64 s[48:49], v26, s33
	s_or_b64 s[46:47], s[46:47], s[48:49]
	s_and_saveexec_b64 s[48:49], s[46:47]
	s_cbranch_execz .LBB147_46
; %bb.45:
	v_sub_f32_e32 v26, v26, v25
	s_mov_b32 s33, 0x3fb8aa3b
	v_mul_f32_e32 v27, 0x3fb8aa3b, v26
	v_fma_f32 v28, v26, s33, -v27
	v_rndne_f32_e32 v29, v27
	v_fmac_f32_e32 v28, 0x32a5705f, v26
	v_sub_f32_e32 v27, v27, v29
	v_add_f32_e32 v27, v27, v28
	v_exp_f32_e32 v27, v27
	v_cvt_i32_f32_e32 v28, v29
	s_mov_b32 s33, 0xc2ce8ed0
	v_cmp_ngt_f32_e64 s[46:47], s33, v26
	s_mov_b32 s33, 0x42b17218
	v_ldexp_f32 v27, v27, v28
	v_cndmask_b32_e64 v27, 0, v27, s[46:47]
	v_mov_b32_e32 v28, 0x7f800000
	v_cmp_nlt_f32_e64 s[46:47], s33, v26
	v_cndmask_b32_e64 v29, v28, v27, s[46:47]
	v_add_f32_e32 v30, 1.0, v29
	v_cvt_f64_f32_e32 v[26:27], v30
	v_add_f32_e32 v34, -1.0, v30
	v_sub_f32_e32 v35, v34, v30
	v_sub_f32_e32 v34, v29, v34
	v_frexp_exp_i32_f64_e32 v26, v[26:27]
	v_add_f32_e32 v27, 1.0, v35
	v_add_f32_e32 v27, v34, v27
	v_frexp_mant_f32_e32 v34, v30
	s_mov_b32 s46, 0x3f2aaaab
	v_cmp_gt_f32_e64 s[46:47], s46, v34
	s_mov_b32 s33, 0x7f800000
	v_subbrev_co_u32_e64 v26, s[46:47], 0, v26, s[46:47]
	v_sub_u32_e32 v34, 0, v26
	v_ldexp_f32 v30, v30, v34
	v_ldexp_f32 v27, v27, v34
	v_add_f32_e32 v34, -1.0, v30
	v_add_f32_e32 v37, 1.0, v30
	v_add_f32_e32 v35, 1.0, v34
	v_add_f32_e32 v38, -1.0, v37
	v_sub_f32_e32 v35, v30, v35
	v_sub_f32_e32 v30, v30, v38
	v_add_f32_e32 v35, v27, v35
	v_add_f32_e32 v27, v27, v30
	;; [unrolled: 1-line block ×3, first 2 shown]
	v_rcp_f32_e32 v38, v30
	v_add_f32_e32 v36, v34, v35
	v_sub_f32_e32 v34, v34, v36
	v_add_f32_e32 v34, v35, v34
	v_sub_f32_e32 v35, v37, v30
	v_add_f32_e32 v27, v27, v35
	v_mul_f32_e32 v35, v36, v38
	v_mul_f32_e32 v37, v30, v35
	v_fma_f32 v39, v35, v30, -v37
	v_fmac_f32_e32 v39, v35, v27
	v_add_f32_e32 v40, v37, v39
	v_sub_f32_e32 v41, v36, v40
	v_sub_f32_e32 v36, v36, v41
	;; [unrolled: 1-line block ×4, first 2 shown]
	v_add_f32_e32 v34, v34, v36
	v_sub_f32_e32 v36, v37, v39
	v_add_f32_e32 v34, v36, v34
	v_add_f32_e32 v36, v41, v34
	v_mul_f32_e32 v37, v38, v36
	v_mul_f32_e32 v39, v30, v37
	v_fma_f32 v30, v37, v30, -v39
	v_fmac_f32_e32 v30, v37, v27
	v_sub_f32_e32 v27, v41, v36
	v_add_f32_e32 v27, v34, v27
	v_add_f32_e32 v34, v39, v30
	v_sub_f32_e32 v40, v36, v34
	v_sub_f32_e32 v36, v36, v40
	;; [unrolled: 1-line block ×4, first 2 shown]
	v_add_f32_e32 v27, v27, v34
	v_sub_f32_e32 v30, v39, v30
	v_add_f32_e32 v27, v30, v27
	v_add_f32_e32 v30, v35, v37
	;; [unrolled: 1-line block ×3, first 2 shown]
	v_sub_f32_e32 v34, v30, v35
	v_mul_f32_e32 v27, v38, v27
	v_sub_f32_e32 v34, v37, v34
	v_add_f32_e32 v27, v34, v27
	v_cvt_f32_i32_e32 v26, v26
	v_add_f32_e32 v34, v30, v27
	v_mul_f32_e32 v35, v34, v34
	v_mov_b32_e32 v36, 0x3ecc95a3
	v_fmac_f32_e32 v36, 0x3e9b6dac, v35
	v_mov_b32_e32 v37, 0x3f2aaada
	v_fmac_f32_e32 v37, v35, v36
	s_mov_b32 s46, 0x3f317218
	v_mul_f32_e32 v36, 0x3f317218, v26
	v_fma_f32 v38, v26, s46, -v36
	v_fmac_f32_e32 v38, 0xb102e308, v26
	v_sub_f32_e32 v26, v34, v30
	v_sub_f32_e32 v26, v27, v26
	v_add_f32_e32 v27, v36, v38
	v_sub_f32_e32 v30, v27, v36
	v_ldexp_f32 v36, v34, 1
	v_mul_f32_e32 v34, v34, v35
	v_mul_f32_e32 v34, v34, v37
	v_add_f32_e32 v35, v36, v34
	v_sub_f32_e32 v36, v35, v36
	v_ldexp_f32 v26, v26, 1
	v_sub_f32_e32 v34, v34, v36
	v_add_f32_e32 v26, v26, v34
	v_add_f32_e32 v34, v35, v26
	v_sub_f32_e32 v35, v34, v35
	v_sub_f32_e32 v26, v26, v35
	v_add_f32_e32 v35, v27, v34
	v_sub_f32_e32 v36, v35, v27
	v_sub_f32_e32 v37, v35, v36
	v_sub_f32_e32 v30, v38, v30
	v_sub_f32_e32 v27, v27, v37
	v_sub_f32_e32 v34, v34, v36
	v_add_f32_e32 v27, v34, v27
	v_add_f32_e32 v34, v30, v26
	v_sub_f32_e32 v36, v34, v30
	v_sub_f32_e32 v37, v34, v36
	;; [unrolled: 1-line block ×4, first 2 shown]
	v_add_f32_e32 v27, v34, v27
	v_add_f32_e32 v26, v26, v30
	;; [unrolled: 1-line block ×3, first 2 shown]
	v_sub_f32_e32 v34, v30, v35
	v_sub_f32_e32 v27, v27, v34
	v_add_f32_e32 v26, v26, v27
	v_add_f32_e32 v26, v30, v26
	v_cmp_neq_f32_e64 s[46:47], s33, v29
	s_mov_b32 s33, 0x33800000
	v_cndmask_b32_e64 v26, v28, v26, s[46:47]
	v_cmp_lt_f32_e64 s[46:47], |v29|, s33
	v_cndmask_b32_e64 v26, v26, v29, s[46:47]
	v_add_f32_e32 v36, v25, v26
.LBB147_46:
	s_or_b64 exec, exec, s[48:49]
	v_max_f32_e32 v26, v36, v36
	v_max_f32_e32 v25, v8, v8
	v_min_f32_e32 v27, v26, v25
	v_cmp_u_f32_e64 s[48:49], v36, v36
	v_max_f32_e32 v26, v26, v25
	v_cndmask_b32_e64 v27, v27, v36, s[48:49]
	v_cmp_u_f32_e64 s[46:47], v8, v8
	v_cndmask_b32_e64 v26, v26, v36, s[48:49]
	v_cndmask_b32_e64 v27, v27, v8, s[46:47]
	;; [unrolled: 1-line block ×3, first 2 shown]
	s_movk_i32 s33, 0x1f8
	v_cmp_neq_f32_e64 s[48:49], v27, v26
	v_cmp_class_f32_e64 s[50:51], v27, s33
	s_or_b64 s[48:49], s[48:49], s[50:51]
	s_and_saveexec_b64 s[50:51], s[48:49]
	s_cbranch_execz .LBB147_48
; %bb.47:
	v_sub_f32_e32 v27, v27, v26
	s_mov_b32 s48, 0x3fb8aa3b
	v_mul_f32_e32 v28, 0x3fb8aa3b, v27
	v_fma_f32 v29, v27, s48, -v28
	v_rndne_f32_e32 v30, v28
	v_fmac_f32_e32 v29, 0x32a5705f, v27
	v_sub_f32_e32 v28, v28, v30
	v_add_f32_e32 v28, v28, v29
	v_exp_f32_e32 v28, v28
	v_cvt_i32_f32_e32 v29, v30
	s_mov_b32 s48, 0xc2ce8ed0
	v_cmp_ngt_f32_e64 s[48:49], s48, v27
	s_mov_b32 s52, 0x7f800000
	v_ldexp_f32 v28, v28, v29
	v_cndmask_b32_e64 v28, 0, v28, s[48:49]
	s_mov_b32 s48, 0x42b17218
	v_mov_b32_e32 v29, 0x7f800000
	v_cmp_nlt_f32_e64 s[48:49], s48, v27
	v_cndmask_b32_e64 v30, v29, v28, s[48:49]
	v_add_f32_e32 v34, 1.0, v30
	v_cvt_f64_f32_e32 v[27:28], v34
	v_add_f32_e32 v35, -1.0, v34
	v_sub_f32_e32 v36, v35, v34
	v_sub_f32_e32 v35, v30, v35
	v_frexp_exp_i32_f64_e32 v27, v[27:28]
	v_add_f32_e32 v28, 1.0, v36
	v_add_f32_e32 v28, v35, v28
	v_frexp_mant_f32_e32 v35, v34
	s_mov_b32 s48, 0x3f2aaaab
	v_cmp_gt_f32_e64 s[48:49], s48, v35
	v_subbrev_co_u32_e64 v27, s[48:49], 0, v27, s[48:49]
	v_sub_u32_e32 v35, 0, v27
	v_ldexp_f32 v34, v34, v35
	v_ldexp_f32 v28, v28, v35
	v_add_f32_e32 v35, -1.0, v34
	v_add_f32_e32 v38, 1.0, v34
	v_add_f32_e32 v36, 1.0, v35
	v_add_f32_e32 v39, -1.0, v38
	v_sub_f32_e32 v36, v34, v36
	v_sub_f32_e32 v34, v34, v39
	v_add_f32_e32 v36, v28, v36
	v_add_f32_e32 v28, v28, v34
	;; [unrolled: 1-line block ×3, first 2 shown]
	v_rcp_f32_e32 v39, v34
	v_add_f32_e32 v37, v35, v36
	v_sub_f32_e32 v35, v35, v37
	v_add_f32_e32 v35, v36, v35
	v_sub_f32_e32 v36, v38, v34
	v_add_f32_e32 v28, v28, v36
	v_mul_f32_e32 v36, v37, v39
	v_mul_f32_e32 v38, v34, v36
	v_fma_f32 v40, v36, v34, -v38
	v_fmac_f32_e32 v40, v36, v28
	v_add_f32_e32 v41, v38, v40
	v_sub_f32_e32 v42, v37, v41
	v_sub_f32_e32 v37, v37, v42
	;; [unrolled: 1-line block ×4, first 2 shown]
	v_add_f32_e32 v35, v35, v37
	v_sub_f32_e32 v37, v38, v40
	v_add_f32_e32 v35, v37, v35
	v_add_f32_e32 v37, v42, v35
	v_mul_f32_e32 v38, v39, v37
	v_mul_f32_e32 v40, v34, v38
	v_fma_f32 v34, v38, v34, -v40
	v_fmac_f32_e32 v34, v38, v28
	v_sub_f32_e32 v28, v42, v37
	v_add_f32_e32 v28, v35, v28
	v_add_f32_e32 v35, v40, v34
	v_sub_f32_e32 v41, v37, v35
	v_sub_f32_e32 v37, v37, v41
	;; [unrolled: 1-line block ×4, first 2 shown]
	v_add_f32_e32 v28, v28, v35
	v_sub_f32_e32 v34, v40, v34
	v_add_f32_e32 v28, v34, v28
	v_add_f32_e32 v34, v36, v38
	;; [unrolled: 1-line block ×3, first 2 shown]
	v_sub_f32_e32 v35, v34, v36
	v_mul_f32_e32 v28, v39, v28
	v_sub_f32_e32 v35, v38, v35
	v_add_f32_e32 v28, v35, v28
	v_cvt_f32_i32_e32 v27, v27
	v_add_f32_e32 v35, v34, v28
	v_mul_f32_e32 v36, v35, v35
	v_mov_b32_e32 v37, 0x3ecc95a3
	v_fmac_f32_e32 v37, 0x3e9b6dac, v36
	v_mov_b32_e32 v38, 0x3f2aaada
	v_fmac_f32_e32 v38, v36, v37
	s_mov_b32 s48, 0x3f317218
	v_mul_f32_e32 v37, 0x3f317218, v27
	v_fma_f32 v39, v27, s48, -v37
	v_fmac_f32_e32 v39, 0xb102e308, v27
	v_sub_f32_e32 v27, v35, v34
	v_sub_f32_e32 v27, v28, v27
	v_add_f32_e32 v28, v37, v39
	v_sub_f32_e32 v34, v28, v37
	v_ldexp_f32 v37, v35, 1
	v_mul_f32_e32 v35, v35, v36
	v_mul_f32_e32 v35, v35, v38
	v_add_f32_e32 v36, v37, v35
	v_sub_f32_e32 v37, v36, v37
	v_ldexp_f32 v27, v27, 1
	v_sub_f32_e32 v35, v35, v37
	v_add_f32_e32 v27, v27, v35
	v_add_f32_e32 v35, v36, v27
	v_sub_f32_e32 v36, v35, v36
	v_sub_f32_e32 v27, v27, v36
	v_add_f32_e32 v36, v28, v35
	v_sub_f32_e32 v37, v36, v28
	v_sub_f32_e32 v38, v36, v37
	v_sub_f32_e32 v34, v39, v34
	v_sub_f32_e32 v28, v28, v38
	v_sub_f32_e32 v35, v35, v37
	v_add_f32_e32 v28, v35, v28
	v_add_f32_e32 v35, v34, v27
	v_sub_f32_e32 v37, v35, v34
	v_sub_f32_e32 v38, v35, v37
	;; [unrolled: 1-line block ×4, first 2 shown]
	v_add_f32_e32 v28, v35, v28
	v_add_f32_e32 v27, v27, v34
	;; [unrolled: 1-line block ×3, first 2 shown]
	v_sub_f32_e32 v35, v34, v36
	v_sub_f32_e32 v28, v28, v35
	v_add_f32_e32 v27, v27, v28
	v_add_f32_e32 v27, v34, v27
	v_cmp_neq_f32_e64 s[48:49], s52, v30
	v_cndmask_b32_e64 v27, v29, v27, s[48:49]
	s_mov_b32 s48, 0x33800000
	v_cmp_lt_f32_e64 s[48:49], |v30|, s48
	v_cndmask_b32_e64 v27, v27, v30, s[48:49]
	v_add_f32_e32 v36, v26, v27
.LBB147_48:
	s_or_b64 exec, exec, s[50:51]
	v_max_f32_e32 v27, v36, v36
	v_max_f32_e32 v26, v5, v5
	v_min_f32_e32 v28, v27, v26
	v_cmp_u_f32_e64 s[50:51], v36, v36
	v_max_f32_e32 v27, v27, v26
	v_cndmask_b32_e64 v28, v28, v36, s[50:51]
	v_cmp_u_f32_e64 s[48:49], v5, v5
	v_cndmask_b32_e64 v27, v27, v36, s[50:51]
	v_cndmask_b32_e64 v28, v28, v5, s[48:49]
	v_cndmask_b32_e64 v27, v27, v5, s[48:49]
	v_cmp_neq_f32_e64 s[50:51], v28, v27
	v_cmp_class_f32_e64 s[52:53], v28, s33
	s_or_b64 s[50:51], s[50:51], s[52:53]
	s_and_saveexec_b64 s[52:53], s[50:51]
	s_cbranch_execz .LBB147_50
; %bb.49:
	v_sub_f32_e32 v28, v28, v27
	s_mov_b32 s33, 0x3fb8aa3b
	v_mul_f32_e32 v29, 0x3fb8aa3b, v28
	v_fma_f32 v30, v28, s33, -v29
	v_rndne_f32_e32 v34, v29
	v_fmac_f32_e32 v30, 0x32a5705f, v28
	v_sub_f32_e32 v29, v29, v34
	v_add_f32_e32 v29, v29, v30
	v_exp_f32_e32 v29, v29
	v_cvt_i32_f32_e32 v30, v34
	s_mov_b32 s33, 0xc2ce8ed0
	v_cmp_ngt_f32_e64 s[50:51], s33, v28
	s_mov_b32 s33, 0x42b17218
	v_ldexp_f32 v29, v29, v30
	v_cndmask_b32_e64 v29, 0, v29, s[50:51]
	v_mov_b32_e32 v30, 0x7f800000
	v_cmp_nlt_f32_e64 s[50:51], s33, v28
	v_cndmask_b32_e64 v34, v30, v29, s[50:51]
	v_add_f32_e32 v35, 1.0, v34
	v_cvt_f64_f32_e32 v[28:29], v35
	v_add_f32_e32 v36, -1.0, v35
	v_sub_f32_e32 v37, v36, v35
	v_sub_f32_e32 v36, v34, v36
	v_frexp_exp_i32_f64_e32 v28, v[28:29]
	v_add_f32_e32 v29, 1.0, v37
	v_add_f32_e32 v29, v36, v29
	v_frexp_mant_f32_e32 v36, v35
	s_mov_b32 s50, 0x3f2aaaab
	v_cmp_gt_f32_e64 s[50:51], s50, v36
	s_mov_b32 s33, 0x7f800000
	v_subbrev_co_u32_e64 v28, s[50:51], 0, v28, s[50:51]
	v_sub_u32_e32 v36, 0, v28
	v_ldexp_f32 v35, v35, v36
	v_ldexp_f32 v29, v29, v36
	v_add_f32_e32 v36, -1.0, v35
	v_add_f32_e32 v39, 1.0, v35
	v_add_f32_e32 v37, 1.0, v36
	v_add_f32_e32 v40, -1.0, v39
	v_sub_f32_e32 v37, v35, v37
	v_sub_f32_e32 v35, v35, v40
	v_add_f32_e32 v37, v29, v37
	v_add_f32_e32 v29, v29, v35
	;; [unrolled: 1-line block ×3, first 2 shown]
	v_rcp_f32_e32 v40, v35
	v_add_f32_e32 v38, v36, v37
	v_sub_f32_e32 v36, v36, v38
	v_add_f32_e32 v36, v37, v36
	v_sub_f32_e32 v37, v39, v35
	v_add_f32_e32 v29, v29, v37
	v_mul_f32_e32 v37, v38, v40
	v_mul_f32_e32 v39, v35, v37
	v_fma_f32 v41, v37, v35, -v39
	v_fmac_f32_e32 v41, v37, v29
	v_add_f32_e32 v42, v39, v41
	v_sub_f32_e32 v43, v38, v42
	v_sub_f32_e32 v38, v38, v43
	;; [unrolled: 1-line block ×4, first 2 shown]
	v_add_f32_e32 v36, v36, v38
	v_sub_f32_e32 v38, v39, v41
	v_add_f32_e32 v36, v38, v36
	v_add_f32_e32 v38, v43, v36
	v_mul_f32_e32 v39, v40, v38
	v_mul_f32_e32 v41, v35, v39
	v_fma_f32 v35, v39, v35, -v41
	v_fmac_f32_e32 v35, v39, v29
	v_sub_f32_e32 v29, v43, v38
	v_add_f32_e32 v29, v36, v29
	v_add_f32_e32 v36, v41, v35
	v_sub_f32_e32 v42, v38, v36
	v_sub_f32_e32 v38, v38, v42
	;; [unrolled: 1-line block ×4, first 2 shown]
	v_add_f32_e32 v29, v29, v36
	v_sub_f32_e32 v35, v41, v35
	v_add_f32_e32 v29, v35, v29
	v_add_f32_e32 v35, v37, v39
	;; [unrolled: 1-line block ×3, first 2 shown]
	v_sub_f32_e32 v36, v35, v37
	v_mul_f32_e32 v29, v40, v29
	v_sub_f32_e32 v36, v39, v36
	v_add_f32_e32 v29, v36, v29
	v_cvt_f32_i32_e32 v28, v28
	v_add_f32_e32 v36, v35, v29
	v_mul_f32_e32 v37, v36, v36
	v_mov_b32_e32 v38, 0x3ecc95a3
	v_fmac_f32_e32 v38, 0x3e9b6dac, v37
	v_mov_b32_e32 v39, 0x3f2aaada
	v_fmac_f32_e32 v39, v37, v38
	s_mov_b32 s50, 0x3f317218
	v_mul_f32_e32 v38, 0x3f317218, v28
	v_fma_f32 v40, v28, s50, -v38
	v_fmac_f32_e32 v40, 0xb102e308, v28
	v_sub_f32_e32 v28, v36, v35
	v_sub_f32_e32 v28, v29, v28
	v_add_f32_e32 v29, v38, v40
	v_sub_f32_e32 v35, v29, v38
	v_ldexp_f32 v38, v36, 1
	v_mul_f32_e32 v36, v36, v37
	v_mul_f32_e32 v36, v36, v39
	v_add_f32_e32 v37, v38, v36
	v_sub_f32_e32 v38, v37, v38
	v_ldexp_f32 v28, v28, 1
	v_sub_f32_e32 v36, v36, v38
	v_add_f32_e32 v28, v28, v36
	v_add_f32_e32 v36, v37, v28
	v_sub_f32_e32 v37, v36, v37
	v_sub_f32_e32 v28, v28, v37
	v_add_f32_e32 v37, v29, v36
	v_sub_f32_e32 v38, v37, v29
	v_sub_f32_e32 v39, v37, v38
	;; [unrolled: 1-line block ×5, first 2 shown]
	v_add_f32_e32 v29, v36, v29
	v_add_f32_e32 v36, v35, v28
	v_sub_f32_e32 v38, v36, v35
	v_sub_f32_e32 v39, v36, v38
	;; [unrolled: 1-line block ×4, first 2 shown]
	v_add_f32_e32 v29, v36, v29
	v_add_f32_e32 v28, v28, v35
	;; [unrolled: 1-line block ×3, first 2 shown]
	v_sub_f32_e32 v36, v35, v37
	v_sub_f32_e32 v29, v29, v36
	v_add_f32_e32 v28, v28, v29
	v_add_f32_e32 v28, v35, v28
	v_cmp_neq_f32_e64 s[50:51], s33, v34
	s_mov_b32 s33, 0x33800000
	v_cndmask_b32_e64 v28, v30, v28, s[50:51]
	v_cmp_lt_f32_e64 s[50:51], |v34|, s33
	v_cndmask_b32_e64 v28, v28, v34, s[50:51]
	v_add_f32_e32 v36, v27, v28
.LBB147_50:
	s_or_b64 exec, exec, s[52:53]
	v_max_f32_e32 v28, v36, v36
	v_max_f32_e32 v27, v6, v6
	v_min_f32_e32 v29, v28, v27
	v_cmp_u_f32_e64 s[52:53], v36, v36
	v_max_f32_e32 v28, v28, v27
	v_cndmask_b32_e64 v29, v29, v36, s[52:53]
	v_cmp_u_f32_e64 s[50:51], v6, v6
	v_cndmask_b32_e64 v28, v28, v36, s[52:53]
	v_cndmask_b32_e64 v29, v29, v6, s[50:51]
	;; [unrolled: 1-line block ×3, first 2 shown]
	s_movk_i32 s33, 0x1f8
	v_cmp_neq_f32_e64 s[52:53], v29, v28
	v_cmp_class_f32_e64 s[54:55], v29, s33
	s_or_b64 s[52:53], s[52:53], s[54:55]
	s_and_saveexec_b64 s[54:55], s[52:53]
	s_cbranch_execz .LBB147_52
; %bb.51:
	v_sub_f32_e32 v29, v29, v28
	s_mov_b32 s52, 0x3fb8aa3b
	v_mul_f32_e32 v30, 0x3fb8aa3b, v29
	v_fma_f32 v34, v29, s52, -v30
	v_rndne_f32_e32 v35, v30
	v_fmac_f32_e32 v34, 0x32a5705f, v29
	v_sub_f32_e32 v30, v30, v35
	v_add_f32_e32 v30, v30, v34
	v_exp_f32_e32 v30, v30
	v_cvt_i32_f32_e32 v34, v35
	s_mov_b32 s52, 0xc2ce8ed0
	v_cmp_ngt_f32_e64 s[52:53], s52, v29
	s_mov_b32 s56, 0x7f800000
	v_ldexp_f32 v30, v30, v34
	v_cndmask_b32_e64 v30, 0, v30, s[52:53]
	s_mov_b32 s52, 0x42b17218
	v_mov_b32_e32 v34, 0x7f800000
	v_cmp_nlt_f32_e64 s[52:53], s52, v29
	v_cndmask_b32_e64 v35, v34, v30, s[52:53]
	v_add_f32_e32 v36, 1.0, v35
	v_cvt_f64_f32_e32 v[29:30], v36
	v_add_f32_e32 v37, -1.0, v36
	v_sub_f32_e32 v38, v37, v36
	v_sub_f32_e32 v37, v35, v37
	v_frexp_exp_i32_f64_e32 v29, v[29:30]
	v_add_f32_e32 v30, 1.0, v38
	v_add_f32_e32 v30, v37, v30
	v_frexp_mant_f32_e32 v37, v36
	s_mov_b32 s52, 0x3f2aaaab
	v_cmp_gt_f32_e64 s[52:53], s52, v37
	v_subbrev_co_u32_e64 v29, s[52:53], 0, v29, s[52:53]
	v_sub_u32_e32 v37, 0, v29
	v_ldexp_f32 v36, v36, v37
	v_ldexp_f32 v30, v30, v37
	v_add_f32_e32 v37, -1.0, v36
	v_add_f32_e32 v40, 1.0, v36
	v_add_f32_e32 v38, 1.0, v37
	v_add_f32_e32 v41, -1.0, v40
	v_sub_f32_e32 v38, v36, v38
	v_sub_f32_e32 v36, v36, v41
	v_add_f32_e32 v38, v30, v38
	v_add_f32_e32 v30, v30, v36
	v_add_f32_e32 v36, v40, v30
	v_rcp_f32_e32 v41, v36
	v_add_f32_e32 v39, v37, v38
	v_sub_f32_e32 v37, v37, v39
	v_add_f32_e32 v37, v38, v37
	v_sub_f32_e32 v38, v40, v36
	v_add_f32_e32 v30, v30, v38
	v_mul_f32_e32 v38, v39, v41
	v_mul_f32_e32 v40, v36, v38
	v_fma_f32 v42, v38, v36, -v40
	v_fmac_f32_e32 v42, v38, v30
	v_add_f32_e32 v43, v40, v42
	v_sub_f32_e32 v44, v39, v43
	v_sub_f32_e32 v39, v39, v44
	v_sub_f32_e32 v40, v43, v40
	v_sub_f32_e32 v39, v39, v43
	v_add_f32_e32 v37, v37, v39
	v_sub_f32_e32 v39, v40, v42
	v_add_f32_e32 v37, v39, v37
	v_add_f32_e32 v39, v44, v37
	v_mul_f32_e32 v40, v41, v39
	v_mul_f32_e32 v42, v36, v40
	v_fma_f32 v36, v40, v36, -v42
	v_fmac_f32_e32 v36, v40, v30
	v_sub_f32_e32 v30, v44, v39
	v_add_f32_e32 v30, v37, v30
	v_add_f32_e32 v37, v42, v36
	v_sub_f32_e32 v43, v39, v37
	v_sub_f32_e32 v39, v39, v43
	;; [unrolled: 1-line block ×4, first 2 shown]
	v_add_f32_e32 v30, v30, v37
	v_sub_f32_e32 v36, v42, v36
	v_add_f32_e32 v30, v36, v30
	v_add_f32_e32 v36, v38, v40
	;; [unrolled: 1-line block ×3, first 2 shown]
	v_sub_f32_e32 v37, v36, v38
	v_mul_f32_e32 v30, v41, v30
	v_sub_f32_e32 v37, v40, v37
	v_add_f32_e32 v30, v37, v30
	v_cvt_f32_i32_e32 v29, v29
	v_add_f32_e32 v37, v36, v30
	v_mul_f32_e32 v38, v37, v37
	v_mov_b32_e32 v39, 0x3ecc95a3
	v_fmac_f32_e32 v39, 0x3e9b6dac, v38
	v_mov_b32_e32 v40, 0x3f2aaada
	v_fmac_f32_e32 v40, v38, v39
	s_mov_b32 s52, 0x3f317218
	v_mul_f32_e32 v39, 0x3f317218, v29
	v_fma_f32 v41, v29, s52, -v39
	v_fmac_f32_e32 v41, 0xb102e308, v29
	v_sub_f32_e32 v29, v37, v36
	v_sub_f32_e32 v29, v30, v29
	v_add_f32_e32 v30, v39, v41
	v_sub_f32_e32 v36, v30, v39
	v_ldexp_f32 v39, v37, 1
	v_mul_f32_e32 v37, v37, v38
	v_mul_f32_e32 v37, v37, v40
	v_add_f32_e32 v38, v39, v37
	v_sub_f32_e32 v39, v38, v39
	v_ldexp_f32 v29, v29, 1
	v_sub_f32_e32 v37, v37, v39
	v_add_f32_e32 v29, v29, v37
	v_add_f32_e32 v37, v38, v29
	v_sub_f32_e32 v38, v37, v38
	v_sub_f32_e32 v29, v29, v38
	v_add_f32_e32 v38, v30, v37
	v_sub_f32_e32 v39, v38, v30
	v_sub_f32_e32 v40, v38, v39
	;; [unrolled: 1-line block ×5, first 2 shown]
	v_add_f32_e32 v30, v37, v30
	v_add_f32_e32 v37, v36, v29
	v_sub_f32_e32 v39, v37, v36
	v_sub_f32_e32 v40, v37, v39
	;; [unrolled: 1-line block ×4, first 2 shown]
	v_add_f32_e32 v30, v37, v30
	v_add_f32_e32 v29, v29, v36
	v_add_f32_e32 v36, v38, v30
	v_sub_f32_e32 v37, v36, v38
	v_sub_f32_e32 v30, v30, v37
	v_add_f32_e32 v29, v29, v30
	v_add_f32_e32 v29, v36, v29
	v_cmp_neq_f32_e64 s[52:53], s56, v35
	v_cndmask_b32_e64 v29, v34, v29, s[52:53]
	s_mov_b32 s52, 0x33800000
	v_cmp_lt_f32_e64 s[52:53], |v35|, s52
	v_cndmask_b32_e64 v29, v29, v35, s[52:53]
	v_add_f32_e32 v36, v28, v29
.LBB147_52:
	s_or_b64 exec, exec, s[54:55]
	v_max_f32_e32 v29, v36, v36
	v_max_f32_e32 v28, v3, v3
	v_min_f32_e32 v30, v29, v28
	v_cmp_u_f32_e64 s[54:55], v36, v36
	v_max_f32_e32 v29, v29, v28
	v_cndmask_b32_e64 v30, v30, v36, s[54:55]
	v_cmp_u_f32_e64 s[52:53], v3, v3
	v_cndmask_b32_e64 v29, v29, v36, s[54:55]
	v_cndmask_b32_e64 v30, v30, v3, s[52:53]
	;; [unrolled: 1-line block ×3, first 2 shown]
	v_cmp_neq_f32_e64 s[54:55], v30, v29
	v_cmp_class_f32_e64 s[56:57], v30, s33
	s_or_b64 s[54:55], s[54:55], s[56:57]
	s_and_saveexec_b64 s[56:57], s[54:55]
	s_cbranch_execz .LBB147_54
; %bb.53:
	v_sub_f32_e32 v30, v30, v29
	s_mov_b32 s33, 0x3fb8aa3b
	v_mul_f32_e32 v34, 0x3fb8aa3b, v30
	v_fma_f32 v35, v30, s33, -v34
	v_rndne_f32_e32 v36, v34
	v_fmac_f32_e32 v35, 0x32a5705f, v30
	v_sub_f32_e32 v34, v34, v36
	v_add_f32_e32 v34, v34, v35
	v_exp_f32_e32 v34, v34
	v_cvt_i32_f32_e32 v35, v36
	s_mov_b32 s33, 0xc2ce8ed0
	v_cmp_ngt_f32_e64 s[54:55], s33, v30
	s_mov_b32 s33, 0x42b17218
	v_ldexp_f32 v34, v34, v35
	v_cndmask_b32_e64 v34, 0, v34, s[54:55]
	v_mov_b32_e32 v36, 0x7f800000
	v_cmp_nlt_f32_e64 s[54:55], s33, v30
	v_cndmask_b32_e64 v30, v36, v34, s[54:55]
	v_add_f32_e32 v37, 1.0, v30
	v_cvt_f64_f32_e32 v[34:35], v37
	v_add_f32_e32 v38, -1.0, v37
	v_sub_f32_e32 v39, v38, v37
	v_sub_f32_e32 v38, v30, v38
	v_frexp_exp_i32_f64_e32 v34, v[34:35]
	v_add_f32_e32 v35, 1.0, v39
	v_add_f32_e32 v35, v38, v35
	v_frexp_mant_f32_e32 v38, v37
	s_mov_b32 s54, 0x3f2aaaab
	v_cmp_gt_f32_e64 s[54:55], s54, v38
	s_mov_b32 s33, 0x7f800000
	v_subbrev_co_u32_e64 v34, s[54:55], 0, v34, s[54:55]
	v_sub_u32_e32 v38, 0, v34
	v_ldexp_f32 v37, v37, v38
	v_ldexp_f32 v35, v35, v38
	v_add_f32_e32 v38, -1.0, v37
	v_add_f32_e32 v41, 1.0, v37
	v_add_f32_e32 v39, 1.0, v38
	v_add_f32_e32 v42, -1.0, v41
	v_sub_f32_e32 v39, v37, v39
	v_sub_f32_e32 v37, v37, v42
	v_add_f32_e32 v39, v35, v39
	v_add_f32_e32 v35, v35, v37
	;; [unrolled: 1-line block ×3, first 2 shown]
	v_rcp_f32_e32 v42, v37
	v_add_f32_e32 v40, v38, v39
	v_sub_f32_e32 v38, v38, v40
	v_add_f32_e32 v38, v39, v38
	v_sub_f32_e32 v39, v41, v37
	v_add_f32_e32 v35, v35, v39
	v_mul_f32_e32 v39, v40, v42
	v_mul_f32_e32 v41, v37, v39
	v_fma_f32 v43, v39, v37, -v41
	v_fmac_f32_e32 v43, v39, v35
	v_add_f32_e32 v44, v41, v43
	v_sub_f32_e32 v45, v40, v44
	v_sub_f32_e32 v40, v40, v45
	;; [unrolled: 1-line block ×4, first 2 shown]
	v_add_f32_e32 v38, v38, v40
	v_sub_f32_e32 v40, v41, v43
	v_add_f32_e32 v38, v40, v38
	v_add_f32_e32 v40, v45, v38
	v_mul_f32_e32 v41, v42, v40
	v_mul_f32_e32 v43, v37, v41
	v_fma_f32 v37, v41, v37, -v43
	v_fmac_f32_e32 v37, v41, v35
	v_sub_f32_e32 v35, v45, v40
	v_add_f32_e32 v35, v38, v35
	v_add_f32_e32 v38, v43, v37
	v_sub_f32_e32 v44, v40, v38
	v_sub_f32_e32 v40, v40, v44
	;; [unrolled: 1-line block ×4, first 2 shown]
	v_add_f32_e32 v35, v35, v38
	v_sub_f32_e32 v37, v43, v37
	v_add_f32_e32 v35, v37, v35
	v_add_f32_e32 v37, v39, v41
	;; [unrolled: 1-line block ×3, first 2 shown]
	v_sub_f32_e32 v38, v37, v39
	v_mul_f32_e32 v35, v42, v35
	v_sub_f32_e32 v38, v41, v38
	v_add_f32_e32 v35, v38, v35
	v_cvt_f32_i32_e32 v34, v34
	v_add_f32_e32 v38, v37, v35
	v_mul_f32_e32 v39, v38, v38
	v_mov_b32_e32 v40, 0x3ecc95a3
	v_fmac_f32_e32 v40, 0x3e9b6dac, v39
	v_mov_b32_e32 v41, 0x3f2aaada
	v_fmac_f32_e32 v41, v39, v40
	s_mov_b32 s54, 0x3f317218
	v_mul_f32_e32 v40, 0x3f317218, v34
	v_fma_f32 v42, v34, s54, -v40
	v_fmac_f32_e32 v42, 0xb102e308, v34
	v_sub_f32_e32 v34, v38, v37
	v_sub_f32_e32 v34, v35, v34
	v_add_f32_e32 v35, v40, v42
	v_sub_f32_e32 v37, v35, v40
	v_ldexp_f32 v40, v38, 1
	v_mul_f32_e32 v38, v38, v39
	v_mul_f32_e32 v38, v38, v41
	v_add_f32_e32 v39, v40, v38
	v_sub_f32_e32 v40, v39, v40
	v_ldexp_f32 v34, v34, 1
	v_sub_f32_e32 v38, v38, v40
	v_add_f32_e32 v34, v34, v38
	v_add_f32_e32 v38, v39, v34
	v_sub_f32_e32 v39, v38, v39
	v_sub_f32_e32 v34, v34, v39
	v_add_f32_e32 v39, v35, v38
	v_sub_f32_e32 v40, v39, v35
	v_sub_f32_e32 v41, v39, v40
	;; [unrolled: 1-line block ×5, first 2 shown]
	v_add_f32_e32 v35, v38, v35
	v_add_f32_e32 v38, v37, v34
	v_sub_f32_e32 v40, v38, v37
	v_sub_f32_e32 v41, v38, v40
	;; [unrolled: 1-line block ×4, first 2 shown]
	v_add_f32_e32 v35, v38, v35
	v_add_f32_e32 v34, v34, v37
	;; [unrolled: 1-line block ×3, first 2 shown]
	v_sub_f32_e32 v38, v37, v39
	v_sub_f32_e32 v35, v35, v38
	v_add_f32_e32 v34, v34, v35
	v_add_f32_e32 v34, v37, v34
	v_cmp_neq_f32_e64 s[54:55], s33, v30
	s_mov_b32 s33, 0x33800000
	v_cndmask_b32_e64 v34, v36, v34, s[54:55]
	v_cmp_lt_f32_e64 s[54:55], |v30|, s33
	v_cndmask_b32_e64 v30, v34, v30, s[54:55]
	v_add_f32_e32 v36, v29, v30
.LBB147_54:
	s_or_b64 exec, exec, s[56:57]
	v_max_f32_e32 v30, v36, v36
	v_max_f32_e32 v29, v4, v4
	v_min_f32_e32 v34, v30, v29
	v_cmp_u_f32_e64 s[56:57], v36, v36
	v_max_f32_e32 v30, v30, v29
	v_cndmask_b32_e64 v34, v34, v36, s[56:57]
	v_cmp_u_f32_e64 s[54:55], v4, v4
	v_cndmask_b32_e64 v30, v30, v36, s[56:57]
	v_cndmask_b32_e64 v34, v34, v4, s[54:55]
	;; [unrolled: 1-line block ×3, first 2 shown]
	s_movk_i32 s33, 0x1f8
	v_cmp_neq_f32_e64 s[56:57], v34, v30
	v_cmp_class_f32_e64 s[62:63], v34, s33
	s_or_b64 s[56:57], s[56:57], s[62:63]
	s_and_saveexec_b64 s[62:63], s[56:57]
	s_cbranch_execz .LBB147_56
; %bb.55:
	v_sub_f32_e32 v34, v34, v30
	s_mov_b32 s56, 0x3fb8aa3b
	v_mul_f32_e32 v35, 0x3fb8aa3b, v34
	v_fma_f32 v36, v34, s56, -v35
	v_rndne_f32_e32 v37, v35
	v_fmac_f32_e32 v36, 0x32a5705f, v34
	v_sub_f32_e32 v35, v35, v37
	v_add_f32_e32 v35, v35, v36
	v_exp_f32_e32 v35, v35
	v_cvt_i32_f32_e32 v36, v37
	s_mov_b32 s56, 0xc2ce8ed0
	v_cmp_ngt_f32_e64 s[56:57], s56, v34
	s_mov_b32 s64, 0x7f800000
	v_ldexp_f32 v35, v35, v36
	v_cndmask_b32_e64 v35, 0, v35, s[56:57]
	s_mov_b32 s56, 0x42b17218
	v_mov_b32_e32 v36, 0x7f800000
	v_cmp_nlt_f32_e64 s[56:57], s56, v34
	v_cndmask_b32_e64 v37, v36, v35, s[56:57]
	v_add_f32_e32 v38, 1.0, v37
	v_cvt_f64_f32_e32 v[34:35], v38
	v_add_f32_e32 v39, -1.0, v38
	v_sub_f32_e32 v40, v39, v38
	v_sub_f32_e32 v39, v37, v39
	v_frexp_exp_i32_f64_e32 v34, v[34:35]
	v_add_f32_e32 v35, 1.0, v40
	v_add_f32_e32 v35, v39, v35
	v_frexp_mant_f32_e32 v39, v38
	s_mov_b32 s56, 0x3f2aaaab
	v_cmp_gt_f32_e64 s[56:57], s56, v39
	v_subbrev_co_u32_e64 v34, s[56:57], 0, v34, s[56:57]
	v_sub_u32_e32 v39, 0, v34
	v_ldexp_f32 v38, v38, v39
	v_ldexp_f32 v35, v35, v39
	v_add_f32_e32 v39, -1.0, v38
	v_add_f32_e32 v42, 1.0, v38
	v_add_f32_e32 v40, 1.0, v39
	v_add_f32_e32 v43, -1.0, v42
	v_sub_f32_e32 v40, v38, v40
	v_sub_f32_e32 v38, v38, v43
	v_add_f32_e32 v40, v35, v40
	v_add_f32_e32 v35, v35, v38
	;; [unrolled: 1-line block ×3, first 2 shown]
	v_rcp_f32_e32 v43, v38
	v_add_f32_e32 v41, v39, v40
	v_sub_f32_e32 v39, v39, v41
	v_add_f32_e32 v39, v40, v39
	v_sub_f32_e32 v40, v42, v38
	v_add_f32_e32 v35, v35, v40
	v_mul_f32_e32 v40, v41, v43
	v_mul_f32_e32 v42, v38, v40
	v_fma_f32 v44, v40, v38, -v42
	v_fmac_f32_e32 v44, v40, v35
	v_add_f32_e32 v45, v42, v44
	v_sub_f32_e32 v46, v41, v45
	v_sub_f32_e32 v41, v41, v46
	;; [unrolled: 1-line block ×4, first 2 shown]
	v_add_f32_e32 v39, v39, v41
	v_sub_f32_e32 v41, v42, v44
	v_add_f32_e32 v39, v41, v39
	v_add_f32_e32 v41, v46, v39
	v_mul_f32_e32 v42, v43, v41
	v_mul_f32_e32 v44, v38, v42
	v_fma_f32 v38, v42, v38, -v44
	v_fmac_f32_e32 v38, v42, v35
	v_sub_f32_e32 v35, v46, v41
	v_add_f32_e32 v35, v39, v35
	v_add_f32_e32 v39, v44, v38
	v_sub_f32_e32 v45, v41, v39
	v_sub_f32_e32 v41, v41, v45
	;; [unrolled: 1-line block ×4, first 2 shown]
	v_add_f32_e32 v35, v35, v39
	v_sub_f32_e32 v38, v44, v38
	v_add_f32_e32 v35, v38, v35
	v_add_f32_e32 v38, v40, v42
	;; [unrolled: 1-line block ×3, first 2 shown]
	v_sub_f32_e32 v39, v38, v40
	v_mul_f32_e32 v35, v43, v35
	v_sub_f32_e32 v39, v42, v39
	v_add_f32_e32 v35, v39, v35
	v_cvt_f32_i32_e32 v34, v34
	v_add_f32_e32 v39, v38, v35
	v_mul_f32_e32 v40, v39, v39
	v_mov_b32_e32 v41, 0x3ecc95a3
	v_fmac_f32_e32 v41, 0x3e9b6dac, v40
	v_mov_b32_e32 v42, 0x3f2aaada
	v_fmac_f32_e32 v42, v40, v41
	s_mov_b32 s56, 0x3f317218
	v_mul_f32_e32 v41, 0x3f317218, v34
	v_fma_f32 v43, v34, s56, -v41
	v_fmac_f32_e32 v43, 0xb102e308, v34
	v_sub_f32_e32 v34, v39, v38
	v_sub_f32_e32 v34, v35, v34
	v_add_f32_e32 v35, v41, v43
	v_sub_f32_e32 v38, v35, v41
	v_ldexp_f32 v41, v39, 1
	v_mul_f32_e32 v39, v39, v40
	v_mul_f32_e32 v39, v39, v42
	v_add_f32_e32 v40, v41, v39
	v_sub_f32_e32 v41, v40, v41
	v_ldexp_f32 v34, v34, 1
	v_sub_f32_e32 v39, v39, v41
	v_add_f32_e32 v34, v34, v39
	v_add_f32_e32 v39, v40, v34
	v_sub_f32_e32 v40, v39, v40
	v_sub_f32_e32 v34, v34, v40
	v_add_f32_e32 v40, v35, v39
	v_sub_f32_e32 v41, v40, v35
	v_sub_f32_e32 v42, v40, v41
	;; [unrolled: 1-line block ×5, first 2 shown]
	v_add_f32_e32 v35, v39, v35
	v_add_f32_e32 v39, v38, v34
	v_sub_f32_e32 v41, v39, v38
	v_sub_f32_e32 v42, v39, v41
	;; [unrolled: 1-line block ×4, first 2 shown]
	v_add_f32_e32 v35, v39, v35
	v_add_f32_e32 v34, v34, v38
	;; [unrolled: 1-line block ×3, first 2 shown]
	v_sub_f32_e32 v39, v38, v40
	v_sub_f32_e32 v35, v35, v39
	v_add_f32_e32 v34, v34, v35
	v_add_f32_e32 v34, v38, v34
	v_cmp_neq_f32_e64 s[56:57], s64, v37
	v_cndmask_b32_e64 v34, v36, v34, s[56:57]
	s_mov_b32 s56, 0x33800000
	v_cmp_lt_f32_e64 s[56:57], |v37|, s56
	v_cndmask_b32_e64 v34, v34, v37, s[56:57]
	v_add_f32_e32 v36, v30, v34
.LBB147_56:
	s_or_b64 exec, exec, s[62:63]
	v_max_f32_e32 v30, v15, v15
	v_max_f32_e32 v34, v36, v36
	v_min_f32_e32 v35, v34, v30
	v_cmp_u_f32_e64 s[62:63], v36, v36
	v_max_f32_e32 v34, v34, v30
	v_cndmask_b32_e64 v35, v35, v36, s[62:63]
	v_cmp_u_f32_e64 s[56:57], v15, v15
	v_cndmask_b32_e64 v34, v34, v36, s[62:63]
	v_cndmask_b32_e64 v35, v35, v15, s[56:57]
	;; [unrolled: 1-line block ×3, first 2 shown]
	v_cmp_neq_f32_e64 s[62:63], v35, v34
	v_cmp_class_f32_e64 s[64:65], v35, s33
	s_or_b64 s[62:63], s[62:63], s[64:65]
	s_and_saveexec_b64 s[64:65], s[62:63]
	s_cbranch_execz .LBB147_58
; %bb.57:
	v_sub_f32_e32 v35, v35, v34
	s_mov_b32 s33, 0x3fb8aa3b
	v_mul_f32_e32 v36, 0x3fb8aa3b, v35
	v_fma_f32 v37, v35, s33, -v36
	v_rndne_f32_e32 v38, v36
	v_fmac_f32_e32 v37, 0x32a5705f, v35
	v_sub_f32_e32 v36, v36, v38
	v_add_f32_e32 v36, v36, v37
	v_exp_f32_e32 v36, v36
	v_cvt_i32_f32_e32 v37, v38
	s_mov_b32 s33, 0xc2ce8ed0
	v_cmp_ngt_f32_e64 s[62:63], s33, v35
	s_mov_b32 s33, 0x42b17218
	v_ldexp_f32 v36, v36, v37
	v_cndmask_b32_e64 v36, 0, v36, s[62:63]
	v_mov_b32_e32 v37, 0x7f800000
	v_cmp_nlt_f32_e64 s[62:63], s33, v35
	v_cndmask_b32_e64 v38, v37, v36, s[62:63]
	v_add_f32_e32 v39, 1.0, v38
	v_cvt_f64_f32_e32 v[35:36], v39
	v_add_f32_e32 v40, -1.0, v39
	v_sub_f32_e32 v41, v40, v39
	v_sub_f32_e32 v40, v38, v40
	v_frexp_exp_i32_f64_e32 v35, v[35:36]
	v_add_f32_e32 v36, 1.0, v41
	v_add_f32_e32 v36, v40, v36
	v_frexp_mant_f32_e32 v40, v39
	s_mov_b32 s62, 0x3f2aaaab
	v_cmp_gt_f32_e64 s[62:63], s62, v40
	s_mov_b32 s33, 0x7f800000
	v_subbrev_co_u32_e64 v35, s[62:63], 0, v35, s[62:63]
	v_sub_u32_e32 v40, 0, v35
	v_ldexp_f32 v39, v39, v40
	v_ldexp_f32 v36, v36, v40
	v_add_f32_e32 v40, -1.0, v39
	v_add_f32_e32 v43, 1.0, v39
	v_add_f32_e32 v41, 1.0, v40
	v_add_f32_e32 v44, -1.0, v43
	v_sub_f32_e32 v41, v39, v41
	v_sub_f32_e32 v39, v39, v44
	v_add_f32_e32 v41, v36, v41
	v_add_f32_e32 v36, v36, v39
	;; [unrolled: 1-line block ×3, first 2 shown]
	v_rcp_f32_e32 v44, v39
	v_add_f32_e32 v42, v40, v41
	v_sub_f32_e32 v40, v40, v42
	v_add_f32_e32 v40, v41, v40
	v_sub_f32_e32 v41, v43, v39
	v_add_f32_e32 v36, v36, v41
	v_mul_f32_e32 v41, v42, v44
	v_mul_f32_e32 v43, v39, v41
	v_fma_f32 v45, v41, v39, -v43
	v_fmac_f32_e32 v45, v41, v36
	v_add_f32_e32 v46, v43, v45
	v_sub_f32_e32 v47, v42, v46
	v_sub_f32_e32 v42, v42, v47
	;; [unrolled: 1-line block ×4, first 2 shown]
	v_add_f32_e32 v40, v40, v42
	v_sub_f32_e32 v42, v43, v45
	v_add_f32_e32 v40, v42, v40
	v_add_f32_e32 v42, v47, v40
	v_mul_f32_e32 v43, v44, v42
	v_mul_f32_e32 v45, v39, v43
	v_fma_f32 v39, v43, v39, -v45
	v_fmac_f32_e32 v39, v43, v36
	v_sub_f32_e32 v36, v47, v42
	v_add_f32_e32 v36, v40, v36
	v_add_f32_e32 v40, v45, v39
	v_sub_f32_e32 v46, v42, v40
	v_sub_f32_e32 v42, v42, v46
	;; [unrolled: 1-line block ×4, first 2 shown]
	v_add_f32_e32 v36, v36, v40
	v_sub_f32_e32 v39, v45, v39
	v_add_f32_e32 v36, v39, v36
	v_add_f32_e32 v39, v41, v43
	;; [unrolled: 1-line block ×3, first 2 shown]
	v_sub_f32_e32 v40, v39, v41
	v_mul_f32_e32 v36, v44, v36
	v_sub_f32_e32 v40, v43, v40
	v_add_f32_e32 v36, v40, v36
	v_cvt_f32_i32_e32 v35, v35
	v_add_f32_e32 v40, v39, v36
	v_mul_f32_e32 v41, v40, v40
	v_mov_b32_e32 v42, 0x3ecc95a3
	v_fmac_f32_e32 v42, 0x3e9b6dac, v41
	v_mov_b32_e32 v43, 0x3f2aaada
	v_fmac_f32_e32 v43, v41, v42
	s_mov_b32 s62, 0x3f317218
	v_mul_f32_e32 v42, 0x3f317218, v35
	v_fma_f32 v44, v35, s62, -v42
	v_fmac_f32_e32 v44, 0xb102e308, v35
	v_sub_f32_e32 v35, v40, v39
	v_sub_f32_e32 v35, v36, v35
	v_add_f32_e32 v36, v42, v44
	v_sub_f32_e32 v39, v36, v42
	v_ldexp_f32 v42, v40, 1
	v_mul_f32_e32 v40, v40, v41
	v_mul_f32_e32 v40, v40, v43
	v_add_f32_e32 v41, v42, v40
	v_sub_f32_e32 v42, v41, v42
	v_ldexp_f32 v35, v35, 1
	v_sub_f32_e32 v40, v40, v42
	v_add_f32_e32 v35, v35, v40
	v_add_f32_e32 v40, v41, v35
	v_sub_f32_e32 v41, v40, v41
	v_sub_f32_e32 v35, v35, v41
	v_add_f32_e32 v41, v36, v40
	v_sub_f32_e32 v42, v41, v36
	v_sub_f32_e32 v43, v41, v42
	;; [unrolled: 1-line block ×5, first 2 shown]
	v_add_f32_e32 v36, v40, v36
	v_add_f32_e32 v40, v39, v35
	v_sub_f32_e32 v42, v40, v39
	v_sub_f32_e32 v43, v40, v42
	;; [unrolled: 1-line block ×4, first 2 shown]
	v_add_f32_e32 v36, v40, v36
	v_add_f32_e32 v35, v35, v39
	;; [unrolled: 1-line block ×3, first 2 shown]
	v_sub_f32_e32 v40, v39, v41
	v_sub_f32_e32 v36, v36, v40
	v_add_f32_e32 v35, v35, v36
	v_add_f32_e32 v35, v39, v35
	v_cmp_neq_f32_e64 s[62:63], s33, v38
	s_mov_b32 s33, 0x33800000
	v_cndmask_b32_e64 v35, v37, v35, s[62:63]
	v_cmp_lt_f32_e64 s[62:63], |v38|, s33
	v_cndmask_b32_e64 v35, v35, v38, s[62:63]
	v_add_f32_e32 v36, v34, v35
.LBB147_58:
	s_or_b64 exec, exec, s[64:65]
	s_load_dwordx2 s[64:65], s[4:5], 0x18
	v_mbcnt_lo_u32_b32 v34, -1, 0
	v_mbcnt_hi_u32_b32 v35, -1, v34
	v_and_b32_e32 v37, 15, v35
	v_mov_b32_dpp v38, v36 row_shr:1 row_mask:0xf bank_mask:0xf
	v_cmp_ne_u32_e64 s[4:5], 0, v37
	s_and_saveexec_b64 s[66:67], s[4:5]
	s_cbranch_execz .LBB147_62
; %bb.59:
	v_max_f32_e32 v34, v36, v36
	v_max_f32_e32 v40, v38, v38
	v_min_f32_e32 v39, v40, v34
	v_cmp_u_f32_e64 s[4:5], v38, v38
	v_max_f32_e32 v34, v40, v34
	v_cndmask_b32_e64 v39, v39, v38, s[4:5]
	v_cmp_u_f32_e64 s[62:63], v36, v36
	v_cndmask_b32_e64 v34, v34, v38, s[4:5]
	v_cndmask_b32_e64 v39, v39, v36, s[62:63]
	;; [unrolled: 1-line block ×3, first 2 shown]
	s_movk_i32 s33, 0x1f8
	v_cmp_neq_f32_e64 s[4:5], v39, v34
	v_cmp_class_f32_e64 s[62:63], v39, s33
	s_or_b64 s[4:5], s[4:5], s[62:63]
	s_and_saveexec_b64 s[62:63], s[4:5]
	s_cbranch_execz .LBB147_61
; %bb.60:
	v_sub_f32_e32 v36, v39, v34
	s_mov_b32 s4, 0x3fb8aa3b
	v_mul_f32_e32 v38, 0x3fb8aa3b, v36
	v_fma_f32 v39, v36, s4, -v38
	v_rndne_f32_e32 v40, v38
	v_fmac_f32_e32 v39, 0x32a5705f, v36
	v_sub_f32_e32 v38, v38, v40
	v_add_f32_e32 v38, v38, v39
	v_exp_f32_e32 v38, v38
	v_cvt_i32_f32_e32 v39, v40
	s_mov_b32 s4, 0xc2ce8ed0
	v_cmp_ngt_f32_e64 s[4:5], s4, v36
	v_mov_b32_e32 v40, 0x7f800000
	v_ldexp_f32 v38, v38, v39
	v_cndmask_b32_e64 v38, 0, v38, s[4:5]
	s_mov_b32 s4, 0x42b17218
	v_cmp_nlt_f32_e64 s[4:5], s4, v36
	v_cndmask_b32_e64 v36, v40, v38, s[4:5]
	v_add_f32_e32 v41, 1.0, v36
	v_cvt_f64_f32_e32 v[38:39], v41
	v_add_f32_e32 v42, -1.0, v41
	v_sub_f32_e32 v43, v42, v41
	v_sub_f32_e32 v42, v36, v42
	v_frexp_exp_i32_f64_e32 v38, v[38:39]
	v_add_f32_e32 v39, 1.0, v43
	v_add_f32_e32 v39, v42, v39
	v_frexp_mant_f32_e32 v42, v41
	s_mov_b32 s4, 0x3f2aaaab
	v_cmp_gt_f32_e64 s[4:5], s4, v42
	s_mov_b32 s33, 0x7f800000
	v_subbrev_co_u32_e64 v38, s[4:5], 0, v38, s[4:5]
	v_sub_u32_e32 v42, 0, v38
	v_ldexp_f32 v41, v41, v42
	v_ldexp_f32 v39, v39, v42
	v_add_f32_e32 v42, -1.0, v41
	v_add_f32_e32 v45, 1.0, v41
	v_add_f32_e32 v43, 1.0, v42
	v_add_f32_e32 v46, -1.0, v45
	v_sub_f32_e32 v43, v41, v43
	v_sub_f32_e32 v41, v41, v46
	v_add_f32_e32 v43, v39, v43
	v_add_f32_e32 v39, v39, v41
	v_add_f32_e32 v41, v45, v39
	v_rcp_f32_e32 v46, v41
	v_add_f32_e32 v44, v42, v43
	v_sub_f32_e32 v42, v42, v44
	v_add_f32_e32 v42, v43, v42
	v_sub_f32_e32 v43, v45, v41
	v_add_f32_e32 v39, v39, v43
	v_mul_f32_e32 v43, v44, v46
	v_mul_f32_e32 v45, v41, v43
	v_fma_f32 v47, v43, v41, -v45
	v_fmac_f32_e32 v47, v43, v39
	v_add_f32_e32 v48, v45, v47
	v_sub_f32_e32 v49, v44, v48
	v_sub_f32_e32 v44, v44, v49
	;; [unrolled: 1-line block ×4, first 2 shown]
	v_add_f32_e32 v42, v42, v44
	v_sub_f32_e32 v44, v45, v47
	v_add_f32_e32 v42, v44, v42
	v_add_f32_e32 v44, v49, v42
	v_mul_f32_e32 v45, v46, v44
	v_mul_f32_e32 v47, v41, v45
	v_fma_f32 v41, v45, v41, -v47
	v_fmac_f32_e32 v41, v45, v39
	v_sub_f32_e32 v39, v49, v44
	v_add_f32_e32 v39, v42, v39
	v_add_f32_e32 v42, v47, v41
	v_sub_f32_e32 v48, v44, v42
	v_sub_f32_e32 v44, v44, v48
	;; [unrolled: 1-line block ×4, first 2 shown]
	v_add_f32_e32 v39, v39, v42
	v_sub_f32_e32 v41, v47, v41
	v_add_f32_e32 v39, v41, v39
	v_add_f32_e32 v41, v43, v45
	;; [unrolled: 1-line block ×3, first 2 shown]
	v_sub_f32_e32 v42, v41, v43
	v_mul_f32_e32 v39, v46, v39
	v_sub_f32_e32 v42, v45, v42
	v_add_f32_e32 v39, v42, v39
	v_cvt_f32_i32_e32 v38, v38
	v_add_f32_e32 v42, v41, v39
	v_mul_f32_e32 v43, v42, v42
	v_mov_b32_e32 v44, 0x3ecc95a3
	v_fmac_f32_e32 v44, 0x3e9b6dac, v43
	v_mov_b32_e32 v45, 0x3f2aaada
	v_fmac_f32_e32 v45, v43, v44
	s_mov_b32 s4, 0x3f317218
	v_mul_f32_e32 v44, 0x3f317218, v38
	v_fma_f32 v46, v38, s4, -v44
	v_fmac_f32_e32 v46, 0xb102e308, v38
	v_sub_f32_e32 v38, v42, v41
	v_sub_f32_e32 v38, v39, v38
	v_add_f32_e32 v39, v44, v46
	v_sub_f32_e32 v41, v39, v44
	v_ldexp_f32 v44, v42, 1
	v_mul_f32_e32 v42, v42, v43
	v_mul_f32_e32 v42, v42, v45
	v_add_f32_e32 v43, v44, v42
	v_sub_f32_e32 v44, v43, v44
	v_ldexp_f32 v38, v38, 1
	v_sub_f32_e32 v42, v42, v44
	v_add_f32_e32 v38, v38, v42
	v_add_f32_e32 v42, v43, v38
	v_sub_f32_e32 v43, v42, v43
	v_sub_f32_e32 v38, v38, v43
	v_add_f32_e32 v43, v39, v42
	v_sub_f32_e32 v44, v43, v39
	v_sub_f32_e32 v45, v43, v44
	;; [unrolled: 1-line block ×5, first 2 shown]
	v_add_f32_e32 v39, v42, v39
	v_add_f32_e32 v42, v41, v38
	v_sub_f32_e32 v44, v42, v41
	v_sub_f32_e32 v45, v42, v44
	;; [unrolled: 1-line block ×4, first 2 shown]
	v_add_f32_e32 v39, v42, v39
	v_add_f32_e32 v38, v38, v41
	;; [unrolled: 1-line block ×3, first 2 shown]
	v_sub_f32_e32 v42, v41, v43
	v_sub_f32_e32 v39, v39, v42
	v_add_f32_e32 v38, v38, v39
	v_add_f32_e32 v38, v41, v38
	v_cmp_neq_f32_e64 s[4:5], s33, v36
	v_cndmask_b32_e64 v38, v40, v38, s[4:5]
	s_mov_b32 s4, 0x33800000
	v_cmp_lt_f32_e64 s[4:5], |v36|, s4
	v_cndmask_b32_e64 v36, v38, v36, s[4:5]
	v_add_f32_e32 v38, v34, v36
.LBB147_61:
	s_or_b64 exec, exec, s[62:63]
	v_mov_b32_e32 v36, v38
.LBB147_62:
	s_or_b64 exec, exec, s[66:67]
	v_mul_u32_u24_e32 v34, 56, v0
	v_mov_b32_dpp v38, v36 row_shr:2 row_mask:0xf bank_mask:0xf
	v_cmp_lt_u32_e64 s[4:5], 1, v37
	s_and_saveexec_b64 s[66:67], s[4:5]
	s_cbranch_execz .LBB147_66
; %bb.63:
	v_max_f32_e32 v40, v36, v36
	v_max_f32_e32 v41, v38, v38
	v_min_f32_e32 v39, v41, v40
	v_cmp_u_f32_e64 s[4:5], v38, v38
	v_max_f32_e32 v40, v41, v40
	v_cndmask_b32_e64 v39, v39, v38, s[4:5]
	v_cmp_u_f32_e64 s[62:63], v36, v36
	v_cndmask_b32_e64 v40, v40, v38, s[4:5]
	v_cndmask_b32_e64 v39, v39, v36, s[62:63]
	;; [unrolled: 1-line block ×3, first 2 shown]
	s_movk_i32 s33, 0x1f8
	v_cmp_neq_f32_e64 s[4:5], v39, v36
	v_cmp_class_f32_e64 s[62:63], v39, s33
	s_or_b64 s[4:5], s[4:5], s[62:63]
	s_and_saveexec_b64 s[62:63], s[4:5]
	s_cbranch_execz .LBB147_65
; %bb.64:
	v_sub_f32_e32 v38, v39, v36
	s_mov_b32 s4, 0x3fb8aa3b
	v_mul_f32_e32 v39, 0x3fb8aa3b, v38
	v_fma_f32 v40, v38, s4, -v39
	v_rndne_f32_e32 v41, v39
	v_fmac_f32_e32 v40, 0x32a5705f, v38
	v_sub_f32_e32 v39, v39, v41
	v_add_f32_e32 v39, v39, v40
	v_exp_f32_e32 v39, v39
	v_cvt_i32_f32_e32 v40, v41
	s_mov_b32 s4, 0xc2ce8ed0
	v_cmp_ngt_f32_e64 s[4:5], s4, v38
	s_mov_b32 s33, 0x7f800000
	v_ldexp_f32 v39, v39, v40
	v_cndmask_b32_e64 v39, 0, v39, s[4:5]
	s_mov_b32 s4, 0x42b17218
	v_mov_b32_e32 v40, 0x7f800000
	v_cmp_nlt_f32_e64 s[4:5], s4, v38
	v_cndmask_b32_e64 v41, v40, v39, s[4:5]
	v_add_f32_e32 v42, 1.0, v41
	v_cvt_f64_f32_e32 v[38:39], v42
	v_add_f32_e32 v43, -1.0, v42
	v_sub_f32_e32 v44, v43, v42
	v_sub_f32_e32 v43, v41, v43
	v_frexp_exp_i32_f64_e32 v38, v[38:39]
	v_add_f32_e32 v39, 1.0, v44
	v_add_f32_e32 v39, v43, v39
	v_frexp_mant_f32_e32 v43, v42
	s_mov_b32 s4, 0x3f2aaaab
	v_cmp_gt_f32_e64 s[4:5], s4, v43
	v_subbrev_co_u32_e64 v38, s[4:5], 0, v38, s[4:5]
	v_sub_u32_e32 v43, 0, v38
	v_ldexp_f32 v42, v42, v43
	v_ldexp_f32 v39, v39, v43
	v_add_f32_e32 v43, -1.0, v42
	v_add_f32_e32 v46, 1.0, v42
	v_add_f32_e32 v44, 1.0, v43
	v_add_f32_e32 v47, -1.0, v46
	v_sub_f32_e32 v44, v42, v44
	v_sub_f32_e32 v42, v42, v47
	v_add_f32_e32 v44, v39, v44
	v_add_f32_e32 v39, v39, v42
	;; [unrolled: 1-line block ×3, first 2 shown]
	v_rcp_f32_e32 v47, v42
	v_add_f32_e32 v45, v43, v44
	v_sub_f32_e32 v43, v43, v45
	v_add_f32_e32 v43, v44, v43
	v_sub_f32_e32 v44, v46, v42
	v_add_f32_e32 v39, v39, v44
	v_mul_f32_e32 v44, v45, v47
	v_mul_f32_e32 v46, v42, v44
	v_fma_f32 v48, v44, v42, -v46
	v_fmac_f32_e32 v48, v44, v39
	v_add_f32_e32 v49, v46, v48
	v_sub_f32_e32 v50, v45, v49
	v_sub_f32_e32 v45, v45, v50
	;; [unrolled: 1-line block ×4, first 2 shown]
	v_add_f32_e32 v43, v43, v45
	v_sub_f32_e32 v45, v46, v48
	v_add_f32_e32 v43, v45, v43
	v_add_f32_e32 v45, v50, v43
	v_mul_f32_e32 v46, v47, v45
	v_mul_f32_e32 v48, v42, v46
	v_fma_f32 v42, v46, v42, -v48
	v_fmac_f32_e32 v42, v46, v39
	v_sub_f32_e32 v39, v50, v45
	v_add_f32_e32 v39, v43, v39
	v_add_f32_e32 v43, v48, v42
	v_sub_f32_e32 v49, v45, v43
	v_sub_f32_e32 v45, v45, v49
	;; [unrolled: 1-line block ×4, first 2 shown]
	v_add_f32_e32 v39, v39, v43
	v_sub_f32_e32 v42, v48, v42
	v_add_f32_e32 v39, v42, v39
	v_add_f32_e32 v42, v44, v46
	;; [unrolled: 1-line block ×3, first 2 shown]
	v_sub_f32_e32 v43, v42, v44
	v_mul_f32_e32 v39, v47, v39
	v_sub_f32_e32 v43, v46, v43
	v_add_f32_e32 v39, v43, v39
	v_cvt_f32_i32_e32 v38, v38
	v_add_f32_e32 v43, v42, v39
	v_mul_f32_e32 v44, v43, v43
	v_mov_b32_e32 v45, 0x3ecc95a3
	v_fmac_f32_e32 v45, 0x3e9b6dac, v44
	v_mov_b32_e32 v46, 0x3f2aaada
	v_fmac_f32_e32 v46, v44, v45
	s_mov_b32 s4, 0x3f317218
	v_mul_f32_e32 v45, 0x3f317218, v38
	v_fma_f32 v47, v38, s4, -v45
	v_fmac_f32_e32 v47, 0xb102e308, v38
	v_sub_f32_e32 v38, v43, v42
	v_sub_f32_e32 v38, v39, v38
	v_add_f32_e32 v39, v45, v47
	v_sub_f32_e32 v42, v39, v45
	v_ldexp_f32 v45, v43, 1
	v_mul_f32_e32 v43, v43, v44
	v_mul_f32_e32 v43, v43, v46
	v_add_f32_e32 v44, v45, v43
	v_sub_f32_e32 v45, v44, v45
	v_ldexp_f32 v38, v38, 1
	v_sub_f32_e32 v43, v43, v45
	v_add_f32_e32 v38, v38, v43
	v_add_f32_e32 v43, v44, v38
	v_sub_f32_e32 v44, v43, v44
	v_sub_f32_e32 v38, v38, v44
	v_add_f32_e32 v44, v39, v43
	v_sub_f32_e32 v45, v44, v39
	v_sub_f32_e32 v46, v44, v45
	;; [unrolled: 1-line block ×5, first 2 shown]
	v_add_f32_e32 v39, v43, v39
	v_add_f32_e32 v43, v42, v38
	v_sub_f32_e32 v45, v43, v42
	v_sub_f32_e32 v46, v43, v45
	;; [unrolled: 1-line block ×4, first 2 shown]
	v_add_f32_e32 v39, v43, v39
	v_add_f32_e32 v38, v38, v42
	;; [unrolled: 1-line block ×3, first 2 shown]
	v_sub_f32_e32 v43, v42, v44
	v_sub_f32_e32 v39, v39, v43
	v_add_f32_e32 v38, v38, v39
	v_add_f32_e32 v38, v42, v38
	v_cmp_neq_f32_e64 s[4:5], s33, v41
	v_cndmask_b32_e64 v38, v40, v38, s[4:5]
	s_mov_b32 s4, 0x33800000
	v_cmp_lt_f32_e64 s[4:5], |v41|, s4
	v_cndmask_b32_e64 v38, v38, v41, s[4:5]
	v_add_f32_e32 v38, v36, v38
.LBB147_65:
	s_or_b64 exec, exec, s[62:63]
	v_mov_b32_e32 v36, v38
.LBB147_66:
	s_or_b64 exec, exec, s[66:67]
	s_nop 0
	v_mov_b32_dpp v38, v36 row_shr:4 row_mask:0xf bank_mask:0xf
	v_cmp_lt_u32_e64 s[4:5], 3, v37
	s_and_saveexec_b64 s[66:67], s[4:5]
	s_cbranch_execz .LBB147_70
; %bb.67:
	v_max_f32_e32 v40, v36, v36
	v_max_f32_e32 v41, v38, v38
	v_min_f32_e32 v39, v41, v40
	v_cmp_u_f32_e64 s[4:5], v38, v38
	v_max_f32_e32 v40, v41, v40
	v_cndmask_b32_e64 v39, v39, v38, s[4:5]
	v_cmp_u_f32_e64 s[62:63], v36, v36
	v_cndmask_b32_e64 v40, v40, v38, s[4:5]
	v_cndmask_b32_e64 v39, v39, v36, s[62:63]
	;; [unrolled: 1-line block ×3, first 2 shown]
	s_movk_i32 s33, 0x1f8
	v_cmp_neq_f32_e64 s[4:5], v39, v36
	v_cmp_class_f32_e64 s[62:63], v39, s33
	s_or_b64 s[4:5], s[4:5], s[62:63]
	s_and_saveexec_b64 s[62:63], s[4:5]
	s_cbranch_execz .LBB147_69
; %bb.68:
	v_sub_f32_e32 v38, v39, v36
	s_mov_b32 s4, 0x3fb8aa3b
	v_mul_f32_e32 v39, 0x3fb8aa3b, v38
	v_fma_f32 v40, v38, s4, -v39
	v_rndne_f32_e32 v41, v39
	v_fmac_f32_e32 v40, 0x32a5705f, v38
	v_sub_f32_e32 v39, v39, v41
	v_add_f32_e32 v39, v39, v40
	v_exp_f32_e32 v39, v39
	v_cvt_i32_f32_e32 v40, v41
	s_mov_b32 s4, 0xc2ce8ed0
	v_cmp_ngt_f32_e64 s[4:5], s4, v38
	s_mov_b32 s33, 0x7f800000
	v_ldexp_f32 v39, v39, v40
	v_cndmask_b32_e64 v39, 0, v39, s[4:5]
	s_mov_b32 s4, 0x42b17218
	v_mov_b32_e32 v40, 0x7f800000
	v_cmp_nlt_f32_e64 s[4:5], s4, v38
	v_cndmask_b32_e64 v41, v40, v39, s[4:5]
	v_add_f32_e32 v42, 1.0, v41
	v_cvt_f64_f32_e32 v[38:39], v42
	v_add_f32_e32 v43, -1.0, v42
	v_sub_f32_e32 v44, v43, v42
	v_sub_f32_e32 v43, v41, v43
	v_frexp_exp_i32_f64_e32 v38, v[38:39]
	v_add_f32_e32 v39, 1.0, v44
	v_add_f32_e32 v39, v43, v39
	v_frexp_mant_f32_e32 v43, v42
	s_mov_b32 s4, 0x3f2aaaab
	v_cmp_gt_f32_e64 s[4:5], s4, v43
	v_subbrev_co_u32_e64 v38, s[4:5], 0, v38, s[4:5]
	v_sub_u32_e32 v43, 0, v38
	v_ldexp_f32 v42, v42, v43
	v_ldexp_f32 v39, v39, v43
	v_add_f32_e32 v43, -1.0, v42
	v_add_f32_e32 v46, 1.0, v42
	v_add_f32_e32 v44, 1.0, v43
	v_add_f32_e32 v47, -1.0, v46
	v_sub_f32_e32 v44, v42, v44
	v_sub_f32_e32 v42, v42, v47
	v_add_f32_e32 v44, v39, v44
	v_add_f32_e32 v39, v39, v42
	;; [unrolled: 1-line block ×3, first 2 shown]
	v_rcp_f32_e32 v47, v42
	v_add_f32_e32 v45, v43, v44
	v_sub_f32_e32 v43, v43, v45
	v_add_f32_e32 v43, v44, v43
	v_sub_f32_e32 v44, v46, v42
	v_add_f32_e32 v39, v39, v44
	v_mul_f32_e32 v44, v45, v47
	v_mul_f32_e32 v46, v42, v44
	v_fma_f32 v48, v44, v42, -v46
	v_fmac_f32_e32 v48, v44, v39
	v_add_f32_e32 v49, v46, v48
	v_sub_f32_e32 v50, v45, v49
	v_sub_f32_e32 v45, v45, v50
	;; [unrolled: 1-line block ×4, first 2 shown]
	v_add_f32_e32 v43, v43, v45
	v_sub_f32_e32 v45, v46, v48
	v_add_f32_e32 v43, v45, v43
	v_add_f32_e32 v45, v50, v43
	v_mul_f32_e32 v46, v47, v45
	v_mul_f32_e32 v48, v42, v46
	v_fma_f32 v42, v46, v42, -v48
	v_fmac_f32_e32 v42, v46, v39
	v_sub_f32_e32 v39, v50, v45
	v_add_f32_e32 v39, v43, v39
	v_add_f32_e32 v43, v48, v42
	v_sub_f32_e32 v49, v45, v43
	v_sub_f32_e32 v45, v45, v49
	;; [unrolled: 1-line block ×4, first 2 shown]
	v_add_f32_e32 v39, v39, v43
	v_sub_f32_e32 v42, v48, v42
	v_add_f32_e32 v39, v42, v39
	v_add_f32_e32 v42, v44, v46
	;; [unrolled: 1-line block ×3, first 2 shown]
	v_sub_f32_e32 v43, v42, v44
	v_mul_f32_e32 v39, v47, v39
	v_sub_f32_e32 v43, v46, v43
	v_add_f32_e32 v39, v43, v39
	v_cvt_f32_i32_e32 v38, v38
	v_add_f32_e32 v43, v42, v39
	v_mul_f32_e32 v44, v43, v43
	v_mov_b32_e32 v45, 0x3ecc95a3
	v_fmac_f32_e32 v45, 0x3e9b6dac, v44
	v_mov_b32_e32 v46, 0x3f2aaada
	v_fmac_f32_e32 v46, v44, v45
	s_mov_b32 s4, 0x3f317218
	v_mul_f32_e32 v45, 0x3f317218, v38
	v_fma_f32 v47, v38, s4, -v45
	v_fmac_f32_e32 v47, 0xb102e308, v38
	v_sub_f32_e32 v38, v43, v42
	v_sub_f32_e32 v38, v39, v38
	v_add_f32_e32 v39, v45, v47
	v_sub_f32_e32 v42, v39, v45
	v_ldexp_f32 v45, v43, 1
	v_mul_f32_e32 v43, v43, v44
	v_mul_f32_e32 v43, v43, v46
	v_add_f32_e32 v44, v45, v43
	v_sub_f32_e32 v45, v44, v45
	v_ldexp_f32 v38, v38, 1
	v_sub_f32_e32 v43, v43, v45
	v_add_f32_e32 v38, v38, v43
	v_add_f32_e32 v43, v44, v38
	v_sub_f32_e32 v44, v43, v44
	v_sub_f32_e32 v38, v38, v44
	v_add_f32_e32 v44, v39, v43
	v_sub_f32_e32 v45, v44, v39
	v_sub_f32_e32 v46, v44, v45
	;; [unrolled: 1-line block ×5, first 2 shown]
	v_add_f32_e32 v39, v43, v39
	v_add_f32_e32 v43, v42, v38
	v_sub_f32_e32 v45, v43, v42
	v_sub_f32_e32 v46, v43, v45
	;; [unrolled: 1-line block ×4, first 2 shown]
	v_add_f32_e32 v39, v43, v39
	v_add_f32_e32 v38, v38, v42
	;; [unrolled: 1-line block ×3, first 2 shown]
	v_sub_f32_e32 v43, v42, v44
	v_sub_f32_e32 v39, v39, v43
	v_add_f32_e32 v38, v38, v39
	v_add_f32_e32 v38, v42, v38
	v_cmp_neq_f32_e64 s[4:5], s33, v41
	v_cndmask_b32_e64 v38, v40, v38, s[4:5]
	s_mov_b32 s4, 0x33800000
	v_cmp_lt_f32_e64 s[4:5], |v41|, s4
	v_cndmask_b32_e64 v38, v38, v41, s[4:5]
	v_add_f32_e32 v38, v36, v38
.LBB147_69:
	s_or_b64 exec, exec, s[62:63]
	v_mov_b32_e32 v36, v38
.LBB147_70:
	s_or_b64 exec, exec, s[66:67]
	s_nop 0
	v_mov_b32_dpp v38, v36 row_shr:8 row_mask:0xf bank_mask:0xf
	v_cmp_lt_u32_e64 s[4:5], 7, v37
	s_and_saveexec_b64 s[66:67], s[4:5]
	s_cbranch_execz .LBB147_74
; %bb.71:
	v_max_f32_e32 v39, v36, v36
	v_max_f32_e32 v40, v38, v38
	v_min_f32_e32 v37, v40, v39
	v_cmp_u_f32_e64 s[4:5], v38, v38
	v_max_f32_e32 v39, v40, v39
	v_cndmask_b32_e64 v37, v37, v38, s[4:5]
	v_cmp_u_f32_e64 s[62:63], v36, v36
	v_cndmask_b32_e64 v39, v39, v38, s[4:5]
	v_cndmask_b32_e64 v37, v37, v36, s[62:63]
	;; [unrolled: 1-line block ×3, first 2 shown]
	s_movk_i32 s33, 0x1f8
	v_cmp_neq_f32_e64 s[4:5], v37, v36
	v_cmp_class_f32_e64 s[62:63], v37, s33
	s_or_b64 s[4:5], s[4:5], s[62:63]
	s_and_saveexec_b64 s[62:63], s[4:5]
	s_cbranch_execz .LBB147_73
; %bb.72:
	v_sub_f32_e32 v37, v37, v36
	s_mov_b32 s4, 0x3fb8aa3b
	v_mul_f32_e32 v38, 0x3fb8aa3b, v37
	v_fma_f32 v39, v37, s4, -v38
	v_rndne_f32_e32 v40, v38
	v_fmac_f32_e32 v39, 0x32a5705f, v37
	v_sub_f32_e32 v38, v38, v40
	v_add_f32_e32 v38, v38, v39
	v_exp_f32_e32 v38, v38
	v_cvt_i32_f32_e32 v39, v40
	s_mov_b32 s4, 0xc2ce8ed0
	v_cmp_ngt_f32_e64 s[4:5], s4, v37
	s_mov_b32 s33, 0x7f800000
	v_ldexp_f32 v38, v38, v39
	v_cndmask_b32_e64 v38, 0, v38, s[4:5]
	s_mov_b32 s4, 0x42b17218
	v_mov_b32_e32 v39, 0x7f800000
	v_cmp_nlt_f32_e64 s[4:5], s4, v37
	v_cndmask_b32_e64 v40, v39, v38, s[4:5]
	v_add_f32_e32 v41, 1.0, v40
	v_cvt_f64_f32_e32 v[37:38], v41
	v_add_f32_e32 v42, -1.0, v41
	v_sub_f32_e32 v43, v42, v41
	v_sub_f32_e32 v42, v40, v42
	v_frexp_exp_i32_f64_e32 v37, v[37:38]
	v_add_f32_e32 v38, 1.0, v43
	v_add_f32_e32 v38, v42, v38
	v_frexp_mant_f32_e32 v42, v41
	s_mov_b32 s4, 0x3f2aaaab
	v_cmp_gt_f32_e64 s[4:5], s4, v42
	v_subbrev_co_u32_e64 v37, s[4:5], 0, v37, s[4:5]
	v_sub_u32_e32 v42, 0, v37
	v_ldexp_f32 v41, v41, v42
	v_ldexp_f32 v38, v38, v42
	v_add_f32_e32 v42, -1.0, v41
	v_add_f32_e32 v45, 1.0, v41
	v_add_f32_e32 v43, 1.0, v42
	v_add_f32_e32 v46, -1.0, v45
	v_sub_f32_e32 v43, v41, v43
	v_sub_f32_e32 v41, v41, v46
	v_add_f32_e32 v43, v38, v43
	v_add_f32_e32 v38, v38, v41
	;; [unrolled: 1-line block ×3, first 2 shown]
	v_rcp_f32_e32 v46, v41
	v_add_f32_e32 v44, v42, v43
	v_sub_f32_e32 v42, v42, v44
	v_add_f32_e32 v42, v43, v42
	v_sub_f32_e32 v43, v45, v41
	v_add_f32_e32 v38, v38, v43
	v_mul_f32_e32 v43, v44, v46
	v_mul_f32_e32 v45, v41, v43
	v_fma_f32 v47, v43, v41, -v45
	v_fmac_f32_e32 v47, v43, v38
	v_add_f32_e32 v48, v45, v47
	v_sub_f32_e32 v49, v44, v48
	v_sub_f32_e32 v44, v44, v49
	;; [unrolled: 1-line block ×4, first 2 shown]
	v_add_f32_e32 v42, v42, v44
	v_sub_f32_e32 v44, v45, v47
	v_add_f32_e32 v42, v44, v42
	v_add_f32_e32 v44, v49, v42
	v_mul_f32_e32 v45, v46, v44
	v_mul_f32_e32 v47, v41, v45
	v_fma_f32 v41, v45, v41, -v47
	v_fmac_f32_e32 v41, v45, v38
	v_sub_f32_e32 v38, v49, v44
	v_add_f32_e32 v38, v42, v38
	v_add_f32_e32 v42, v47, v41
	v_sub_f32_e32 v48, v44, v42
	v_sub_f32_e32 v44, v44, v48
	;; [unrolled: 1-line block ×4, first 2 shown]
	v_add_f32_e32 v38, v38, v42
	v_sub_f32_e32 v41, v47, v41
	v_add_f32_e32 v38, v41, v38
	v_add_f32_e32 v41, v43, v45
	;; [unrolled: 1-line block ×3, first 2 shown]
	v_sub_f32_e32 v42, v41, v43
	v_mul_f32_e32 v38, v46, v38
	v_sub_f32_e32 v42, v45, v42
	v_add_f32_e32 v38, v42, v38
	v_cvt_f32_i32_e32 v37, v37
	v_add_f32_e32 v42, v41, v38
	v_mul_f32_e32 v43, v42, v42
	v_mov_b32_e32 v44, 0x3ecc95a3
	v_fmac_f32_e32 v44, 0x3e9b6dac, v43
	v_mov_b32_e32 v45, 0x3f2aaada
	v_fmac_f32_e32 v45, v43, v44
	s_mov_b32 s4, 0x3f317218
	v_mul_f32_e32 v44, 0x3f317218, v37
	v_fma_f32 v46, v37, s4, -v44
	v_fmac_f32_e32 v46, 0xb102e308, v37
	v_sub_f32_e32 v37, v42, v41
	v_sub_f32_e32 v37, v38, v37
	v_add_f32_e32 v38, v44, v46
	v_sub_f32_e32 v41, v38, v44
	v_ldexp_f32 v44, v42, 1
	v_mul_f32_e32 v42, v42, v43
	v_mul_f32_e32 v42, v42, v45
	v_add_f32_e32 v43, v44, v42
	v_sub_f32_e32 v44, v43, v44
	v_ldexp_f32 v37, v37, 1
	v_sub_f32_e32 v42, v42, v44
	v_add_f32_e32 v37, v37, v42
	v_add_f32_e32 v42, v43, v37
	v_sub_f32_e32 v43, v42, v43
	v_sub_f32_e32 v37, v37, v43
	v_add_f32_e32 v43, v38, v42
	v_sub_f32_e32 v44, v43, v38
	v_sub_f32_e32 v45, v43, v44
	;; [unrolled: 1-line block ×5, first 2 shown]
	v_add_f32_e32 v38, v42, v38
	v_add_f32_e32 v42, v41, v37
	v_sub_f32_e32 v44, v42, v41
	v_sub_f32_e32 v45, v42, v44
	;; [unrolled: 1-line block ×4, first 2 shown]
	v_add_f32_e32 v38, v42, v38
	v_add_f32_e32 v37, v37, v41
	;; [unrolled: 1-line block ×3, first 2 shown]
	v_sub_f32_e32 v42, v41, v43
	v_sub_f32_e32 v38, v38, v42
	v_add_f32_e32 v37, v37, v38
	v_add_f32_e32 v37, v41, v37
	v_cmp_neq_f32_e64 s[4:5], s33, v40
	v_cndmask_b32_e64 v37, v39, v37, s[4:5]
	s_mov_b32 s4, 0x33800000
	v_cmp_lt_f32_e64 s[4:5], |v40|, s4
	v_cndmask_b32_e64 v37, v37, v40, s[4:5]
	v_add_f32_e32 v38, v36, v37
.LBB147_73:
	s_or_b64 exec, exec, s[62:63]
	v_mov_b32_e32 v36, v38
.LBB147_74:
	s_or_b64 exec, exec, s[66:67]
	v_and_b32_e32 v38, 16, v35
	v_mov_b32_dpp v37, v36 row_bcast:15 row_mask:0xf bank_mask:0xf
	v_cmp_ne_u32_e64 s[4:5], 0, v38
	s_and_saveexec_b64 s[66:67], s[4:5]
	s_cbranch_execz .LBB147_78
; %bb.75:
	v_max_f32_e32 v39, v36, v36
	v_max_f32_e32 v40, v37, v37
	v_min_f32_e32 v38, v40, v39
	v_cmp_u_f32_e64 s[4:5], v37, v37
	v_max_f32_e32 v39, v40, v39
	v_cndmask_b32_e64 v38, v38, v37, s[4:5]
	v_cmp_u_f32_e64 s[62:63], v36, v36
	v_cndmask_b32_e64 v39, v39, v37, s[4:5]
	v_cndmask_b32_e64 v38, v38, v36, s[62:63]
	;; [unrolled: 1-line block ×3, first 2 shown]
	s_movk_i32 s33, 0x1f8
	v_cmp_neq_f32_e64 s[4:5], v38, v36
	v_cmp_class_f32_e64 s[62:63], v38, s33
	s_or_b64 s[4:5], s[4:5], s[62:63]
	s_and_saveexec_b64 s[62:63], s[4:5]
	s_cbranch_execz .LBB147_77
; %bb.76:
	v_sub_f32_e32 v37, v38, v36
	s_mov_b32 s4, 0x3fb8aa3b
	v_mul_f32_e32 v38, 0x3fb8aa3b, v37
	v_fma_f32 v39, v37, s4, -v38
	v_rndne_f32_e32 v40, v38
	v_fmac_f32_e32 v39, 0x32a5705f, v37
	v_sub_f32_e32 v38, v38, v40
	v_add_f32_e32 v38, v38, v39
	v_exp_f32_e32 v38, v38
	v_cvt_i32_f32_e32 v39, v40
	s_mov_b32 s4, 0xc2ce8ed0
	v_cmp_ngt_f32_e64 s[4:5], s4, v37
	s_mov_b32 s33, 0x7f800000
	v_ldexp_f32 v38, v38, v39
	v_cndmask_b32_e64 v38, 0, v38, s[4:5]
	s_mov_b32 s4, 0x42b17218
	v_mov_b32_e32 v39, 0x7f800000
	v_cmp_nlt_f32_e64 s[4:5], s4, v37
	v_cndmask_b32_e64 v40, v39, v38, s[4:5]
	v_add_f32_e32 v41, 1.0, v40
	v_cvt_f64_f32_e32 v[37:38], v41
	v_add_f32_e32 v42, -1.0, v41
	v_sub_f32_e32 v43, v42, v41
	v_sub_f32_e32 v42, v40, v42
	v_frexp_exp_i32_f64_e32 v37, v[37:38]
	v_add_f32_e32 v38, 1.0, v43
	v_add_f32_e32 v38, v42, v38
	v_frexp_mant_f32_e32 v42, v41
	s_mov_b32 s4, 0x3f2aaaab
	v_cmp_gt_f32_e64 s[4:5], s4, v42
	v_subbrev_co_u32_e64 v37, s[4:5], 0, v37, s[4:5]
	v_sub_u32_e32 v42, 0, v37
	v_ldexp_f32 v41, v41, v42
	v_ldexp_f32 v38, v38, v42
	v_add_f32_e32 v42, -1.0, v41
	v_add_f32_e32 v45, 1.0, v41
	v_add_f32_e32 v43, 1.0, v42
	v_add_f32_e32 v46, -1.0, v45
	v_sub_f32_e32 v43, v41, v43
	v_sub_f32_e32 v41, v41, v46
	v_add_f32_e32 v43, v38, v43
	v_add_f32_e32 v38, v38, v41
	;; [unrolled: 1-line block ×3, first 2 shown]
	v_rcp_f32_e32 v46, v41
	v_add_f32_e32 v44, v42, v43
	v_sub_f32_e32 v42, v42, v44
	v_add_f32_e32 v42, v43, v42
	v_sub_f32_e32 v43, v45, v41
	v_add_f32_e32 v38, v38, v43
	v_mul_f32_e32 v43, v44, v46
	v_mul_f32_e32 v45, v41, v43
	v_fma_f32 v47, v43, v41, -v45
	v_fmac_f32_e32 v47, v43, v38
	v_add_f32_e32 v48, v45, v47
	v_sub_f32_e32 v49, v44, v48
	v_sub_f32_e32 v44, v44, v49
	;; [unrolled: 1-line block ×4, first 2 shown]
	v_add_f32_e32 v42, v42, v44
	v_sub_f32_e32 v44, v45, v47
	v_add_f32_e32 v42, v44, v42
	v_add_f32_e32 v44, v49, v42
	v_mul_f32_e32 v45, v46, v44
	v_mul_f32_e32 v47, v41, v45
	v_fma_f32 v41, v45, v41, -v47
	v_fmac_f32_e32 v41, v45, v38
	v_sub_f32_e32 v38, v49, v44
	v_add_f32_e32 v38, v42, v38
	v_add_f32_e32 v42, v47, v41
	v_sub_f32_e32 v48, v44, v42
	v_sub_f32_e32 v44, v44, v48
	;; [unrolled: 1-line block ×4, first 2 shown]
	v_add_f32_e32 v38, v38, v42
	v_sub_f32_e32 v41, v47, v41
	v_add_f32_e32 v38, v41, v38
	v_add_f32_e32 v41, v43, v45
	;; [unrolled: 1-line block ×3, first 2 shown]
	v_sub_f32_e32 v42, v41, v43
	v_mul_f32_e32 v38, v46, v38
	v_sub_f32_e32 v42, v45, v42
	v_add_f32_e32 v38, v42, v38
	v_cvt_f32_i32_e32 v37, v37
	v_add_f32_e32 v42, v41, v38
	v_mul_f32_e32 v43, v42, v42
	v_mov_b32_e32 v44, 0x3ecc95a3
	v_fmac_f32_e32 v44, 0x3e9b6dac, v43
	v_mov_b32_e32 v45, 0x3f2aaada
	v_fmac_f32_e32 v45, v43, v44
	s_mov_b32 s4, 0x3f317218
	v_mul_f32_e32 v44, 0x3f317218, v37
	v_fma_f32 v46, v37, s4, -v44
	v_fmac_f32_e32 v46, 0xb102e308, v37
	v_sub_f32_e32 v37, v42, v41
	v_sub_f32_e32 v37, v38, v37
	v_add_f32_e32 v38, v44, v46
	v_sub_f32_e32 v41, v38, v44
	v_ldexp_f32 v44, v42, 1
	v_mul_f32_e32 v42, v42, v43
	v_mul_f32_e32 v42, v42, v45
	v_add_f32_e32 v43, v44, v42
	v_sub_f32_e32 v44, v43, v44
	v_ldexp_f32 v37, v37, 1
	v_sub_f32_e32 v42, v42, v44
	v_add_f32_e32 v37, v37, v42
	v_add_f32_e32 v42, v43, v37
	v_sub_f32_e32 v43, v42, v43
	v_sub_f32_e32 v37, v37, v43
	v_add_f32_e32 v43, v38, v42
	v_sub_f32_e32 v44, v43, v38
	v_sub_f32_e32 v45, v43, v44
	;; [unrolled: 1-line block ×5, first 2 shown]
	v_add_f32_e32 v38, v42, v38
	v_add_f32_e32 v42, v41, v37
	v_sub_f32_e32 v44, v42, v41
	v_sub_f32_e32 v45, v42, v44
	;; [unrolled: 1-line block ×4, first 2 shown]
	v_add_f32_e32 v38, v42, v38
	v_add_f32_e32 v37, v37, v41
	v_add_f32_e32 v41, v43, v38
	v_sub_f32_e32 v42, v41, v43
	v_sub_f32_e32 v38, v38, v42
	v_add_f32_e32 v37, v37, v38
	v_add_f32_e32 v37, v41, v37
	v_cmp_neq_f32_e64 s[4:5], s33, v40
	v_cndmask_b32_e64 v37, v39, v37, s[4:5]
	s_mov_b32 s4, 0x33800000
	v_cmp_lt_f32_e64 s[4:5], |v40|, s4
	v_cndmask_b32_e64 v37, v37, v40, s[4:5]
	v_add_f32_e32 v37, v36, v37
.LBB147_77:
	s_or_b64 exec, exec, s[62:63]
	v_mov_b32_e32 v36, v37
.LBB147_78:
	s_or_b64 exec, exec, s[66:67]
	s_nop 0
	v_mov_b32_dpp v37, v36 row_bcast:31 row_mask:0xf bank_mask:0xf
	v_cmp_lt_u32_e64 s[4:5], 31, v35
	s_and_saveexec_b64 s[66:67], s[4:5]
	s_cbranch_execz .LBB147_82
; %bb.79:
	v_max_f32_e32 v39, v36, v36
	v_max_f32_e32 v40, v37, v37
	v_min_f32_e32 v38, v40, v39
	v_cmp_u_f32_e64 s[4:5], v37, v37
	v_max_f32_e32 v39, v40, v39
	v_cndmask_b32_e64 v38, v38, v37, s[4:5]
	v_cmp_u_f32_e64 s[62:63], v36, v36
	v_cndmask_b32_e64 v39, v39, v37, s[4:5]
	v_cndmask_b32_e64 v38, v38, v36, s[62:63]
	;; [unrolled: 1-line block ×3, first 2 shown]
	s_movk_i32 s33, 0x1f8
	v_cmp_neq_f32_e64 s[4:5], v38, v36
	v_cmp_class_f32_e64 s[62:63], v38, s33
	s_or_b64 s[4:5], s[4:5], s[62:63]
	s_and_saveexec_b64 s[62:63], s[4:5]
	s_cbranch_execz .LBB147_81
; %bb.80:
	v_sub_f32_e32 v37, v38, v36
	s_mov_b32 s4, 0x3fb8aa3b
	v_mul_f32_e32 v38, 0x3fb8aa3b, v37
	v_fma_f32 v39, v37, s4, -v38
	v_rndne_f32_e32 v40, v38
	v_fmac_f32_e32 v39, 0x32a5705f, v37
	v_sub_f32_e32 v38, v38, v40
	v_add_f32_e32 v38, v38, v39
	v_exp_f32_e32 v38, v38
	v_cvt_i32_f32_e32 v39, v40
	s_mov_b32 s4, 0xc2ce8ed0
	v_cmp_ngt_f32_e64 s[4:5], s4, v37
	s_mov_b32 s33, 0x7f800000
	v_ldexp_f32 v38, v38, v39
	v_cndmask_b32_e64 v38, 0, v38, s[4:5]
	s_mov_b32 s4, 0x42b17218
	v_mov_b32_e32 v39, 0x7f800000
	v_cmp_nlt_f32_e64 s[4:5], s4, v37
	v_cndmask_b32_e64 v40, v39, v38, s[4:5]
	v_add_f32_e32 v41, 1.0, v40
	v_cvt_f64_f32_e32 v[37:38], v41
	v_add_f32_e32 v42, -1.0, v41
	v_sub_f32_e32 v43, v42, v41
	v_sub_f32_e32 v42, v40, v42
	v_frexp_exp_i32_f64_e32 v37, v[37:38]
	v_add_f32_e32 v38, 1.0, v43
	v_add_f32_e32 v38, v42, v38
	v_frexp_mant_f32_e32 v42, v41
	s_mov_b32 s4, 0x3f2aaaab
	v_cmp_gt_f32_e64 s[4:5], s4, v42
	v_subbrev_co_u32_e64 v37, s[4:5], 0, v37, s[4:5]
	v_sub_u32_e32 v42, 0, v37
	v_ldexp_f32 v41, v41, v42
	v_ldexp_f32 v38, v38, v42
	v_add_f32_e32 v42, -1.0, v41
	v_add_f32_e32 v45, 1.0, v41
	v_add_f32_e32 v43, 1.0, v42
	v_add_f32_e32 v46, -1.0, v45
	v_sub_f32_e32 v43, v41, v43
	v_sub_f32_e32 v41, v41, v46
	v_add_f32_e32 v43, v38, v43
	v_add_f32_e32 v38, v38, v41
	;; [unrolled: 1-line block ×3, first 2 shown]
	v_rcp_f32_e32 v46, v41
	v_add_f32_e32 v44, v42, v43
	v_sub_f32_e32 v42, v42, v44
	v_add_f32_e32 v42, v43, v42
	v_sub_f32_e32 v43, v45, v41
	v_add_f32_e32 v38, v38, v43
	v_mul_f32_e32 v43, v44, v46
	v_mul_f32_e32 v45, v41, v43
	v_fma_f32 v47, v43, v41, -v45
	v_fmac_f32_e32 v47, v43, v38
	v_add_f32_e32 v48, v45, v47
	v_sub_f32_e32 v49, v44, v48
	v_sub_f32_e32 v44, v44, v49
	;; [unrolled: 1-line block ×4, first 2 shown]
	v_add_f32_e32 v42, v42, v44
	v_sub_f32_e32 v44, v45, v47
	v_add_f32_e32 v42, v44, v42
	v_add_f32_e32 v44, v49, v42
	v_mul_f32_e32 v45, v46, v44
	v_mul_f32_e32 v47, v41, v45
	v_fma_f32 v41, v45, v41, -v47
	v_fmac_f32_e32 v41, v45, v38
	v_sub_f32_e32 v38, v49, v44
	v_add_f32_e32 v38, v42, v38
	v_add_f32_e32 v42, v47, v41
	v_sub_f32_e32 v48, v44, v42
	v_sub_f32_e32 v44, v44, v48
	;; [unrolled: 1-line block ×4, first 2 shown]
	v_add_f32_e32 v38, v38, v42
	v_sub_f32_e32 v41, v47, v41
	v_add_f32_e32 v38, v41, v38
	v_add_f32_e32 v41, v43, v45
	;; [unrolled: 1-line block ×3, first 2 shown]
	v_sub_f32_e32 v42, v41, v43
	v_mul_f32_e32 v38, v46, v38
	v_sub_f32_e32 v42, v45, v42
	v_add_f32_e32 v38, v42, v38
	v_cvt_f32_i32_e32 v37, v37
	v_add_f32_e32 v42, v41, v38
	v_mul_f32_e32 v43, v42, v42
	v_mov_b32_e32 v44, 0x3ecc95a3
	v_fmac_f32_e32 v44, 0x3e9b6dac, v43
	v_mov_b32_e32 v45, 0x3f2aaada
	v_fmac_f32_e32 v45, v43, v44
	s_mov_b32 s4, 0x3f317218
	v_mul_f32_e32 v44, 0x3f317218, v37
	v_fma_f32 v46, v37, s4, -v44
	v_fmac_f32_e32 v46, 0xb102e308, v37
	v_sub_f32_e32 v37, v42, v41
	v_sub_f32_e32 v37, v38, v37
	v_add_f32_e32 v38, v44, v46
	v_sub_f32_e32 v41, v38, v44
	v_ldexp_f32 v44, v42, 1
	v_mul_f32_e32 v42, v42, v43
	v_mul_f32_e32 v42, v42, v45
	v_add_f32_e32 v43, v44, v42
	v_sub_f32_e32 v44, v43, v44
	v_ldexp_f32 v37, v37, 1
	v_sub_f32_e32 v42, v42, v44
	v_add_f32_e32 v37, v37, v42
	v_add_f32_e32 v42, v43, v37
	v_sub_f32_e32 v43, v42, v43
	v_sub_f32_e32 v37, v37, v43
	v_add_f32_e32 v43, v38, v42
	v_sub_f32_e32 v44, v43, v38
	v_sub_f32_e32 v45, v43, v44
	;; [unrolled: 1-line block ×5, first 2 shown]
	v_add_f32_e32 v38, v42, v38
	v_add_f32_e32 v42, v41, v37
	v_sub_f32_e32 v44, v42, v41
	v_sub_f32_e32 v45, v42, v44
	;; [unrolled: 1-line block ×4, first 2 shown]
	v_add_f32_e32 v38, v42, v38
	v_add_f32_e32 v37, v37, v41
	;; [unrolled: 1-line block ×3, first 2 shown]
	v_sub_f32_e32 v42, v41, v43
	v_sub_f32_e32 v38, v38, v42
	v_add_f32_e32 v37, v37, v38
	v_add_f32_e32 v37, v41, v37
	v_cmp_neq_f32_e64 s[4:5], s33, v40
	v_cndmask_b32_e64 v37, v39, v37, s[4:5]
	s_mov_b32 s4, 0x33800000
	v_cmp_lt_f32_e64 s[4:5], |v40|, s4
	v_cndmask_b32_e64 v37, v37, v40, s[4:5]
	v_add_f32_e32 v37, v36, v37
.LBB147_81:
	s_or_b64 exec, exec, s[62:63]
	v_mov_b32_e32 v36, v37
.LBB147_82:
	s_or_b64 exec, exec, s[66:67]
	v_or_b32_e32 v38, 63, v0
	v_lshrrev_b32_e32 v37, 6, v0
	v_cmp_eq_u32_e64 s[4:5], v0, v38
	s_and_saveexec_b64 s[62:63], s[4:5]
; %bb.83:
	v_lshlrev_b32_e32 v38, 2, v37
	ds_write_b32 v38, v36
; %bb.84:
	s_or_b64 exec, exec, s[62:63]
	v_cmp_gt_u32_e64 s[4:5], 4, v0
	s_waitcnt lgkmcnt(0)
	s_barrier
	s_and_saveexec_b64 s[66:67], s[4:5]
	s_cbranch_execz .LBB147_94
; %bb.85:
	ds_read_b32 v39, v16
	v_and_b32_e32 v38, 3, v35
	v_cmp_ne_u32_e64 s[4:5], 0, v38
	s_waitcnt lgkmcnt(0)
	v_mov_b32_dpp v40, v39 row_shr:1 row_mask:0xf bank_mask:0xf
	s_and_saveexec_b64 s[68:69], s[4:5]
	s_cbranch_execz .LBB147_89
; %bb.86:
	v_max_f32_e32 v42, v39, v39
	v_max_f32_e32 v43, v40, v40
	v_min_f32_e32 v41, v43, v42
	v_cmp_u_f32_e64 s[4:5], v40, v40
	v_max_f32_e32 v42, v43, v42
	v_cndmask_b32_e64 v41, v41, v40, s[4:5]
	v_cmp_u_f32_e64 s[62:63], v39, v39
	v_cndmask_b32_e64 v42, v42, v40, s[4:5]
	v_cndmask_b32_e64 v41, v41, v39, s[62:63]
	;; [unrolled: 1-line block ×3, first 2 shown]
	s_movk_i32 s33, 0x1f8
	v_cmp_neq_f32_e64 s[4:5], v41, v39
	v_cmp_class_f32_e64 s[62:63], v41, s33
	s_or_b64 s[4:5], s[4:5], s[62:63]
	s_and_saveexec_b64 s[62:63], s[4:5]
	s_cbranch_execz .LBB147_88
; %bb.87:
	v_sub_f32_e32 v40, v41, v39
	s_mov_b32 s4, 0x3fb8aa3b
	v_mul_f32_e32 v41, 0x3fb8aa3b, v40
	v_fma_f32 v42, v40, s4, -v41
	v_rndne_f32_e32 v43, v41
	v_fmac_f32_e32 v42, 0x32a5705f, v40
	v_sub_f32_e32 v41, v41, v43
	v_add_f32_e32 v41, v41, v42
	v_exp_f32_e32 v41, v41
	v_cvt_i32_f32_e32 v42, v43
	s_mov_b32 s4, 0xc2ce8ed0
	v_cmp_ngt_f32_e64 s[4:5], s4, v40
	s_mov_b32 s33, 0x7f800000
	v_ldexp_f32 v41, v41, v42
	v_cndmask_b32_e64 v41, 0, v41, s[4:5]
	s_mov_b32 s4, 0x42b17218
	v_mov_b32_e32 v42, 0x7f800000
	v_cmp_nlt_f32_e64 s[4:5], s4, v40
	v_cndmask_b32_e64 v43, v42, v41, s[4:5]
	v_add_f32_e32 v44, 1.0, v43
	v_cvt_f64_f32_e32 v[40:41], v44
	v_add_f32_e32 v45, -1.0, v44
	v_sub_f32_e32 v46, v45, v44
	v_sub_f32_e32 v45, v43, v45
	v_frexp_exp_i32_f64_e32 v40, v[40:41]
	v_add_f32_e32 v41, 1.0, v46
	v_add_f32_e32 v41, v45, v41
	v_frexp_mant_f32_e32 v45, v44
	s_mov_b32 s4, 0x3f2aaaab
	v_cmp_gt_f32_e64 s[4:5], s4, v45
	v_subbrev_co_u32_e64 v40, s[4:5], 0, v40, s[4:5]
	v_sub_u32_e32 v45, 0, v40
	v_ldexp_f32 v44, v44, v45
	v_ldexp_f32 v41, v41, v45
	v_add_f32_e32 v45, -1.0, v44
	v_add_f32_e32 v48, 1.0, v44
	v_add_f32_e32 v46, 1.0, v45
	v_add_f32_e32 v49, -1.0, v48
	v_sub_f32_e32 v46, v44, v46
	v_sub_f32_e32 v44, v44, v49
	v_add_f32_e32 v46, v41, v46
	v_add_f32_e32 v41, v41, v44
	;; [unrolled: 1-line block ×3, first 2 shown]
	v_rcp_f32_e32 v49, v44
	v_add_f32_e32 v47, v45, v46
	v_sub_f32_e32 v45, v45, v47
	v_add_f32_e32 v45, v46, v45
	v_sub_f32_e32 v46, v48, v44
	v_add_f32_e32 v41, v41, v46
	v_mul_f32_e32 v46, v47, v49
	v_mul_f32_e32 v48, v44, v46
	v_fma_f32 v50, v46, v44, -v48
	v_fmac_f32_e32 v50, v46, v41
	v_add_f32_e32 v51, v48, v50
	v_sub_f32_e32 v52, v47, v51
	v_sub_f32_e32 v47, v47, v52
	;; [unrolled: 1-line block ×4, first 2 shown]
	v_add_f32_e32 v45, v45, v47
	v_sub_f32_e32 v47, v48, v50
	v_add_f32_e32 v45, v47, v45
	v_add_f32_e32 v47, v52, v45
	v_mul_f32_e32 v48, v49, v47
	v_mul_f32_e32 v50, v44, v48
	v_fma_f32 v44, v48, v44, -v50
	v_fmac_f32_e32 v44, v48, v41
	v_sub_f32_e32 v41, v52, v47
	v_add_f32_e32 v41, v45, v41
	v_add_f32_e32 v45, v50, v44
	v_sub_f32_e32 v51, v47, v45
	v_sub_f32_e32 v47, v47, v51
	;; [unrolled: 1-line block ×4, first 2 shown]
	v_add_f32_e32 v41, v41, v45
	v_sub_f32_e32 v44, v50, v44
	v_add_f32_e32 v41, v44, v41
	v_add_f32_e32 v44, v46, v48
	;; [unrolled: 1-line block ×3, first 2 shown]
	v_sub_f32_e32 v45, v44, v46
	v_mul_f32_e32 v41, v49, v41
	v_sub_f32_e32 v45, v48, v45
	v_add_f32_e32 v41, v45, v41
	v_cvt_f32_i32_e32 v40, v40
	v_add_f32_e32 v45, v44, v41
	v_mul_f32_e32 v46, v45, v45
	v_mov_b32_e32 v47, 0x3ecc95a3
	v_fmac_f32_e32 v47, 0x3e9b6dac, v46
	v_mov_b32_e32 v48, 0x3f2aaada
	v_fmac_f32_e32 v48, v46, v47
	s_mov_b32 s4, 0x3f317218
	v_mul_f32_e32 v47, 0x3f317218, v40
	v_fma_f32 v49, v40, s4, -v47
	v_fmac_f32_e32 v49, 0xb102e308, v40
	v_sub_f32_e32 v40, v45, v44
	v_sub_f32_e32 v40, v41, v40
	v_add_f32_e32 v41, v47, v49
	v_sub_f32_e32 v44, v41, v47
	v_ldexp_f32 v47, v45, 1
	v_mul_f32_e32 v45, v45, v46
	v_mul_f32_e32 v45, v45, v48
	v_add_f32_e32 v46, v47, v45
	v_sub_f32_e32 v47, v46, v47
	v_ldexp_f32 v40, v40, 1
	v_sub_f32_e32 v45, v45, v47
	v_add_f32_e32 v40, v40, v45
	v_add_f32_e32 v45, v46, v40
	v_sub_f32_e32 v46, v45, v46
	v_sub_f32_e32 v40, v40, v46
	v_add_f32_e32 v46, v41, v45
	v_sub_f32_e32 v47, v46, v41
	v_sub_f32_e32 v48, v46, v47
	;; [unrolled: 1-line block ×5, first 2 shown]
	v_add_f32_e32 v41, v45, v41
	v_add_f32_e32 v45, v44, v40
	v_sub_f32_e32 v47, v45, v44
	v_sub_f32_e32 v48, v45, v47
	v_sub_f32_e32 v44, v44, v48
	v_sub_f32_e32 v40, v40, v47
	v_add_f32_e32 v41, v45, v41
	v_add_f32_e32 v40, v40, v44
	;; [unrolled: 1-line block ×3, first 2 shown]
	v_sub_f32_e32 v45, v44, v46
	v_sub_f32_e32 v41, v41, v45
	v_add_f32_e32 v40, v40, v41
	v_add_f32_e32 v40, v44, v40
	v_cmp_neq_f32_e64 s[4:5], s33, v43
	v_cndmask_b32_e64 v40, v42, v40, s[4:5]
	s_mov_b32 s4, 0x33800000
	v_cmp_lt_f32_e64 s[4:5], |v43|, s4
	v_cndmask_b32_e64 v40, v40, v43, s[4:5]
	v_add_f32_e32 v40, v39, v40
.LBB147_88:
	s_or_b64 exec, exec, s[62:63]
	v_mov_b32_e32 v39, v40
.LBB147_89:
	s_or_b64 exec, exec, s[68:69]
	s_nop 0
	v_mov_b32_dpp v40, v39 row_shr:2 row_mask:0xf bank_mask:0xf
	v_cmp_lt_u32_e64 s[4:5], 1, v38
	s_and_saveexec_b64 s[68:69], s[4:5]
	s_cbranch_execz .LBB147_93
; %bb.90:
	v_max_f32_e32 v38, v39, v39
	v_max_f32_e32 v42, v40, v40
	v_min_f32_e32 v41, v42, v38
	v_cmp_u_f32_e64 s[4:5], v40, v40
	v_max_f32_e32 v38, v42, v38
	v_cndmask_b32_e64 v41, v41, v40, s[4:5]
	v_cmp_u_f32_e64 s[62:63], v39, v39
	v_cndmask_b32_e64 v38, v38, v40, s[4:5]
	v_cndmask_b32_e64 v41, v41, v39, s[62:63]
	v_cndmask_b32_e64 v38, v38, v39, s[62:63]
	s_movk_i32 s33, 0x1f8
	v_cmp_neq_f32_e64 s[4:5], v41, v38
	v_cmp_class_f32_e64 s[62:63], v41, s33
	s_or_b64 s[4:5], s[4:5], s[62:63]
	s_and_saveexec_b64 s[62:63], s[4:5]
	s_cbranch_execz .LBB147_92
; %bb.91:
	v_sub_f32_e32 v39, v41, v38
	s_mov_b32 s4, 0x3fb8aa3b
	v_mul_f32_e32 v40, 0x3fb8aa3b, v39
	v_fma_f32 v41, v39, s4, -v40
	v_rndne_f32_e32 v42, v40
	v_fmac_f32_e32 v41, 0x32a5705f, v39
	v_sub_f32_e32 v40, v40, v42
	v_add_f32_e32 v40, v40, v41
	v_exp_f32_e32 v40, v40
	v_cvt_i32_f32_e32 v41, v42
	s_mov_b32 s4, 0xc2ce8ed0
	v_cmp_ngt_f32_e64 s[4:5], s4, v39
	s_mov_b32 s33, 0x7f800000
	v_ldexp_f32 v40, v40, v41
	v_cndmask_b32_e64 v40, 0, v40, s[4:5]
	s_mov_b32 s4, 0x42b17218
	v_mov_b32_e32 v41, 0x7f800000
	v_cmp_nlt_f32_e64 s[4:5], s4, v39
	v_cndmask_b32_e64 v42, v41, v40, s[4:5]
	v_add_f32_e32 v43, 1.0, v42
	v_cvt_f64_f32_e32 v[39:40], v43
	v_add_f32_e32 v44, -1.0, v43
	v_sub_f32_e32 v45, v44, v43
	v_sub_f32_e32 v44, v42, v44
	v_frexp_exp_i32_f64_e32 v39, v[39:40]
	v_add_f32_e32 v40, 1.0, v45
	v_add_f32_e32 v40, v44, v40
	v_frexp_mant_f32_e32 v44, v43
	s_mov_b32 s4, 0x3f2aaaab
	v_cmp_gt_f32_e64 s[4:5], s4, v44
	v_subbrev_co_u32_e64 v39, s[4:5], 0, v39, s[4:5]
	v_sub_u32_e32 v44, 0, v39
	v_ldexp_f32 v43, v43, v44
	v_ldexp_f32 v40, v40, v44
	v_add_f32_e32 v44, -1.0, v43
	v_add_f32_e32 v47, 1.0, v43
	v_add_f32_e32 v45, 1.0, v44
	v_add_f32_e32 v48, -1.0, v47
	v_sub_f32_e32 v45, v43, v45
	v_sub_f32_e32 v43, v43, v48
	v_add_f32_e32 v45, v40, v45
	v_add_f32_e32 v40, v40, v43
	;; [unrolled: 1-line block ×3, first 2 shown]
	v_rcp_f32_e32 v48, v43
	v_add_f32_e32 v46, v44, v45
	v_sub_f32_e32 v44, v44, v46
	v_add_f32_e32 v44, v45, v44
	v_sub_f32_e32 v45, v47, v43
	v_add_f32_e32 v40, v40, v45
	v_mul_f32_e32 v45, v46, v48
	v_mul_f32_e32 v47, v43, v45
	v_fma_f32 v49, v45, v43, -v47
	v_fmac_f32_e32 v49, v45, v40
	v_add_f32_e32 v50, v47, v49
	v_sub_f32_e32 v51, v46, v50
	v_sub_f32_e32 v46, v46, v51
	;; [unrolled: 1-line block ×4, first 2 shown]
	v_add_f32_e32 v44, v44, v46
	v_sub_f32_e32 v46, v47, v49
	v_add_f32_e32 v44, v46, v44
	v_add_f32_e32 v46, v51, v44
	v_mul_f32_e32 v47, v48, v46
	v_mul_f32_e32 v49, v43, v47
	v_fma_f32 v43, v47, v43, -v49
	v_fmac_f32_e32 v43, v47, v40
	v_sub_f32_e32 v40, v51, v46
	v_add_f32_e32 v40, v44, v40
	v_add_f32_e32 v44, v49, v43
	v_sub_f32_e32 v50, v46, v44
	v_sub_f32_e32 v46, v46, v50
	;; [unrolled: 1-line block ×4, first 2 shown]
	v_add_f32_e32 v40, v40, v44
	v_sub_f32_e32 v43, v49, v43
	v_add_f32_e32 v40, v43, v40
	v_add_f32_e32 v43, v45, v47
	;; [unrolled: 1-line block ×3, first 2 shown]
	v_sub_f32_e32 v44, v43, v45
	v_mul_f32_e32 v40, v48, v40
	v_sub_f32_e32 v44, v47, v44
	v_add_f32_e32 v40, v44, v40
	v_cvt_f32_i32_e32 v39, v39
	v_add_f32_e32 v44, v43, v40
	v_mul_f32_e32 v45, v44, v44
	v_mov_b32_e32 v46, 0x3ecc95a3
	v_fmac_f32_e32 v46, 0x3e9b6dac, v45
	v_mov_b32_e32 v47, 0x3f2aaada
	v_fmac_f32_e32 v47, v45, v46
	s_mov_b32 s4, 0x3f317218
	v_mul_f32_e32 v46, 0x3f317218, v39
	v_fma_f32 v48, v39, s4, -v46
	v_fmac_f32_e32 v48, 0xb102e308, v39
	v_sub_f32_e32 v39, v44, v43
	v_sub_f32_e32 v39, v40, v39
	v_add_f32_e32 v40, v46, v48
	v_sub_f32_e32 v43, v40, v46
	v_ldexp_f32 v46, v44, 1
	v_mul_f32_e32 v44, v44, v45
	v_mul_f32_e32 v44, v44, v47
	v_add_f32_e32 v45, v46, v44
	v_sub_f32_e32 v46, v45, v46
	v_ldexp_f32 v39, v39, 1
	v_sub_f32_e32 v44, v44, v46
	v_add_f32_e32 v39, v39, v44
	v_add_f32_e32 v44, v45, v39
	v_sub_f32_e32 v45, v44, v45
	v_sub_f32_e32 v39, v39, v45
	v_add_f32_e32 v45, v40, v44
	v_sub_f32_e32 v46, v45, v40
	v_sub_f32_e32 v47, v45, v46
	;; [unrolled: 1-line block ×5, first 2 shown]
	v_add_f32_e32 v40, v44, v40
	v_add_f32_e32 v44, v43, v39
	v_sub_f32_e32 v46, v44, v43
	v_sub_f32_e32 v47, v44, v46
	;; [unrolled: 1-line block ×4, first 2 shown]
	v_add_f32_e32 v40, v44, v40
	v_add_f32_e32 v39, v39, v43
	;; [unrolled: 1-line block ×3, first 2 shown]
	v_sub_f32_e32 v44, v43, v45
	v_sub_f32_e32 v40, v40, v44
	v_add_f32_e32 v39, v39, v40
	v_add_f32_e32 v39, v43, v39
	v_cmp_neq_f32_e64 s[4:5], s33, v42
	v_cndmask_b32_e64 v39, v41, v39, s[4:5]
	s_mov_b32 s4, 0x33800000
	v_cmp_lt_f32_e64 s[4:5], |v42|, s4
	v_cndmask_b32_e64 v39, v39, v42, s[4:5]
	v_add_f32_e32 v40, v38, v39
.LBB147_92:
	s_or_b64 exec, exec, s[62:63]
	v_mov_b32_e32 v39, v40
.LBB147_93:
	s_or_b64 exec, exec, s[68:69]
	ds_write_b32 v16, v39
.LBB147_94:
	s_or_b64 exec, exec, s[66:67]
	v_cmp_lt_u32_e64 s[4:5], 63, v0
	s_waitcnt lgkmcnt(0)
	s_barrier
                                        ; implicit-def: $vgpr38
	s_and_saveexec_b64 s[66:67], s[4:5]
	s_cbranch_execz .LBB147_98
; %bb.95:
	v_lshl_add_u32 v37, v37, 2, -4
	ds_read_b32 v38, v37
	v_max_f32_e32 v37, v36, v36
	v_cmp_u_f32_e64 s[62:63], v36, v36
	s_movk_i32 s33, 0x1f8
	s_waitcnt lgkmcnt(0)
	v_max_f32_e32 v39, v38, v38
	v_min_f32_e32 v40, v39, v37
	v_max_f32_e32 v37, v39, v37
	v_cmp_u_f32_e64 s[4:5], v38, v38
	v_cndmask_b32_e64 v39, v40, v38, s[4:5]
	v_cndmask_b32_e64 v37, v37, v38, s[4:5]
	;; [unrolled: 1-line block ×4, first 2 shown]
	v_cmp_neq_f32_e64 s[4:5], v39, v37
	v_cmp_class_f32_e64 s[62:63], v39, s33
	s_or_b64 s[4:5], s[4:5], s[62:63]
	v_mov_b32_e32 v36, v38
	s_and_saveexec_b64 s[62:63], s[4:5]
	s_cbranch_execz .LBB147_97
; %bb.96:
	v_sub_f32_e32 v36, v39, v37
	s_mov_b32 s4, 0x3fb8aa3b
	v_mul_f32_e32 v39, 0x3fb8aa3b, v36
	v_fma_f32 v40, v36, s4, -v39
	v_rndne_f32_e32 v41, v39
	v_fmac_f32_e32 v40, 0x32a5705f, v36
	v_sub_f32_e32 v39, v39, v41
	v_add_f32_e32 v39, v39, v40
	v_exp_f32_e32 v39, v39
	v_cvt_i32_f32_e32 v40, v41
	s_mov_b32 s4, 0xc2ce8ed0
	v_cmp_ngt_f32_e64 s[4:5], s4, v36
	v_mov_b32_e32 v41, 0x7f800000
	v_ldexp_f32 v39, v39, v40
	v_cndmask_b32_e64 v39, 0, v39, s[4:5]
	s_mov_b32 s4, 0x42b17218
	v_cmp_nlt_f32_e64 s[4:5], s4, v36
	v_cndmask_b32_e64 v36, v41, v39, s[4:5]
	v_add_f32_e32 v42, 1.0, v36
	v_cvt_f64_f32_e32 v[39:40], v42
	v_add_f32_e32 v43, -1.0, v42
	v_sub_f32_e32 v44, v43, v42
	v_sub_f32_e32 v43, v36, v43
	v_frexp_exp_i32_f64_e32 v39, v[39:40]
	v_add_f32_e32 v40, 1.0, v44
	v_add_f32_e32 v40, v43, v40
	v_frexp_mant_f32_e32 v43, v42
	s_mov_b32 s4, 0x3f2aaaab
	v_cmp_gt_f32_e64 s[4:5], s4, v43
	s_mov_b32 s33, 0x7f800000
	v_subbrev_co_u32_e64 v39, s[4:5], 0, v39, s[4:5]
	v_sub_u32_e32 v43, 0, v39
	v_ldexp_f32 v42, v42, v43
	v_ldexp_f32 v40, v40, v43
	v_add_f32_e32 v43, -1.0, v42
	v_add_f32_e32 v46, 1.0, v42
	v_add_f32_e32 v44, 1.0, v43
	v_add_f32_e32 v47, -1.0, v46
	v_sub_f32_e32 v44, v42, v44
	v_sub_f32_e32 v42, v42, v47
	v_add_f32_e32 v44, v40, v44
	v_add_f32_e32 v40, v40, v42
	;; [unrolled: 1-line block ×3, first 2 shown]
	v_rcp_f32_e32 v47, v42
	v_add_f32_e32 v45, v43, v44
	v_sub_f32_e32 v43, v43, v45
	v_add_f32_e32 v43, v44, v43
	v_sub_f32_e32 v44, v46, v42
	v_add_f32_e32 v40, v40, v44
	v_mul_f32_e32 v44, v45, v47
	v_mul_f32_e32 v46, v42, v44
	v_fma_f32 v48, v44, v42, -v46
	v_fmac_f32_e32 v48, v44, v40
	v_add_f32_e32 v49, v46, v48
	v_sub_f32_e32 v50, v45, v49
	v_sub_f32_e32 v45, v45, v50
	;; [unrolled: 1-line block ×4, first 2 shown]
	v_add_f32_e32 v43, v43, v45
	v_sub_f32_e32 v45, v46, v48
	v_add_f32_e32 v43, v45, v43
	v_add_f32_e32 v45, v50, v43
	v_mul_f32_e32 v46, v47, v45
	v_mul_f32_e32 v48, v42, v46
	v_fma_f32 v42, v46, v42, -v48
	v_fmac_f32_e32 v42, v46, v40
	v_sub_f32_e32 v40, v50, v45
	v_add_f32_e32 v40, v43, v40
	v_add_f32_e32 v43, v48, v42
	v_sub_f32_e32 v49, v45, v43
	v_sub_f32_e32 v45, v45, v49
	;; [unrolled: 1-line block ×4, first 2 shown]
	v_add_f32_e32 v40, v40, v43
	v_sub_f32_e32 v42, v48, v42
	v_add_f32_e32 v40, v42, v40
	v_add_f32_e32 v42, v44, v46
	;; [unrolled: 1-line block ×3, first 2 shown]
	v_sub_f32_e32 v43, v42, v44
	v_mul_f32_e32 v40, v47, v40
	v_sub_f32_e32 v43, v46, v43
	v_add_f32_e32 v40, v43, v40
	v_cvt_f32_i32_e32 v39, v39
	v_add_f32_e32 v43, v42, v40
	v_mul_f32_e32 v44, v43, v43
	v_mov_b32_e32 v45, 0x3ecc95a3
	v_fmac_f32_e32 v45, 0x3e9b6dac, v44
	v_mov_b32_e32 v46, 0x3f2aaada
	v_fmac_f32_e32 v46, v44, v45
	s_mov_b32 s4, 0x3f317218
	v_mul_f32_e32 v45, 0x3f317218, v39
	v_fma_f32 v47, v39, s4, -v45
	v_fmac_f32_e32 v47, 0xb102e308, v39
	v_sub_f32_e32 v39, v43, v42
	v_sub_f32_e32 v39, v40, v39
	v_add_f32_e32 v40, v45, v47
	v_sub_f32_e32 v42, v40, v45
	v_ldexp_f32 v45, v43, 1
	v_mul_f32_e32 v43, v43, v44
	v_mul_f32_e32 v43, v43, v46
	v_add_f32_e32 v44, v45, v43
	v_sub_f32_e32 v45, v44, v45
	v_ldexp_f32 v39, v39, 1
	v_sub_f32_e32 v43, v43, v45
	v_add_f32_e32 v39, v39, v43
	v_add_f32_e32 v43, v44, v39
	v_sub_f32_e32 v44, v43, v44
	v_sub_f32_e32 v39, v39, v44
	v_add_f32_e32 v44, v40, v43
	v_sub_f32_e32 v45, v44, v40
	v_sub_f32_e32 v46, v44, v45
	;; [unrolled: 1-line block ×5, first 2 shown]
	v_add_f32_e32 v40, v43, v40
	v_add_f32_e32 v43, v42, v39
	v_sub_f32_e32 v45, v43, v42
	v_sub_f32_e32 v46, v43, v45
	;; [unrolled: 1-line block ×4, first 2 shown]
	v_add_f32_e32 v40, v43, v40
	v_add_f32_e32 v39, v39, v42
	;; [unrolled: 1-line block ×3, first 2 shown]
	v_sub_f32_e32 v43, v42, v44
	v_sub_f32_e32 v40, v40, v43
	v_add_f32_e32 v39, v39, v40
	v_add_f32_e32 v39, v42, v39
	v_cmp_neq_f32_e64 s[4:5], s33, v36
	v_cndmask_b32_e64 v39, v41, v39, s[4:5]
	s_mov_b32 s4, 0x33800000
	v_cmp_lt_f32_e64 s[4:5], |v36|, s4
	v_cndmask_b32_e64 v36, v39, v36, s[4:5]
	v_add_f32_e32 v36, v37, v36
.LBB147_97:
	s_or_b64 exec, exec, s[62:63]
.LBB147_98:
	s_or_b64 exec, exec, s[66:67]
	v_add_u32_e32 v37, -1, v35
	v_and_b32_e32 v39, 64, v35
	v_cmp_lt_i32_e64 s[4:5], v37, v39
	v_cndmask_b32_e64 v37, v37, v35, s[4:5]
	v_lshlrev_b32_e32 v37, 2, v37
	ds_bpermute_b32 v36, v37, v36
	v_cmp_ne_u32_e64 s[4:5], 0, v0
	s_and_saveexec_b64 s[62:63], s[4:5]
	s_cbranch_execz .LBB147_102
; %bb.99:
	v_cmp_eq_u32_e64 s[4:5], 0, v35
	s_waitcnt lgkmcnt(0)
	v_cndmask_b32_e64 v35, v36, v38, s[4:5]
	v_max_f32_e32 v0, v35, v35
	v_min_f32_e32 v31, v0, v32
	v_cmp_u_f32_e64 s[4:5], v35, v35
	v_max_f32_e32 v0, v0, v32
	v_cndmask_b32_e64 v31, v31, v35, s[4:5]
	v_cndmask_b32_e64 v0, v0, v35, s[4:5]
	;; [unrolled: 1-line block ×4, first 2 shown]
	s_movk_i32 s33, 0x1f8
	v_cmp_neq_f32_e64 s[4:5], v31, v0
	v_cmp_class_f32_e64 s[58:59], v31, s33
	s_or_b64 s[4:5], s[4:5], s[58:59]
	s_and_saveexec_b64 s[58:59], s[4:5]
	s_cbranch_execz .LBB147_101
; %bb.100:
	v_sub_f32_e32 v1, v31, v0
	s_mov_b32 s4, 0x3fb8aa3b
	v_mul_f32_e32 v31, 0x3fb8aa3b, v1
	v_fma_f32 v32, v1, s4, -v31
	v_rndne_f32_e32 v33, v31
	v_fmac_f32_e32 v32, 0x32a5705f, v1
	v_sub_f32_e32 v31, v31, v33
	v_add_f32_e32 v31, v31, v32
	v_exp_f32_e32 v31, v31
	v_cvt_i32_f32_e32 v32, v33
	s_mov_b32 s4, 0xc2ce8ed0
	v_cmp_ngt_f32_e64 s[4:5], s4, v1
	v_mov_b32_e32 v33, 0x7f800000
	v_ldexp_f32 v31, v31, v32
	v_cndmask_b32_e64 v31, 0, v31, s[4:5]
	s_mov_b32 s4, 0x42b17218
	v_cmp_nlt_f32_e64 s[4:5], s4, v1
	v_cndmask_b32_e64 v1, v33, v31, s[4:5]
	v_add_f32_e32 v35, 1.0, v1
	v_cvt_f64_f32_e32 v[31:32], v35
	v_add_f32_e32 v36, -1.0, v35
	v_sub_f32_e32 v37, v36, v35
	v_sub_f32_e32 v36, v1, v36
	v_frexp_exp_i32_f64_e32 v31, v[31:32]
	v_add_f32_e32 v32, 1.0, v37
	v_add_f32_e32 v32, v36, v32
	v_frexp_mant_f32_e32 v36, v35
	s_mov_b32 s4, 0x3f2aaaab
	v_cmp_gt_f32_e64 s[4:5], s4, v36
	s_mov_b32 s33, 0x7f800000
	v_subbrev_co_u32_e64 v31, s[4:5], 0, v31, s[4:5]
	v_sub_u32_e32 v36, 0, v31
	v_ldexp_f32 v35, v35, v36
	v_ldexp_f32 v32, v32, v36
	v_add_f32_e32 v36, -1.0, v35
	v_add_f32_e32 v39, 1.0, v35
	v_add_f32_e32 v37, 1.0, v36
	v_add_f32_e32 v40, -1.0, v39
	v_sub_f32_e32 v37, v35, v37
	v_sub_f32_e32 v35, v35, v40
	v_add_f32_e32 v37, v32, v37
	v_add_f32_e32 v32, v32, v35
	;; [unrolled: 1-line block ×3, first 2 shown]
	v_rcp_f32_e32 v40, v35
	v_add_f32_e32 v38, v36, v37
	v_sub_f32_e32 v36, v36, v38
	v_add_f32_e32 v36, v37, v36
	v_sub_f32_e32 v37, v39, v35
	v_add_f32_e32 v32, v32, v37
	v_mul_f32_e32 v37, v38, v40
	v_mul_f32_e32 v39, v35, v37
	v_fma_f32 v41, v37, v35, -v39
	v_fmac_f32_e32 v41, v37, v32
	v_add_f32_e32 v42, v39, v41
	v_sub_f32_e32 v43, v38, v42
	v_sub_f32_e32 v38, v38, v43
	;; [unrolled: 1-line block ×4, first 2 shown]
	v_add_f32_e32 v36, v36, v38
	v_sub_f32_e32 v38, v39, v41
	v_add_f32_e32 v36, v38, v36
	v_add_f32_e32 v38, v43, v36
	v_mul_f32_e32 v39, v40, v38
	v_mul_f32_e32 v41, v35, v39
	v_fma_f32 v35, v39, v35, -v41
	v_fmac_f32_e32 v35, v39, v32
	v_sub_f32_e32 v32, v43, v38
	v_add_f32_e32 v32, v36, v32
	v_add_f32_e32 v36, v41, v35
	v_sub_f32_e32 v42, v38, v36
	v_sub_f32_e32 v38, v38, v42
	;; [unrolled: 1-line block ×4, first 2 shown]
	v_add_f32_e32 v32, v32, v36
	v_sub_f32_e32 v35, v41, v35
	v_add_f32_e32 v32, v35, v32
	v_add_f32_e32 v35, v37, v39
	v_add_f32_e32 v32, v42, v32
	v_sub_f32_e32 v36, v35, v37
	v_mul_f32_e32 v32, v40, v32
	v_sub_f32_e32 v36, v39, v36
	v_add_f32_e32 v32, v36, v32
	v_cvt_f32_i32_e32 v31, v31
	v_add_f32_e32 v36, v35, v32
	v_mul_f32_e32 v37, v36, v36
	v_mov_b32_e32 v38, 0x3ecc95a3
	v_fmac_f32_e32 v38, 0x3e9b6dac, v37
	v_mov_b32_e32 v39, 0x3f2aaada
	v_fmac_f32_e32 v39, v37, v38
	s_mov_b32 s4, 0x3f317218
	v_mul_f32_e32 v38, 0x3f317218, v31
	v_fma_f32 v40, v31, s4, -v38
	v_fmac_f32_e32 v40, 0xb102e308, v31
	v_sub_f32_e32 v31, v36, v35
	v_sub_f32_e32 v31, v32, v31
	v_add_f32_e32 v32, v38, v40
	v_sub_f32_e32 v35, v32, v38
	v_ldexp_f32 v38, v36, 1
	v_mul_f32_e32 v36, v36, v37
	v_mul_f32_e32 v36, v36, v39
	v_add_f32_e32 v37, v38, v36
	v_sub_f32_e32 v38, v37, v38
	v_ldexp_f32 v31, v31, 1
	v_sub_f32_e32 v36, v36, v38
	v_add_f32_e32 v31, v31, v36
	v_add_f32_e32 v36, v37, v31
	v_sub_f32_e32 v37, v36, v37
	v_sub_f32_e32 v31, v31, v37
	v_add_f32_e32 v37, v32, v36
	v_sub_f32_e32 v38, v37, v32
	v_sub_f32_e32 v39, v37, v38
	;; [unrolled: 1-line block ×5, first 2 shown]
	v_add_f32_e32 v32, v36, v32
	v_add_f32_e32 v36, v35, v31
	v_sub_f32_e32 v38, v36, v35
	v_sub_f32_e32 v39, v36, v38
	;; [unrolled: 1-line block ×4, first 2 shown]
	v_add_f32_e32 v32, v36, v32
	v_add_f32_e32 v31, v31, v35
	;; [unrolled: 1-line block ×3, first 2 shown]
	v_sub_f32_e32 v36, v35, v37
	v_sub_f32_e32 v32, v32, v36
	v_add_f32_e32 v31, v31, v32
	v_add_f32_e32 v31, v35, v31
	v_cmp_neq_f32_e64 s[4:5], s33, v1
	v_cndmask_b32_e64 v31, v33, v31, s[4:5]
	s_mov_b32 s4, 0x33800000
	v_cmp_lt_f32_e64 s[4:5], |v1|, s4
	v_cndmask_b32_e64 v1, v31, v1, s[4:5]
	v_add_f32_e32 v35, v0, v1
.LBB147_101:
	s_or_b64 exec, exec, s[58:59]
	v_max_f32_e32 v0, v35, v35
	v_min_f32_e32 v31, v0, v23
	v_max_f32_e32 v33, v0, v23
	v_mov_b32_e32 v1, v35
	;;#ASMSTART
	;;#ASMEND
.LBB147_102:
	s_or_b64 exec, exec, s[62:63]
	v_cmp_u_f32_e64 s[4:5], v1, v1
	v_cndmask_b32_e64 v0, v31, v1, s[4:5]
	v_cndmask_b32_e64 v23, v0, v2, s[28:29]
	;; [unrolled: 1-line block ×4, first 2 shown]
	s_movk_i32 s33, 0x1f8
	v_cmp_neq_f32_e64 s[4:5], v23, v2
	v_cmp_class_f32_e64 s[28:29], v23, s33
	s_or_b64 s[4:5], s[4:5], s[28:29]
	v_mov_b32_e32 v0, v1
	s_and_saveexec_b64 s[28:29], s[4:5]
	s_cbranch_execz .LBB147_104
; %bb.103:
	v_sub_f32_e32 v0, v23, v2
	s_mov_b32 s4, 0x3fb8aa3b
	v_mul_f32_e32 v23, 0x3fb8aa3b, v0
	v_fma_f32 v31, v0, s4, -v23
	v_rndne_f32_e32 v32, v23
	v_fmac_f32_e32 v31, 0x32a5705f, v0
	v_sub_f32_e32 v23, v23, v32
	v_add_f32_e32 v23, v23, v31
	v_exp_f32_e32 v23, v23
	v_cvt_i32_f32_e32 v31, v32
	s_mov_b32 s4, 0xc2ce8ed0
	v_cmp_ngt_f32_e64 s[4:5], s4, v0
	v_mov_b32_e32 v33, 0x7f800000
	v_ldexp_f32 v23, v23, v31
	v_cndmask_b32_e64 v23, 0, v23, s[4:5]
	s_mov_b32 s4, 0x42b17218
	v_cmp_nlt_f32_e64 s[4:5], s4, v0
	v_cndmask_b32_e64 v0, v33, v23, s[4:5]
	v_add_f32_e32 v23, 1.0, v0
	v_cvt_f64_f32_e32 v[31:32], v23
	v_add_f32_e32 v35, -1.0, v23
	s_waitcnt lgkmcnt(0)
	v_sub_f32_e32 v36, v35, v23
	v_sub_f32_e32 v35, v0, v35
	v_frexp_exp_i32_f64_e32 v31, v[31:32]
	v_add_f32_e32 v32, 1.0, v36
	v_add_f32_e32 v32, v35, v32
	v_frexp_mant_f32_e32 v35, v23
	s_mov_b32 s4, 0x3f2aaaab
	v_cmp_gt_f32_e64 s[4:5], s4, v35
	s_mov_b32 s58, 0x7f800000
	v_subbrev_co_u32_e64 v31, s[4:5], 0, v31, s[4:5]
	v_sub_u32_e32 v35, 0, v31
	v_ldexp_f32 v23, v23, v35
	v_ldexp_f32 v32, v32, v35
	v_add_f32_e32 v35, -1.0, v23
	v_add_f32_e32 v38, 1.0, v23
	v_add_f32_e32 v36, 1.0, v35
	v_add_f32_e32 v39, -1.0, v38
	v_sub_f32_e32 v36, v23, v36
	v_sub_f32_e32 v23, v23, v39
	v_add_f32_e32 v23, v32, v23
	v_add_f32_e32 v36, v32, v36
	;; [unrolled: 1-line block ×3, first 2 shown]
	v_rcp_f32_e32 v39, v32
	v_add_f32_e32 v37, v35, v36
	v_sub_f32_e32 v35, v35, v37
	v_add_f32_e32 v35, v36, v35
	v_sub_f32_e32 v36, v38, v32
	v_add_f32_e32 v23, v23, v36
	v_mul_f32_e32 v36, v37, v39
	v_mul_f32_e32 v38, v32, v36
	v_fma_f32 v40, v36, v32, -v38
	v_fmac_f32_e32 v40, v36, v23
	v_add_f32_e32 v41, v38, v40
	v_sub_f32_e32 v42, v37, v41
	v_sub_f32_e32 v37, v37, v42
	;; [unrolled: 1-line block ×4, first 2 shown]
	v_add_f32_e32 v35, v35, v37
	v_sub_f32_e32 v37, v38, v40
	v_add_f32_e32 v35, v37, v35
	v_add_f32_e32 v37, v42, v35
	v_mul_f32_e32 v38, v39, v37
	v_mul_f32_e32 v40, v32, v38
	v_fma_f32 v32, v38, v32, -v40
	v_fmac_f32_e32 v32, v38, v23
	v_sub_f32_e32 v23, v42, v37
	v_add_f32_e32 v23, v35, v23
	v_add_f32_e32 v35, v40, v32
	v_sub_f32_e32 v41, v37, v35
	v_sub_f32_e32 v37, v37, v41
	;; [unrolled: 1-line block ×4, first 2 shown]
	v_add_f32_e32 v23, v23, v35
	v_sub_f32_e32 v32, v40, v32
	v_add_f32_e32 v23, v32, v23
	v_add_f32_e32 v32, v36, v38
	;; [unrolled: 1-line block ×3, first 2 shown]
	v_sub_f32_e32 v35, v32, v36
	v_mul_f32_e32 v23, v39, v23
	v_sub_f32_e32 v35, v38, v35
	v_add_f32_e32 v23, v35, v23
	v_cvt_f32_i32_e32 v31, v31
	v_add_f32_e32 v35, v32, v23
	v_mul_f32_e32 v36, v35, v35
	v_mov_b32_e32 v37, 0x3ecc95a3
	v_fmac_f32_e32 v37, 0x3e9b6dac, v36
	v_mov_b32_e32 v38, 0x3f2aaada
	v_fmac_f32_e32 v38, v36, v37
	s_mov_b32 s4, 0x3f317218
	v_mul_f32_e32 v37, 0x3f317218, v31
	v_fma_f32 v39, v31, s4, -v37
	v_fmac_f32_e32 v39, 0xb102e308, v31
	v_sub_f32_e32 v31, v35, v32
	v_sub_f32_e32 v23, v23, v31
	v_add_f32_e32 v31, v37, v39
	v_sub_f32_e32 v32, v31, v37
	v_ldexp_f32 v37, v35, 1
	v_mul_f32_e32 v35, v35, v36
	v_mul_f32_e32 v35, v35, v38
	v_add_f32_e32 v36, v37, v35
	v_sub_f32_e32 v37, v36, v37
	v_ldexp_f32 v23, v23, 1
	v_sub_f32_e32 v35, v35, v37
	v_add_f32_e32 v23, v23, v35
	v_add_f32_e32 v35, v36, v23
	v_sub_f32_e32 v36, v35, v36
	v_sub_f32_e32 v23, v23, v36
	v_add_f32_e32 v36, v31, v35
	v_sub_f32_e32 v37, v36, v31
	v_sub_f32_e32 v38, v36, v37
	v_sub_f32_e32 v32, v39, v32
	v_sub_f32_e32 v31, v31, v38
	v_sub_f32_e32 v35, v35, v37
	v_add_f32_e32 v31, v35, v31
	v_add_f32_e32 v35, v32, v23
	v_sub_f32_e32 v37, v35, v32
	v_sub_f32_e32 v38, v35, v37
	;; [unrolled: 1-line block ×4, first 2 shown]
	v_add_f32_e32 v31, v35, v31
	v_add_f32_e32 v23, v23, v32
	;; [unrolled: 1-line block ×3, first 2 shown]
	v_sub_f32_e32 v35, v32, v36
	v_sub_f32_e32 v31, v31, v35
	v_add_f32_e32 v23, v23, v31
	v_add_f32_e32 v23, v32, v23
	v_cmp_neq_f32_e64 s[4:5], s58, v0
	v_cndmask_b32_e64 v23, v33, v23, s[4:5]
	s_mov_b32 s4, 0x33800000
	v_cmp_lt_f32_e64 s[4:5], |v0|, s4
	v_cndmask_b32_e64 v0, v23, v0, s[4:5]
	v_add_f32_e32 v0, v2, v0
.LBB147_104:
	s_or_b64 exec, exec, s[28:29]
	v_max_f32_e32 v2, v0, v0
	v_min_f32_e32 v23, v2, v17
	v_cmp_u_f32_e64 s[4:5], v0, v0
	v_max_f32_e32 v2, v2, v17
	v_cndmask_b32_e64 v23, v23, v0, s[4:5]
	v_cndmask_b32_e64 v2, v2, v0, s[4:5]
	;; [unrolled: 1-line block ×4, first 2 shown]
	v_cmp_neq_f32_e64 s[4:5], v23, v13
	v_cmp_class_f32_e64 s[28:29], v23, s33
	s_or_b64 s[4:5], s[4:5], s[28:29]
	v_mov_b32_e32 v2, v0
	s_and_saveexec_b64 s[28:29], s[4:5]
	s_cbranch_execz .LBB147_106
; %bb.105:
	v_sub_f32_e32 v2, v23, v13
	s_mov_b32 s4, 0x3fb8aa3b
	v_mul_f32_e32 v17, 0x3fb8aa3b, v2
	v_fma_f32 v23, v2, s4, -v17
	v_rndne_f32_e32 v31, v17
	v_fmac_f32_e32 v23, 0x32a5705f, v2
	v_sub_f32_e32 v17, v17, v31
	v_add_f32_e32 v17, v17, v23
	v_exp_f32_e32 v17, v17
	v_cvt_i32_f32_e32 v23, v31
	s_mov_b32 s4, 0xc2ce8ed0
	v_cmp_ngt_f32_e64 s[4:5], s4, v2
	s_mov_b32 s30, 0x7f800000
	v_ldexp_f32 v17, v17, v23
	v_cndmask_b32_e64 v17, 0, v17, s[4:5]
	s_mov_b32 s4, 0x42b17218
	v_mov_b32_e32 v23, 0x7f800000
	v_cmp_nlt_f32_e64 s[4:5], s4, v2
	v_cndmask_b32_e64 v2, v23, v17, s[4:5]
	v_add_f32_e32 v17, 1.0, v2
	v_cvt_f64_f32_e32 v[31:32], v17
	v_add_f32_e32 v33, -1.0, v17
	v_sub_f32_e32 v35, v33, v17
	v_sub_f32_e32 v33, v2, v33
	v_frexp_exp_i32_f64_e32 v31, v[31:32]
	v_add_f32_e32 v32, 1.0, v35
	v_add_f32_e32 v32, v33, v32
	v_frexp_mant_f32_e32 v33, v17
	s_mov_b32 s4, 0x3f2aaaab
	v_cmp_gt_f32_e64 s[4:5], s4, v33
	v_subbrev_co_u32_e64 v31, s[4:5], 0, v31, s[4:5]
	v_sub_u32_e32 v33, 0, v31
	v_ldexp_f32 v17, v17, v33
	v_ldexp_f32 v32, v32, v33
	v_add_f32_e32 v33, -1.0, v17
	v_add_f32_e32 v37, 1.0, v17
	v_add_f32_e32 v35, 1.0, v33
	v_add_f32_e32 v38, -1.0, v37
	v_sub_f32_e32 v35, v17, v35
	v_sub_f32_e32 v17, v17, v38
	v_add_f32_e32 v17, v32, v17
	v_add_f32_e32 v35, v32, v35
	;; [unrolled: 1-line block ×3, first 2 shown]
	v_rcp_f32_e32 v38, v32
	s_waitcnt lgkmcnt(0)
	v_add_f32_e32 v36, v33, v35
	v_sub_f32_e32 v33, v33, v36
	v_add_f32_e32 v33, v35, v33
	v_sub_f32_e32 v35, v37, v32
	v_add_f32_e32 v17, v17, v35
	v_mul_f32_e32 v35, v36, v38
	v_mul_f32_e32 v37, v32, v35
	v_fma_f32 v39, v35, v32, -v37
	v_fmac_f32_e32 v39, v35, v17
	v_add_f32_e32 v40, v37, v39
	v_sub_f32_e32 v41, v36, v40
	v_sub_f32_e32 v36, v36, v41
	;; [unrolled: 1-line block ×4, first 2 shown]
	v_add_f32_e32 v33, v33, v36
	v_sub_f32_e32 v36, v37, v39
	v_add_f32_e32 v33, v36, v33
	v_add_f32_e32 v36, v41, v33
	v_mul_f32_e32 v37, v38, v36
	v_mul_f32_e32 v39, v32, v37
	v_fma_f32 v32, v37, v32, -v39
	v_fmac_f32_e32 v32, v37, v17
	v_sub_f32_e32 v17, v41, v36
	v_add_f32_e32 v17, v33, v17
	v_add_f32_e32 v33, v39, v32
	v_sub_f32_e32 v40, v36, v33
	v_sub_f32_e32 v36, v36, v40
	;; [unrolled: 1-line block ×4, first 2 shown]
	v_add_f32_e32 v17, v17, v33
	v_sub_f32_e32 v32, v39, v32
	v_add_f32_e32 v17, v32, v17
	v_add_f32_e32 v32, v35, v37
	;; [unrolled: 1-line block ×3, first 2 shown]
	v_sub_f32_e32 v33, v32, v35
	v_mul_f32_e32 v17, v38, v17
	v_sub_f32_e32 v33, v37, v33
	v_add_f32_e32 v17, v33, v17
	v_cvt_f32_i32_e32 v31, v31
	v_add_f32_e32 v33, v32, v17
	v_mul_f32_e32 v35, v33, v33
	v_mov_b32_e32 v36, 0x3ecc95a3
	v_fmac_f32_e32 v36, 0x3e9b6dac, v35
	v_mov_b32_e32 v37, 0x3f2aaada
	v_fmac_f32_e32 v37, v35, v36
	s_mov_b32 s4, 0x3f317218
	v_mul_f32_e32 v36, 0x3f317218, v31
	v_fma_f32 v38, v31, s4, -v36
	v_fmac_f32_e32 v38, 0xb102e308, v31
	v_sub_f32_e32 v31, v33, v32
	v_sub_f32_e32 v17, v17, v31
	v_add_f32_e32 v31, v36, v38
	v_sub_f32_e32 v32, v31, v36
	v_ldexp_f32 v36, v33, 1
	v_mul_f32_e32 v33, v33, v35
	v_mul_f32_e32 v33, v33, v37
	v_add_f32_e32 v35, v36, v33
	v_sub_f32_e32 v36, v35, v36
	v_ldexp_f32 v17, v17, 1
	v_sub_f32_e32 v33, v33, v36
	v_add_f32_e32 v17, v17, v33
	v_add_f32_e32 v33, v35, v17
	v_sub_f32_e32 v35, v33, v35
	v_sub_f32_e32 v17, v17, v35
	v_add_f32_e32 v35, v31, v33
	v_sub_f32_e32 v36, v35, v31
	v_sub_f32_e32 v37, v35, v36
	;; [unrolled: 1-line block ×5, first 2 shown]
	v_add_f32_e32 v31, v33, v31
	v_add_f32_e32 v33, v32, v17
	v_sub_f32_e32 v36, v33, v32
	v_sub_f32_e32 v37, v33, v36
	;; [unrolled: 1-line block ×4, first 2 shown]
	v_add_f32_e32 v31, v33, v31
	v_add_f32_e32 v17, v17, v32
	;; [unrolled: 1-line block ×3, first 2 shown]
	v_sub_f32_e32 v33, v32, v35
	v_sub_f32_e32 v31, v31, v33
	v_add_f32_e32 v17, v17, v31
	v_add_f32_e32 v17, v32, v17
	v_cmp_neq_f32_e64 s[4:5], s30, v2
	v_cndmask_b32_e64 v17, v23, v17, s[4:5]
	s_mov_b32 s4, 0x33800000
	v_cmp_lt_f32_e64 s[4:5], |v2|, s4
	v_cndmask_b32_e64 v2, v17, v2, s[4:5]
	v_add_f32_e32 v2, v13, v2
.LBB147_106:
	s_or_b64 exec, exec, s[28:29]
	v_max_f32_e32 v13, v2, v2
	v_min_f32_e32 v17, v13, v18
	v_cmp_u_f32_e64 s[4:5], v2, v2
	v_max_f32_e32 v13, v13, v18
	v_cndmask_b32_e64 v17, v17, v2, s[4:5]
	v_cndmask_b32_e64 v13, v13, v2, s[4:5]
	;; [unrolled: 1-line block ×4, first 2 shown]
	s_movk_i32 s30, 0x1f8
	v_cmp_neq_f32_e64 s[4:5], v17, v14
	v_cmp_class_f32_e64 s[28:29], v17, s30
	s_or_b64 s[4:5], s[4:5], s[28:29]
	v_mov_b32_e32 v13, v2
	s_and_saveexec_b64 s[28:29], s[4:5]
	s_cbranch_execz .LBB147_108
; %bb.107:
	v_sub_f32_e32 v13, v17, v14
	s_mov_b32 s4, 0x3fb8aa3b
	v_mul_f32_e32 v17, 0x3fb8aa3b, v13
	v_fma_f32 v18, v13, s4, -v17
	v_rndne_f32_e32 v23, v17
	v_fmac_f32_e32 v18, 0x32a5705f, v13
	v_sub_f32_e32 v17, v17, v23
	v_add_f32_e32 v17, v17, v18
	v_exp_f32_e32 v17, v17
	v_cvt_i32_f32_e32 v18, v23
	s_mov_b32 s4, 0xc2ce8ed0
	v_cmp_ngt_f32_e64 s[4:5], s4, v13
	v_mov_b32_e32 v23, 0x7f800000
	v_ldexp_f32 v17, v17, v18
	v_cndmask_b32_e64 v17, 0, v17, s[4:5]
	s_mov_b32 s4, 0x42b17218
	v_cmp_nlt_f32_e64 s[4:5], s4, v13
	v_cndmask_b32_e64 v13, v23, v17, s[4:5]
	v_add_f32_e32 v31, 1.0, v13
	v_cvt_f64_f32_e32 v[17:18], v31
	v_add_f32_e32 v32, -1.0, v31
	v_sub_f32_e32 v33, v32, v31
	v_sub_f32_e32 v32, v13, v32
	v_frexp_exp_i32_f64_e32 v17, v[17:18]
	v_add_f32_e32 v18, 1.0, v33
	v_add_f32_e32 v18, v32, v18
	v_frexp_mant_f32_e32 v32, v31
	s_mov_b32 s4, 0x3f2aaaab
	v_cmp_gt_f32_e64 s[4:5], s4, v32
	s_mov_b32 s31, 0x7f800000
	v_subbrev_co_u32_e64 v17, s[4:5], 0, v17, s[4:5]
	v_sub_u32_e32 v32, 0, v17
	v_ldexp_f32 v31, v31, v32
	v_ldexp_f32 v18, v18, v32
	v_add_f32_e32 v32, -1.0, v31
	s_waitcnt lgkmcnt(0)
	v_add_f32_e32 v36, 1.0, v31
	v_add_f32_e32 v33, 1.0, v32
	v_add_f32_e32 v37, -1.0, v36
	v_sub_f32_e32 v33, v31, v33
	v_sub_f32_e32 v31, v31, v37
	v_add_f32_e32 v33, v18, v33
	v_add_f32_e32 v18, v18, v31
	;; [unrolled: 1-line block ×3, first 2 shown]
	v_rcp_f32_e32 v37, v31
	v_add_f32_e32 v35, v32, v33
	v_sub_f32_e32 v32, v32, v35
	v_add_f32_e32 v32, v33, v32
	v_sub_f32_e32 v33, v36, v31
	v_add_f32_e32 v18, v18, v33
	v_mul_f32_e32 v33, v35, v37
	v_mul_f32_e32 v36, v31, v33
	v_fma_f32 v38, v33, v31, -v36
	v_fmac_f32_e32 v38, v33, v18
	v_add_f32_e32 v39, v36, v38
	v_sub_f32_e32 v40, v35, v39
	v_sub_f32_e32 v35, v35, v40
	;; [unrolled: 1-line block ×4, first 2 shown]
	v_add_f32_e32 v32, v32, v35
	v_sub_f32_e32 v35, v36, v38
	v_add_f32_e32 v32, v35, v32
	v_add_f32_e32 v35, v40, v32
	v_mul_f32_e32 v36, v37, v35
	v_mul_f32_e32 v38, v31, v36
	v_fma_f32 v31, v36, v31, -v38
	v_fmac_f32_e32 v31, v36, v18
	v_sub_f32_e32 v18, v40, v35
	v_add_f32_e32 v18, v32, v18
	v_add_f32_e32 v32, v38, v31
	v_sub_f32_e32 v39, v35, v32
	v_sub_f32_e32 v35, v35, v39
	;; [unrolled: 1-line block ×4, first 2 shown]
	v_add_f32_e32 v18, v18, v32
	v_sub_f32_e32 v31, v38, v31
	v_add_f32_e32 v18, v31, v18
	v_add_f32_e32 v31, v33, v36
	;; [unrolled: 1-line block ×3, first 2 shown]
	v_sub_f32_e32 v32, v31, v33
	v_mul_f32_e32 v18, v37, v18
	v_sub_f32_e32 v32, v36, v32
	v_add_f32_e32 v18, v32, v18
	v_cvt_f32_i32_e32 v17, v17
	v_add_f32_e32 v32, v31, v18
	v_mul_f32_e32 v33, v32, v32
	v_mov_b32_e32 v35, 0x3ecc95a3
	v_fmac_f32_e32 v35, 0x3e9b6dac, v33
	v_mov_b32_e32 v36, 0x3f2aaada
	v_fmac_f32_e32 v36, v33, v35
	s_mov_b32 s4, 0x3f317218
	v_mul_f32_e32 v35, 0x3f317218, v17
	v_fma_f32 v37, v17, s4, -v35
	v_fmac_f32_e32 v37, 0xb102e308, v17
	v_sub_f32_e32 v17, v32, v31
	v_sub_f32_e32 v17, v18, v17
	v_add_f32_e32 v18, v35, v37
	v_sub_f32_e32 v31, v18, v35
	v_ldexp_f32 v35, v32, 1
	v_mul_f32_e32 v32, v32, v33
	v_mul_f32_e32 v32, v32, v36
	v_add_f32_e32 v33, v35, v32
	v_sub_f32_e32 v35, v33, v35
	v_ldexp_f32 v17, v17, 1
	v_sub_f32_e32 v32, v32, v35
	v_add_f32_e32 v17, v17, v32
	v_add_f32_e32 v32, v33, v17
	v_sub_f32_e32 v33, v32, v33
	v_sub_f32_e32 v17, v17, v33
	v_add_f32_e32 v33, v18, v32
	v_sub_f32_e32 v35, v33, v18
	v_sub_f32_e32 v36, v33, v35
	;; [unrolled: 1-line block ×5, first 2 shown]
	v_add_f32_e32 v18, v32, v18
	v_add_f32_e32 v32, v31, v17
	v_sub_f32_e32 v35, v32, v31
	v_sub_f32_e32 v36, v32, v35
	;; [unrolled: 1-line block ×4, first 2 shown]
	v_add_f32_e32 v18, v32, v18
	v_add_f32_e32 v17, v17, v31
	;; [unrolled: 1-line block ×3, first 2 shown]
	v_sub_f32_e32 v32, v31, v33
	v_sub_f32_e32 v18, v18, v32
	v_add_f32_e32 v17, v17, v18
	v_add_f32_e32 v17, v31, v17
	v_cmp_neq_f32_e64 s[4:5], s31, v13
	v_cndmask_b32_e64 v17, v23, v17, s[4:5]
	s_mov_b32 s4, 0x33800000
	v_cmp_lt_f32_e64 s[4:5], |v13|, s4
	v_cndmask_b32_e64 v13, v17, v13, s[4:5]
	v_add_f32_e32 v13, v14, v13
.LBB147_108:
	s_or_b64 exec, exec, s[28:29]
	v_max_f32_e32 v14, v13, v13
	v_min_f32_e32 v17, v14, v19
	v_cmp_u_f32_e64 s[4:5], v13, v13
	v_max_f32_e32 v14, v14, v19
	v_cndmask_b32_e64 v17, v17, v13, s[4:5]
	v_cndmask_b32_e64 v14, v14, v13, s[4:5]
	;; [unrolled: 1-line block ×4, first 2 shown]
	v_cmp_neq_f32_e64 s[4:5], v17, v14
	v_cmp_class_f32_e64 s[28:29], v17, s30
	s_or_b64 s[4:5], s[4:5], s[28:29]
	v_mov_b32_e32 v11, v13
	s_and_saveexec_b64 s[28:29], s[4:5]
	s_cbranch_execz .LBB147_110
; %bb.109:
	v_sub_f32_e32 v11, v17, v14
	s_mov_b32 s4, 0x3fb8aa3b
	v_mul_f32_e32 v17, 0x3fb8aa3b, v11
	v_fma_f32 v18, v11, s4, -v17
	v_rndne_f32_e32 v19, v17
	v_fmac_f32_e32 v18, 0x32a5705f, v11
	v_sub_f32_e32 v17, v17, v19
	v_add_f32_e32 v17, v17, v18
	v_exp_f32_e32 v17, v17
	v_cvt_i32_f32_e32 v18, v19
	s_mov_b32 s4, 0xc2ce8ed0
	v_cmp_ngt_f32_e64 s[4:5], s4, v11
	v_mov_b32_e32 v19, 0x7f800000
	v_ldexp_f32 v17, v17, v18
	v_cndmask_b32_e64 v17, 0, v17, s[4:5]
	s_mov_b32 s4, 0x42b17218
	v_cmp_nlt_f32_e64 s[4:5], s4, v11
	v_cndmask_b32_e64 v11, v19, v17, s[4:5]
	v_add_f32_e32 v23, 1.0, v11
	v_cvt_f64_f32_e32 v[17:18], v23
	v_add_f32_e32 v31, -1.0, v23
	v_sub_f32_e32 v32, v31, v23
	v_sub_f32_e32 v31, v11, v31
	v_frexp_exp_i32_f64_e32 v17, v[17:18]
	v_add_f32_e32 v18, 1.0, v32
	v_add_f32_e32 v18, v31, v18
	v_frexp_mant_f32_e32 v31, v23
	s_mov_b32 s4, 0x3f2aaaab
	v_cmp_gt_f32_e64 s[4:5], s4, v31
	s_mov_b32 s30, 0x7f800000
	v_subbrev_co_u32_e64 v17, s[4:5], 0, v17, s[4:5]
	v_sub_u32_e32 v31, 0, v17
	v_ldexp_f32 v23, v23, v31
	v_ldexp_f32 v18, v18, v31
	v_add_f32_e32 v31, -1.0, v23
	v_add_f32_e32 v35, 1.0, v23
	v_add_f32_e32 v32, 1.0, v31
	s_waitcnt lgkmcnt(0)
	v_add_f32_e32 v36, -1.0, v35
	v_sub_f32_e32 v32, v23, v32
	v_sub_f32_e32 v23, v23, v36
	v_add_f32_e32 v32, v18, v32
	v_add_f32_e32 v18, v18, v23
	;; [unrolled: 1-line block ×3, first 2 shown]
	v_rcp_f32_e32 v36, v23
	v_add_f32_e32 v33, v31, v32
	v_sub_f32_e32 v31, v31, v33
	v_add_f32_e32 v31, v32, v31
	v_sub_f32_e32 v32, v35, v23
	v_add_f32_e32 v18, v18, v32
	v_mul_f32_e32 v32, v33, v36
	v_mul_f32_e32 v35, v23, v32
	v_fma_f32 v37, v32, v23, -v35
	v_fmac_f32_e32 v37, v32, v18
	v_add_f32_e32 v38, v35, v37
	v_sub_f32_e32 v39, v33, v38
	v_sub_f32_e32 v33, v33, v39
	;; [unrolled: 1-line block ×4, first 2 shown]
	v_add_f32_e32 v31, v31, v33
	v_sub_f32_e32 v33, v35, v37
	v_add_f32_e32 v31, v33, v31
	v_add_f32_e32 v33, v39, v31
	v_mul_f32_e32 v35, v36, v33
	v_mul_f32_e32 v37, v23, v35
	v_fma_f32 v23, v35, v23, -v37
	v_fmac_f32_e32 v23, v35, v18
	v_sub_f32_e32 v18, v39, v33
	v_add_f32_e32 v18, v31, v18
	v_add_f32_e32 v31, v37, v23
	v_sub_f32_e32 v38, v33, v31
	v_sub_f32_e32 v33, v33, v38
	;; [unrolled: 1-line block ×4, first 2 shown]
	v_add_f32_e32 v18, v18, v31
	v_sub_f32_e32 v23, v37, v23
	v_add_f32_e32 v18, v23, v18
	v_add_f32_e32 v23, v32, v35
	;; [unrolled: 1-line block ×3, first 2 shown]
	v_sub_f32_e32 v31, v23, v32
	v_mul_f32_e32 v18, v36, v18
	v_sub_f32_e32 v31, v35, v31
	v_add_f32_e32 v18, v31, v18
	v_cvt_f32_i32_e32 v17, v17
	v_add_f32_e32 v31, v23, v18
	v_mul_f32_e32 v32, v31, v31
	v_mov_b32_e32 v33, 0x3ecc95a3
	v_fmac_f32_e32 v33, 0x3e9b6dac, v32
	v_mov_b32_e32 v35, 0x3f2aaada
	v_fmac_f32_e32 v35, v32, v33
	s_mov_b32 s4, 0x3f317218
	v_mul_f32_e32 v33, 0x3f317218, v17
	v_fma_f32 v36, v17, s4, -v33
	v_fmac_f32_e32 v36, 0xb102e308, v17
	v_sub_f32_e32 v17, v31, v23
	v_sub_f32_e32 v17, v18, v17
	v_add_f32_e32 v18, v33, v36
	v_sub_f32_e32 v23, v18, v33
	v_ldexp_f32 v33, v31, 1
	v_mul_f32_e32 v31, v31, v32
	v_mul_f32_e32 v31, v31, v35
	v_add_f32_e32 v32, v33, v31
	v_sub_f32_e32 v33, v32, v33
	v_ldexp_f32 v17, v17, 1
	v_sub_f32_e32 v31, v31, v33
	v_add_f32_e32 v17, v17, v31
	v_add_f32_e32 v31, v32, v17
	v_sub_f32_e32 v32, v31, v32
	v_sub_f32_e32 v17, v17, v32
	v_add_f32_e32 v32, v18, v31
	v_sub_f32_e32 v33, v32, v18
	v_sub_f32_e32 v35, v32, v33
	;; [unrolled: 1-line block ×5, first 2 shown]
	v_add_f32_e32 v18, v31, v18
	v_add_f32_e32 v31, v23, v17
	v_sub_f32_e32 v33, v31, v23
	v_sub_f32_e32 v35, v31, v33
	;; [unrolled: 1-line block ×4, first 2 shown]
	v_add_f32_e32 v18, v31, v18
	v_add_f32_e32 v17, v17, v23
	;; [unrolled: 1-line block ×3, first 2 shown]
	v_sub_f32_e32 v31, v23, v32
	v_sub_f32_e32 v18, v18, v31
	v_add_f32_e32 v17, v17, v18
	v_add_f32_e32 v17, v23, v17
	v_cmp_neq_f32_e64 s[4:5], s30, v11
	v_cndmask_b32_e64 v17, v19, v17, s[4:5]
	s_mov_b32 s4, 0x33800000
	v_cmp_lt_f32_e64 s[4:5], |v11|, s4
	v_cndmask_b32_e64 v11, v17, v11, s[4:5]
	v_add_f32_e32 v11, v14, v11
.LBB147_110:
	s_or_b64 exec, exec, s[28:29]
	v_max_f32_e32 v14, v11, v11
	v_min_f32_e32 v17, v14, v20
	v_cmp_u_f32_e64 s[4:5], v11, v11
	v_max_f32_e32 v14, v14, v20
	v_cndmask_b32_e64 v17, v17, v11, s[4:5]
	v_cndmask_b32_e64 v14, v14, v11, s[4:5]
	;; [unrolled: 1-line block ×4, first 2 shown]
	s_movk_i32 s30, 0x1f8
	v_cmp_neq_f32_e64 s[4:5], v17, v14
	v_cmp_class_f32_e64 s[28:29], v17, s30
	s_or_b64 s[4:5], s[4:5], s[28:29]
	v_mov_b32_e32 v12, v11
	s_and_saveexec_b64 s[28:29], s[4:5]
	s_cbranch_execz .LBB147_112
; %bb.111:
	v_sub_f32_e32 v12, v17, v14
	s_mov_b32 s4, 0x3fb8aa3b
	v_mul_f32_e32 v17, 0x3fb8aa3b, v12
	v_fma_f32 v18, v12, s4, -v17
	v_rndne_f32_e32 v19, v17
	v_fmac_f32_e32 v18, 0x32a5705f, v12
	v_sub_f32_e32 v17, v17, v19
	v_add_f32_e32 v17, v17, v18
	v_exp_f32_e32 v17, v17
	v_cvt_i32_f32_e32 v18, v19
	s_mov_b32 s4, 0xc2ce8ed0
	v_cmp_ngt_f32_e64 s[4:5], s4, v12
	v_mov_b32_e32 v19, 0x7f800000
	v_ldexp_f32 v17, v17, v18
	v_cndmask_b32_e64 v17, 0, v17, s[4:5]
	s_mov_b32 s4, 0x42b17218
	v_cmp_nlt_f32_e64 s[4:5], s4, v12
	v_cndmask_b32_e64 v12, v19, v17, s[4:5]
	v_add_f32_e32 v20, 1.0, v12
	v_cvt_f64_f32_e32 v[17:18], v20
	v_add_f32_e32 v23, -1.0, v20
	v_sub_f32_e32 v31, v23, v20
	v_sub_f32_e32 v23, v12, v23
	v_frexp_exp_i32_f64_e32 v17, v[17:18]
	v_add_f32_e32 v18, 1.0, v31
	v_add_f32_e32 v18, v23, v18
	v_frexp_mant_f32_e32 v23, v20
	s_mov_b32 s4, 0x3f2aaaab
	v_cmp_gt_f32_e64 s[4:5], s4, v23
	s_mov_b32 s31, 0x7f800000
	v_subbrev_co_u32_e64 v17, s[4:5], 0, v17, s[4:5]
	v_sub_u32_e32 v23, 0, v17
	v_ldexp_f32 v20, v20, v23
	v_ldexp_f32 v18, v18, v23
	v_add_f32_e32 v23, -1.0, v20
	v_add_f32_e32 v33, 1.0, v20
	v_add_f32_e32 v31, 1.0, v23
	v_add_f32_e32 v35, -1.0, v33
	v_sub_f32_e32 v31, v20, v31
	v_sub_f32_e32 v20, v20, v35
	v_add_f32_e32 v31, v18, v31
	v_add_f32_e32 v18, v18, v20
	;; [unrolled: 1-line block ×3, first 2 shown]
	v_rcp_f32_e32 v35, v20
	v_add_f32_e32 v32, v23, v31
	v_sub_f32_e32 v23, v23, v32
	v_add_f32_e32 v23, v31, v23
	v_sub_f32_e32 v31, v33, v20
	v_add_f32_e32 v18, v18, v31
	v_mul_f32_e32 v31, v32, v35
	v_mul_f32_e32 v33, v20, v31
	s_waitcnt lgkmcnt(0)
	v_fma_f32 v36, v31, v20, -v33
	v_fmac_f32_e32 v36, v31, v18
	v_add_f32_e32 v37, v33, v36
	v_sub_f32_e32 v38, v32, v37
	v_sub_f32_e32 v32, v32, v38
	;; [unrolled: 1-line block ×4, first 2 shown]
	v_add_f32_e32 v23, v23, v32
	v_sub_f32_e32 v32, v33, v36
	v_add_f32_e32 v23, v32, v23
	v_add_f32_e32 v32, v38, v23
	v_mul_f32_e32 v33, v35, v32
	v_mul_f32_e32 v36, v20, v33
	v_fma_f32 v20, v33, v20, -v36
	v_fmac_f32_e32 v20, v33, v18
	v_sub_f32_e32 v18, v38, v32
	v_add_f32_e32 v18, v23, v18
	v_add_f32_e32 v23, v36, v20
	v_sub_f32_e32 v37, v32, v23
	v_sub_f32_e32 v32, v32, v37
	;; [unrolled: 1-line block ×4, first 2 shown]
	v_add_f32_e32 v18, v18, v23
	v_sub_f32_e32 v20, v36, v20
	v_add_f32_e32 v18, v20, v18
	v_add_f32_e32 v20, v31, v33
	;; [unrolled: 1-line block ×3, first 2 shown]
	v_sub_f32_e32 v23, v20, v31
	v_mul_f32_e32 v18, v35, v18
	v_sub_f32_e32 v23, v33, v23
	v_add_f32_e32 v18, v23, v18
	v_cvt_f32_i32_e32 v17, v17
	v_add_f32_e32 v23, v20, v18
	v_mul_f32_e32 v31, v23, v23
	v_mov_b32_e32 v32, 0x3ecc95a3
	v_fmac_f32_e32 v32, 0x3e9b6dac, v31
	v_mov_b32_e32 v33, 0x3f2aaada
	v_fmac_f32_e32 v33, v31, v32
	s_mov_b32 s4, 0x3f317218
	v_mul_f32_e32 v32, 0x3f317218, v17
	v_fma_f32 v35, v17, s4, -v32
	v_fmac_f32_e32 v35, 0xb102e308, v17
	v_sub_f32_e32 v17, v23, v20
	v_sub_f32_e32 v17, v18, v17
	v_add_f32_e32 v18, v32, v35
	v_sub_f32_e32 v20, v18, v32
	v_ldexp_f32 v32, v23, 1
	v_mul_f32_e32 v23, v23, v31
	v_mul_f32_e32 v23, v23, v33
	v_add_f32_e32 v31, v32, v23
	v_sub_f32_e32 v32, v31, v32
	v_ldexp_f32 v17, v17, 1
	v_sub_f32_e32 v23, v23, v32
	v_add_f32_e32 v17, v17, v23
	v_add_f32_e32 v23, v31, v17
	v_sub_f32_e32 v31, v23, v31
	v_sub_f32_e32 v17, v17, v31
	v_add_f32_e32 v31, v18, v23
	v_sub_f32_e32 v32, v31, v18
	v_sub_f32_e32 v33, v31, v32
	;; [unrolled: 1-line block ×5, first 2 shown]
	v_add_f32_e32 v18, v23, v18
	v_add_f32_e32 v23, v20, v17
	v_sub_f32_e32 v32, v23, v20
	v_sub_f32_e32 v33, v23, v32
	;; [unrolled: 1-line block ×4, first 2 shown]
	v_add_f32_e32 v18, v23, v18
	v_add_f32_e32 v17, v17, v20
	;; [unrolled: 1-line block ×3, first 2 shown]
	v_sub_f32_e32 v23, v20, v31
	v_sub_f32_e32 v18, v18, v23
	v_add_f32_e32 v17, v17, v18
	v_add_f32_e32 v17, v20, v17
	v_cmp_neq_f32_e64 s[4:5], s31, v12
	v_cndmask_b32_e64 v17, v19, v17, s[4:5]
	s_mov_b32 s4, 0x33800000
	v_cmp_lt_f32_e64 s[4:5], |v12|, s4
	v_cndmask_b32_e64 v12, v17, v12, s[4:5]
	v_add_f32_e32 v12, v14, v12
.LBB147_112:
	s_or_b64 exec, exec, s[28:29]
	v_max_f32_e32 v14, v12, v12
	v_min_f32_e32 v17, v14, v21
	v_cmp_u_f32_e64 s[4:5], v12, v12
	v_max_f32_e32 v14, v14, v21
	v_cndmask_b32_e64 v17, v17, v12, s[4:5]
	v_cndmask_b32_e64 v14, v14, v12, s[4:5]
	v_cndmask_b32_e64 v17, v17, v9, s[40:41]
	v_cndmask_b32_e64 v14, v14, v9, s[40:41]
	v_cmp_neq_f32_e64 s[4:5], v17, v14
	v_cmp_class_f32_e64 s[28:29], v17, s30
	s_or_b64 s[4:5], s[4:5], s[28:29]
	v_mov_b32_e32 v9, v12
	s_and_saveexec_b64 s[28:29], s[4:5]
	s_cbranch_execz .LBB147_114
; %bb.113:
	v_sub_f32_e32 v9, v17, v14
	s_mov_b32 s4, 0x3fb8aa3b
	v_mul_f32_e32 v17, 0x3fb8aa3b, v9
	v_fma_f32 v18, v9, s4, -v17
	v_rndne_f32_e32 v19, v17
	v_fmac_f32_e32 v18, 0x32a5705f, v9
	v_sub_f32_e32 v17, v17, v19
	v_add_f32_e32 v17, v17, v18
	v_exp_f32_e32 v17, v17
	v_cvt_i32_f32_e32 v18, v19
	s_mov_b32 s4, 0xc2ce8ed0
	v_cmp_ngt_f32_e64 s[4:5], s4, v9
	v_mov_b32_e32 v19, 0x7f800000
	v_ldexp_f32 v17, v17, v18
	v_cndmask_b32_e64 v17, 0, v17, s[4:5]
	s_mov_b32 s4, 0x42b17218
	v_cmp_nlt_f32_e64 s[4:5], s4, v9
	v_cndmask_b32_e64 v9, v19, v17, s[4:5]
	v_add_f32_e32 v20, 1.0, v9
	v_cvt_f64_f32_e32 v[17:18], v20
	v_add_f32_e32 v21, -1.0, v20
	v_sub_f32_e32 v23, v21, v20
	v_sub_f32_e32 v21, v9, v21
	v_frexp_exp_i32_f64_e32 v17, v[17:18]
	v_add_f32_e32 v18, 1.0, v23
	v_add_f32_e32 v18, v21, v18
	v_frexp_mant_f32_e32 v21, v20
	s_mov_b32 s4, 0x3f2aaaab
	v_cmp_gt_f32_e64 s[4:5], s4, v21
	s_mov_b32 s30, 0x7f800000
	v_subbrev_co_u32_e64 v17, s[4:5], 0, v17, s[4:5]
	v_sub_u32_e32 v21, 0, v17
	v_ldexp_f32 v20, v20, v21
	v_ldexp_f32 v18, v18, v21
	v_add_f32_e32 v21, -1.0, v20
	v_add_f32_e32 v32, 1.0, v20
	v_add_f32_e32 v23, 1.0, v21
	v_add_f32_e32 v33, -1.0, v32
	v_sub_f32_e32 v23, v20, v23
	v_sub_f32_e32 v20, v20, v33
	v_add_f32_e32 v23, v18, v23
	v_add_f32_e32 v18, v18, v20
	;; [unrolled: 1-line block ×3, first 2 shown]
	v_rcp_f32_e32 v33, v20
	v_add_f32_e32 v31, v21, v23
	v_sub_f32_e32 v21, v21, v31
	v_add_f32_e32 v21, v23, v21
	v_sub_f32_e32 v23, v32, v20
	v_add_f32_e32 v18, v18, v23
	v_mul_f32_e32 v23, v31, v33
	v_mul_f32_e32 v32, v20, v23
	v_fma_f32 v35, v23, v20, -v32
	v_fmac_f32_e32 v35, v23, v18
	s_waitcnt lgkmcnt(0)
	v_add_f32_e32 v36, v32, v35
	v_sub_f32_e32 v37, v31, v36
	v_sub_f32_e32 v31, v31, v37
	v_sub_f32_e32 v32, v36, v32
	v_sub_f32_e32 v31, v31, v36
	v_add_f32_e32 v21, v21, v31
	v_sub_f32_e32 v31, v32, v35
	v_add_f32_e32 v21, v31, v21
	v_add_f32_e32 v31, v37, v21
	v_mul_f32_e32 v32, v33, v31
	v_mul_f32_e32 v35, v20, v32
	v_fma_f32 v20, v32, v20, -v35
	v_fmac_f32_e32 v20, v32, v18
	v_sub_f32_e32 v18, v37, v31
	v_add_f32_e32 v18, v21, v18
	v_add_f32_e32 v21, v35, v20
	v_sub_f32_e32 v36, v31, v21
	v_sub_f32_e32 v31, v31, v36
	;; [unrolled: 1-line block ×4, first 2 shown]
	v_add_f32_e32 v18, v18, v21
	v_sub_f32_e32 v20, v35, v20
	v_add_f32_e32 v18, v20, v18
	v_add_f32_e32 v20, v23, v32
	;; [unrolled: 1-line block ×3, first 2 shown]
	v_sub_f32_e32 v21, v20, v23
	v_mul_f32_e32 v18, v33, v18
	v_sub_f32_e32 v21, v32, v21
	v_add_f32_e32 v18, v21, v18
	v_cvt_f32_i32_e32 v17, v17
	v_add_f32_e32 v21, v20, v18
	v_mul_f32_e32 v23, v21, v21
	v_mov_b32_e32 v31, 0x3ecc95a3
	v_fmac_f32_e32 v31, 0x3e9b6dac, v23
	v_mov_b32_e32 v32, 0x3f2aaada
	v_fmac_f32_e32 v32, v23, v31
	s_mov_b32 s4, 0x3f317218
	v_mul_f32_e32 v31, 0x3f317218, v17
	v_fma_f32 v33, v17, s4, -v31
	v_fmac_f32_e32 v33, 0xb102e308, v17
	v_sub_f32_e32 v17, v21, v20
	v_sub_f32_e32 v17, v18, v17
	v_add_f32_e32 v18, v31, v33
	v_sub_f32_e32 v20, v18, v31
	v_ldexp_f32 v31, v21, 1
	v_mul_f32_e32 v21, v21, v23
	v_mul_f32_e32 v21, v21, v32
	v_add_f32_e32 v23, v31, v21
	v_sub_f32_e32 v31, v23, v31
	v_ldexp_f32 v17, v17, 1
	v_sub_f32_e32 v21, v21, v31
	v_add_f32_e32 v17, v17, v21
	v_add_f32_e32 v21, v23, v17
	v_sub_f32_e32 v23, v21, v23
	v_sub_f32_e32 v17, v17, v23
	v_add_f32_e32 v23, v18, v21
	v_sub_f32_e32 v31, v23, v18
	v_sub_f32_e32 v32, v23, v31
	;; [unrolled: 1-line block ×5, first 2 shown]
	v_add_f32_e32 v18, v21, v18
	v_add_f32_e32 v21, v20, v17
	v_sub_f32_e32 v31, v21, v20
	v_sub_f32_e32 v32, v21, v31
	;; [unrolled: 1-line block ×4, first 2 shown]
	v_add_f32_e32 v18, v21, v18
	v_add_f32_e32 v17, v17, v20
	;; [unrolled: 1-line block ×3, first 2 shown]
	v_sub_f32_e32 v21, v20, v23
	v_sub_f32_e32 v18, v18, v21
	v_add_f32_e32 v17, v17, v18
	v_add_f32_e32 v17, v20, v17
	v_cmp_neq_f32_e64 s[4:5], s30, v9
	v_cndmask_b32_e64 v17, v19, v17, s[4:5]
	s_mov_b32 s4, 0x33800000
	v_cmp_lt_f32_e64 s[4:5], |v9|, s4
	v_cndmask_b32_e64 v9, v17, v9, s[4:5]
	v_add_f32_e32 v9, v14, v9
.LBB147_114:
	s_or_b64 exec, exec, s[28:29]
	v_max_f32_e32 v14, v9, v9
	v_min_f32_e32 v17, v14, v22
	v_cmp_u_f32_e64 s[4:5], v9, v9
	v_max_f32_e32 v14, v14, v22
	v_cndmask_b32_e64 v17, v17, v9, s[4:5]
	v_cndmask_b32_e64 v14, v14, v9, s[4:5]
	;; [unrolled: 1-line block ×4, first 2 shown]
	s_movk_i32 s30, 0x1f8
	v_cmp_neq_f32_e64 s[4:5], v17, v14
	v_cmp_class_f32_e64 s[28:29], v17, s30
	s_or_b64 s[4:5], s[4:5], s[28:29]
	v_mov_b32_e32 v10, v9
	s_and_saveexec_b64 s[28:29], s[4:5]
	s_cbranch_execz .LBB147_116
; %bb.115:
	v_sub_f32_e32 v10, v17, v14
	s_mov_b32 s4, 0x3fb8aa3b
	v_mul_f32_e32 v17, 0x3fb8aa3b, v10
	v_fma_f32 v18, v10, s4, -v17
	v_rndne_f32_e32 v19, v17
	v_fmac_f32_e32 v18, 0x32a5705f, v10
	v_sub_f32_e32 v17, v17, v19
	v_add_f32_e32 v17, v17, v18
	v_exp_f32_e32 v17, v17
	v_cvt_i32_f32_e32 v18, v19
	s_mov_b32 s4, 0xc2ce8ed0
	v_cmp_ngt_f32_e64 s[4:5], s4, v10
	v_mov_b32_e32 v19, 0x7f800000
	v_ldexp_f32 v17, v17, v18
	v_cndmask_b32_e64 v17, 0, v17, s[4:5]
	s_mov_b32 s4, 0x42b17218
	v_cmp_nlt_f32_e64 s[4:5], s4, v10
	v_cndmask_b32_e64 v10, v19, v17, s[4:5]
	v_add_f32_e32 v20, 1.0, v10
	v_cvt_f64_f32_e32 v[17:18], v20
	v_add_f32_e32 v21, -1.0, v20
	v_sub_f32_e32 v22, v21, v20
	v_sub_f32_e32 v21, v10, v21
	v_frexp_exp_i32_f64_e32 v17, v[17:18]
	v_add_f32_e32 v18, 1.0, v22
	v_add_f32_e32 v18, v21, v18
	v_frexp_mant_f32_e32 v21, v20
	s_mov_b32 s4, 0x3f2aaaab
	v_cmp_gt_f32_e64 s[4:5], s4, v21
	s_mov_b32 s31, 0x7f800000
	v_subbrev_co_u32_e64 v17, s[4:5], 0, v17, s[4:5]
	v_sub_u32_e32 v21, 0, v17
	v_ldexp_f32 v20, v20, v21
	v_ldexp_f32 v18, v18, v21
	v_add_f32_e32 v21, -1.0, v20
	v_add_f32_e32 v31, 1.0, v20
	v_add_f32_e32 v22, 1.0, v21
	v_add_f32_e32 v32, -1.0, v31
	v_sub_f32_e32 v22, v20, v22
	v_sub_f32_e32 v20, v20, v32
	v_add_f32_e32 v22, v18, v22
	v_add_f32_e32 v18, v18, v20
	;; [unrolled: 1-line block ×3, first 2 shown]
	v_rcp_f32_e32 v32, v20
	v_add_f32_e32 v23, v21, v22
	v_sub_f32_e32 v21, v21, v23
	v_add_f32_e32 v21, v22, v21
	v_sub_f32_e32 v22, v31, v20
	v_add_f32_e32 v18, v18, v22
	v_mul_f32_e32 v22, v23, v32
	v_mul_f32_e32 v31, v20, v22
	v_fma_f32 v33, v22, v20, -v31
	v_fmac_f32_e32 v33, v22, v18
	v_add_f32_e32 v35, v31, v33
	s_waitcnt lgkmcnt(0)
	v_sub_f32_e32 v36, v23, v35
	v_sub_f32_e32 v23, v23, v36
	;; [unrolled: 1-line block ×4, first 2 shown]
	v_add_f32_e32 v21, v21, v23
	v_sub_f32_e32 v23, v31, v33
	v_add_f32_e32 v21, v23, v21
	v_add_f32_e32 v23, v36, v21
	v_mul_f32_e32 v31, v32, v23
	v_mul_f32_e32 v33, v20, v31
	v_fma_f32 v20, v31, v20, -v33
	v_fmac_f32_e32 v20, v31, v18
	v_sub_f32_e32 v18, v36, v23
	v_add_f32_e32 v18, v21, v18
	v_add_f32_e32 v21, v33, v20
	v_sub_f32_e32 v35, v23, v21
	v_sub_f32_e32 v23, v23, v35
	;; [unrolled: 1-line block ×4, first 2 shown]
	v_add_f32_e32 v18, v18, v21
	v_sub_f32_e32 v20, v33, v20
	v_add_f32_e32 v18, v20, v18
	v_add_f32_e32 v20, v22, v31
	;; [unrolled: 1-line block ×3, first 2 shown]
	v_sub_f32_e32 v21, v20, v22
	v_mul_f32_e32 v18, v32, v18
	v_sub_f32_e32 v21, v31, v21
	v_add_f32_e32 v18, v21, v18
	v_cvt_f32_i32_e32 v17, v17
	v_add_f32_e32 v21, v20, v18
	v_mul_f32_e32 v22, v21, v21
	v_mov_b32_e32 v23, 0x3ecc95a3
	v_fmac_f32_e32 v23, 0x3e9b6dac, v22
	v_mov_b32_e32 v31, 0x3f2aaada
	v_fmac_f32_e32 v31, v22, v23
	s_mov_b32 s4, 0x3f317218
	v_mul_f32_e32 v23, 0x3f317218, v17
	v_fma_f32 v32, v17, s4, -v23
	v_fmac_f32_e32 v32, 0xb102e308, v17
	v_sub_f32_e32 v17, v21, v20
	v_sub_f32_e32 v17, v18, v17
	v_add_f32_e32 v18, v23, v32
	v_sub_f32_e32 v20, v18, v23
	v_ldexp_f32 v23, v21, 1
	v_mul_f32_e32 v21, v21, v22
	v_mul_f32_e32 v21, v21, v31
	v_add_f32_e32 v22, v23, v21
	v_sub_f32_e32 v23, v22, v23
	v_ldexp_f32 v17, v17, 1
	v_sub_f32_e32 v21, v21, v23
	v_add_f32_e32 v17, v17, v21
	v_add_f32_e32 v21, v22, v17
	v_sub_f32_e32 v22, v21, v22
	v_sub_f32_e32 v17, v17, v22
	v_add_f32_e32 v22, v18, v21
	v_sub_f32_e32 v23, v22, v18
	v_sub_f32_e32 v31, v22, v23
	;; [unrolled: 1-line block ×5, first 2 shown]
	v_add_f32_e32 v18, v21, v18
	v_add_f32_e32 v21, v20, v17
	v_sub_f32_e32 v23, v21, v20
	v_sub_f32_e32 v31, v21, v23
	;; [unrolled: 1-line block ×4, first 2 shown]
	v_add_f32_e32 v18, v21, v18
	v_add_f32_e32 v17, v17, v20
	;; [unrolled: 1-line block ×3, first 2 shown]
	v_sub_f32_e32 v21, v20, v22
	v_sub_f32_e32 v18, v18, v21
	v_add_f32_e32 v17, v17, v18
	v_add_f32_e32 v17, v20, v17
	v_cmp_neq_f32_e64 s[4:5], s31, v10
	v_cndmask_b32_e64 v17, v19, v17, s[4:5]
	s_mov_b32 s4, 0x33800000
	v_cmp_lt_f32_e64 s[4:5], |v10|, s4
	v_cndmask_b32_e64 v10, v17, v10, s[4:5]
	v_add_f32_e32 v10, v14, v10
.LBB147_116:
	s_or_b64 exec, exec, s[28:29]
	v_max_f32_e32 v14, v10, v10
	v_min_f32_e32 v17, v14, v24
	v_cmp_u_f32_e64 s[4:5], v10, v10
	v_max_f32_e32 v14, v14, v24
	v_cndmask_b32_e64 v17, v17, v10, s[4:5]
	v_cndmask_b32_e64 v14, v14, v10, s[4:5]
	;; [unrolled: 1-line block ×4, first 2 shown]
	v_cmp_neq_f32_e64 s[4:5], v17, v14
	v_cmp_class_f32_e64 s[28:29], v17, s30
	s_or_b64 s[4:5], s[4:5], s[28:29]
	v_mov_b32_e32 v7, v10
	s_and_saveexec_b64 s[28:29], s[4:5]
	s_cbranch_execz .LBB147_118
; %bb.117:
	v_sub_f32_e32 v7, v17, v14
	s_mov_b32 s4, 0x3fb8aa3b
	v_mul_f32_e32 v17, 0x3fb8aa3b, v7
	v_fma_f32 v18, v7, s4, -v17
	v_rndne_f32_e32 v19, v17
	v_fmac_f32_e32 v18, 0x32a5705f, v7
	v_sub_f32_e32 v17, v17, v19
	v_add_f32_e32 v17, v17, v18
	v_exp_f32_e32 v17, v17
	v_cvt_i32_f32_e32 v18, v19
	s_mov_b32 s4, 0xc2ce8ed0
	v_cmp_ngt_f32_e64 s[4:5], s4, v7
	v_mov_b32_e32 v19, 0x7f800000
	v_ldexp_f32 v17, v17, v18
	v_cndmask_b32_e64 v17, 0, v17, s[4:5]
	s_mov_b32 s4, 0x42b17218
	v_cmp_nlt_f32_e64 s[4:5], s4, v7
	v_cndmask_b32_e64 v7, v19, v17, s[4:5]
	v_add_f32_e32 v20, 1.0, v7
	v_cvt_f64_f32_e32 v[17:18], v20
	v_add_f32_e32 v21, -1.0, v20
	v_sub_f32_e32 v22, v21, v20
	v_sub_f32_e32 v21, v7, v21
	v_frexp_exp_i32_f64_e32 v17, v[17:18]
	v_add_f32_e32 v18, 1.0, v22
	v_add_f32_e32 v18, v21, v18
	v_frexp_mant_f32_e32 v21, v20
	s_mov_b32 s4, 0x3f2aaaab
	v_cmp_gt_f32_e64 s[4:5], s4, v21
	s_mov_b32 s30, 0x7f800000
	v_subbrev_co_u32_e64 v17, s[4:5], 0, v17, s[4:5]
	v_sub_u32_e32 v21, 0, v17
	v_ldexp_f32 v20, v20, v21
	v_ldexp_f32 v18, v18, v21
	v_add_f32_e32 v21, -1.0, v20
	v_add_f32_e32 v24, 1.0, v20
	v_add_f32_e32 v22, 1.0, v21
	v_add_f32_e32 v31, -1.0, v24
	v_sub_f32_e32 v22, v20, v22
	v_sub_f32_e32 v20, v20, v31
	v_add_f32_e32 v22, v18, v22
	v_add_f32_e32 v18, v18, v20
	;; [unrolled: 1-line block ×3, first 2 shown]
	v_rcp_f32_e32 v31, v20
	v_add_f32_e32 v23, v21, v22
	v_sub_f32_e32 v21, v21, v23
	v_add_f32_e32 v21, v22, v21
	v_sub_f32_e32 v22, v24, v20
	v_add_f32_e32 v18, v18, v22
	v_mul_f32_e32 v22, v23, v31
	v_mul_f32_e32 v24, v20, v22
	v_fma_f32 v32, v22, v20, -v24
	v_fmac_f32_e32 v32, v22, v18
	v_add_f32_e32 v33, v24, v32
	v_sub_f32_e32 v35, v23, v33
	v_sub_f32_e32 v23, v23, v35
	;; [unrolled: 1-line block ×4, first 2 shown]
	v_add_f32_e32 v21, v21, v23
	v_sub_f32_e32 v23, v24, v32
	v_add_f32_e32 v21, v23, v21
	v_add_f32_e32 v23, v35, v21
	v_mul_f32_e32 v24, v31, v23
	v_mul_f32_e32 v32, v20, v24
	v_fma_f32 v20, v24, v20, -v32
	v_fmac_f32_e32 v20, v24, v18
	v_sub_f32_e32 v18, v35, v23
	v_add_f32_e32 v18, v21, v18
	v_add_f32_e32 v21, v32, v20
	v_sub_f32_e32 v33, v23, v21
	v_sub_f32_e32 v23, v23, v33
	;; [unrolled: 1-line block ×4, first 2 shown]
	v_add_f32_e32 v18, v18, v21
	v_sub_f32_e32 v20, v32, v20
	v_add_f32_e32 v18, v20, v18
	v_add_f32_e32 v20, v22, v24
	;; [unrolled: 1-line block ×3, first 2 shown]
	v_sub_f32_e32 v21, v20, v22
	v_mul_f32_e32 v18, v31, v18
	v_sub_f32_e32 v21, v24, v21
	v_add_f32_e32 v18, v21, v18
	v_cvt_f32_i32_e32 v17, v17
	v_add_f32_e32 v21, v20, v18
	v_mul_f32_e32 v22, v21, v21
	v_mov_b32_e32 v23, 0x3ecc95a3
	v_fmac_f32_e32 v23, 0x3e9b6dac, v22
	v_mov_b32_e32 v24, 0x3f2aaada
	v_fmac_f32_e32 v24, v22, v23
	s_mov_b32 s4, 0x3f317218
	v_mul_f32_e32 v23, 0x3f317218, v17
	v_fma_f32 v31, v17, s4, -v23
	v_fmac_f32_e32 v31, 0xb102e308, v17
	v_sub_f32_e32 v17, v21, v20
	v_sub_f32_e32 v17, v18, v17
	v_add_f32_e32 v18, v23, v31
	v_sub_f32_e32 v20, v18, v23
	v_ldexp_f32 v23, v21, 1
	v_mul_f32_e32 v21, v21, v22
	v_mul_f32_e32 v21, v21, v24
	v_add_f32_e32 v22, v23, v21
	v_sub_f32_e32 v23, v22, v23
	v_ldexp_f32 v17, v17, 1
	v_sub_f32_e32 v21, v21, v23
	v_add_f32_e32 v17, v17, v21
	v_add_f32_e32 v21, v22, v17
	v_sub_f32_e32 v22, v21, v22
	v_sub_f32_e32 v17, v17, v22
	v_add_f32_e32 v22, v18, v21
	v_sub_f32_e32 v23, v22, v18
	v_sub_f32_e32 v24, v22, v23
	;; [unrolled: 1-line block ×5, first 2 shown]
	v_add_f32_e32 v18, v21, v18
	v_add_f32_e32 v21, v20, v17
	v_sub_f32_e32 v23, v21, v20
	v_sub_f32_e32 v24, v21, v23
	;; [unrolled: 1-line block ×4, first 2 shown]
	v_add_f32_e32 v18, v21, v18
	v_add_f32_e32 v17, v17, v20
	;; [unrolled: 1-line block ×3, first 2 shown]
	v_sub_f32_e32 v21, v20, v22
	v_sub_f32_e32 v18, v18, v21
	v_add_f32_e32 v17, v17, v18
	v_add_f32_e32 v17, v20, v17
	v_cmp_neq_f32_e64 s[4:5], s30, v7
	v_cndmask_b32_e64 v17, v19, v17, s[4:5]
	s_mov_b32 s4, 0x33800000
	v_cmp_lt_f32_e64 s[4:5], |v7|, s4
	v_cndmask_b32_e64 v7, v17, v7, s[4:5]
	v_add_f32_e32 v7, v14, v7
.LBB147_118:
	s_or_b64 exec, exec, s[28:29]
	v_max_f32_e32 v14, v7, v7
	v_min_f32_e32 v17, v14, v25
	v_cmp_u_f32_e64 s[4:5], v7, v7
	v_max_f32_e32 v14, v14, v25
	v_cndmask_b32_e64 v17, v17, v7, s[4:5]
	v_cndmask_b32_e64 v14, v14, v7, s[4:5]
	;; [unrolled: 1-line block ×4, first 2 shown]
	s_movk_i32 s30, 0x1f8
	v_cmp_neq_f32_e64 s[4:5], v17, v14
	v_cmp_class_f32_e64 s[28:29], v17, s30
	s_or_b64 s[4:5], s[4:5], s[28:29]
	v_mov_b32_e32 v8, v7
	s_and_saveexec_b64 s[28:29], s[4:5]
	s_cbranch_execz .LBB147_120
; %bb.119:
	v_sub_f32_e32 v8, v17, v14
	s_mov_b32 s4, 0x3fb8aa3b
	v_mul_f32_e32 v17, 0x3fb8aa3b, v8
	v_fma_f32 v18, v8, s4, -v17
	v_rndne_f32_e32 v19, v17
	v_fmac_f32_e32 v18, 0x32a5705f, v8
	v_sub_f32_e32 v17, v17, v19
	v_add_f32_e32 v17, v17, v18
	v_exp_f32_e32 v17, v17
	v_cvt_i32_f32_e32 v18, v19
	s_mov_b32 s4, 0xc2ce8ed0
	v_cmp_ngt_f32_e64 s[4:5], s4, v8
	v_mov_b32_e32 v19, 0x7f800000
	v_ldexp_f32 v17, v17, v18
	v_cndmask_b32_e64 v17, 0, v17, s[4:5]
	s_mov_b32 s4, 0x42b17218
	v_cmp_nlt_f32_e64 s[4:5], s4, v8
	v_cndmask_b32_e64 v8, v19, v17, s[4:5]
	v_add_f32_e32 v20, 1.0, v8
	v_cvt_f64_f32_e32 v[17:18], v20
	v_add_f32_e32 v21, -1.0, v20
	v_sub_f32_e32 v22, v21, v20
	v_sub_f32_e32 v21, v8, v21
	v_frexp_exp_i32_f64_e32 v17, v[17:18]
	v_add_f32_e32 v18, 1.0, v22
	v_add_f32_e32 v18, v21, v18
	v_frexp_mant_f32_e32 v21, v20
	s_mov_b32 s4, 0x3f2aaaab
	v_cmp_gt_f32_e64 s[4:5], s4, v21
	s_mov_b32 s31, 0x7f800000
	v_subbrev_co_u32_e64 v17, s[4:5], 0, v17, s[4:5]
	v_sub_u32_e32 v21, 0, v17
	v_ldexp_f32 v20, v20, v21
	v_ldexp_f32 v18, v18, v21
	v_add_f32_e32 v21, -1.0, v20
	v_add_f32_e32 v24, 1.0, v20
	v_add_f32_e32 v22, 1.0, v21
	v_add_f32_e32 v25, -1.0, v24
	v_sub_f32_e32 v22, v20, v22
	v_sub_f32_e32 v20, v20, v25
	v_add_f32_e32 v22, v18, v22
	v_add_f32_e32 v18, v18, v20
	;; [unrolled: 1-line block ×3, first 2 shown]
	v_rcp_f32_e32 v25, v20
	v_add_f32_e32 v23, v21, v22
	v_sub_f32_e32 v21, v21, v23
	v_add_f32_e32 v21, v22, v21
	v_sub_f32_e32 v22, v24, v20
	v_add_f32_e32 v18, v18, v22
	v_mul_f32_e32 v22, v23, v25
	v_mul_f32_e32 v24, v20, v22
	v_fma_f32 v31, v22, v20, -v24
	v_fmac_f32_e32 v31, v22, v18
	v_add_f32_e32 v32, v24, v31
	v_sub_f32_e32 v33, v23, v32
	v_sub_f32_e32 v23, v23, v33
	;; [unrolled: 1-line block ×4, first 2 shown]
	v_add_f32_e32 v21, v21, v23
	v_sub_f32_e32 v23, v24, v31
	v_add_f32_e32 v21, v23, v21
	v_add_f32_e32 v23, v33, v21
	v_mul_f32_e32 v24, v25, v23
	v_mul_f32_e32 v31, v20, v24
	v_fma_f32 v20, v24, v20, -v31
	v_fmac_f32_e32 v20, v24, v18
	v_sub_f32_e32 v18, v33, v23
	v_add_f32_e32 v18, v21, v18
	v_add_f32_e32 v21, v31, v20
	v_sub_f32_e32 v32, v23, v21
	v_sub_f32_e32 v23, v23, v32
	;; [unrolled: 1-line block ×4, first 2 shown]
	v_add_f32_e32 v18, v18, v21
	v_sub_f32_e32 v20, v31, v20
	v_add_f32_e32 v18, v20, v18
	v_add_f32_e32 v20, v22, v24
	;; [unrolled: 1-line block ×3, first 2 shown]
	v_sub_f32_e32 v21, v20, v22
	v_mul_f32_e32 v18, v25, v18
	v_sub_f32_e32 v21, v24, v21
	v_add_f32_e32 v18, v21, v18
	v_cvt_f32_i32_e32 v17, v17
	v_add_f32_e32 v21, v20, v18
	v_mul_f32_e32 v22, v21, v21
	v_mov_b32_e32 v23, 0x3ecc95a3
	v_fmac_f32_e32 v23, 0x3e9b6dac, v22
	v_mov_b32_e32 v24, 0x3f2aaada
	v_fmac_f32_e32 v24, v22, v23
	s_mov_b32 s4, 0x3f317218
	v_mul_f32_e32 v23, 0x3f317218, v17
	v_fma_f32 v25, v17, s4, -v23
	v_fmac_f32_e32 v25, 0xb102e308, v17
	v_sub_f32_e32 v17, v21, v20
	v_sub_f32_e32 v17, v18, v17
	v_add_f32_e32 v18, v23, v25
	v_sub_f32_e32 v20, v18, v23
	v_ldexp_f32 v23, v21, 1
	v_mul_f32_e32 v21, v21, v22
	v_mul_f32_e32 v21, v21, v24
	v_add_f32_e32 v22, v23, v21
	v_sub_f32_e32 v23, v22, v23
	v_ldexp_f32 v17, v17, 1
	v_sub_f32_e32 v21, v21, v23
	v_add_f32_e32 v17, v17, v21
	v_add_f32_e32 v21, v22, v17
	v_sub_f32_e32 v22, v21, v22
	v_sub_f32_e32 v17, v17, v22
	v_add_f32_e32 v22, v18, v21
	v_sub_f32_e32 v23, v22, v18
	v_sub_f32_e32 v24, v22, v23
	;; [unrolled: 1-line block ×5, first 2 shown]
	v_add_f32_e32 v18, v21, v18
	v_add_f32_e32 v21, v20, v17
	v_sub_f32_e32 v23, v21, v20
	v_sub_f32_e32 v24, v21, v23
	;; [unrolled: 1-line block ×4, first 2 shown]
	v_add_f32_e32 v18, v21, v18
	v_add_f32_e32 v17, v17, v20
	;; [unrolled: 1-line block ×3, first 2 shown]
	v_sub_f32_e32 v21, v20, v22
	v_sub_f32_e32 v18, v18, v21
	v_add_f32_e32 v17, v17, v18
	v_add_f32_e32 v17, v20, v17
	v_cmp_neq_f32_e64 s[4:5], s31, v8
	v_cndmask_b32_e64 v17, v19, v17, s[4:5]
	s_mov_b32 s4, 0x33800000
	v_cmp_lt_f32_e64 s[4:5], |v8|, s4
	v_cndmask_b32_e64 v8, v17, v8, s[4:5]
	v_add_f32_e32 v8, v14, v8
.LBB147_120:
	s_or_b64 exec, exec, s[28:29]
	v_max_f32_e32 v14, v8, v8
	v_min_f32_e32 v17, v14, v26
	v_cmp_u_f32_e64 s[4:5], v8, v8
	v_max_f32_e32 v14, v14, v26
	v_cndmask_b32_e64 v17, v17, v8, s[4:5]
	v_cndmask_b32_e64 v14, v14, v8, s[4:5]
	;; [unrolled: 1-line block ×4, first 2 shown]
	v_cmp_neq_f32_e64 s[4:5], v17, v14
	v_cmp_class_f32_e64 s[28:29], v17, s30
	s_or_b64 s[4:5], s[4:5], s[28:29]
	v_mov_b32_e32 v5, v8
	s_and_saveexec_b64 s[28:29], s[4:5]
	s_cbranch_execz .LBB147_122
; %bb.121:
	v_sub_f32_e32 v5, v17, v14
	s_mov_b32 s4, 0x3fb8aa3b
	v_mul_f32_e32 v17, 0x3fb8aa3b, v5
	v_fma_f32 v18, v5, s4, -v17
	v_rndne_f32_e32 v19, v17
	v_fmac_f32_e32 v18, 0x32a5705f, v5
	v_sub_f32_e32 v17, v17, v19
	v_add_f32_e32 v17, v17, v18
	v_exp_f32_e32 v17, v17
	v_cvt_i32_f32_e32 v18, v19
	s_mov_b32 s4, 0xc2ce8ed0
	v_cmp_ngt_f32_e64 s[4:5], s4, v5
	v_mov_b32_e32 v19, 0x7f800000
	v_ldexp_f32 v17, v17, v18
	v_cndmask_b32_e64 v17, 0, v17, s[4:5]
	s_mov_b32 s4, 0x42b17218
	v_cmp_nlt_f32_e64 s[4:5], s4, v5
	v_cndmask_b32_e64 v5, v19, v17, s[4:5]
	v_add_f32_e32 v20, 1.0, v5
	v_cvt_f64_f32_e32 v[17:18], v20
	v_add_f32_e32 v21, -1.0, v20
	v_sub_f32_e32 v22, v21, v20
	v_sub_f32_e32 v21, v5, v21
	v_frexp_exp_i32_f64_e32 v17, v[17:18]
	v_add_f32_e32 v18, 1.0, v22
	v_add_f32_e32 v18, v21, v18
	v_frexp_mant_f32_e32 v21, v20
	s_mov_b32 s4, 0x3f2aaaab
	v_cmp_gt_f32_e64 s[4:5], s4, v21
	s_mov_b32 s30, 0x7f800000
	v_subbrev_co_u32_e64 v17, s[4:5], 0, v17, s[4:5]
	v_sub_u32_e32 v21, 0, v17
	v_ldexp_f32 v20, v20, v21
	v_ldexp_f32 v18, v18, v21
	v_add_f32_e32 v21, -1.0, v20
	v_add_f32_e32 v24, 1.0, v20
	v_add_f32_e32 v22, 1.0, v21
	v_add_f32_e32 v25, -1.0, v24
	v_sub_f32_e32 v22, v20, v22
	v_sub_f32_e32 v20, v20, v25
	v_add_f32_e32 v22, v18, v22
	v_add_f32_e32 v18, v18, v20
	;; [unrolled: 1-line block ×3, first 2 shown]
	v_rcp_f32_e32 v25, v20
	v_add_f32_e32 v23, v21, v22
	v_sub_f32_e32 v21, v21, v23
	v_add_f32_e32 v21, v22, v21
	v_sub_f32_e32 v22, v24, v20
	v_add_f32_e32 v18, v18, v22
	v_mul_f32_e32 v22, v23, v25
	v_mul_f32_e32 v24, v20, v22
	v_fma_f32 v26, v22, v20, -v24
	v_fmac_f32_e32 v26, v22, v18
	v_add_f32_e32 v31, v24, v26
	v_sub_f32_e32 v32, v23, v31
	v_sub_f32_e32 v23, v23, v32
	;; [unrolled: 1-line block ×4, first 2 shown]
	v_add_f32_e32 v21, v21, v23
	v_sub_f32_e32 v23, v24, v26
	v_add_f32_e32 v21, v23, v21
	v_add_f32_e32 v23, v32, v21
	v_mul_f32_e32 v24, v25, v23
	v_mul_f32_e32 v26, v20, v24
	v_fma_f32 v20, v24, v20, -v26
	v_fmac_f32_e32 v20, v24, v18
	v_sub_f32_e32 v18, v32, v23
	v_add_f32_e32 v18, v21, v18
	v_add_f32_e32 v21, v26, v20
	v_sub_f32_e32 v31, v23, v21
	v_sub_f32_e32 v23, v23, v31
	;; [unrolled: 1-line block ×4, first 2 shown]
	v_add_f32_e32 v18, v18, v21
	v_sub_f32_e32 v20, v26, v20
	v_add_f32_e32 v18, v20, v18
	v_add_f32_e32 v20, v22, v24
	;; [unrolled: 1-line block ×3, first 2 shown]
	v_sub_f32_e32 v21, v20, v22
	v_mul_f32_e32 v18, v25, v18
	v_sub_f32_e32 v21, v24, v21
	v_add_f32_e32 v18, v21, v18
	v_cvt_f32_i32_e32 v17, v17
	v_add_f32_e32 v21, v20, v18
	v_mul_f32_e32 v22, v21, v21
	v_mov_b32_e32 v23, 0x3ecc95a3
	v_fmac_f32_e32 v23, 0x3e9b6dac, v22
	v_mov_b32_e32 v24, 0x3f2aaada
	v_fmac_f32_e32 v24, v22, v23
	s_mov_b32 s4, 0x3f317218
	v_mul_f32_e32 v23, 0x3f317218, v17
	v_fma_f32 v25, v17, s4, -v23
	v_fmac_f32_e32 v25, 0xb102e308, v17
	v_sub_f32_e32 v17, v21, v20
	v_sub_f32_e32 v17, v18, v17
	v_add_f32_e32 v18, v23, v25
	v_sub_f32_e32 v20, v18, v23
	v_ldexp_f32 v23, v21, 1
	v_mul_f32_e32 v21, v21, v22
	v_mul_f32_e32 v21, v21, v24
	v_add_f32_e32 v22, v23, v21
	v_sub_f32_e32 v23, v22, v23
	v_ldexp_f32 v17, v17, 1
	v_sub_f32_e32 v21, v21, v23
	v_add_f32_e32 v17, v17, v21
	v_add_f32_e32 v21, v22, v17
	v_sub_f32_e32 v22, v21, v22
	v_sub_f32_e32 v17, v17, v22
	v_add_f32_e32 v22, v18, v21
	v_sub_f32_e32 v23, v22, v18
	v_sub_f32_e32 v24, v22, v23
	;; [unrolled: 1-line block ×5, first 2 shown]
	v_add_f32_e32 v18, v21, v18
	v_add_f32_e32 v21, v20, v17
	v_sub_f32_e32 v23, v21, v20
	v_sub_f32_e32 v24, v21, v23
	;; [unrolled: 1-line block ×4, first 2 shown]
	v_add_f32_e32 v18, v21, v18
	v_add_f32_e32 v17, v17, v20
	;; [unrolled: 1-line block ×3, first 2 shown]
	v_sub_f32_e32 v21, v20, v22
	v_sub_f32_e32 v18, v18, v21
	v_add_f32_e32 v17, v17, v18
	v_add_f32_e32 v17, v20, v17
	v_cmp_neq_f32_e64 s[4:5], s30, v5
	v_cndmask_b32_e64 v17, v19, v17, s[4:5]
	s_mov_b32 s4, 0x33800000
	v_cmp_lt_f32_e64 s[4:5], |v5|, s4
	v_cndmask_b32_e64 v5, v17, v5, s[4:5]
	v_add_f32_e32 v5, v14, v5
.LBB147_122:
	s_or_b64 exec, exec, s[28:29]
	v_max_f32_e32 v14, v5, v5
	v_min_f32_e32 v17, v14, v27
	v_cmp_u_f32_e64 s[4:5], v5, v5
	v_max_f32_e32 v14, v14, v27
	v_cndmask_b32_e64 v17, v17, v5, s[4:5]
	v_cndmask_b32_e64 v14, v14, v5, s[4:5]
	;; [unrolled: 1-line block ×4, first 2 shown]
	s_movk_i32 s30, 0x1f8
	v_cmp_neq_f32_e64 s[4:5], v17, v14
	v_cmp_class_f32_e64 s[28:29], v17, s30
	s_or_b64 s[4:5], s[4:5], s[28:29]
	v_mov_b32_e32 v6, v5
	s_and_saveexec_b64 s[28:29], s[4:5]
	s_cbranch_execz .LBB147_124
; %bb.123:
	v_sub_f32_e32 v6, v17, v14
	s_mov_b32 s4, 0x3fb8aa3b
	v_mul_f32_e32 v17, 0x3fb8aa3b, v6
	v_fma_f32 v18, v6, s4, -v17
	v_rndne_f32_e32 v19, v17
	v_fmac_f32_e32 v18, 0x32a5705f, v6
	v_sub_f32_e32 v17, v17, v19
	v_add_f32_e32 v17, v17, v18
	v_exp_f32_e32 v17, v17
	v_cvt_i32_f32_e32 v18, v19
	s_mov_b32 s4, 0xc2ce8ed0
	v_cmp_ngt_f32_e64 s[4:5], s4, v6
	v_mov_b32_e32 v19, 0x7f800000
	v_ldexp_f32 v17, v17, v18
	v_cndmask_b32_e64 v17, 0, v17, s[4:5]
	s_mov_b32 s4, 0x42b17218
	v_cmp_nlt_f32_e64 s[4:5], s4, v6
	v_cndmask_b32_e64 v6, v19, v17, s[4:5]
	v_add_f32_e32 v20, 1.0, v6
	v_cvt_f64_f32_e32 v[17:18], v20
	v_add_f32_e32 v21, -1.0, v20
	v_sub_f32_e32 v22, v21, v20
	v_sub_f32_e32 v21, v6, v21
	v_frexp_exp_i32_f64_e32 v17, v[17:18]
	v_add_f32_e32 v18, 1.0, v22
	v_add_f32_e32 v18, v21, v18
	v_frexp_mant_f32_e32 v21, v20
	s_mov_b32 s4, 0x3f2aaaab
	v_cmp_gt_f32_e64 s[4:5], s4, v21
	s_mov_b32 s31, 0x7f800000
	v_subbrev_co_u32_e64 v17, s[4:5], 0, v17, s[4:5]
	v_sub_u32_e32 v21, 0, v17
	v_ldexp_f32 v20, v20, v21
	v_ldexp_f32 v18, v18, v21
	v_add_f32_e32 v21, -1.0, v20
	v_add_f32_e32 v24, 1.0, v20
	v_add_f32_e32 v22, 1.0, v21
	v_add_f32_e32 v25, -1.0, v24
	v_sub_f32_e32 v22, v20, v22
	v_sub_f32_e32 v20, v20, v25
	v_add_f32_e32 v22, v18, v22
	v_add_f32_e32 v18, v18, v20
	;; [unrolled: 1-line block ×3, first 2 shown]
	v_rcp_f32_e32 v25, v20
	v_add_f32_e32 v23, v21, v22
	v_sub_f32_e32 v21, v21, v23
	v_add_f32_e32 v21, v22, v21
	v_sub_f32_e32 v22, v24, v20
	v_add_f32_e32 v18, v18, v22
	v_mul_f32_e32 v22, v23, v25
	v_mul_f32_e32 v24, v20, v22
	v_fma_f32 v26, v22, v20, -v24
	v_fmac_f32_e32 v26, v22, v18
	v_add_f32_e32 v27, v24, v26
	v_sub_f32_e32 v31, v23, v27
	v_sub_f32_e32 v23, v23, v31
	;; [unrolled: 1-line block ×4, first 2 shown]
	v_add_f32_e32 v21, v21, v23
	v_sub_f32_e32 v23, v24, v26
	v_add_f32_e32 v21, v23, v21
	v_add_f32_e32 v23, v31, v21
	v_mul_f32_e32 v24, v25, v23
	v_mul_f32_e32 v26, v20, v24
	v_fma_f32 v20, v24, v20, -v26
	v_fmac_f32_e32 v20, v24, v18
	v_sub_f32_e32 v18, v31, v23
	v_add_f32_e32 v18, v21, v18
	v_add_f32_e32 v21, v26, v20
	v_sub_f32_e32 v27, v23, v21
	v_sub_f32_e32 v23, v23, v27
	;; [unrolled: 1-line block ×4, first 2 shown]
	v_add_f32_e32 v18, v18, v21
	v_sub_f32_e32 v20, v26, v20
	v_add_f32_e32 v18, v20, v18
	v_add_f32_e32 v20, v22, v24
	;; [unrolled: 1-line block ×3, first 2 shown]
	v_sub_f32_e32 v21, v20, v22
	v_mul_f32_e32 v18, v25, v18
	v_sub_f32_e32 v21, v24, v21
	v_add_f32_e32 v18, v21, v18
	v_cvt_f32_i32_e32 v17, v17
	v_add_f32_e32 v21, v20, v18
	v_mul_f32_e32 v22, v21, v21
	v_mov_b32_e32 v23, 0x3ecc95a3
	v_fmac_f32_e32 v23, 0x3e9b6dac, v22
	v_mov_b32_e32 v24, 0x3f2aaada
	v_fmac_f32_e32 v24, v22, v23
	s_mov_b32 s4, 0x3f317218
	v_mul_f32_e32 v23, 0x3f317218, v17
	v_fma_f32 v25, v17, s4, -v23
	v_fmac_f32_e32 v25, 0xb102e308, v17
	v_sub_f32_e32 v17, v21, v20
	v_sub_f32_e32 v17, v18, v17
	v_add_f32_e32 v18, v23, v25
	v_sub_f32_e32 v20, v18, v23
	v_ldexp_f32 v23, v21, 1
	v_mul_f32_e32 v21, v21, v22
	v_mul_f32_e32 v21, v21, v24
	v_add_f32_e32 v22, v23, v21
	v_sub_f32_e32 v23, v22, v23
	v_ldexp_f32 v17, v17, 1
	v_sub_f32_e32 v21, v21, v23
	v_add_f32_e32 v17, v17, v21
	v_add_f32_e32 v21, v22, v17
	v_sub_f32_e32 v22, v21, v22
	v_sub_f32_e32 v17, v17, v22
	v_add_f32_e32 v22, v18, v21
	v_sub_f32_e32 v23, v22, v18
	v_sub_f32_e32 v24, v22, v23
	;; [unrolled: 1-line block ×5, first 2 shown]
	v_add_f32_e32 v18, v21, v18
	v_add_f32_e32 v21, v20, v17
	v_sub_f32_e32 v23, v21, v20
	v_sub_f32_e32 v24, v21, v23
	v_sub_f32_e32 v20, v20, v24
	v_sub_f32_e32 v17, v17, v23
	v_add_f32_e32 v18, v21, v18
	v_add_f32_e32 v17, v17, v20
	;; [unrolled: 1-line block ×3, first 2 shown]
	v_sub_f32_e32 v21, v20, v22
	v_sub_f32_e32 v18, v18, v21
	v_add_f32_e32 v17, v17, v18
	v_add_f32_e32 v17, v20, v17
	v_cmp_neq_f32_e64 s[4:5], s31, v6
	v_cndmask_b32_e64 v17, v19, v17, s[4:5]
	s_mov_b32 s4, 0x33800000
	v_cmp_lt_f32_e64 s[4:5], |v6|, s4
	v_cndmask_b32_e64 v6, v17, v6, s[4:5]
	v_add_f32_e32 v6, v14, v6
.LBB147_124:
	s_or_b64 exec, exec, s[28:29]
	v_max_f32_e32 v14, v6, v6
	v_min_f32_e32 v17, v14, v28
	v_cmp_u_f32_e64 s[4:5], v6, v6
	v_max_f32_e32 v14, v14, v28
	v_cndmask_b32_e64 v17, v17, v6, s[4:5]
	v_cndmask_b32_e64 v14, v14, v6, s[4:5]
	;; [unrolled: 1-line block ×4, first 2 shown]
	v_cmp_neq_f32_e64 s[4:5], v17, v14
	v_cmp_class_f32_e64 s[28:29], v17, s30
	s_or_b64 s[4:5], s[4:5], s[28:29]
	v_mov_b32_e32 v3, v6
	s_and_saveexec_b64 s[28:29], s[4:5]
	s_cbranch_execz .LBB147_126
; %bb.125:
	v_sub_f32_e32 v3, v17, v14
	s_mov_b32 s4, 0x3fb8aa3b
	v_mul_f32_e32 v17, 0x3fb8aa3b, v3
	v_fma_f32 v18, v3, s4, -v17
	v_rndne_f32_e32 v19, v17
	v_fmac_f32_e32 v18, 0x32a5705f, v3
	v_sub_f32_e32 v17, v17, v19
	v_add_f32_e32 v17, v17, v18
	v_exp_f32_e32 v17, v17
	v_cvt_i32_f32_e32 v18, v19
	s_mov_b32 s4, 0xc2ce8ed0
	v_cmp_ngt_f32_e64 s[4:5], s4, v3
	v_mov_b32_e32 v19, 0x7f800000
	v_ldexp_f32 v17, v17, v18
	v_cndmask_b32_e64 v17, 0, v17, s[4:5]
	s_mov_b32 s4, 0x42b17218
	v_cmp_nlt_f32_e64 s[4:5], s4, v3
	v_cndmask_b32_e64 v3, v19, v17, s[4:5]
	v_add_f32_e32 v20, 1.0, v3
	v_cvt_f64_f32_e32 v[17:18], v20
	v_add_f32_e32 v21, -1.0, v20
	v_sub_f32_e32 v22, v21, v20
	v_sub_f32_e32 v21, v3, v21
	v_frexp_exp_i32_f64_e32 v17, v[17:18]
	v_add_f32_e32 v18, 1.0, v22
	v_add_f32_e32 v18, v21, v18
	v_frexp_mant_f32_e32 v21, v20
	s_mov_b32 s4, 0x3f2aaaab
	v_cmp_gt_f32_e64 s[4:5], s4, v21
	s_mov_b32 s30, 0x7f800000
	v_subbrev_co_u32_e64 v17, s[4:5], 0, v17, s[4:5]
	v_sub_u32_e32 v21, 0, v17
	v_ldexp_f32 v20, v20, v21
	v_ldexp_f32 v18, v18, v21
	v_add_f32_e32 v21, -1.0, v20
	v_add_f32_e32 v24, 1.0, v20
	v_add_f32_e32 v22, 1.0, v21
	v_add_f32_e32 v25, -1.0, v24
	v_sub_f32_e32 v22, v20, v22
	v_sub_f32_e32 v20, v20, v25
	v_add_f32_e32 v22, v18, v22
	v_add_f32_e32 v18, v18, v20
	v_add_f32_e32 v20, v24, v18
	v_rcp_f32_e32 v25, v20
	v_add_f32_e32 v23, v21, v22
	v_sub_f32_e32 v21, v21, v23
	v_add_f32_e32 v21, v22, v21
	v_sub_f32_e32 v22, v24, v20
	v_add_f32_e32 v18, v18, v22
	v_mul_f32_e32 v22, v23, v25
	v_mul_f32_e32 v24, v20, v22
	v_fma_f32 v26, v22, v20, -v24
	v_fmac_f32_e32 v26, v22, v18
	v_add_f32_e32 v27, v24, v26
	v_sub_f32_e32 v28, v23, v27
	v_sub_f32_e32 v23, v23, v28
	;; [unrolled: 1-line block ×4, first 2 shown]
	v_add_f32_e32 v21, v21, v23
	v_sub_f32_e32 v23, v24, v26
	v_add_f32_e32 v21, v23, v21
	v_add_f32_e32 v23, v28, v21
	v_mul_f32_e32 v24, v25, v23
	v_mul_f32_e32 v26, v20, v24
	v_fma_f32 v20, v24, v20, -v26
	v_fmac_f32_e32 v20, v24, v18
	v_sub_f32_e32 v18, v28, v23
	v_add_f32_e32 v18, v21, v18
	v_add_f32_e32 v21, v26, v20
	v_sub_f32_e32 v27, v23, v21
	v_sub_f32_e32 v23, v23, v27
	;; [unrolled: 1-line block ×4, first 2 shown]
	v_add_f32_e32 v18, v18, v21
	v_sub_f32_e32 v20, v26, v20
	v_add_f32_e32 v18, v20, v18
	v_add_f32_e32 v20, v22, v24
	;; [unrolled: 1-line block ×3, first 2 shown]
	v_sub_f32_e32 v21, v20, v22
	v_mul_f32_e32 v18, v25, v18
	v_sub_f32_e32 v21, v24, v21
	v_add_f32_e32 v18, v21, v18
	v_cvt_f32_i32_e32 v17, v17
	v_add_f32_e32 v21, v20, v18
	v_mul_f32_e32 v22, v21, v21
	v_mov_b32_e32 v23, 0x3ecc95a3
	v_fmac_f32_e32 v23, 0x3e9b6dac, v22
	v_mov_b32_e32 v24, 0x3f2aaada
	v_fmac_f32_e32 v24, v22, v23
	s_mov_b32 s4, 0x3f317218
	v_mul_f32_e32 v23, 0x3f317218, v17
	v_fma_f32 v25, v17, s4, -v23
	v_fmac_f32_e32 v25, 0xb102e308, v17
	v_sub_f32_e32 v17, v21, v20
	v_sub_f32_e32 v17, v18, v17
	v_add_f32_e32 v18, v23, v25
	v_sub_f32_e32 v20, v18, v23
	v_ldexp_f32 v23, v21, 1
	v_mul_f32_e32 v21, v21, v22
	v_mul_f32_e32 v21, v21, v24
	v_add_f32_e32 v22, v23, v21
	v_sub_f32_e32 v23, v22, v23
	v_ldexp_f32 v17, v17, 1
	v_sub_f32_e32 v21, v21, v23
	v_add_f32_e32 v17, v17, v21
	v_add_f32_e32 v21, v22, v17
	v_sub_f32_e32 v22, v21, v22
	v_sub_f32_e32 v17, v17, v22
	v_add_f32_e32 v22, v18, v21
	v_sub_f32_e32 v23, v22, v18
	v_sub_f32_e32 v24, v22, v23
	;; [unrolled: 1-line block ×5, first 2 shown]
	v_add_f32_e32 v18, v21, v18
	v_add_f32_e32 v21, v20, v17
	v_sub_f32_e32 v23, v21, v20
	v_sub_f32_e32 v24, v21, v23
	;; [unrolled: 1-line block ×4, first 2 shown]
	v_add_f32_e32 v18, v21, v18
	v_add_f32_e32 v17, v17, v20
	;; [unrolled: 1-line block ×3, first 2 shown]
	v_sub_f32_e32 v21, v20, v22
	v_sub_f32_e32 v18, v18, v21
	v_add_f32_e32 v17, v17, v18
	v_add_f32_e32 v17, v20, v17
	v_cmp_neq_f32_e64 s[4:5], s30, v3
	v_cndmask_b32_e64 v17, v19, v17, s[4:5]
	s_mov_b32 s4, 0x33800000
	v_cmp_lt_f32_e64 s[4:5], |v3|, s4
	v_cndmask_b32_e64 v3, v17, v3, s[4:5]
	v_add_f32_e32 v3, v14, v3
.LBB147_126:
	s_or_b64 exec, exec, s[28:29]
	v_max_f32_e32 v14, v3, v3
	v_min_f32_e32 v17, v14, v29
	v_cmp_u_f32_e64 s[4:5], v3, v3
	v_max_f32_e32 v14, v14, v29
	v_cndmask_b32_e64 v17, v17, v3, s[4:5]
	v_cndmask_b32_e64 v14, v14, v3, s[4:5]
	;; [unrolled: 1-line block ×4, first 2 shown]
	s_movk_i32 s30, 0x1f8
	v_cmp_neq_f32_e64 s[4:5], v17, v14
	v_cmp_class_f32_e64 s[28:29], v17, s30
	s_or_b64 s[4:5], s[4:5], s[28:29]
	v_mov_b32_e32 v4, v3
	s_and_saveexec_b64 s[28:29], s[4:5]
	s_cbranch_execz .LBB147_128
; %bb.127:
	v_sub_f32_e32 v4, v17, v14
	s_mov_b32 s4, 0x3fb8aa3b
	v_mul_f32_e32 v17, 0x3fb8aa3b, v4
	v_fma_f32 v18, v4, s4, -v17
	v_rndne_f32_e32 v19, v17
	v_fmac_f32_e32 v18, 0x32a5705f, v4
	v_sub_f32_e32 v17, v17, v19
	v_add_f32_e32 v17, v17, v18
	v_exp_f32_e32 v17, v17
	v_cvt_i32_f32_e32 v18, v19
	s_mov_b32 s4, 0xc2ce8ed0
	v_cmp_ngt_f32_e64 s[4:5], s4, v4
	v_mov_b32_e32 v19, 0x7f800000
	v_ldexp_f32 v17, v17, v18
	v_cndmask_b32_e64 v17, 0, v17, s[4:5]
	s_mov_b32 s4, 0x42b17218
	v_cmp_nlt_f32_e64 s[4:5], s4, v4
	v_cndmask_b32_e64 v4, v19, v17, s[4:5]
	v_add_f32_e32 v20, 1.0, v4
	v_cvt_f64_f32_e32 v[17:18], v20
	v_add_f32_e32 v21, -1.0, v20
	v_sub_f32_e32 v22, v21, v20
	v_sub_f32_e32 v21, v4, v21
	v_frexp_exp_i32_f64_e32 v17, v[17:18]
	v_add_f32_e32 v18, 1.0, v22
	v_add_f32_e32 v18, v21, v18
	v_frexp_mant_f32_e32 v21, v20
	s_mov_b32 s4, 0x3f2aaaab
	v_cmp_gt_f32_e64 s[4:5], s4, v21
	s_mov_b32 s31, 0x7f800000
	v_subbrev_co_u32_e64 v17, s[4:5], 0, v17, s[4:5]
	v_sub_u32_e32 v21, 0, v17
	v_ldexp_f32 v20, v20, v21
	v_ldexp_f32 v18, v18, v21
	v_add_f32_e32 v21, -1.0, v20
	v_add_f32_e32 v24, 1.0, v20
	v_add_f32_e32 v22, 1.0, v21
	v_add_f32_e32 v25, -1.0, v24
	v_sub_f32_e32 v22, v20, v22
	v_sub_f32_e32 v20, v20, v25
	v_add_f32_e32 v22, v18, v22
	v_add_f32_e32 v18, v18, v20
	;; [unrolled: 1-line block ×3, first 2 shown]
	v_rcp_f32_e32 v25, v20
	v_add_f32_e32 v23, v21, v22
	v_sub_f32_e32 v21, v21, v23
	v_add_f32_e32 v21, v22, v21
	v_sub_f32_e32 v22, v24, v20
	v_add_f32_e32 v18, v18, v22
	v_mul_f32_e32 v22, v23, v25
	v_mul_f32_e32 v24, v20, v22
	v_fma_f32 v26, v22, v20, -v24
	v_fmac_f32_e32 v26, v22, v18
	v_add_f32_e32 v27, v24, v26
	v_sub_f32_e32 v28, v23, v27
	v_sub_f32_e32 v23, v23, v28
	;; [unrolled: 1-line block ×4, first 2 shown]
	v_add_f32_e32 v21, v21, v23
	v_sub_f32_e32 v23, v24, v26
	v_add_f32_e32 v21, v23, v21
	v_add_f32_e32 v23, v28, v21
	v_mul_f32_e32 v24, v25, v23
	v_mul_f32_e32 v26, v20, v24
	v_fma_f32 v20, v24, v20, -v26
	v_fmac_f32_e32 v20, v24, v18
	v_sub_f32_e32 v18, v28, v23
	v_add_f32_e32 v18, v21, v18
	v_add_f32_e32 v21, v26, v20
	v_sub_f32_e32 v27, v23, v21
	v_sub_f32_e32 v23, v23, v27
	;; [unrolled: 1-line block ×4, first 2 shown]
	v_add_f32_e32 v18, v18, v21
	v_sub_f32_e32 v20, v26, v20
	v_add_f32_e32 v18, v20, v18
	v_add_f32_e32 v20, v22, v24
	;; [unrolled: 1-line block ×3, first 2 shown]
	v_sub_f32_e32 v21, v20, v22
	v_mul_f32_e32 v18, v25, v18
	v_sub_f32_e32 v21, v24, v21
	v_add_f32_e32 v18, v21, v18
	v_cvt_f32_i32_e32 v17, v17
	v_add_f32_e32 v21, v20, v18
	v_mul_f32_e32 v22, v21, v21
	v_mov_b32_e32 v23, 0x3ecc95a3
	v_fmac_f32_e32 v23, 0x3e9b6dac, v22
	v_mov_b32_e32 v24, 0x3f2aaada
	v_fmac_f32_e32 v24, v22, v23
	s_mov_b32 s4, 0x3f317218
	v_mul_f32_e32 v23, 0x3f317218, v17
	v_fma_f32 v25, v17, s4, -v23
	v_fmac_f32_e32 v25, 0xb102e308, v17
	v_sub_f32_e32 v17, v21, v20
	v_sub_f32_e32 v17, v18, v17
	v_add_f32_e32 v18, v23, v25
	v_sub_f32_e32 v20, v18, v23
	v_ldexp_f32 v23, v21, 1
	v_mul_f32_e32 v21, v21, v22
	v_mul_f32_e32 v21, v21, v24
	v_add_f32_e32 v22, v23, v21
	v_sub_f32_e32 v23, v22, v23
	v_ldexp_f32 v17, v17, 1
	v_sub_f32_e32 v21, v21, v23
	v_add_f32_e32 v17, v17, v21
	v_add_f32_e32 v21, v22, v17
	v_sub_f32_e32 v22, v21, v22
	v_sub_f32_e32 v17, v17, v22
	v_add_f32_e32 v22, v18, v21
	v_sub_f32_e32 v23, v22, v18
	v_sub_f32_e32 v24, v22, v23
	;; [unrolled: 1-line block ×5, first 2 shown]
	v_add_f32_e32 v18, v21, v18
	v_add_f32_e32 v21, v20, v17
	v_sub_f32_e32 v23, v21, v20
	v_sub_f32_e32 v24, v21, v23
	;; [unrolled: 1-line block ×4, first 2 shown]
	v_add_f32_e32 v18, v21, v18
	v_add_f32_e32 v17, v17, v20
	;; [unrolled: 1-line block ×3, first 2 shown]
	v_sub_f32_e32 v21, v20, v22
	v_sub_f32_e32 v18, v18, v21
	v_add_f32_e32 v17, v17, v18
	v_add_f32_e32 v17, v20, v17
	v_cmp_neq_f32_e64 s[4:5], s31, v4
	v_cndmask_b32_e64 v17, v19, v17, s[4:5]
	s_mov_b32 s4, 0x33800000
	v_cmp_lt_f32_e64 s[4:5], |v4|, s4
	v_cndmask_b32_e64 v4, v17, v4, s[4:5]
	v_add_f32_e32 v4, v14, v4
.LBB147_128:
	s_or_b64 exec, exec, s[28:29]
	v_max_f32_e32 v14, v4, v4
	v_min_f32_e32 v17, v14, v30
	v_cmp_u_f32_e64 s[4:5], v4, v4
	v_max_f32_e32 v14, v14, v30
	v_cndmask_b32_e64 v17, v17, v4, s[4:5]
	v_cndmask_b32_e64 v14, v14, v4, s[4:5]
	;; [unrolled: 1-line block ×4, first 2 shown]
	v_cmp_neq_f32_e64 s[4:5], v17, v14
	v_cmp_class_f32_e64 s[28:29], v17, s30
	s_or_b64 s[4:5], s[4:5], s[28:29]
	v_mov_b32_e32 v15, v4
	s_and_saveexec_b64 s[28:29], s[4:5]
	s_cbranch_execz .LBB147_130
; %bb.129:
	v_sub_f32_e32 v15, v17, v14
	s_mov_b32 s4, 0x3fb8aa3b
	v_mul_f32_e32 v17, 0x3fb8aa3b, v15
	v_fma_f32 v18, v15, s4, -v17
	v_rndne_f32_e32 v19, v17
	v_fmac_f32_e32 v18, 0x32a5705f, v15
	v_sub_f32_e32 v17, v17, v19
	v_add_f32_e32 v17, v17, v18
	v_exp_f32_e32 v17, v17
	v_cvt_i32_f32_e32 v18, v19
	s_mov_b32 s4, 0xc2ce8ed0
	v_cmp_ngt_f32_e64 s[4:5], s4, v15
	v_mov_b32_e32 v19, 0x7f800000
	v_ldexp_f32 v17, v17, v18
	v_cndmask_b32_e64 v17, 0, v17, s[4:5]
	s_mov_b32 s4, 0x42b17218
	v_cmp_nlt_f32_e64 s[4:5], s4, v15
	v_cndmask_b32_e64 v15, v19, v17, s[4:5]
	v_add_f32_e32 v20, 1.0, v15
	v_cvt_f64_f32_e32 v[17:18], v20
	v_add_f32_e32 v21, -1.0, v20
	v_sub_f32_e32 v22, v21, v20
	v_sub_f32_e32 v21, v15, v21
	v_frexp_exp_i32_f64_e32 v17, v[17:18]
	v_add_f32_e32 v18, 1.0, v22
	v_add_f32_e32 v18, v21, v18
	v_frexp_mant_f32_e32 v21, v20
	s_mov_b32 s4, 0x3f2aaaab
	v_cmp_gt_f32_e64 s[4:5], s4, v21
	s_mov_b32 s30, 0x7f800000
	v_subbrev_co_u32_e64 v17, s[4:5], 0, v17, s[4:5]
	v_sub_u32_e32 v21, 0, v17
	v_ldexp_f32 v20, v20, v21
	v_ldexp_f32 v18, v18, v21
	v_add_f32_e32 v21, -1.0, v20
	v_add_f32_e32 v24, 1.0, v20
	v_add_f32_e32 v22, 1.0, v21
	v_add_f32_e32 v25, -1.0, v24
	v_sub_f32_e32 v22, v20, v22
	v_sub_f32_e32 v20, v20, v25
	v_add_f32_e32 v22, v18, v22
	v_add_f32_e32 v18, v18, v20
	;; [unrolled: 1-line block ×3, first 2 shown]
	v_rcp_f32_e32 v25, v20
	v_add_f32_e32 v23, v21, v22
	v_sub_f32_e32 v21, v21, v23
	v_add_f32_e32 v21, v22, v21
	v_sub_f32_e32 v22, v24, v20
	v_add_f32_e32 v18, v18, v22
	v_mul_f32_e32 v22, v23, v25
	v_mul_f32_e32 v24, v20, v22
	v_fma_f32 v26, v22, v20, -v24
	v_fmac_f32_e32 v26, v22, v18
	v_add_f32_e32 v27, v24, v26
	v_sub_f32_e32 v28, v23, v27
	v_sub_f32_e32 v23, v23, v28
	;; [unrolled: 1-line block ×4, first 2 shown]
	v_add_f32_e32 v21, v21, v23
	v_sub_f32_e32 v23, v24, v26
	v_add_f32_e32 v21, v23, v21
	v_add_f32_e32 v23, v28, v21
	v_mul_f32_e32 v24, v25, v23
	v_mul_f32_e32 v26, v20, v24
	v_fma_f32 v20, v24, v20, -v26
	v_fmac_f32_e32 v20, v24, v18
	v_sub_f32_e32 v18, v28, v23
	v_add_f32_e32 v18, v21, v18
	v_add_f32_e32 v21, v26, v20
	v_sub_f32_e32 v27, v23, v21
	v_sub_f32_e32 v23, v23, v27
	;; [unrolled: 1-line block ×4, first 2 shown]
	v_add_f32_e32 v18, v18, v21
	v_sub_f32_e32 v20, v26, v20
	v_add_f32_e32 v18, v20, v18
	v_add_f32_e32 v20, v22, v24
	;; [unrolled: 1-line block ×3, first 2 shown]
	v_sub_f32_e32 v21, v20, v22
	v_mul_f32_e32 v18, v25, v18
	v_sub_f32_e32 v21, v24, v21
	v_add_f32_e32 v18, v21, v18
	v_cvt_f32_i32_e32 v17, v17
	v_add_f32_e32 v21, v20, v18
	v_mul_f32_e32 v22, v21, v21
	v_mov_b32_e32 v23, 0x3ecc95a3
	v_fmac_f32_e32 v23, 0x3e9b6dac, v22
	v_mov_b32_e32 v24, 0x3f2aaada
	v_fmac_f32_e32 v24, v22, v23
	s_mov_b32 s4, 0x3f317218
	v_mul_f32_e32 v23, 0x3f317218, v17
	v_fma_f32 v25, v17, s4, -v23
	v_fmac_f32_e32 v25, 0xb102e308, v17
	v_sub_f32_e32 v17, v21, v20
	v_sub_f32_e32 v17, v18, v17
	v_add_f32_e32 v18, v23, v25
	v_sub_f32_e32 v20, v18, v23
	v_ldexp_f32 v23, v21, 1
	v_mul_f32_e32 v21, v21, v22
	v_mul_f32_e32 v21, v21, v24
	v_add_f32_e32 v22, v23, v21
	v_sub_f32_e32 v23, v22, v23
	v_ldexp_f32 v17, v17, 1
	v_sub_f32_e32 v21, v21, v23
	v_add_f32_e32 v17, v17, v21
	v_add_f32_e32 v21, v22, v17
	v_sub_f32_e32 v22, v21, v22
	v_sub_f32_e32 v17, v17, v22
	v_add_f32_e32 v22, v18, v21
	v_sub_f32_e32 v23, v22, v18
	v_sub_f32_e32 v24, v22, v23
	;; [unrolled: 1-line block ×5, first 2 shown]
	v_add_f32_e32 v18, v21, v18
	v_add_f32_e32 v21, v20, v17
	v_sub_f32_e32 v23, v21, v20
	v_sub_f32_e32 v24, v21, v23
	;; [unrolled: 1-line block ×4, first 2 shown]
	v_add_f32_e32 v18, v21, v18
	v_add_f32_e32 v17, v17, v20
	v_add_f32_e32 v20, v22, v18
	v_sub_f32_e32 v21, v20, v22
	v_sub_f32_e32 v18, v18, v21
	v_add_f32_e32 v17, v17, v18
	v_add_f32_e32 v17, v20, v17
	v_cmp_neq_f32_e64 s[4:5], s30, v15
	v_cndmask_b32_e64 v17, v19, v17, s[4:5]
	s_mov_b32 s4, 0x33800000
	v_cmp_lt_f32_e64 s[4:5], |v15|, s4
	v_cndmask_b32_e64 v15, v17, v15, s[4:5]
	v_add_f32_e32 v15, v14, v15
.LBB147_130:
	s_or_b64 exec, exec, s[28:29]
	v_add_u32_e32 v14, v16, v34
	s_waitcnt lgkmcnt(0)
	s_barrier
	ds_write2_b32 v14, v1, v0 offset1:1
	ds_write2_b32 v14, v2, v13 offset0:2 offset1:3
	ds_write2_b32 v14, v11, v12 offset0:4 offset1:5
	;; [unrolled: 1-line block ×6, first 2 shown]
	ds_write_b32 v14, v15 offset:56
	s_waitcnt lgkmcnt(0)
	s_barrier
	ds_read2st64_b32 v[14:15], v16 offset0:4 offset1:8
	ds_read2st64_b32 v[12:13], v16 offset0:12 offset1:16
	;; [unrolled: 1-line block ×7, first 2 shown]
	v_mov_b32_e32 v3, s65
	v_add_co_u32_e64 v2, s[4:5], s64, v16
	v_addc_co_u32_e64 v3, s[4:5], 0, v3, s[4:5]
	s_and_saveexec_b64 s[4:5], vcc
	s_cbranch_execnz .LBB147_146
; %bb.131:
	s_or_b64 exec, exec, s[4:5]
	s_and_saveexec_b64 s[4:5], s[0:1]
	s_cbranch_execnz .LBB147_147
.LBB147_132:
	s_or_b64 exec, exec, s[4:5]
	s_and_saveexec_b64 s[0:1], s[2:3]
	s_cbranch_execnz .LBB147_148
.LBB147_133:
	s_or_b64 exec, exec, s[0:1]
	s_and_saveexec_b64 s[0:1], s[60:61]
	s_cbranch_execnz .LBB147_149
.LBB147_134:
	s_or_b64 exec, exec, s[0:1]
	s_and_saveexec_b64 s[0:1], s[6:7]
	s_cbranch_execnz .LBB147_150
.LBB147_135:
	s_or_b64 exec, exec, s[0:1]
	s_and_saveexec_b64 s[0:1], s[8:9]
	s_cbranch_execnz .LBB147_151
.LBB147_136:
	s_or_b64 exec, exec, s[0:1]
	s_and_saveexec_b64 s[0:1], s[10:11]
	s_cbranch_execnz .LBB147_152
.LBB147_137:
	s_or_b64 exec, exec, s[0:1]
	s_and_saveexec_b64 s[0:1], s[12:13]
	s_cbranch_execnz .LBB147_153
.LBB147_138:
	s_or_b64 exec, exec, s[0:1]
	s_and_saveexec_b64 s[0:1], s[14:15]
	s_cbranch_execnz .LBB147_154
.LBB147_139:
	s_or_b64 exec, exec, s[0:1]
	s_and_saveexec_b64 s[0:1], s[16:17]
	s_cbranch_execnz .LBB147_155
.LBB147_140:
	s_or_b64 exec, exec, s[0:1]
	s_and_saveexec_b64 s[0:1], s[18:19]
	s_cbranch_execnz .LBB147_156
.LBB147_141:
	s_or_b64 exec, exec, s[0:1]
	s_and_saveexec_b64 s[0:1], s[20:21]
	s_cbranch_execnz .LBB147_157
.LBB147_142:
	s_or_b64 exec, exec, s[0:1]
	s_and_saveexec_b64 s[0:1], s[22:23]
	s_cbranch_execnz .LBB147_158
.LBB147_143:
	s_or_b64 exec, exec, s[0:1]
	s_and_saveexec_b64 s[0:1], s[24:25]
	s_cbranch_execnz .LBB147_159
.LBB147_144:
	s_or_b64 exec, exec, s[0:1]
	s_and_saveexec_b64 s[0:1], s[26:27]
	s_cbranch_execnz .LBB147_160
.LBB147_145:
	s_endpgm
.LBB147_146:
	ds_read_b32 v16, v16
	s_waitcnt lgkmcnt(0)
	global_store_dword v[2:3], v16, off
	s_or_b64 exec, exec, s[4:5]
	s_and_saveexec_b64 s[4:5], s[0:1]
	s_cbranch_execz .LBB147_132
.LBB147_147:
	s_waitcnt lgkmcnt(6)
	global_store_dword v[2:3], v14, off offset:1024
	s_or_b64 exec, exec, s[4:5]
	s_and_saveexec_b64 s[0:1], s[2:3]
	s_cbranch_execz .LBB147_133
.LBB147_148:
	s_waitcnt lgkmcnt(6)
	global_store_dword v[2:3], v15, off offset:2048
	s_or_b64 exec, exec, s[0:1]
	s_and_saveexec_b64 s[0:1], s[60:61]
	s_cbranch_execz .LBB147_134
.LBB147_149:
	s_waitcnt lgkmcnt(5)
	global_store_dword v[2:3], v12, off offset:3072
	s_or_b64 exec, exec, s[0:1]
	s_and_saveexec_b64 s[0:1], s[6:7]
	s_cbranch_execz .LBB147_135
.LBB147_150:
	s_waitcnt lgkmcnt(6)
	v_add_co_u32_e32 v14, vcc, 0x1000, v2
	v_addc_co_u32_e32 v15, vcc, 0, v3, vcc
	s_waitcnt lgkmcnt(5)
	global_store_dword v[14:15], v13, off
	s_or_b64 exec, exec, s[0:1]
	s_and_saveexec_b64 s[0:1], s[8:9]
	s_cbranch_execz .LBB147_136
.LBB147_151:
	s_waitcnt lgkmcnt(5)
	v_add_co_u32_e32 v12, vcc, 0x1000, v2
	v_addc_co_u32_e32 v13, vcc, 0, v3, vcc
	s_waitcnt lgkmcnt(4)
	global_store_dword v[12:13], v10, off offset:1024
	s_or_b64 exec, exec, s[0:1]
	s_and_saveexec_b64 s[0:1], s[10:11]
	s_cbranch_execz .LBB147_137
.LBB147_152:
	s_waitcnt lgkmcnt(5)
	v_add_co_u32_e32 v12, vcc, 0x1000, v2
	v_addc_co_u32_e32 v13, vcc, 0, v3, vcc
	s_waitcnt lgkmcnt(4)
	global_store_dword v[12:13], v11, off offset:2048
	s_or_b64 exec, exec, s[0:1]
	s_and_saveexec_b64 s[0:1], s[12:13]
	s_cbranch_execz .LBB147_138
.LBB147_153:
	s_waitcnt lgkmcnt(4)
	v_add_co_u32_e32 v10, vcc, 0x1000, v2
	v_addc_co_u32_e32 v11, vcc, 0, v3, vcc
	s_waitcnt lgkmcnt(3)
	global_store_dword v[10:11], v8, off offset:3072
	s_or_b64 exec, exec, s[0:1]
	s_and_saveexec_b64 s[0:1], s[14:15]
	s_cbranch_execz .LBB147_139
.LBB147_154:
	s_waitcnt lgkmcnt(4)
	v_add_co_u32_e32 v10, vcc, 0x2000, v2
	v_addc_co_u32_e32 v11, vcc, 0, v3, vcc
	s_waitcnt lgkmcnt(3)
	global_store_dword v[10:11], v9, off
	s_or_b64 exec, exec, s[0:1]
	s_and_saveexec_b64 s[0:1], s[16:17]
	s_cbranch_execz .LBB147_140
.LBB147_155:
	s_waitcnt lgkmcnt(3)
	v_add_co_u32_e32 v8, vcc, 0x2000, v2
	v_addc_co_u32_e32 v9, vcc, 0, v3, vcc
	s_waitcnt lgkmcnt(2)
	global_store_dword v[8:9], v6, off offset:1024
	s_or_b64 exec, exec, s[0:1]
	s_and_saveexec_b64 s[0:1], s[18:19]
	s_cbranch_execz .LBB147_141
.LBB147_156:
	s_waitcnt lgkmcnt(3)
	v_add_co_u32_e32 v8, vcc, 0x2000, v2
	v_addc_co_u32_e32 v9, vcc, 0, v3, vcc
	s_waitcnt lgkmcnt(2)
	global_store_dword v[8:9], v7, off offset:2048
	s_or_b64 exec, exec, s[0:1]
	s_and_saveexec_b64 s[0:1], s[20:21]
	s_cbranch_execz .LBB147_142
.LBB147_157:
	s_waitcnt lgkmcnt(2)
	v_add_co_u32_e32 v6, vcc, 0x2000, v2
	v_addc_co_u32_e32 v7, vcc, 0, v3, vcc
	s_waitcnt lgkmcnt(1)
	global_store_dword v[6:7], v4, off offset:3072
	s_or_b64 exec, exec, s[0:1]
	s_and_saveexec_b64 s[0:1], s[22:23]
	s_cbranch_execz .LBB147_143
.LBB147_158:
	s_waitcnt lgkmcnt(2)
	v_add_co_u32_e32 v6, vcc, 0x3000, v2
	v_addc_co_u32_e32 v7, vcc, 0, v3, vcc
	s_waitcnt lgkmcnt(1)
	global_store_dword v[6:7], v5, off
	s_or_b64 exec, exec, s[0:1]
	s_and_saveexec_b64 s[0:1], s[24:25]
	s_cbranch_execz .LBB147_144
.LBB147_159:
	s_waitcnt lgkmcnt(1)
	v_add_co_u32_e32 v4, vcc, 0x3000, v2
	v_addc_co_u32_e32 v5, vcc, 0, v3, vcc
	s_waitcnt lgkmcnt(0)
	global_store_dword v[4:5], v0, off offset:1024
	s_or_b64 exec, exec, s[0:1]
	s_and_saveexec_b64 s[0:1], s[26:27]
	s_cbranch_execz .LBB147_145
.LBB147_160:
	v_add_co_u32_e32 v2, vcc, 0x3000, v2
	v_addc_co_u32_e32 v3, vcc, 0, v3, vcc
	s_waitcnt lgkmcnt(0)
	global_store_dword v[2:3], v1, off offset:2048
	s_endpgm
	.section	.rodata,"a",@progbits
	.p2align	6, 0x0
	.amdhsa_kernel _ZN7rocprim17ROCPRIM_400000_NS6detail17trampoline_kernelINS0_14default_configENS1_20scan_config_selectorIfEEZZNS1_9scan_implILNS1_25lookback_scan_determinismE0ELb0ELb0ES3_PKfPffZZZN2at6native31launch_logcumsumexp_cuda_kernelERKNSB_10TensorBaseESF_lENKUlvE_clEvENKUlvE0_clEvEUlffE_fEEDaPvRmT3_T4_T5_mT6_P12ihipStream_tbENKUlT_T0_E_clISt17integral_constantIbLb1EESV_IbLb0EEEEDaSR_SS_EUlSR_E0_NS1_11comp_targetILNS1_3genE2ELNS1_11target_archE906ELNS1_3gpuE6ELNS1_3repE0EEENS1_30default_config_static_selectorELNS0_4arch9wavefront6targetE1EEEvT1_
		.amdhsa_group_segment_fixed_size 15360
		.amdhsa_private_segment_fixed_size 0
		.amdhsa_kernarg_size 32
		.amdhsa_user_sgpr_count 6
		.amdhsa_user_sgpr_private_segment_buffer 1
		.amdhsa_user_sgpr_dispatch_ptr 0
		.amdhsa_user_sgpr_queue_ptr 0
		.amdhsa_user_sgpr_kernarg_segment_ptr 1
		.amdhsa_user_sgpr_dispatch_id 0
		.amdhsa_user_sgpr_flat_scratch_init 0
		.amdhsa_user_sgpr_private_segment_size 0
		.amdhsa_uses_dynamic_stack 0
		.amdhsa_system_sgpr_private_segment_wavefront_offset 0
		.amdhsa_system_sgpr_workgroup_id_x 1
		.amdhsa_system_sgpr_workgroup_id_y 0
		.amdhsa_system_sgpr_workgroup_id_z 0
		.amdhsa_system_sgpr_workgroup_info 0
		.amdhsa_system_vgpr_workitem_id 0
		.amdhsa_next_free_vgpr 53
		.amdhsa_next_free_sgpr 98
		.amdhsa_reserve_vcc 1
		.amdhsa_reserve_flat_scratch 0
		.amdhsa_float_round_mode_32 0
		.amdhsa_float_round_mode_16_64 0
		.amdhsa_float_denorm_mode_32 3
		.amdhsa_float_denorm_mode_16_64 3
		.amdhsa_dx10_clamp 1
		.amdhsa_ieee_mode 1
		.amdhsa_fp16_overflow 0
		.amdhsa_exception_fp_ieee_invalid_op 0
		.amdhsa_exception_fp_denorm_src 0
		.amdhsa_exception_fp_ieee_div_zero 0
		.amdhsa_exception_fp_ieee_overflow 0
		.amdhsa_exception_fp_ieee_underflow 0
		.amdhsa_exception_fp_ieee_inexact 0
		.amdhsa_exception_int_div_zero 0
	.end_amdhsa_kernel
	.section	.text._ZN7rocprim17ROCPRIM_400000_NS6detail17trampoline_kernelINS0_14default_configENS1_20scan_config_selectorIfEEZZNS1_9scan_implILNS1_25lookback_scan_determinismE0ELb0ELb0ES3_PKfPffZZZN2at6native31launch_logcumsumexp_cuda_kernelERKNSB_10TensorBaseESF_lENKUlvE_clEvENKUlvE0_clEvEUlffE_fEEDaPvRmT3_T4_T5_mT6_P12ihipStream_tbENKUlT_T0_E_clISt17integral_constantIbLb1EESV_IbLb0EEEEDaSR_SS_EUlSR_E0_NS1_11comp_targetILNS1_3genE2ELNS1_11target_archE906ELNS1_3gpuE6ELNS1_3repE0EEENS1_30default_config_static_selectorELNS0_4arch9wavefront6targetE1EEEvT1_,"axG",@progbits,_ZN7rocprim17ROCPRIM_400000_NS6detail17trampoline_kernelINS0_14default_configENS1_20scan_config_selectorIfEEZZNS1_9scan_implILNS1_25lookback_scan_determinismE0ELb0ELb0ES3_PKfPffZZZN2at6native31launch_logcumsumexp_cuda_kernelERKNSB_10TensorBaseESF_lENKUlvE_clEvENKUlvE0_clEvEUlffE_fEEDaPvRmT3_T4_T5_mT6_P12ihipStream_tbENKUlT_T0_E_clISt17integral_constantIbLb1EESV_IbLb0EEEEDaSR_SS_EUlSR_E0_NS1_11comp_targetILNS1_3genE2ELNS1_11target_archE906ELNS1_3gpuE6ELNS1_3repE0EEENS1_30default_config_static_selectorELNS0_4arch9wavefront6targetE1EEEvT1_,comdat
.Lfunc_end147:
	.size	_ZN7rocprim17ROCPRIM_400000_NS6detail17trampoline_kernelINS0_14default_configENS1_20scan_config_selectorIfEEZZNS1_9scan_implILNS1_25lookback_scan_determinismE0ELb0ELb0ES3_PKfPffZZZN2at6native31launch_logcumsumexp_cuda_kernelERKNSB_10TensorBaseESF_lENKUlvE_clEvENKUlvE0_clEvEUlffE_fEEDaPvRmT3_T4_T5_mT6_P12ihipStream_tbENKUlT_T0_E_clISt17integral_constantIbLb1EESV_IbLb0EEEEDaSR_SS_EUlSR_E0_NS1_11comp_targetILNS1_3genE2ELNS1_11target_archE906ELNS1_3gpuE6ELNS1_3repE0EEENS1_30default_config_static_selectorELNS0_4arch9wavefront6targetE1EEEvT1_, .Lfunc_end147-_ZN7rocprim17ROCPRIM_400000_NS6detail17trampoline_kernelINS0_14default_configENS1_20scan_config_selectorIfEEZZNS1_9scan_implILNS1_25lookback_scan_determinismE0ELb0ELb0ES3_PKfPffZZZN2at6native31launch_logcumsumexp_cuda_kernelERKNSB_10TensorBaseESF_lENKUlvE_clEvENKUlvE0_clEvEUlffE_fEEDaPvRmT3_T4_T5_mT6_P12ihipStream_tbENKUlT_T0_E_clISt17integral_constantIbLb1EESV_IbLb0EEEEDaSR_SS_EUlSR_E0_NS1_11comp_targetILNS1_3genE2ELNS1_11target_archE906ELNS1_3gpuE6ELNS1_3repE0EEENS1_30default_config_static_selectorELNS0_4arch9wavefront6targetE1EEEvT1_
                                        ; -- End function
	.set _ZN7rocprim17ROCPRIM_400000_NS6detail17trampoline_kernelINS0_14default_configENS1_20scan_config_selectorIfEEZZNS1_9scan_implILNS1_25lookback_scan_determinismE0ELb0ELb0ES3_PKfPffZZZN2at6native31launch_logcumsumexp_cuda_kernelERKNSB_10TensorBaseESF_lENKUlvE_clEvENKUlvE0_clEvEUlffE_fEEDaPvRmT3_T4_T5_mT6_P12ihipStream_tbENKUlT_T0_E_clISt17integral_constantIbLb1EESV_IbLb0EEEEDaSR_SS_EUlSR_E0_NS1_11comp_targetILNS1_3genE2ELNS1_11target_archE906ELNS1_3gpuE6ELNS1_3repE0EEENS1_30default_config_static_selectorELNS0_4arch9wavefront6targetE1EEEvT1_.num_vgpr, 53
	.set _ZN7rocprim17ROCPRIM_400000_NS6detail17trampoline_kernelINS0_14default_configENS1_20scan_config_selectorIfEEZZNS1_9scan_implILNS1_25lookback_scan_determinismE0ELb0ELb0ES3_PKfPffZZZN2at6native31launch_logcumsumexp_cuda_kernelERKNSB_10TensorBaseESF_lENKUlvE_clEvENKUlvE0_clEvEUlffE_fEEDaPvRmT3_T4_T5_mT6_P12ihipStream_tbENKUlT_T0_E_clISt17integral_constantIbLb1EESV_IbLb0EEEEDaSR_SS_EUlSR_E0_NS1_11comp_targetILNS1_3genE2ELNS1_11target_archE906ELNS1_3gpuE6ELNS1_3repE0EEENS1_30default_config_static_selectorELNS0_4arch9wavefront6targetE1EEEvT1_.num_agpr, 0
	.set _ZN7rocprim17ROCPRIM_400000_NS6detail17trampoline_kernelINS0_14default_configENS1_20scan_config_selectorIfEEZZNS1_9scan_implILNS1_25lookback_scan_determinismE0ELb0ELb0ES3_PKfPffZZZN2at6native31launch_logcumsumexp_cuda_kernelERKNSB_10TensorBaseESF_lENKUlvE_clEvENKUlvE0_clEvEUlffE_fEEDaPvRmT3_T4_T5_mT6_P12ihipStream_tbENKUlT_T0_E_clISt17integral_constantIbLb1EESV_IbLb0EEEEDaSR_SS_EUlSR_E0_NS1_11comp_targetILNS1_3genE2ELNS1_11target_archE906ELNS1_3gpuE6ELNS1_3repE0EEENS1_30default_config_static_selectorELNS0_4arch9wavefront6targetE1EEEvT1_.numbered_sgpr, 70
	.set _ZN7rocprim17ROCPRIM_400000_NS6detail17trampoline_kernelINS0_14default_configENS1_20scan_config_selectorIfEEZZNS1_9scan_implILNS1_25lookback_scan_determinismE0ELb0ELb0ES3_PKfPffZZZN2at6native31launch_logcumsumexp_cuda_kernelERKNSB_10TensorBaseESF_lENKUlvE_clEvENKUlvE0_clEvEUlffE_fEEDaPvRmT3_T4_T5_mT6_P12ihipStream_tbENKUlT_T0_E_clISt17integral_constantIbLb1EESV_IbLb0EEEEDaSR_SS_EUlSR_E0_NS1_11comp_targetILNS1_3genE2ELNS1_11target_archE906ELNS1_3gpuE6ELNS1_3repE0EEENS1_30default_config_static_selectorELNS0_4arch9wavefront6targetE1EEEvT1_.num_named_barrier, 0
	.set _ZN7rocprim17ROCPRIM_400000_NS6detail17trampoline_kernelINS0_14default_configENS1_20scan_config_selectorIfEEZZNS1_9scan_implILNS1_25lookback_scan_determinismE0ELb0ELb0ES3_PKfPffZZZN2at6native31launch_logcumsumexp_cuda_kernelERKNSB_10TensorBaseESF_lENKUlvE_clEvENKUlvE0_clEvEUlffE_fEEDaPvRmT3_T4_T5_mT6_P12ihipStream_tbENKUlT_T0_E_clISt17integral_constantIbLb1EESV_IbLb0EEEEDaSR_SS_EUlSR_E0_NS1_11comp_targetILNS1_3genE2ELNS1_11target_archE906ELNS1_3gpuE6ELNS1_3repE0EEENS1_30default_config_static_selectorELNS0_4arch9wavefront6targetE1EEEvT1_.private_seg_size, 0
	.set _ZN7rocprim17ROCPRIM_400000_NS6detail17trampoline_kernelINS0_14default_configENS1_20scan_config_selectorIfEEZZNS1_9scan_implILNS1_25lookback_scan_determinismE0ELb0ELb0ES3_PKfPffZZZN2at6native31launch_logcumsumexp_cuda_kernelERKNSB_10TensorBaseESF_lENKUlvE_clEvENKUlvE0_clEvEUlffE_fEEDaPvRmT3_T4_T5_mT6_P12ihipStream_tbENKUlT_T0_E_clISt17integral_constantIbLb1EESV_IbLb0EEEEDaSR_SS_EUlSR_E0_NS1_11comp_targetILNS1_3genE2ELNS1_11target_archE906ELNS1_3gpuE6ELNS1_3repE0EEENS1_30default_config_static_selectorELNS0_4arch9wavefront6targetE1EEEvT1_.uses_vcc, 1
	.set _ZN7rocprim17ROCPRIM_400000_NS6detail17trampoline_kernelINS0_14default_configENS1_20scan_config_selectorIfEEZZNS1_9scan_implILNS1_25lookback_scan_determinismE0ELb0ELb0ES3_PKfPffZZZN2at6native31launch_logcumsumexp_cuda_kernelERKNSB_10TensorBaseESF_lENKUlvE_clEvENKUlvE0_clEvEUlffE_fEEDaPvRmT3_T4_T5_mT6_P12ihipStream_tbENKUlT_T0_E_clISt17integral_constantIbLb1EESV_IbLb0EEEEDaSR_SS_EUlSR_E0_NS1_11comp_targetILNS1_3genE2ELNS1_11target_archE906ELNS1_3gpuE6ELNS1_3repE0EEENS1_30default_config_static_selectorELNS0_4arch9wavefront6targetE1EEEvT1_.uses_flat_scratch, 0
	.set _ZN7rocprim17ROCPRIM_400000_NS6detail17trampoline_kernelINS0_14default_configENS1_20scan_config_selectorIfEEZZNS1_9scan_implILNS1_25lookback_scan_determinismE0ELb0ELb0ES3_PKfPffZZZN2at6native31launch_logcumsumexp_cuda_kernelERKNSB_10TensorBaseESF_lENKUlvE_clEvENKUlvE0_clEvEUlffE_fEEDaPvRmT3_T4_T5_mT6_P12ihipStream_tbENKUlT_T0_E_clISt17integral_constantIbLb1EESV_IbLb0EEEEDaSR_SS_EUlSR_E0_NS1_11comp_targetILNS1_3genE2ELNS1_11target_archE906ELNS1_3gpuE6ELNS1_3repE0EEENS1_30default_config_static_selectorELNS0_4arch9wavefront6targetE1EEEvT1_.has_dyn_sized_stack, 0
	.set _ZN7rocprim17ROCPRIM_400000_NS6detail17trampoline_kernelINS0_14default_configENS1_20scan_config_selectorIfEEZZNS1_9scan_implILNS1_25lookback_scan_determinismE0ELb0ELb0ES3_PKfPffZZZN2at6native31launch_logcumsumexp_cuda_kernelERKNSB_10TensorBaseESF_lENKUlvE_clEvENKUlvE0_clEvEUlffE_fEEDaPvRmT3_T4_T5_mT6_P12ihipStream_tbENKUlT_T0_E_clISt17integral_constantIbLb1EESV_IbLb0EEEEDaSR_SS_EUlSR_E0_NS1_11comp_targetILNS1_3genE2ELNS1_11target_archE906ELNS1_3gpuE6ELNS1_3repE0EEENS1_30default_config_static_selectorELNS0_4arch9wavefront6targetE1EEEvT1_.has_recursion, 0
	.set _ZN7rocprim17ROCPRIM_400000_NS6detail17trampoline_kernelINS0_14default_configENS1_20scan_config_selectorIfEEZZNS1_9scan_implILNS1_25lookback_scan_determinismE0ELb0ELb0ES3_PKfPffZZZN2at6native31launch_logcumsumexp_cuda_kernelERKNSB_10TensorBaseESF_lENKUlvE_clEvENKUlvE0_clEvEUlffE_fEEDaPvRmT3_T4_T5_mT6_P12ihipStream_tbENKUlT_T0_E_clISt17integral_constantIbLb1EESV_IbLb0EEEEDaSR_SS_EUlSR_E0_NS1_11comp_targetILNS1_3genE2ELNS1_11target_archE906ELNS1_3gpuE6ELNS1_3repE0EEENS1_30default_config_static_selectorELNS0_4arch9wavefront6targetE1EEEvT1_.has_indirect_call, 0
	.section	.AMDGPU.csdata,"",@progbits
; Kernel info:
; codeLenInByte = 31256
; TotalNumSgprs: 74
; NumVgprs: 53
; ScratchSize: 0
; MemoryBound: 0
; FloatMode: 240
; IeeeMode: 1
; LDSByteSize: 15360 bytes/workgroup (compile time only)
; SGPRBlocks: 12
; VGPRBlocks: 13
; NumSGPRsForWavesPerEU: 102
; NumVGPRsForWavesPerEU: 53
; Occupancy: 4
; WaveLimiterHint : 0
; COMPUTE_PGM_RSRC2:SCRATCH_EN: 0
; COMPUTE_PGM_RSRC2:USER_SGPR: 6
; COMPUTE_PGM_RSRC2:TRAP_HANDLER: 0
; COMPUTE_PGM_RSRC2:TGID_X_EN: 1
; COMPUTE_PGM_RSRC2:TGID_Y_EN: 0
; COMPUTE_PGM_RSRC2:TGID_Z_EN: 0
; COMPUTE_PGM_RSRC2:TIDIG_COMP_CNT: 0
	.section	.text._ZN7rocprim17ROCPRIM_400000_NS6detail17trampoline_kernelINS0_14default_configENS1_20scan_config_selectorIfEEZZNS1_9scan_implILNS1_25lookback_scan_determinismE0ELb0ELb0ES3_PKfPffZZZN2at6native31launch_logcumsumexp_cuda_kernelERKNSB_10TensorBaseESF_lENKUlvE_clEvENKUlvE0_clEvEUlffE_fEEDaPvRmT3_T4_T5_mT6_P12ihipStream_tbENKUlT_T0_E_clISt17integral_constantIbLb1EESV_IbLb0EEEEDaSR_SS_EUlSR_E0_NS1_11comp_targetILNS1_3genE10ELNS1_11target_archE1201ELNS1_3gpuE5ELNS1_3repE0EEENS1_30default_config_static_selectorELNS0_4arch9wavefront6targetE1EEEvT1_,"axG",@progbits,_ZN7rocprim17ROCPRIM_400000_NS6detail17trampoline_kernelINS0_14default_configENS1_20scan_config_selectorIfEEZZNS1_9scan_implILNS1_25lookback_scan_determinismE0ELb0ELb0ES3_PKfPffZZZN2at6native31launch_logcumsumexp_cuda_kernelERKNSB_10TensorBaseESF_lENKUlvE_clEvENKUlvE0_clEvEUlffE_fEEDaPvRmT3_T4_T5_mT6_P12ihipStream_tbENKUlT_T0_E_clISt17integral_constantIbLb1EESV_IbLb0EEEEDaSR_SS_EUlSR_E0_NS1_11comp_targetILNS1_3genE10ELNS1_11target_archE1201ELNS1_3gpuE5ELNS1_3repE0EEENS1_30default_config_static_selectorELNS0_4arch9wavefront6targetE1EEEvT1_,comdat
	.globl	_ZN7rocprim17ROCPRIM_400000_NS6detail17trampoline_kernelINS0_14default_configENS1_20scan_config_selectorIfEEZZNS1_9scan_implILNS1_25lookback_scan_determinismE0ELb0ELb0ES3_PKfPffZZZN2at6native31launch_logcumsumexp_cuda_kernelERKNSB_10TensorBaseESF_lENKUlvE_clEvENKUlvE0_clEvEUlffE_fEEDaPvRmT3_T4_T5_mT6_P12ihipStream_tbENKUlT_T0_E_clISt17integral_constantIbLb1EESV_IbLb0EEEEDaSR_SS_EUlSR_E0_NS1_11comp_targetILNS1_3genE10ELNS1_11target_archE1201ELNS1_3gpuE5ELNS1_3repE0EEENS1_30default_config_static_selectorELNS0_4arch9wavefront6targetE1EEEvT1_ ; -- Begin function _ZN7rocprim17ROCPRIM_400000_NS6detail17trampoline_kernelINS0_14default_configENS1_20scan_config_selectorIfEEZZNS1_9scan_implILNS1_25lookback_scan_determinismE0ELb0ELb0ES3_PKfPffZZZN2at6native31launch_logcumsumexp_cuda_kernelERKNSB_10TensorBaseESF_lENKUlvE_clEvENKUlvE0_clEvEUlffE_fEEDaPvRmT3_T4_T5_mT6_P12ihipStream_tbENKUlT_T0_E_clISt17integral_constantIbLb1EESV_IbLb0EEEEDaSR_SS_EUlSR_E0_NS1_11comp_targetILNS1_3genE10ELNS1_11target_archE1201ELNS1_3gpuE5ELNS1_3repE0EEENS1_30default_config_static_selectorELNS0_4arch9wavefront6targetE1EEEvT1_
	.p2align	8
	.type	_ZN7rocprim17ROCPRIM_400000_NS6detail17trampoline_kernelINS0_14default_configENS1_20scan_config_selectorIfEEZZNS1_9scan_implILNS1_25lookback_scan_determinismE0ELb0ELb0ES3_PKfPffZZZN2at6native31launch_logcumsumexp_cuda_kernelERKNSB_10TensorBaseESF_lENKUlvE_clEvENKUlvE0_clEvEUlffE_fEEDaPvRmT3_T4_T5_mT6_P12ihipStream_tbENKUlT_T0_E_clISt17integral_constantIbLb1EESV_IbLb0EEEEDaSR_SS_EUlSR_E0_NS1_11comp_targetILNS1_3genE10ELNS1_11target_archE1201ELNS1_3gpuE5ELNS1_3repE0EEENS1_30default_config_static_selectorELNS0_4arch9wavefront6targetE1EEEvT1_,@function
_ZN7rocprim17ROCPRIM_400000_NS6detail17trampoline_kernelINS0_14default_configENS1_20scan_config_selectorIfEEZZNS1_9scan_implILNS1_25lookback_scan_determinismE0ELb0ELb0ES3_PKfPffZZZN2at6native31launch_logcumsumexp_cuda_kernelERKNSB_10TensorBaseESF_lENKUlvE_clEvENKUlvE0_clEvEUlffE_fEEDaPvRmT3_T4_T5_mT6_P12ihipStream_tbENKUlT_T0_E_clISt17integral_constantIbLb1EESV_IbLb0EEEEDaSR_SS_EUlSR_E0_NS1_11comp_targetILNS1_3genE10ELNS1_11target_archE1201ELNS1_3gpuE5ELNS1_3repE0EEENS1_30default_config_static_selectorELNS0_4arch9wavefront6targetE1EEEvT1_: ; @_ZN7rocprim17ROCPRIM_400000_NS6detail17trampoline_kernelINS0_14default_configENS1_20scan_config_selectorIfEEZZNS1_9scan_implILNS1_25lookback_scan_determinismE0ELb0ELb0ES3_PKfPffZZZN2at6native31launch_logcumsumexp_cuda_kernelERKNSB_10TensorBaseESF_lENKUlvE_clEvENKUlvE0_clEvEUlffE_fEEDaPvRmT3_T4_T5_mT6_P12ihipStream_tbENKUlT_T0_E_clISt17integral_constantIbLb1EESV_IbLb0EEEEDaSR_SS_EUlSR_E0_NS1_11comp_targetILNS1_3genE10ELNS1_11target_archE1201ELNS1_3gpuE5ELNS1_3repE0EEENS1_30default_config_static_selectorELNS0_4arch9wavefront6targetE1EEEvT1_
; %bb.0:
	.section	.rodata,"a",@progbits
	.p2align	6, 0x0
	.amdhsa_kernel _ZN7rocprim17ROCPRIM_400000_NS6detail17trampoline_kernelINS0_14default_configENS1_20scan_config_selectorIfEEZZNS1_9scan_implILNS1_25lookback_scan_determinismE0ELb0ELb0ES3_PKfPffZZZN2at6native31launch_logcumsumexp_cuda_kernelERKNSB_10TensorBaseESF_lENKUlvE_clEvENKUlvE0_clEvEUlffE_fEEDaPvRmT3_T4_T5_mT6_P12ihipStream_tbENKUlT_T0_E_clISt17integral_constantIbLb1EESV_IbLb0EEEEDaSR_SS_EUlSR_E0_NS1_11comp_targetILNS1_3genE10ELNS1_11target_archE1201ELNS1_3gpuE5ELNS1_3repE0EEENS1_30default_config_static_selectorELNS0_4arch9wavefront6targetE1EEEvT1_
		.amdhsa_group_segment_fixed_size 0
		.amdhsa_private_segment_fixed_size 0
		.amdhsa_kernarg_size 32
		.amdhsa_user_sgpr_count 6
		.amdhsa_user_sgpr_private_segment_buffer 1
		.amdhsa_user_sgpr_dispatch_ptr 0
		.amdhsa_user_sgpr_queue_ptr 0
		.amdhsa_user_sgpr_kernarg_segment_ptr 1
		.amdhsa_user_sgpr_dispatch_id 0
		.amdhsa_user_sgpr_flat_scratch_init 0
		.amdhsa_user_sgpr_private_segment_size 0
		.amdhsa_uses_dynamic_stack 0
		.amdhsa_system_sgpr_private_segment_wavefront_offset 0
		.amdhsa_system_sgpr_workgroup_id_x 1
		.amdhsa_system_sgpr_workgroup_id_y 0
		.amdhsa_system_sgpr_workgroup_id_z 0
		.amdhsa_system_sgpr_workgroup_info 0
		.amdhsa_system_vgpr_workitem_id 0
		.amdhsa_next_free_vgpr 1
		.amdhsa_next_free_sgpr 0
		.amdhsa_reserve_vcc 0
		.amdhsa_reserve_flat_scratch 0
		.amdhsa_float_round_mode_32 0
		.amdhsa_float_round_mode_16_64 0
		.amdhsa_float_denorm_mode_32 3
		.amdhsa_float_denorm_mode_16_64 3
		.amdhsa_dx10_clamp 1
		.amdhsa_ieee_mode 1
		.amdhsa_fp16_overflow 0
		.amdhsa_exception_fp_ieee_invalid_op 0
		.amdhsa_exception_fp_denorm_src 0
		.amdhsa_exception_fp_ieee_div_zero 0
		.amdhsa_exception_fp_ieee_overflow 0
		.amdhsa_exception_fp_ieee_underflow 0
		.amdhsa_exception_fp_ieee_inexact 0
		.amdhsa_exception_int_div_zero 0
	.end_amdhsa_kernel
	.section	.text._ZN7rocprim17ROCPRIM_400000_NS6detail17trampoline_kernelINS0_14default_configENS1_20scan_config_selectorIfEEZZNS1_9scan_implILNS1_25lookback_scan_determinismE0ELb0ELb0ES3_PKfPffZZZN2at6native31launch_logcumsumexp_cuda_kernelERKNSB_10TensorBaseESF_lENKUlvE_clEvENKUlvE0_clEvEUlffE_fEEDaPvRmT3_T4_T5_mT6_P12ihipStream_tbENKUlT_T0_E_clISt17integral_constantIbLb1EESV_IbLb0EEEEDaSR_SS_EUlSR_E0_NS1_11comp_targetILNS1_3genE10ELNS1_11target_archE1201ELNS1_3gpuE5ELNS1_3repE0EEENS1_30default_config_static_selectorELNS0_4arch9wavefront6targetE1EEEvT1_,"axG",@progbits,_ZN7rocprim17ROCPRIM_400000_NS6detail17trampoline_kernelINS0_14default_configENS1_20scan_config_selectorIfEEZZNS1_9scan_implILNS1_25lookback_scan_determinismE0ELb0ELb0ES3_PKfPffZZZN2at6native31launch_logcumsumexp_cuda_kernelERKNSB_10TensorBaseESF_lENKUlvE_clEvENKUlvE0_clEvEUlffE_fEEDaPvRmT3_T4_T5_mT6_P12ihipStream_tbENKUlT_T0_E_clISt17integral_constantIbLb1EESV_IbLb0EEEEDaSR_SS_EUlSR_E0_NS1_11comp_targetILNS1_3genE10ELNS1_11target_archE1201ELNS1_3gpuE5ELNS1_3repE0EEENS1_30default_config_static_selectorELNS0_4arch9wavefront6targetE1EEEvT1_,comdat
.Lfunc_end148:
	.size	_ZN7rocprim17ROCPRIM_400000_NS6detail17trampoline_kernelINS0_14default_configENS1_20scan_config_selectorIfEEZZNS1_9scan_implILNS1_25lookback_scan_determinismE0ELb0ELb0ES3_PKfPffZZZN2at6native31launch_logcumsumexp_cuda_kernelERKNSB_10TensorBaseESF_lENKUlvE_clEvENKUlvE0_clEvEUlffE_fEEDaPvRmT3_T4_T5_mT6_P12ihipStream_tbENKUlT_T0_E_clISt17integral_constantIbLb1EESV_IbLb0EEEEDaSR_SS_EUlSR_E0_NS1_11comp_targetILNS1_3genE10ELNS1_11target_archE1201ELNS1_3gpuE5ELNS1_3repE0EEENS1_30default_config_static_selectorELNS0_4arch9wavefront6targetE1EEEvT1_, .Lfunc_end148-_ZN7rocprim17ROCPRIM_400000_NS6detail17trampoline_kernelINS0_14default_configENS1_20scan_config_selectorIfEEZZNS1_9scan_implILNS1_25lookback_scan_determinismE0ELb0ELb0ES3_PKfPffZZZN2at6native31launch_logcumsumexp_cuda_kernelERKNSB_10TensorBaseESF_lENKUlvE_clEvENKUlvE0_clEvEUlffE_fEEDaPvRmT3_T4_T5_mT6_P12ihipStream_tbENKUlT_T0_E_clISt17integral_constantIbLb1EESV_IbLb0EEEEDaSR_SS_EUlSR_E0_NS1_11comp_targetILNS1_3genE10ELNS1_11target_archE1201ELNS1_3gpuE5ELNS1_3repE0EEENS1_30default_config_static_selectorELNS0_4arch9wavefront6targetE1EEEvT1_
                                        ; -- End function
	.set _ZN7rocprim17ROCPRIM_400000_NS6detail17trampoline_kernelINS0_14default_configENS1_20scan_config_selectorIfEEZZNS1_9scan_implILNS1_25lookback_scan_determinismE0ELb0ELb0ES3_PKfPffZZZN2at6native31launch_logcumsumexp_cuda_kernelERKNSB_10TensorBaseESF_lENKUlvE_clEvENKUlvE0_clEvEUlffE_fEEDaPvRmT3_T4_T5_mT6_P12ihipStream_tbENKUlT_T0_E_clISt17integral_constantIbLb1EESV_IbLb0EEEEDaSR_SS_EUlSR_E0_NS1_11comp_targetILNS1_3genE10ELNS1_11target_archE1201ELNS1_3gpuE5ELNS1_3repE0EEENS1_30default_config_static_selectorELNS0_4arch9wavefront6targetE1EEEvT1_.num_vgpr, 0
	.set _ZN7rocprim17ROCPRIM_400000_NS6detail17trampoline_kernelINS0_14default_configENS1_20scan_config_selectorIfEEZZNS1_9scan_implILNS1_25lookback_scan_determinismE0ELb0ELb0ES3_PKfPffZZZN2at6native31launch_logcumsumexp_cuda_kernelERKNSB_10TensorBaseESF_lENKUlvE_clEvENKUlvE0_clEvEUlffE_fEEDaPvRmT3_T4_T5_mT6_P12ihipStream_tbENKUlT_T0_E_clISt17integral_constantIbLb1EESV_IbLb0EEEEDaSR_SS_EUlSR_E0_NS1_11comp_targetILNS1_3genE10ELNS1_11target_archE1201ELNS1_3gpuE5ELNS1_3repE0EEENS1_30default_config_static_selectorELNS0_4arch9wavefront6targetE1EEEvT1_.num_agpr, 0
	.set _ZN7rocprim17ROCPRIM_400000_NS6detail17trampoline_kernelINS0_14default_configENS1_20scan_config_selectorIfEEZZNS1_9scan_implILNS1_25lookback_scan_determinismE0ELb0ELb0ES3_PKfPffZZZN2at6native31launch_logcumsumexp_cuda_kernelERKNSB_10TensorBaseESF_lENKUlvE_clEvENKUlvE0_clEvEUlffE_fEEDaPvRmT3_T4_T5_mT6_P12ihipStream_tbENKUlT_T0_E_clISt17integral_constantIbLb1EESV_IbLb0EEEEDaSR_SS_EUlSR_E0_NS1_11comp_targetILNS1_3genE10ELNS1_11target_archE1201ELNS1_3gpuE5ELNS1_3repE0EEENS1_30default_config_static_selectorELNS0_4arch9wavefront6targetE1EEEvT1_.numbered_sgpr, 0
	.set _ZN7rocprim17ROCPRIM_400000_NS6detail17trampoline_kernelINS0_14default_configENS1_20scan_config_selectorIfEEZZNS1_9scan_implILNS1_25lookback_scan_determinismE0ELb0ELb0ES3_PKfPffZZZN2at6native31launch_logcumsumexp_cuda_kernelERKNSB_10TensorBaseESF_lENKUlvE_clEvENKUlvE0_clEvEUlffE_fEEDaPvRmT3_T4_T5_mT6_P12ihipStream_tbENKUlT_T0_E_clISt17integral_constantIbLb1EESV_IbLb0EEEEDaSR_SS_EUlSR_E0_NS1_11comp_targetILNS1_3genE10ELNS1_11target_archE1201ELNS1_3gpuE5ELNS1_3repE0EEENS1_30default_config_static_selectorELNS0_4arch9wavefront6targetE1EEEvT1_.num_named_barrier, 0
	.set _ZN7rocprim17ROCPRIM_400000_NS6detail17trampoline_kernelINS0_14default_configENS1_20scan_config_selectorIfEEZZNS1_9scan_implILNS1_25lookback_scan_determinismE0ELb0ELb0ES3_PKfPffZZZN2at6native31launch_logcumsumexp_cuda_kernelERKNSB_10TensorBaseESF_lENKUlvE_clEvENKUlvE0_clEvEUlffE_fEEDaPvRmT3_T4_T5_mT6_P12ihipStream_tbENKUlT_T0_E_clISt17integral_constantIbLb1EESV_IbLb0EEEEDaSR_SS_EUlSR_E0_NS1_11comp_targetILNS1_3genE10ELNS1_11target_archE1201ELNS1_3gpuE5ELNS1_3repE0EEENS1_30default_config_static_selectorELNS0_4arch9wavefront6targetE1EEEvT1_.private_seg_size, 0
	.set _ZN7rocprim17ROCPRIM_400000_NS6detail17trampoline_kernelINS0_14default_configENS1_20scan_config_selectorIfEEZZNS1_9scan_implILNS1_25lookback_scan_determinismE0ELb0ELb0ES3_PKfPffZZZN2at6native31launch_logcumsumexp_cuda_kernelERKNSB_10TensorBaseESF_lENKUlvE_clEvENKUlvE0_clEvEUlffE_fEEDaPvRmT3_T4_T5_mT6_P12ihipStream_tbENKUlT_T0_E_clISt17integral_constantIbLb1EESV_IbLb0EEEEDaSR_SS_EUlSR_E0_NS1_11comp_targetILNS1_3genE10ELNS1_11target_archE1201ELNS1_3gpuE5ELNS1_3repE0EEENS1_30default_config_static_selectorELNS0_4arch9wavefront6targetE1EEEvT1_.uses_vcc, 0
	.set _ZN7rocprim17ROCPRIM_400000_NS6detail17trampoline_kernelINS0_14default_configENS1_20scan_config_selectorIfEEZZNS1_9scan_implILNS1_25lookback_scan_determinismE0ELb0ELb0ES3_PKfPffZZZN2at6native31launch_logcumsumexp_cuda_kernelERKNSB_10TensorBaseESF_lENKUlvE_clEvENKUlvE0_clEvEUlffE_fEEDaPvRmT3_T4_T5_mT6_P12ihipStream_tbENKUlT_T0_E_clISt17integral_constantIbLb1EESV_IbLb0EEEEDaSR_SS_EUlSR_E0_NS1_11comp_targetILNS1_3genE10ELNS1_11target_archE1201ELNS1_3gpuE5ELNS1_3repE0EEENS1_30default_config_static_selectorELNS0_4arch9wavefront6targetE1EEEvT1_.uses_flat_scratch, 0
	.set _ZN7rocprim17ROCPRIM_400000_NS6detail17trampoline_kernelINS0_14default_configENS1_20scan_config_selectorIfEEZZNS1_9scan_implILNS1_25lookback_scan_determinismE0ELb0ELb0ES3_PKfPffZZZN2at6native31launch_logcumsumexp_cuda_kernelERKNSB_10TensorBaseESF_lENKUlvE_clEvENKUlvE0_clEvEUlffE_fEEDaPvRmT3_T4_T5_mT6_P12ihipStream_tbENKUlT_T0_E_clISt17integral_constantIbLb1EESV_IbLb0EEEEDaSR_SS_EUlSR_E0_NS1_11comp_targetILNS1_3genE10ELNS1_11target_archE1201ELNS1_3gpuE5ELNS1_3repE0EEENS1_30default_config_static_selectorELNS0_4arch9wavefront6targetE1EEEvT1_.has_dyn_sized_stack, 0
	.set _ZN7rocprim17ROCPRIM_400000_NS6detail17trampoline_kernelINS0_14default_configENS1_20scan_config_selectorIfEEZZNS1_9scan_implILNS1_25lookback_scan_determinismE0ELb0ELb0ES3_PKfPffZZZN2at6native31launch_logcumsumexp_cuda_kernelERKNSB_10TensorBaseESF_lENKUlvE_clEvENKUlvE0_clEvEUlffE_fEEDaPvRmT3_T4_T5_mT6_P12ihipStream_tbENKUlT_T0_E_clISt17integral_constantIbLb1EESV_IbLb0EEEEDaSR_SS_EUlSR_E0_NS1_11comp_targetILNS1_3genE10ELNS1_11target_archE1201ELNS1_3gpuE5ELNS1_3repE0EEENS1_30default_config_static_selectorELNS0_4arch9wavefront6targetE1EEEvT1_.has_recursion, 0
	.set _ZN7rocprim17ROCPRIM_400000_NS6detail17trampoline_kernelINS0_14default_configENS1_20scan_config_selectorIfEEZZNS1_9scan_implILNS1_25lookback_scan_determinismE0ELb0ELb0ES3_PKfPffZZZN2at6native31launch_logcumsumexp_cuda_kernelERKNSB_10TensorBaseESF_lENKUlvE_clEvENKUlvE0_clEvEUlffE_fEEDaPvRmT3_T4_T5_mT6_P12ihipStream_tbENKUlT_T0_E_clISt17integral_constantIbLb1EESV_IbLb0EEEEDaSR_SS_EUlSR_E0_NS1_11comp_targetILNS1_3genE10ELNS1_11target_archE1201ELNS1_3gpuE5ELNS1_3repE0EEENS1_30default_config_static_selectorELNS0_4arch9wavefront6targetE1EEEvT1_.has_indirect_call, 0
	.section	.AMDGPU.csdata,"",@progbits
; Kernel info:
; codeLenInByte = 0
; TotalNumSgprs: 4
; NumVgprs: 0
; ScratchSize: 0
; MemoryBound: 0
; FloatMode: 240
; IeeeMode: 1
; LDSByteSize: 0 bytes/workgroup (compile time only)
; SGPRBlocks: 0
; VGPRBlocks: 0
; NumSGPRsForWavesPerEU: 4
; NumVGPRsForWavesPerEU: 1
; Occupancy: 10
; WaveLimiterHint : 0
; COMPUTE_PGM_RSRC2:SCRATCH_EN: 0
; COMPUTE_PGM_RSRC2:USER_SGPR: 6
; COMPUTE_PGM_RSRC2:TRAP_HANDLER: 0
; COMPUTE_PGM_RSRC2:TGID_X_EN: 1
; COMPUTE_PGM_RSRC2:TGID_Y_EN: 0
; COMPUTE_PGM_RSRC2:TGID_Z_EN: 0
; COMPUTE_PGM_RSRC2:TIDIG_COMP_CNT: 0
	.section	.text._ZN7rocprim17ROCPRIM_400000_NS6detail17trampoline_kernelINS0_14default_configENS1_20scan_config_selectorIfEEZZNS1_9scan_implILNS1_25lookback_scan_determinismE0ELb0ELb0ES3_PKfPffZZZN2at6native31launch_logcumsumexp_cuda_kernelERKNSB_10TensorBaseESF_lENKUlvE_clEvENKUlvE0_clEvEUlffE_fEEDaPvRmT3_T4_T5_mT6_P12ihipStream_tbENKUlT_T0_E_clISt17integral_constantIbLb1EESV_IbLb0EEEEDaSR_SS_EUlSR_E0_NS1_11comp_targetILNS1_3genE10ELNS1_11target_archE1200ELNS1_3gpuE4ELNS1_3repE0EEENS1_30default_config_static_selectorELNS0_4arch9wavefront6targetE1EEEvT1_,"axG",@progbits,_ZN7rocprim17ROCPRIM_400000_NS6detail17trampoline_kernelINS0_14default_configENS1_20scan_config_selectorIfEEZZNS1_9scan_implILNS1_25lookback_scan_determinismE0ELb0ELb0ES3_PKfPffZZZN2at6native31launch_logcumsumexp_cuda_kernelERKNSB_10TensorBaseESF_lENKUlvE_clEvENKUlvE0_clEvEUlffE_fEEDaPvRmT3_T4_T5_mT6_P12ihipStream_tbENKUlT_T0_E_clISt17integral_constantIbLb1EESV_IbLb0EEEEDaSR_SS_EUlSR_E0_NS1_11comp_targetILNS1_3genE10ELNS1_11target_archE1200ELNS1_3gpuE4ELNS1_3repE0EEENS1_30default_config_static_selectorELNS0_4arch9wavefront6targetE1EEEvT1_,comdat
	.globl	_ZN7rocprim17ROCPRIM_400000_NS6detail17trampoline_kernelINS0_14default_configENS1_20scan_config_selectorIfEEZZNS1_9scan_implILNS1_25lookback_scan_determinismE0ELb0ELb0ES3_PKfPffZZZN2at6native31launch_logcumsumexp_cuda_kernelERKNSB_10TensorBaseESF_lENKUlvE_clEvENKUlvE0_clEvEUlffE_fEEDaPvRmT3_T4_T5_mT6_P12ihipStream_tbENKUlT_T0_E_clISt17integral_constantIbLb1EESV_IbLb0EEEEDaSR_SS_EUlSR_E0_NS1_11comp_targetILNS1_3genE10ELNS1_11target_archE1200ELNS1_3gpuE4ELNS1_3repE0EEENS1_30default_config_static_selectorELNS0_4arch9wavefront6targetE1EEEvT1_ ; -- Begin function _ZN7rocprim17ROCPRIM_400000_NS6detail17trampoline_kernelINS0_14default_configENS1_20scan_config_selectorIfEEZZNS1_9scan_implILNS1_25lookback_scan_determinismE0ELb0ELb0ES3_PKfPffZZZN2at6native31launch_logcumsumexp_cuda_kernelERKNSB_10TensorBaseESF_lENKUlvE_clEvENKUlvE0_clEvEUlffE_fEEDaPvRmT3_T4_T5_mT6_P12ihipStream_tbENKUlT_T0_E_clISt17integral_constantIbLb1EESV_IbLb0EEEEDaSR_SS_EUlSR_E0_NS1_11comp_targetILNS1_3genE10ELNS1_11target_archE1200ELNS1_3gpuE4ELNS1_3repE0EEENS1_30default_config_static_selectorELNS0_4arch9wavefront6targetE1EEEvT1_
	.p2align	8
	.type	_ZN7rocprim17ROCPRIM_400000_NS6detail17trampoline_kernelINS0_14default_configENS1_20scan_config_selectorIfEEZZNS1_9scan_implILNS1_25lookback_scan_determinismE0ELb0ELb0ES3_PKfPffZZZN2at6native31launch_logcumsumexp_cuda_kernelERKNSB_10TensorBaseESF_lENKUlvE_clEvENKUlvE0_clEvEUlffE_fEEDaPvRmT3_T4_T5_mT6_P12ihipStream_tbENKUlT_T0_E_clISt17integral_constantIbLb1EESV_IbLb0EEEEDaSR_SS_EUlSR_E0_NS1_11comp_targetILNS1_3genE10ELNS1_11target_archE1200ELNS1_3gpuE4ELNS1_3repE0EEENS1_30default_config_static_selectorELNS0_4arch9wavefront6targetE1EEEvT1_,@function
_ZN7rocprim17ROCPRIM_400000_NS6detail17trampoline_kernelINS0_14default_configENS1_20scan_config_selectorIfEEZZNS1_9scan_implILNS1_25lookback_scan_determinismE0ELb0ELb0ES3_PKfPffZZZN2at6native31launch_logcumsumexp_cuda_kernelERKNSB_10TensorBaseESF_lENKUlvE_clEvENKUlvE0_clEvEUlffE_fEEDaPvRmT3_T4_T5_mT6_P12ihipStream_tbENKUlT_T0_E_clISt17integral_constantIbLb1EESV_IbLb0EEEEDaSR_SS_EUlSR_E0_NS1_11comp_targetILNS1_3genE10ELNS1_11target_archE1200ELNS1_3gpuE4ELNS1_3repE0EEENS1_30default_config_static_selectorELNS0_4arch9wavefront6targetE1EEEvT1_: ; @_ZN7rocprim17ROCPRIM_400000_NS6detail17trampoline_kernelINS0_14default_configENS1_20scan_config_selectorIfEEZZNS1_9scan_implILNS1_25lookback_scan_determinismE0ELb0ELb0ES3_PKfPffZZZN2at6native31launch_logcumsumexp_cuda_kernelERKNSB_10TensorBaseESF_lENKUlvE_clEvENKUlvE0_clEvEUlffE_fEEDaPvRmT3_T4_T5_mT6_P12ihipStream_tbENKUlT_T0_E_clISt17integral_constantIbLb1EESV_IbLb0EEEEDaSR_SS_EUlSR_E0_NS1_11comp_targetILNS1_3genE10ELNS1_11target_archE1200ELNS1_3gpuE4ELNS1_3repE0EEENS1_30default_config_static_selectorELNS0_4arch9wavefront6targetE1EEEvT1_
; %bb.0:
	.section	.rodata,"a",@progbits
	.p2align	6, 0x0
	.amdhsa_kernel _ZN7rocprim17ROCPRIM_400000_NS6detail17trampoline_kernelINS0_14default_configENS1_20scan_config_selectorIfEEZZNS1_9scan_implILNS1_25lookback_scan_determinismE0ELb0ELb0ES3_PKfPffZZZN2at6native31launch_logcumsumexp_cuda_kernelERKNSB_10TensorBaseESF_lENKUlvE_clEvENKUlvE0_clEvEUlffE_fEEDaPvRmT3_T4_T5_mT6_P12ihipStream_tbENKUlT_T0_E_clISt17integral_constantIbLb1EESV_IbLb0EEEEDaSR_SS_EUlSR_E0_NS1_11comp_targetILNS1_3genE10ELNS1_11target_archE1200ELNS1_3gpuE4ELNS1_3repE0EEENS1_30default_config_static_selectorELNS0_4arch9wavefront6targetE1EEEvT1_
		.amdhsa_group_segment_fixed_size 0
		.amdhsa_private_segment_fixed_size 0
		.amdhsa_kernarg_size 32
		.amdhsa_user_sgpr_count 6
		.amdhsa_user_sgpr_private_segment_buffer 1
		.amdhsa_user_sgpr_dispatch_ptr 0
		.amdhsa_user_sgpr_queue_ptr 0
		.amdhsa_user_sgpr_kernarg_segment_ptr 1
		.amdhsa_user_sgpr_dispatch_id 0
		.amdhsa_user_sgpr_flat_scratch_init 0
		.amdhsa_user_sgpr_private_segment_size 0
		.amdhsa_uses_dynamic_stack 0
		.amdhsa_system_sgpr_private_segment_wavefront_offset 0
		.amdhsa_system_sgpr_workgroup_id_x 1
		.amdhsa_system_sgpr_workgroup_id_y 0
		.amdhsa_system_sgpr_workgroup_id_z 0
		.amdhsa_system_sgpr_workgroup_info 0
		.amdhsa_system_vgpr_workitem_id 0
		.amdhsa_next_free_vgpr 1
		.amdhsa_next_free_sgpr 0
		.amdhsa_reserve_vcc 0
		.amdhsa_reserve_flat_scratch 0
		.amdhsa_float_round_mode_32 0
		.amdhsa_float_round_mode_16_64 0
		.amdhsa_float_denorm_mode_32 3
		.amdhsa_float_denorm_mode_16_64 3
		.amdhsa_dx10_clamp 1
		.amdhsa_ieee_mode 1
		.amdhsa_fp16_overflow 0
		.amdhsa_exception_fp_ieee_invalid_op 0
		.amdhsa_exception_fp_denorm_src 0
		.amdhsa_exception_fp_ieee_div_zero 0
		.amdhsa_exception_fp_ieee_overflow 0
		.amdhsa_exception_fp_ieee_underflow 0
		.amdhsa_exception_fp_ieee_inexact 0
		.amdhsa_exception_int_div_zero 0
	.end_amdhsa_kernel
	.section	.text._ZN7rocprim17ROCPRIM_400000_NS6detail17trampoline_kernelINS0_14default_configENS1_20scan_config_selectorIfEEZZNS1_9scan_implILNS1_25lookback_scan_determinismE0ELb0ELb0ES3_PKfPffZZZN2at6native31launch_logcumsumexp_cuda_kernelERKNSB_10TensorBaseESF_lENKUlvE_clEvENKUlvE0_clEvEUlffE_fEEDaPvRmT3_T4_T5_mT6_P12ihipStream_tbENKUlT_T0_E_clISt17integral_constantIbLb1EESV_IbLb0EEEEDaSR_SS_EUlSR_E0_NS1_11comp_targetILNS1_3genE10ELNS1_11target_archE1200ELNS1_3gpuE4ELNS1_3repE0EEENS1_30default_config_static_selectorELNS0_4arch9wavefront6targetE1EEEvT1_,"axG",@progbits,_ZN7rocprim17ROCPRIM_400000_NS6detail17trampoline_kernelINS0_14default_configENS1_20scan_config_selectorIfEEZZNS1_9scan_implILNS1_25lookback_scan_determinismE0ELb0ELb0ES3_PKfPffZZZN2at6native31launch_logcumsumexp_cuda_kernelERKNSB_10TensorBaseESF_lENKUlvE_clEvENKUlvE0_clEvEUlffE_fEEDaPvRmT3_T4_T5_mT6_P12ihipStream_tbENKUlT_T0_E_clISt17integral_constantIbLb1EESV_IbLb0EEEEDaSR_SS_EUlSR_E0_NS1_11comp_targetILNS1_3genE10ELNS1_11target_archE1200ELNS1_3gpuE4ELNS1_3repE0EEENS1_30default_config_static_selectorELNS0_4arch9wavefront6targetE1EEEvT1_,comdat
.Lfunc_end149:
	.size	_ZN7rocprim17ROCPRIM_400000_NS6detail17trampoline_kernelINS0_14default_configENS1_20scan_config_selectorIfEEZZNS1_9scan_implILNS1_25lookback_scan_determinismE0ELb0ELb0ES3_PKfPffZZZN2at6native31launch_logcumsumexp_cuda_kernelERKNSB_10TensorBaseESF_lENKUlvE_clEvENKUlvE0_clEvEUlffE_fEEDaPvRmT3_T4_T5_mT6_P12ihipStream_tbENKUlT_T0_E_clISt17integral_constantIbLb1EESV_IbLb0EEEEDaSR_SS_EUlSR_E0_NS1_11comp_targetILNS1_3genE10ELNS1_11target_archE1200ELNS1_3gpuE4ELNS1_3repE0EEENS1_30default_config_static_selectorELNS0_4arch9wavefront6targetE1EEEvT1_, .Lfunc_end149-_ZN7rocprim17ROCPRIM_400000_NS6detail17trampoline_kernelINS0_14default_configENS1_20scan_config_selectorIfEEZZNS1_9scan_implILNS1_25lookback_scan_determinismE0ELb0ELb0ES3_PKfPffZZZN2at6native31launch_logcumsumexp_cuda_kernelERKNSB_10TensorBaseESF_lENKUlvE_clEvENKUlvE0_clEvEUlffE_fEEDaPvRmT3_T4_T5_mT6_P12ihipStream_tbENKUlT_T0_E_clISt17integral_constantIbLb1EESV_IbLb0EEEEDaSR_SS_EUlSR_E0_NS1_11comp_targetILNS1_3genE10ELNS1_11target_archE1200ELNS1_3gpuE4ELNS1_3repE0EEENS1_30default_config_static_selectorELNS0_4arch9wavefront6targetE1EEEvT1_
                                        ; -- End function
	.set _ZN7rocprim17ROCPRIM_400000_NS6detail17trampoline_kernelINS0_14default_configENS1_20scan_config_selectorIfEEZZNS1_9scan_implILNS1_25lookback_scan_determinismE0ELb0ELb0ES3_PKfPffZZZN2at6native31launch_logcumsumexp_cuda_kernelERKNSB_10TensorBaseESF_lENKUlvE_clEvENKUlvE0_clEvEUlffE_fEEDaPvRmT3_T4_T5_mT6_P12ihipStream_tbENKUlT_T0_E_clISt17integral_constantIbLb1EESV_IbLb0EEEEDaSR_SS_EUlSR_E0_NS1_11comp_targetILNS1_3genE10ELNS1_11target_archE1200ELNS1_3gpuE4ELNS1_3repE0EEENS1_30default_config_static_selectorELNS0_4arch9wavefront6targetE1EEEvT1_.num_vgpr, 0
	.set _ZN7rocprim17ROCPRIM_400000_NS6detail17trampoline_kernelINS0_14default_configENS1_20scan_config_selectorIfEEZZNS1_9scan_implILNS1_25lookback_scan_determinismE0ELb0ELb0ES3_PKfPffZZZN2at6native31launch_logcumsumexp_cuda_kernelERKNSB_10TensorBaseESF_lENKUlvE_clEvENKUlvE0_clEvEUlffE_fEEDaPvRmT3_T4_T5_mT6_P12ihipStream_tbENKUlT_T0_E_clISt17integral_constantIbLb1EESV_IbLb0EEEEDaSR_SS_EUlSR_E0_NS1_11comp_targetILNS1_3genE10ELNS1_11target_archE1200ELNS1_3gpuE4ELNS1_3repE0EEENS1_30default_config_static_selectorELNS0_4arch9wavefront6targetE1EEEvT1_.num_agpr, 0
	.set _ZN7rocprim17ROCPRIM_400000_NS6detail17trampoline_kernelINS0_14default_configENS1_20scan_config_selectorIfEEZZNS1_9scan_implILNS1_25lookback_scan_determinismE0ELb0ELb0ES3_PKfPffZZZN2at6native31launch_logcumsumexp_cuda_kernelERKNSB_10TensorBaseESF_lENKUlvE_clEvENKUlvE0_clEvEUlffE_fEEDaPvRmT3_T4_T5_mT6_P12ihipStream_tbENKUlT_T0_E_clISt17integral_constantIbLb1EESV_IbLb0EEEEDaSR_SS_EUlSR_E0_NS1_11comp_targetILNS1_3genE10ELNS1_11target_archE1200ELNS1_3gpuE4ELNS1_3repE0EEENS1_30default_config_static_selectorELNS0_4arch9wavefront6targetE1EEEvT1_.numbered_sgpr, 0
	.set _ZN7rocprim17ROCPRIM_400000_NS6detail17trampoline_kernelINS0_14default_configENS1_20scan_config_selectorIfEEZZNS1_9scan_implILNS1_25lookback_scan_determinismE0ELb0ELb0ES3_PKfPffZZZN2at6native31launch_logcumsumexp_cuda_kernelERKNSB_10TensorBaseESF_lENKUlvE_clEvENKUlvE0_clEvEUlffE_fEEDaPvRmT3_T4_T5_mT6_P12ihipStream_tbENKUlT_T0_E_clISt17integral_constantIbLb1EESV_IbLb0EEEEDaSR_SS_EUlSR_E0_NS1_11comp_targetILNS1_3genE10ELNS1_11target_archE1200ELNS1_3gpuE4ELNS1_3repE0EEENS1_30default_config_static_selectorELNS0_4arch9wavefront6targetE1EEEvT1_.num_named_barrier, 0
	.set _ZN7rocprim17ROCPRIM_400000_NS6detail17trampoline_kernelINS0_14default_configENS1_20scan_config_selectorIfEEZZNS1_9scan_implILNS1_25lookback_scan_determinismE0ELb0ELb0ES3_PKfPffZZZN2at6native31launch_logcumsumexp_cuda_kernelERKNSB_10TensorBaseESF_lENKUlvE_clEvENKUlvE0_clEvEUlffE_fEEDaPvRmT3_T4_T5_mT6_P12ihipStream_tbENKUlT_T0_E_clISt17integral_constantIbLb1EESV_IbLb0EEEEDaSR_SS_EUlSR_E0_NS1_11comp_targetILNS1_3genE10ELNS1_11target_archE1200ELNS1_3gpuE4ELNS1_3repE0EEENS1_30default_config_static_selectorELNS0_4arch9wavefront6targetE1EEEvT1_.private_seg_size, 0
	.set _ZN7rocprim17ROCPRIM_400000_NS6detail17trampoline_kernelINS0_14default_configENS1_20scan_config_selectorIfEEZZNS1_9scan_implILNS1_25lookback_scan_determinismE0ELb0ELb0ES3_PKfPffZZZN2at6native31launch_logcumsumexp_cuda_kernelERKNSB_10TensorBaseESF_lENKUlvE_clEvENKUlvE0_clEvEUlffE_fEEDaPvRmT3_T4_T5_mT6_P12ihipStream_tbENKUlT_T0_E_clISt17integral_constantIbLb1EESV_IbLb0EEEEDaSR_SS_EUlSR_E0_NS1_11comp_targetILNS1_3genE10ELNS1_11target_archE1200ELNS1_3gpuE4ELNS1_3repE0EEENS1_30default_config_static_selectorELNS0_4arch9wavefront6targetE1EEEvT1_.uses_vcc, 0
	.set _ZN7rocprim17ROCPRIM_400000_NS6detail17trampoline_kernelINS0_14default_configENS1_20scan_config_selectorIfEEZZNS1_9scan_implILNS1_25lookback_scan_determinismE0ELb0ELb0ES3_PKfPffZZZN2at6native31launch_logcumsumexp_cuda_kernelERKNSB_10TensorBaseESF_lENKUlvE_clEvENKUlvE0_clEvEUlffE_fEEDaPvRmT3_T4_T5_mT6_P12ihipStream_tbENKUlT_T0_E_clISt17integral_constantIbLb1EESV_IbLb0EEEEDaSR_SS_EUlSR_E0_NS1_11comp_targetILNS1_3genE10ELNS1_11target_archE1200ELNS1_3gpuE4ELNS1_3repE0EEENS1_30default_config_static_selectorELNS0_4arch9wavefront6targetE1EEEvT1_.uses_flat_scratch, 0
	.set _ZN7rocprim17ROCPRIM_400000_NS6detail17trampoline_kernelINS0_14default_configENS1_20scan_config_selectorIfEEZZNS1_9scan_implILNS1_25lookback_scan_determinismE0ELb0ELb0ES3_PKfPffZZZN2at6native31launch_logcumsumexp_cuda_kernelERKNSB_10TensorBaseESF_lENKUlvE_clEvENKUlvE0_clEvEUlffE_fEEDaPvRmT3_T4_T5_mT6_P12ihipStream_tbENKUlT_T0_E_clISt17integral_constantIbLb1EESV_IbLb0EEEEDaSR_SS_EUlSR_E0_NS1_11comp_targetILNS1_3genE10ELNS1_11target_archE1200ELNS1_3gpuE4ELNS1_3repE0EEENS1_30default_config_static_selectorELNS0_4arch9wavefront6targetE1EEEvT1_.has_dyn_sized_stack, 0
	.set _ZN7rocprim17ROCPRIM_400000_NS6detail17trampoline_kernelINS0_14default_configENS1_20scan_config_selectorIfEEZZNS1_9scan_implILNS1_25lookback_scan_determinismE0ELb0ELb0ES3_PKfPffZZZN2at6native31launch_logcumsumexp_cuda_kernelERKNSB_10TensorBaseESF_lENKUlvE_clEvENKUlvE0_clEvEUlffE_fEEDaPvRmT3_T4_T5_mT6_P12ihipStream_tbENKUlT_T0_E_clISt17integral_constantIbLb1EESV_IbLb0EEEEDaSR_SS_EUlSR_E0_NS1_11comp_targetILNS1_3genE10ELNS1_11target_archE1200ELNS1_3gpuE4ELNS1_3repE0EEENS1_30default_config_static_selectorELNS0_4arch9wavefront6targetE1EEEvT1_.has_recursion, 0
	.set _ZN7rocprim17ROCPRIM_400000_NS6detail17trampoline_kernelINS0_14default_configENS1_20scan_config_selectorIfEEZZNS1_9scan_implILNS1_25lookback_scan_determinismE0ELb0ELb0ES3_PKfPffZZZN2at6native31launch_logcumsumexp_cuda_kernelERKNSB_10TensorBaseESF_lENKUlvE_clEvENKUlvE0_clEvEUlffE_fEEDaPvRmT3_T4_T5_mT6_P12ihipStream_tbENKUlT_T0_E_clISt17integral_constantIbLb1EESV_IbLb0EEEEDaSR_SS_EUlSR_E0_NS1_11comp_targetILNS1_3genE10ELNS1_11target_archE1200ELNS1_3gpuE4ELNS1_3repE0EEENS1_30default_config_static_selectorELNS0_4arch9wavefront6targetE1EEEvT1_.has_indirect_call, 0
	.section	.AMDGPU.csdata,"",@progbits
; Kernel info:
; codeLenInByte = 0
; TotalNumSgprs: 4
; NumVgprs: 0
; ScratchSize: 0
; MemoryBound: 0
; FloatMode: 240
; IeeeMode: 1
; LDSByteSize: 0 bytes/workgroup (compile time only)
; SGPRBlocks: 0
; VGPRBlocks: 0
; NumSGPRsForWavesPerEU: 4
; NumVGPRsForWavesPerEU: 1
; Occupancy: 10
; WaveLimiterHint : 0
; COMPUTE_PGM_RSRC2:SCRATCH_EN: 0
; COMPUTE_PGM_RSRC2:USER_SGPR: 6
; COMPUTE_PGM_RSRC2:TRAP_HANDLER: 0
; COMPUTE_PGM_RSRC2:TGID_X_EN: 1
; COMPUTE_PGM_RSRC2:TGID_Y_EN: 0
; COMPUTE_PGM_RSRC2:TGID_Z_EN: 0
; COMPUTE_PGM_RSRC2:TIDIG_COMP_CNT: 0
	.section	.text._ZN7rocprim17ROCPRIM_400000_NS6detail17trampoline_kernelINS0_14default_configENS1_20scan_config_selectorIfEEZZNS1_9scan_implILNS1_25lookback_scan_determinismE0ELb0ELb0ES3_PKfPffZZZN2at6native31launch_logcumsumexp_cuda_kernelERKNSB_10TensorBaseESF_lENKUlvE_clEvENKUlvE0_clEvEUlffE_fEEDaPvRmT3_T4_T5_mT6_P12ihipStream_tbENKUlT_T0_E_clISt17integral_constantIbLb1EESV_IbLb0EEEEDaSR_SS_EUlSR_E0_NS1_11comp_targetILNS1_3genE9ELNS1_11target_archE1100ELNS1_3gpuE3ELNS1_3repE0EEENS1_30default_config_static_selectorELNS0_4arch9wavefront6targetE1EEEvT1_,"axG",@progbits,_ZN7rocprim17ROCPRIM_400000_NS6detail17trampoline_kernelINS0_14default_configENS1_20scan_config_selectorIfEEZZNS1_9scan_implILNS1_25lookback_scan_determinismE0ELb0ELb0ES3_PKfPffZZZN2at6native31launch_logcumsumexp_cuda_kernelERKNSB_10TensorBaseESF_lENKUlvE_clEvENKUlvE0_clEvEUlffE_fEEDaPvRmT3_T4_T5_mT6_P12ihipStream_tbENKUlT_T0_E_clISt17integral_constantIbLb1EESV_IbLb0EEEEDaSR_SS_EUlSR_E0_NS1_11comp_targetILNS1_3genE9ELNS1_11target_archE1100ELNS1_3gpuE3ELNS1_3repE0EEENS1_30default_config_static_selectorELNS0_4arch9wavefront6targetE1EEEvT1_,comdat
	.globl	_ZN7rocprim17ROCPRIM_400000_NS6detail17trampoline_kernelINS0_14default_configENS1_20scan_config_selectorIfEEZZNS1_9scan_implILNS1_25lookback_scan_determinismE0ELb0ELb0ES3_PKfPffZZZN2at6native31launch_logcumsumexp_cuda_kernelERKNSB_10TensorBaseESF_lENKUlvE_clEvENKUlvE0_clEvEUlffE_fEEDaPvRmT3_T4_T5_mT6_P12ihipStream_tbENKUlT_T0_E_clISt17integral_constantIbLb1EESV_IbLb0EEEEDaSR_SS_EUlSR_E0_NS1_11comp_targetILNS1_3genE9ELNS1_11target_archE1100ELNS1_3gpuE3ELNS1_3repE0EEENS1_30default_config_static_selectorELNS0_4arch9wavefront6targetE1EEEvT1_ ; -- Begin function _ZN7rocprim17ROCPRIM_400000_NS6detail17trampoline_kernelINS0_14default_configENS1_20scan_config_selectorIfEEZZNS1_9scan_implILNS1_25lookback_scan_determinismE0ELb0ELb0ES3_PKfPffZZZN2at6native31launch_logcumsumexp_cuda_kernelERKNSB_10TensorBaseESF_lENKUlvE_clEvENKUlvE0_clEvEUlffE_fEEDaPvRmT3_T4_T5_mT6_P12ihipStream_tbENKUlT_T0_E_clISt17integral_constantIbLb1EESV_IbLb0EEEEDaSR_SS_EUlSR_E0_NS1_11comp_targetILNS1_3genE9ELNS1_11target_archE1100ELNS1_3gpuE3ELNS1_3repE0EEENS1_30default_config_static_selectorELNS0_4arch9wavefront6targetE1EEEvT1_
	.p2align	8
	.type	_ZN7rocprim17ROCPRIM_400000_NS6detail17trampoline_kernelINS0_14default_configENS1_20scan_config_selectorIfEEZZNS1_9scan_implILNS1_25lookback_scan_determinismE0ELb0ELb0ES3_PKfPffZZZN2at6native31launch_logcumsumexp_cuda_kernelERKNSB_10TensorBaseESF_lENKUlvE_clEvENKUlvE0_clEvEUlffE_fEEDaPvRmT3_T4_T5_mT6_P12ihipStream_tbENKUlT_T0_E_clISt17integral_constantIbLb1EESV_IbLb0EEEEDaSR_SS_EUlSR_E0_NS1_11comp_targetILNS1_3genE9ELNS1_11target_archE1100ELNS1_3gpuE3ELNS1_3repE0EEENS1_30default_config_static_selectorELNS0_4arch9wavefront6targetE1EEEvT1_,@function
_ZN7rocprim17ROCPRIM_400000_NS6detail17trampoline_kernelINS0_14default_configENS1_20scan_config_selectorIfEEZZNS1_9scan_implILNS1_25lookback_scan_determinismE0ELb0ELb0ES3_PKfPffZZZN2at6native31launch_logcumsumexp_cuda_kernelERKNSB_10TensorBaseESF_lENKUlvE_clEvENKUlvE0_clEvEUlffE_fEEDaPvRmT3_T4_T5_mT6_P12ihipStream_tbENKUlT_T0_E_clISt17integral_constantIbLb1EESV_IbLb0EEEEDaSR_SS_EUlSR_E0_NS1_11comp_targetILNS1_3genE9ELNS1_11target_archE1100ELNS1_3gpuE3ELNS1_3repE0EEENS1_30default_config_static_selectorELNS0_4arch9wavefront6targetE1EEEvT1_: ; @_ZN7rocprim17ROCPRIM_400000_NS6detail17trampoline_kernelINS0_14default_configENS1_20scan_config_selectorIfEEZZNS1_9scan_implILNS1_25lookback_scan_determinismE0ELb0ELb0ES3_PKfPffZZZN2at6native31launch_logcumsumexp_cuda_kernelERKNSB_10TensorBaseESF_lENKUlvE_clEvENKUlvE0_clEvEUlffE_fEEDaPvRmT3_T4_T5_mT6_P12ihipStream_tbENKUlT_T0_E_clISt17integral_constantIbLb1EESV_IbLb0EEEEDaSR_SS_EUlSR_E0_NS1_11comp_targetILNS1_3genE9ELNS1_11target_archE1100ELNS1_3gpuE3ELNS1_3repE0EEENS1_30default_config_static_selectorELNS0_4arch9wavefront6targetE1EEEvT1_
; %bb.0:
	.section	.rodata,"a",@progbits
	.p2align	6, 0x0
	.amdhsa_kernel _ZN7rocprim17ROCPRIM_400000_NS6detail17trampoline_kernelINS0_14default_configENS1_20scan_config_selectorIfEEZZNS1_9scan_implILNS1_25lookback_scan_determinismE0ELb0ELb0ES3_PKfPffZZZN2at6native31launch_logcumsumexp_cuda_kernelERKNSB_10TensorBaseESF_lENKUlvE_clEvENKUlvE0_clEvEUlffE_fEEDaPvRmT3_T4_T5_mT6_P12ihipStream_tbENKUlT_T0_E_clISt17integral_constantIbLb1EESV_IbLb0EEEEDaSR_SS_EUlSR_E0_NS1_11comp_targetILNS1_3genE9ELNS1_11target_archE1100ELNS1_3gpuE3ELNS1_3repE0EEENS1_30default_config_static_selectorELNS0_4arch9wavefront6targetE1EEEvT1_
		.amdhsa_group_segment_fixed_size 0
		.amdhsa_private_segment_fixed_size 0
		.amdhsa_kernarg_size 32
		.amdhsa_user_sgpr_count 6
		.amdhsa_user_sgpr_private_segment_buffer 1
		.amdhsa_user_sgpr_dispatch_ptr 0
		.amdhsa_user_sgpr_queue_ptr 0
		.amdhsa_user_sgpr_kernarg_segment_ptr 1
		.amdhsa_user_sgpr_dispatch_id 0
		.amdhsa_user_sgpr_flat_scratch_init 0
		.amdhsa_user_sgpr_private_segment_size 0
		.amdhsa_uses_dynamic_stack 0
		.amdhsa_system_sgpr_private_segment_wavefront_offset 0
		.amdhsa_system_sgpr_workgroup_id_x 1
		.amdhsa_system_sgpr_workgroup_id_y 0
		.amdhsa_system_sgpr_workgroup_id_z 0
		.amdhsa_system_sgpr_workgroup_info 0
		.amdhsa_system_vgpr_workitem_id 0
		.amdhsa_next_free_vgpr 1
		.amdhsa_next_free_sgpr 0
		.amdhsa_reserve_vcc 0
		.amdhsa_reserve_flat_scratch 0
		.amdhsa_float_round_mode_32 0
		.amdhsa_float_round_mode_16_64 0
		.amdhsa_float_denorm_mode_32 3
		.amdhsa_float_denorm_mode_16_64 3
		.amdhsa_dx10_clamp 1
		.amdhsa_ieee_mode 1
		.amdhsa_fp16_overflow 0
		.amdhsa_exception_fp_ieee_invalid_op 0
		.amdhsa_exception_fp_denorm_src 0
		.amdhsa_exception_fp_ieee_div_zero 0
		.amdhsa_exception_fp_ieee_overflow 0
		.amdhsa_exception_fp_ieee_underflow 0
		.amdhsa_exception_fp_ieee_inexact 0
		.amdhsa_exception_int_div_zero 0
	.end_amdhsa_kernel
	.section	.text._ZN7rocprim17ROCPRIM_400000_NS6detail17trampoline_kernelINS0_14default_configENS1_20scan_config_selectorIfEEZZNS1_9scan_implILNS1_25lookback_scan_determinismE0ELb0ELb0ES3_PKfPffZZZN2at6native31launch_logcumsumexp_cuda_kernelERKNSB_10TensorBaseESF_lENKUlvE_clEvENKUlvE0_clEvEUlffE_fEEDaPvRmT3_T4_T5_mT6_P12ihipStream_tbENKUlT_T0_E_clISt17integral_constantIbLb1EESV_IbLb0EEEEDaSR_SS_EUlSR_E0_NS1_11comp_targetILNS1_3genE9ELNS1_11target_archE1100ELNS1_3gpuE3ELNS1_3repE0EEENS1_30default_config_static_selectorELNS0_4arch9wavefront6targetE1EEEvT1_,"axG",@progbits,_ZN7rocprim17ROCPRIM_400000_NS6detail17trampoline_kernelINS0_14default_configENS1_20scan_config_selectorIfEEZZNS1_9scan_implILNS1_25lookback_scan_determinismE0ELb0ELb0ES3_PKfPffZZZN2at6native31launch_logcumsumexp_cuda_kernelERKNSB_10TensorBaseESF_lENKUlvE_clEvENKUlvE0_clEvEUlffE_fEEDaPvRmT3_T4_T5_mT6_P12ihipStream_tbENKUlT_T0_E_clISt17integral_constantIbLb1EESV_IbLb0EEEEDaSR_SS_EUlSR_E0_NS1_11comp_targetILNS1_3genE9ELNS1_11target_archE1100ELNS1_3gpuE3ELNS1_3repE0EEENS1_30default_config_static_selectorELNS0_4arch9wavefront6targetE1EEEvT1_,comdat
.Lfunc_end150:
	.size	_ZN7rocprim17ROCPRIM_400000_NS6detail17trampoline_kernelINS0_14default_configENS1_20scan_config_selectorIfEEZZNS1_9scan_implILNS1_25lookback_scan_determinismE0ELb0ELb0ES3_PKfPffZZZN2at6native31launch_logcumsumexp_cuda_kernelERKNSB_10TensorBaseESF_lENKUlvE_clEvENKUlvE0_clEvEUlffE_fEEDaPvRmT3_T4_T5_mT6_P12ihipStream_tbENKUlT_T0_E_clISt17integral_constantIbLb1EESV_IbLb0EEEEDaSR_SS_EUlSR_E0_NS1_11comp_targetILNS1_3genE9ELNS1_11target_archE1100ELNS1_3gpuE3ELNS1_3repE0EEENS1_30default_config_static_selectorELNS0_4arch9wavefront6targetE1EEEvT1_, .Lfunc_end150-_ZN7rocprim17ROCPRIM_400000_NS6detail17trampoline_kernelINS0_14default_configENS1_20scan_config_selectorIfEEZZNS1_9scan_implILNS1_25lookback_scan_determinismE0ELb0ELb0ES3_PKfPffZZZN2at6native31launch_logcumsumexp_cuda_kernelERKNSB_10TensorBaseESF_lENKUlvE_clEvENKUlvE0_clEvEUlffE_fEEDaPvRmT3_T4_T5_mT6_P12ihipStream_tbENKUlT_T0_E_clISt17integral_constantIbLb1EESV_IbLb0EEEEDaSR_SS_EUlSR_E0_NS1_11comp_targetILNS1_3genE9ELNS1_11target_archE1100ELNS1_3gpuE3ELNS1_3repE0EEENS1_30default_config_static_selectorELNS0_4arch9wavefront6targetE1EEEvT1_
                                        ; -- End function
	.set _ZN7rocprim17ROCPRIM_400000_NS6detail17trampoline_kernelINS0_14default_configENS1_20scan_config_selectorIfEEZZNS1_9scan_implILNS1_25lookback_scan_determinismE0ELb0ELb0ES3_PKfPffZZZN2at6native31launch_logcumsumexp_cuda_kernelERKNSB_10TensorBaseESF_lENKUlvE_clEvENKUlvE0_clEvEUlffE_fEEDaPvRmT3_T4_T5_mT6_P12ihipStream_tbENKUlT_T0_E_clISt17integral_constantIbLb1EESV_IbLb0EEEEDaSR_SS_EUlSR_E0_NS1_11comp_targetILNS1_3genE9ELNS1_11target_archE1100ELNS1_3gpuE3ELNS1_3repE0EEENS1_30default_config_static_selectorELNS0_4arch9wavefront6targetE1EEEvT1_.num_vgpr, 0
	.set _ZN7rocprim17ROCPRIM_400000_NS6detail17trampoline_kernelINS0_14default_configENS1_20scan_config_selectorIfEEZZNS1_9scan_implILNS1_25lookback_scan_determinismE0ELb0ELb0ES3_PKfPffZZZN2at6native31launch_logcumsumexp_cuda_kernelERKNSB_10TensorBaseESF_lENKUlvE_clEvENKUlvE0_clEvEUlffE_fEEDaPvRmT3_T4_T5_mT6_P12ihipStream_tbENKUlT_T0_E_clISt17integral_constantIbLb1EESV_IbLb0EEEEDaSR_SS_EUlSR_E0_NS1_11comp_targetILNS1_3genE9ELNS1_11target_archE1100ELNS1_3gpuE3ELNS1_3repE0EEENS1_30default_config_static_selectorELNS0_4arch9wavefront6targetE1EEEvT1_.num_agpr, 0
	.set _ZN7rocprim17ROCPRIM_400000_NS6detail17trampoline_kernelINS0_14default_configENS1_20scan_config_selectorIfEEZZNS1_9scan_implILNS1_25lookback_scan_determinismE0ELb0ELb0ES3_PKfPffZZZN2at6native31launch_logcumsumexp_cuda_kernelERKNSB_10TensorBaseESF_lENKUlvE_clEvENKUlvE0_clEvEUlffE_fEEDaPvRmT3_T4_T5_mT6_P12ihipStream_tbENKUlT_T0_E_clISt17integral_constantIbLb1EESV_IbLb0EEEEDaSR_SS_EUlSR_E0_NS1_11comp_targetILNS1_3genE9ELNS1_11target_archE1100ELNS1_3gpuE3ELNS1_3repE0EEENS1_30default_config_static_selectorELNS0_4arch9wavefront6targetE1EEEvT1_.numbered_sgpr, 0
	.set _ZN7rocprim17ROCPRIM_400000_NS6detail17trampoline_kernelINS0_14default_configENS1_20scan_config_selectorIfEEZZNS1_9scan_implILNS1_25lookback_scan_determinismE0ELb0ELb0ES3_PKfPffZZZN2at6native31launch_logcumsumexp_cuda_kernelERKNSB_10TensorBaseESF_lENKUlvE_clEvENKUlvE0_clEvEUlffE_fEEDaPvRmT3_T4_T5_mT6_P12ihipStream_tbENKUlT_T0_E_clISt17integral_constantIbLb1EESV_IbLb0EEEEDaSR_SS_EUlSR_E0_NS1_11comp_targetILNS1_3genE9ELNS1_11target_archE1100ELNS1_3gpuE3ELNS1_3repE0EEENS1_30default_config_static_selectorELNS0_4arch9wavefront6targetE1EEEvT1_.num_named_barrier, 0
	.set _ZN7rocprim17ROCPRIM_400000_NS6detail17trampoline_kernelINS0_14default_configENS1_20scan_config_selectorIfEEZZNS1_9scan_implILNS1_25lookback_scan_determinismE0ELb0ELb0ES3_PKfPffZZZN2at6native31launch_logcumsumexp_cuda_kernelERKNSB_10TensorBaseESF_lENKUlvE_clEvENKUlvE0_clEvEUlffE_fEEDaPvRmT3_T4_T5_mT6_P12ihipStream_tbENKUlT_T0_E_clISt17integral_constantIbLb1EESV_IbLb0EEEEDaSR_SS_EUlSR_E0_NS1_11comp_targetILNS1_3genE9ELNS1_11target_archE1100ELNS1_3gpuE3ELNS1_3repE0EEENS1_30default_config_static_selectorELNS0_4arch9wavefront6targetE1EEEvT1_.private_seg_size, 0
	.set _ZN7rocprim17ROCPRIM_400000_NS6detail17trampoline_kernelINS0_14default_configENS1_20scan_config_selectorIfEEZZNS1_9scan_implILNS1_25lookback_scan_determinismE0ELb0ELb0ES3_PKfPffZZZN2at6native31launch_logcumsumexp_cuda_kernelERKNSB_10TensorBaseESF_lENKUlvE_clEvENKUlvE0_clEvEUlffE_fEEDaPvRmT3_T4_T5_mT6_P12ihipStream_tbENKUlT_T0_E_clISt17integral_constantIbLb1EESV_IbLb0EEEEDaSR_SS_EUlSR_E0_NS1_11comp_targetILNS1_3genE9ELNS1_11target_archE1100ELNS1_3gpuE3ELNS1_3repE0EEENS1_30default_config_static_selectorELNS0_4arch9wavefront6targetE1EEEvT1_.uses_vcc, 0
	.set _ZN7rocprim17ROCPRIM_400000_NS6detail17trampoline_kernelINS0_14default_configENS1_20scan_config_selectorIfEEZZNS1_9scan_implILNS1_25lookback_scan_determinismE0ELb0ELb0ES3_PKfPffZZZN2at6native31launch_logcumsumexp_cuda_kernelERKNSB_10TensorBaseESF_lENKUlvE_clEvENKUlvE0_clEvEUlffE_fEEDaPvRmT3_T4_T5_mT6_P12ihipStream_tbENKUlT_T0_E_clISt17integral_constantIbLb1EESV_IbLb0EEEEDaSR_SS_EUlSR_E0_NS1_11comp_targetILNS1_3genE9ELNS1_11target_archE1100ELNS1_3gpuE3ELNS1_3repE0EEENS1_30default_config_static_selectorELNS0_4arch9wavefront6targetE1EEEvT1_.uses_flat_scratch, 0
	.set _ZN7rocprim17ROCPRIM_400000_NS6detail17trampoline_kernelINS0_14default_configENS1_20scan_config_selectorIfEEZZNS1_9scan_implILNS1_25lookback_scan_determinismE0ELb0ELb0ES3_PKfPffZZZN2at6native31launch_logcumsumexp_cuda_kernelERKNSB_10TensorBaseESF_lENKUlvE_clEvENKUlvE0_clEvEUlffE_fEEDaPvRmT3_T4_T5_mT6_P12ihipStream_tbENKUlT_T0_E_clISt17integral_constantIbLb1EESV_IbLb0EEEEDaSR_SS_EUlSR_E0_NS1_11comp_targetILNS1_3genE9ELNS1_11target_archE1100ELNS1_3gpuE3ELNS1_3repE0EEENS1_30default_config_static_selectorELNS0_4arch9wavefront6targetE1EEEvT1_.has_dyn_sized_stack, 0
	.set _ZN7rocprim17ROCPRIM_400000_NS6detail17trampoline_kernelINS0_14default_configENS1_20scan_config_selectorIfEEZZNS1_9scan_implILNS1_25lookback_scan_determinismE0ELb0ELb0ES3_PKfPffZZZN2at6native31launch_logcumsumexp_cuda_kernelERKNSB_10TensorBaseESF_lENKUlvE_clEvENKUlvE0_clEvEUlffE_fEEDaPvRmT3_T4_T5_mT6_P12ihipStream_tbENKUlT_T0_E_clISt17integral_constantIbLb1EESV_IbLb0EEEEDaSR_SS_EUlSR_E0_NS1_11comp_targetILNS1_3genE9ELNS1_11target_archE1100ELNS1_3gpuE3ELNS1_3repE0EEENS1_30default_config_static_selectorELNS0_4arch9wavefront6targetE1EEEvT1_.has_recursion, 0
	.set _ZN7rocprim17ROCPRIM_400000_NS6detail17trampoline_kernelINS0_14default_configENS1_20scan_config_selectorIfEEZZNS1_9scan_implILNS1_25lookback_scan_determinismE0ELb0ELb0ES3_PKfPffZZZN2at6native31launch_logcumsumexp_cuda_kernelERKNSB_10TensorBaseESF_lENKUlvE_clEvENKUlvE0_clEvEUlffE_fEEDaPvRmT3_T4_T5_mT6_P12ihipStream_tbENKUlT_T0_E_clISt17integral_constantIbLb1EESV_IbLb0EEEEDaSR_SS_EUlSR_E0_NS1_11comp_targetILNS1_3genE9ELNS1_11target_archE1100ELNS1_3gpuE3ELNS1_3repE0EEENS1_30default_config_static_selectorELNS0_4arch9wavefront6targetE1EEEvT1_.has_indirect_call, 0
	.section	.AMDGPU.csdata,"",@progbits
; Kernel info:
; codeLenInByte = 0
; TotalNumSgprs: 4
; NumVgprs: 0
; ScratchSize: 0
; MemoryBound: 0
; FloatMode: 240
; IeeeMode: 1
; LDSByteSize: 0 bytes/workgroup (compile time only)
; SGPRBlocks: 0
; VGPRBlocks: 0
; NumSGPRsForWavesPerEU: 4
; NumVGPRsForWavesPerEU: 1
; Occupancy: 10
; WaveLimiterHint : 0
; COMPUTE_PGM_RSRC2:SCRATCH_EN: 0
; COMPUTE_PGM_RSRC2:USER_SGPR: 6
; COMPUTE_PGM_RSRC2:TRAP_HANDLER: 0
; COMPUTE_PGM_RSRC2:TGID_X_EN: 1
; COMPUTE_PGM_RSRC2:TGID_Y_EN: 0
; COMPUTE_PGM_RSRC2:TGID_Z_EN: 0
; COMPUTE_PGM_RSRC2:TIDIG_COMP_CNT: 0
	.section	.text._ZN7rocprim17ROCPRIM_400000_NS6detail17trampoline_kernelINS0_14default_configENS1_20scan_config_selectorIfEEZZNS1_9scan_implILNS1_25lookback_scan_determinismE0ELb0ELb0ES3_PKfPffZZZN2at6native31launch_logcumsumexp_cuda_kernelERKNSB_10TensorBaseESF_lENKUlvE_clEvENKUlvE0_clEvEUlffE_fEEDaPvRmT3_T4_T5_mT6_P12ihipStream_tbENKUlT_T0_E_clISt17integral_constantIbLb1EESV_IbLb0EEEEDaSR_SS_EUlSR_E0_NS1_11comp_targetILNS1_3genE8ELNS1_11target_archE1030ELNS1_3gpuE2ELNS1_3repE0EEENS1_30default_config_static_selectorELNS0_4arch9wavefront6targetE1EEEvT1_,"axG",@progbits,_ZN7rocprim17ROCPRIM_400000_NS6detail17trampoline_kernelINS0_14default_configENS1_20scan_config_selectorIfEEZZNS1_9scan_implILNS1_25lookback_scan_determinismE0ELb0ELb0ES3_PKfPffZZZN2at6native31launch_logcumsumexp_cuda_kernelERKNSB_10TensorBaseESF_lENKUlvE_clEvENKUlvE0_clEvEUlffE_fEEDaPvRmT3_T4_T5_mT6_P12ihipStream_tbENKUlT_T0_E_clISt17integral_constantIbLb1EESV_IbLb0EEEEDaSR_SS_EUlSR_E0_NS1_11comp_targetILNS1_3genE8ELNS1_11target_archE1030ELNS1_3gpuE2ELNS1_3repE0EEENS1_30default_config_static_selectorELNS0_4arch9wavefront6targetE1EEEvT1_,comdat
	.globl	_ZN7rocprim17ROCPRIM_400000_NS6detail17trampoline_kernelINS0_14default_configENS1_20scan_config_selectorIfEEZZNS1_9scan_implILNS1_25lookback_scan_determinismE0ELb0ELb0ES3_PKfPffZZZN2at6native31launch_logcumsumexp_cuda_kernelERKNSB_10TensorBaseESF_lENKUlvE_clEvENKUlvE0_clEvEUlffE_fEEDaPvRmT3_T4_T5_mT6_P12ihipStream_tbENKUlT_T0_E_clISt17integral_constantIbLb1EESV_IbLb0EEEEDaSR_SS_EUlSR_E0_NS1_11comp_targetILNS1_3genE8ELNS1_11target_archE1030ELNS1_3gpuE2ELNS1_3repE0EEENS1_30default_config_static_selectorELNS0_4arch9wavefront6targetE1EEEvT1_ ; -- Begin function _ZN7rocprim17ROCPRIM_400000_NS6detail17trampoline_kernelINS0_14default_configENS1_20scan_config_selectorIfEEZZNS1_9scan_implILNS1_25lookback_scan_determinismE0ELb0ELb0ES3_PKfPffZZZN2at6native31launch_logcumsumexp_cuda_kernelERKNSB_10TensorBaseESF_lENKUlvE_clEvENKUlvE0_clEvEUlffE_fEEDaPvRmT3_T4_T5_mT6_P12ihipStream_tbENKUlT_T0_E_clISt17integral_constantIbLb1EESV_IbLb0EEEEDaSR_SS_EUlSR_E0_NS1_11comp_targetILNS1_3genE8ELNS1_11target_archE1030ELNS1_3gpuE2ELNS1_3repE0EEENS1_30default_config_static_selectorELNS0_4arch9wavefront6targetE1EEEvT1_
	.p2align	8
	.type	_ZN7rocprim17ROCPRIM_400000_NS6detail17trampoline_kernelINS0_14default_configENS1_20scan_config_selectorIfEEZZNS1_9scan_implILNS1_25lookback_scan_determinismE0ELb0ELb0ES3_PKfPffZZZN2at6native31launch_logcumsumexp_cuda_kernelERKNSB_10TensorBaseESF_lENKUlvE_clEvENKUlvE0_clEvEUlffE_fEEDaPvRmT3_T4_T5_mT6_P12ihipStream_tbENKUlT_T0_E_clISt17integral_constantIbLb1EESV_IbLb0EEEEDaSR_SS_EUlSR_E0_NS1_11comp_targetILNS1_3genE8ELNS1_11target_archE1030ELNS1_3gpuE2ELNS1_3repE0EEENS1_30default_config_static_selectorELNS0_4arch9wavefront6targetE1EEEvT1_,@function
_ZN7rocprim17ROCPRIM_400000_NS6detail17trampoline_kernelINS0_14default_configENS1_20scan_config_selectorIfEEZZNS1_9scan_implILNS1_25lookback_scan_determinismE0ELb0ELb0ES3_PKfPffZZZN2at6native31launch_logcumsumexp_cuda_kernelERKNSB_10TensorBaseESF_lENKUlvE_clEvENKUlvE0_clEvEUlffE_fEEDaPvRmT3_T4_T5_mT6_P12ihipStream_tbENKUlT_T0_E_clISt17integral_constantIbLb1EESV_IbLb0EEEEDaSR_SS_EUlSR_E0_NS1_11comp_targetILNS1_3genE8ELNS1_11target_archE1030ELNS1_3gpuE2ELNS1_3repE0EEENS1_30default_config_static_selectorELNS0_4arch9wavefront6targetE1EEEvT1_: ; @_ZN7rocprim17ROCPRIM_400000_NS6detail17trampoline_kernelINS0_14default_configENS1_20scan_config_selectorIfEEZZNS1_9scan_implILNS1_25lookback_scan_determinismE0ELb0ELb0ES3_PKfPffZZZN2at6native31launch_logcumsumexp_cuda_kernelERKNSB_10TensorBaseESF_lENKUlvE_clEvENKUlvE0_clEvEUlffE_fEEDaPvRmT3_T4_T5_mT6_P12ihipStream_tbENKUlT_T0_E_clISt17integral_constantIbLb1EESV_IbLb0EEEEDaSR_SS_EUlSR_E0_NS1_11comp_targetILNS1_3genE8ELNS1_11target_archE1030ELNS1_3gpuE2ELNS1_3repE0EEENS1_30default_config_static_selectorELNS0_4arch9wavefront6targetE1EEEvT1_
; %bb.0:
	.section	.rodata,"a",@progbits
	.p2align	6, 0x0
	.amdhsa_kernel _ZN7rocprim17ROCPRIM_400000_NS6detail17trampoline_kernelINS0_14default_configENS1_20scan_config_selectorIfEEZZNS1_9scan_implILNS1_25lookback_scan_determinismE0ELb0ELb0ES3_PKfPffZZZN2at6native31launch_logcumsumexp_cuda_kernelERKNSB_10TensorBaseESF_lENKUlvE_clEvENKUlvE0_clEvEUlffE_fEEDaPvRmT3_T4_T5_mT6_P12ihipStream_tbENKUlT_T0_E_clISt17integral_constantIbLb1EESV_IbLb0EEEEDaSR_SS_EUlSR_E0_NS1_11comp_targetILNS1_3genE8ELNS1_11target_archE1030ELNS1_3gpuE2ELNS1_3repE0EEENS1_30default_config_static_selectorELNS0_4arch9wavefront6targetE1EEEvT1_
		.amdhsa_group_segment_fixed_size 0
		.amdhsa_private_segment_fixed_size 0
		.amdhsa_kernarg_size 32
		.amdhsa_user_sgpr_count 6
		.amdhsa_user_sgpr_private_segment_buffer 1
		.amdhsa_user_sgpr_dispatch_ptr 0
		.amdhsa_user_sgpr_queue_ptr 0
		.amdhsa_user_sgpr_kernarg_segment_ptr 1
		.amdhsa_user_sgpr_dispatch_id 0
		.amdhsa_user_sgpr_flat_scratch_init 0
		.amdhsa_user_sgpr_private_segment_size 0
		.amdhsa_uses_dynamic_stack 0
		.amdhsa_system_sgpr_private_segment_wavefront_offset 0
		.amdhsa_system_sgpr_workgroup_id_x 1
		.amdhsa_system_sgpr_workgroup_id_y 0
		.amdhsa_system_sgpr_workgroup_id_z 0
		.amdhsa_system_sgpr_workgroup_info 0
		.amdhsa_system_vgpr_workitem_id 0
		.amdhsa_next_free_vgpr 1
		.amdhsa_next_free_sgpr 0
		.amdhsa_reserve_vcc 0
		.amdhsa_reserve_flat_scratch 0
		.amdhsa_float_round_mode_32 0
		.amdhsa_float_round_mode_16_64 0
		.amdhsa_float_denorm_mode_32 3
		.amdhsa_float_denorm_mode_16_64 3
		.amdhsa_dx10_clamp 1
		.amdhsa_ieee_mode 1
		.amdhsa_fp16_overflow 0
		.amdhsa_exception_fp_ieee_invalid_op 0
		.amdhsa_exception_fp_denorm_src 0
		.amdhsa_exception_fp_ieee_div_zero 0
		.amdhsa_exception_fp_ieee_overflow 0
		.amdhsa_exception_fp_ieee_underflow 0
		.amdhsa_exception_fp_ieee_inexact 0
		.amdhsa_exception_int_div_zero 0
	.end_amdhsa_kernel
	.section	.text._ZN7rocprim17ROCPRIM_400000_NS6detail17trampoline_kernelINS0_14default_configENS1_20scan_config_selectorIfEEZZNS1_9scan_implILNS1_25lookback_scan_determinismE0ELb0ELb0ES3_PKfPffZZZN2at6native31launch_logcumsumexp_cuda_kernelERKNSB_10TensorBaseESF_lENKUlvE_clEvENKUlvE0_clEvEUlffE_fEEDaPvRmT3_T4_T5_mT6_P12ihipStream_tbENKUlT_T0_E_clISt17integral_constantIbLb1EESV_IbLb0EEEEDaSR_SS_EUlSR_E0_NS1_11comp_targetILNS1_3genE8ELNS1_11target_archE1030ELNS1_3gpuE2ELNS1_3repE0EEENS1_30default_config_static_selectorELNS0_4arch9wavefront6targetE1EEEvT1_,"axG",@progbits,_ZN7rocprim17ROCPRIM_400000_NS6detail17trampoline_kernelINS0_14default_configENS1_20scan_config_selectorIfEEZZNS1_9scan_implILNS1_25lookback_scan_determinismE0ELb0ELb0ES3_PKfPffZZZN2at6native31launch_logcumsumexp_cuda_kernelERKNSB_10TensorBaseESF_lENKUlvE_clEvENKUlvE0_clEvEUlffE_fEEDaPvRmT3_T4_T5_mT6_P12ihipStream_tbENKUlT_T0_E_clISt17integral_constantIbLb1EESV_IbLb0EEEEDaSR_SS_EUlSR_E0_NS1_11comp_targetILNS1_3genE8ELNS1_11target_archE1030ELNS1_3gpuE2ELNS1_3repE0EEENS1_30default_config_static_selectorELNS0_4arch9wavefront6targetE1EEEvT1_,comdat
.Lfunc_end151:
	.size	_ZN7rocprim17ROCPRIM_400000_NS6detail17trampoline_kernelINS0_14default_configENS1_20scan_config_selectorIfEEZZNS1_9scan_implILNS1_25lookback_scan_determinismE0ELb0ELb0ES3_PKfPffZZZN2at6native31launch_logcumsumexp_cuda_kernelERKNSB_10TensorBaseESF_lENKUlvE_clEvENKUlvE0_clEvEUlffE_fEEDaPvRmT3_T4_T5_mT6_P12ihipStream_tbENKUlT_T0_E_clISt17integral_constantIbLb1EESV_IbLb0EEEEDaSR_SS_EUlSR_E0_NS1_11comp_targetILNS1_3genE8ELNS1_11target_archE1030ELNS1_3gpuE2ELNS1_3repE0EEENS1_30default_config_static_selectorELNS0_4arch9wavefront6targetE1EEEvT1_, .Lfunc_end151-_ZN7rocprim17ROCPRIM_400000_NS6detail17trampoline_kernelINS0_14default_configENS1_20scan_config_selectorIfEEZZNS1_9scan_implILNS1_25lookback_scan_determinismE0ELb0ELb0ES3_PKfPffZZZN2at6native31launch_logcumsumexp_cuda_kernelERKNSB_10TensorBaseESF_lENKUlvE_clEvENKUlvE0_clEvEUlffE_fEEDaPvRmT3_T4_T5_mT6_P12ihipStream_tbENKUlT_T0_E_clISt17integral_constantIbLb1EESV_IbLb0EEEEDaSR_SS_EUlSR_E0_NS1_11comp_targetILNS1_3genE8ELNS1_11target_archE1030ELNS1_3gpuE2ELNS1_3repE0EEENS1_30default_config_static_selectorELNS0_4arch9wavefront6targetE1EEEvT1_
                                        ; -- End function
	.set _ZN7rocprim17ROCPRIM_400000_NS6detail17trampoline_kernelINS0_14default_configENS1_20scan_config_selectorIfEEZZNS1_9scan_implILNS1_25lookback_scan_determinismE0ELb0ELb0ES3_PKfPffZZZN2at6native31launch_logcumsumexp_cuda_kernelERKNSB_10TensorBaseESF_lENKUlvE_clEvENKUlvE0_clEvEUlffE_fEEDaPvRmT3_T4_T5_mT6_P12ihipStream_tbENKUlT_T0_E_clISt17integral_constantIbLb1EESV_IbLb0EEEEDaSR_SS_EUlSR_E0_NS1_11comp_targetILNS1_3genE8ELNS1_11target_archE1030ELNS1_3gpuE2ELNS1_3repE0EEENS1_30default_config_static_selectorELNS0_4arch9wavefront6targetE1EEEvT1_.num_vgpr, 0
	.set _ZN7rocprim17ROCPRIM_400000_NS6detail17trampoline_kernelINS0_14default_configENS1_20scan_config_selectorIfEEZZNS1_9scan_implILNS1_25lookback_scan_determinismE0ELb0ELb0ES3_PKfPffZZZN2at6native31launch_logcumsumexp_cuda_kernelERKNSB_10TensorBaseESF_lENKUlvE_clEvENKUlvE0_clEvEUlffE_fEEDaPvRmT3_T4_T5_mT6_P12ihipStream_tbENKUlT_T0_E_clISt17integral_constantIbLb1EESV_IbLb0EEEEDaSR_SS_EUlSR_E0_NS1_11comp_targetILNS1_3genE8ELNS1_11target_archE1030ELNS1_3gpuE2ELNS1_3repE0EEENS1_30default_config_static_selectorELNS0_4arch9wavefront6targetE1EEEvT1_.num_agpr, 0
	.set _ZN7rocprim17ROCPRIM_400000_NS6detail17trampoline_kernelINS0_14default_configENS1_20scan_config_selectorIfEEZZNS1_9scan_implILNS1_25lookback_scan_determinismE0ELb0ELb0ES3_PKfPffZZZN2at6native31launch_logcumsumexp_cuda_kernelERKNSB_10TensorBaseESF_lENKUlvE_clEvENKUlvE0_clEvEUlffE_fEEDaPvRmT3_T4_T5_mT6_P12ihipStream_tbENKUlT_T0_E_clISt17integral_constantIbLb1EESV_IbLb0EEEEDaSR_SS_EUlSR_E0_NS1_11comp_targetILNS1_3genE8ELNS1_11target_archE1030ELNS1_3gpuE2ELNS1_3repE0EEENS1_30default_config_static_selectorELNS0_4arch9wavefront6targetE1EEEvT1_.numbered_sgpr, 0
	.set _ZN7rocprim17ROCPRIM_400000_NS6detail17trampoline_kernelINS0_14default_configENS1_20scan_config_selectorIfEEZZNS1_9scan_implILNS1_25lookback_scan_determinismE0ELb0ELb0ES3_PKfPffZZZN2at6native31launch_logcumsumexp_cuda_kernelERKNSB_10TensorBaseESF_lENKUlvE_clEvENKUlvE0_clEvEUlffE_fEEDaPvRmT3_T4_T5_mT6_P12ihipStream_tbENKUlT_T0_E_clISt17integral_constantIbLb1EESV_IbLb0EEEEDaSR_SS_EUlSR_E0_NS1_11comp_targetILNS1_3genE8ELNS1_11target_archE1030ELNS1_3gpuE2ELNS1_3repE0EEENS1_30default_config_static_selectorELNS0_4arch9wavefront6targetE1EEEvT1_.num_named_barrier, 0
	.set _ZN7rocprim17ROCPRIM_400000_NS6detail17trampoline_kernelINS0_14default_configENS1_20scan_config_selectorIfEEZZNS1_9scan_implILNS1_25lookback_scan_determinismE0ELb0ELb0ES3_PKfPffZZZN2at6native31launch_logcumsumexp_cuda_kernelERKNSB_10TensorBaseESF_lENKUlvE_clEvENKUlvE0_clEvEUlffE_fEEDaPvRmT3_T4_T5_mT6_P12ihipStream_tbENKUlT_T0_E_clISt17integral_constantIbLb1EESV_IbLb0EEEEDaSR_SS_EUlSR_E0_NS1_11comp_targetILNS1_3genE8ELNS1_11target_archE1030ELNS1_3gpuE2ELNS1_3repE0EEENS1_30default_config_static_selectorELNS0_4arch9wavefront6targetE1EEEvT1_.private_seg_size, 0
	.set _ZN7rocprim17ROCPRIM_400000_NS6detail17trampoline_kernelINS0_14default_configENS1_20scan_config_selectorIfEEZZNS1_9scan_implILNS1_25lookback_scan_determinismE0ELb0ELb0ES3_PKfPffZZZN2at6native31launch_logcumsumexp_cuda_kernelERKNSB_10TensorBaseESF_lENKUlvE_clEvENKUlvE0_clEvEUlffE_fEEDaPvRmT3_T4_T5_mT6_P12ihipStream_tbENKUlT_T0_E_clISt17integral_constantIbLb1EESV_IbLb0EEEEDaSR_SS_EUlSR_E0_NS1_11comp_targetILNS1_3genE8ELNS1_11target_archE1030ELNS1_3gpuE2ELNS1_3repE0EEENS1_30default_config_static_selectorELNS0_4arch9wavefront6targetE1EEEvT1_.uses_vcc, 0
	.set _ZN7rocprim17ROCPRIM_400000_NS6detail17trampoline_kernelINS0_14default_configENS1_20scan_config_selectorIfEEZZNS1_9scan_implILNS1_25lookback_scan_determinismE0ELb0ELb0ES3_PKfPffZZZN2at6native31launch_logcumsumexp_cuda_kernelERKNSB_10TensorBaseESF_lENKUlvE_clEvENKUlvE0_clEvEUlffE_fEEDaPvRmT3_T4_T5_mT6_P12ihipStream_tbENKUlT_T0_E_clISt17integral_constantIbLb1EESV_IbLb0EEEEDaSR_SS_EUlSR_E0_NS1_11comp_targetILNS1_3genE8ELNS1_11target_archE1030ELNS1_3gpuE2ELNS1_3repE0EEENS1_30default_config_static_selectorELNS0_4arch9wavefront6targetE1EEEvT1_.uses_flat_scratch, 0
	.set _ZN7rocprim17ROCPRIM_400000_NS6detail17trampoline_kernelINS0_14default_configENS1_20scan_config_selectorIfEEZZNS1_9scan_implILNS1_25lookback_scan_determinismE0ELb0ELb0ES3_PKfPffZZZN2at6native31launch_logcumsumexp_cuda_kernelERKNSB_10TensorBaseESF_lENKUlvE_clEvENKUlvE0_clEvEUlffE_fEEDaPvRmT3_T4_T5_mT6_P12ihipStream_tbENKUlT_T0_E_clISt17integral_constantIbLb1EESV_IbLb0EEEEDaSR_SS_EUlSR_E0_NS1_11comp_targetILNS1_3genE8ELNS1_11target_archE1030ELNS1_3gpuE2ELNS1_3repE0EEENS1_30default_config_static_selectorELNS0_4arch9wavefront6targetE1EEEvT1_.has_dyn_sized_stack, 0
	.set _ZN7rocprim17ROCPRIM_400000_NS6detail17trampoline_kernelINS0_14default_configENS1_20scan_config_selectorIfEEZZNS1_9scan_implILNS1_25lookback_scan_determinismE0ELb0ELb0ES3_PKfPffZZZN2at6native31launch_logcumsumexp_cuda_kernelERKNSB_10TensorBaseESF_lENKUlvE_clEvENKUlvE0_clEvEUlffE_fEEDaPvRmT3_T4_T5_mT6_P12ihipStream_tbENKUlT_T0_E_clISt17integral_constantIbLb1EESV_IbLb0EEEEDaSR_SS_EUlSR_E0_NS1_11comp_targetILNS1_3genE8ELNS1_11target_archE1030ELNS1_3gpuE2ELNS1_3repE0EEENS1_30default_config_static_selectorELNS0_4arch9wavefront6targetE1EEEvT1_.has_recursion, 0
	.set _ZN7rocprim17ROCPRIM_400000_NS6detail17trampoline_kernelINS0_14default_configENS1_20scan_config_selectorIfEEZZNS1_9scan_implILNS1_25lookback_scan_determinismE0ELb0ELb0ES3_PKfPffZZZN2at6native31launch_logcumsumexp_cuda_kernelERKNSB_10TensorBaseESF_lENKUlvE_clEvENKUlvE0_clEvEUlffE_fEEDaPvRmT3_T4_T5_mT6_P12ihipStream_tbENKUlT_T0_E_clISt17integral_constantIbLb1EESV_IbLb0EEEEDaSR_SS_EUlSR_E0_NS1_11comp_targetILNS1_3genE8ELNS1_11target_archE1030ELNS1_3gpuE2ELNS1_3repE0EEENS1_30default_config_static_selectorELNS0_4arch9wavefront6targetE1EEEvT1_.has_indirect_call, 0
	.section	.AMDGPU.csdata,"",@progbits
; Kernel info:
; codeLenInByte = 0
; TotalNumSgprs: 4
; NumVgprs: 0
; ScratchSize: 0
; MemoryBound: 0
; FloatMode: 240
; IeeeMode: 1
; LDSByteSize: 0 bytes/workgroup (compile time only)
; SGPRBlocks: 0
; VGPRBlocks: 0
; NumSGPRsForWavesPerEU: 4
; NumVGPRsForWavesPerEU: 1
; Occupancy: 10
; WaveLimiterHint : 0
; COMPUTE_PGM_RSRC2:SCRATCH_EN: 0
; COMPUTE_PGM_RSRC2:USER_SGPR: 6
; COMPUTE_PGM_RSRC2:TRAP_HANDLER: 0
; COMPUTE_PGM_RSRC2:TGID_X_EN: 1
; COMPUTE_PGM_RSRC2:TGID_Y_EN: 0
; COMPUTE_PGM_RSRC2:TGID_Z_EN: 0
; COMPUTE_PGM_RSRC2:TIDIG_COMP_CNT: 0
	.section	.text._ZN7rocprim17ROCPRIM_400000_NS6detail31init_lookback_scan_state_kernelINS1_19lookback_scan_stateIfLb0ELb1EEENS1_16block_id_wrapperIjLb1EEEEEvT_jT0_jPNS7_10value_typeE,"axG",@progbits,_ZN7rocprim17ROCPRIM_400000_NS6detail31init_lookback_scan_state_kernelINS1_19lookback_scan_stateIfLb0ELb1EEENS1_16block_id_wrapperIjLb1EEEEEvT_jT0_jPNS7_10value_typeE,comdat
	.protected	_ZN7rocprim17ROCPRIM_400000_NS6detail31init_lookback_scan_state_kernelINS1_19lookback_scan_stateIfLb0ELb1EEENS1_16block_id_wrapperIjLb1EEEEEvT_jT0_jPNS7_10value_typeE ; -- Begin function _ZN7rocprim17ROCPRIM_400000_NS6detail31init_lookback_scan_state_kernelINS1_19lookback_scan_stateIfLb0ELb1EEENS1_16block_id_wrapperIjLb1EEEEEvT_jT0_jPNS7_10value_typeE
	.globl	_ZN7rocprim17ROCPRIM_400000_NS6detail31init_lookback_scan_state_kernelINS1_19lookback_scan_stateIfLb0ELb1EEENS1_16block_id_wrapperIjLb1EEEEEvT_jT0_jPNS7_10value_typeE
	.p2align	8
	.type	_ZN7rocprim17ROCPRIM_400000_NS6detail31init_lookback_scan_state_kernelINS1_19lookback_scan_stateIfLb0ELb1EEENS1_16block_id_wrapperIjLb1EEEEEvT_jT0_jPNS7_10value_typeE,@function
_ZN7rocprim17ROCPRIM_400000_NS6detail31init_lookback_scan_state_kernelINS1_19lookback_scan_stateIfLb0ELb1EEENS1_16block_id_wrapperIjLb1EEEEEvT_jT0_jPNS7_10value_typeE: ; @_ZN7rocprim17ROCPRIM_400000_NS6detail31init_lookback_scan_state_kernelINS1_19lookback_scan_stateIfLb0ELb1EEENS1_16block_id_wrapperIjLb1EEEEEvT_jT0_jPNS7_10value_typeE
; %bb.0:
	s_load_dword s7, s[4:5], 0x34
	s_load_dwordx2 s[2:3], s[4:5], 0x20
	s_load_dwordx2 s[0:1], s[4:5], 0x0
	s_load_dword s10, s[4:5], 0x8
	s_waitcnt lgkmcnt(0)
	s_and_b32 s7, s7, 0xffff
	s_mul_i32 s6, s6, s7
	s_cmp_eq_u64 s[2:3], 0
	v_add_u32_e32 v0, s6, v0
	s_cbranch_scc1 .LBB152_6
; %bb.1:
	s_load_dword s8, s[4:5], 0x18
	s_mov_b32 s9, 0
	s_waitcnt lgkmcnt(0)
	s_cmp_lt_u32 s8, s10
	s_cselect_b32 s6, s8, 0
	v_cmp_eq_u32_e32 vcc, s6, v0
	s_and_saveexec_b64 s[6:7], vcc
	s_cbranch_execz .LBB152_5
; %bb.2:
	s_add_i32 s8, s8, 64
	s_lshl_b64 s[8:9], s[8:9], 3
	s_add_u32 s8, s0, s8
	s_addc_u32 s9, s1, s9
	v_mov_b32_e32 v3, 0
	global_load_dwordx2 v[1:2], v3, s[8:9] glc
	s_waitcnt vmcnt(0)
	v_and_b32_e32 v4, 0xff, v2
	v_cmp_ne_u64_e32 vcc, 0, v[3:4]
	s_cbranch_vccnz .LBB152_4
.LBB152_3:                              ; =>This Inner Loop Header: Depth=1
	global_load_dwordx2 v[1:2], v3, s[8:9] glc
	s_waitcnt vmcnt(0)
	v_and_b32_e32 v4, 0xff, v2
	v_cmp_eq_u64_e32 vcc, 0, v[3:4]
	s_cbranch_vccnz .LBB152_3
.LBB152_4:
	v_mov_b32_e32 v2, 0
	global_store_dword v2, v1, s[2:3]
.LBB152_5:
	s_or_b64 exec, exec, s[6:7]
.LBB152_6:
	v_cmp_eq_u32_e32 vcc, 0, v0
	s_and_saveexec_b64 s[2:3], vcc
	s_cbranch_execnz .LBB152_10
; %bb.7:
	s_or_b64 exec, exec, s[2:3]
	v_cmp_gt_u32_e32 vcc, s10, v0
	s_and_saveexec_b64 s[2:3], vcc
	s_cbranch_execnz .LBB152_11
.LBB152_8:
	s_or_b64 exec, exec, s[2:3]
	v_cmp_gt_u32_e32 vcc, 64, v0
	s_and_saveexec_b64 s[2:3], vcc
	s_cbranch_execnz .LBB152_12
.LBB152_9:
	s_endpgm
.LBB152_10:
	s_load_dwordx2 s[4:5], s[4:5], 0x10
	v_mov_b32_e32 v1, 0
	s_waitcnt lgkmcnt(0)
	global_store_dword v1, v1, s[4:5]
	s_or_b64 exec, exec, s[2:3]
	v_cmp_gt_u32_e32 vcc, s10, v0
	s_and_saveexec_b64 s[2:3], vcc
	s_cbranch_execz .LBB152_8
.LBB152_11:
	v_add_u32_e32 v1, 64, v0
	v_mov_b32_e32 v2, 0
	v_lshlrev_b64 v[3:4], 3, v[1:2]
	v_mov_b32_e32 v1, s1
	v_add_co_u32_e32 v3, vcc, s0, v3
	v_addc_co_u32_e32 v4, vcc, v1, v4, vcc
	v_mov_b32_e32 v1, v2
	global_store_dwordx2 v[3:4], v[1:2], off
	s_or_b64 exec, exec, s[2:3]
	v_cmp_gt_u32_e32 vcc, 64, v0
	s_and_saveexec_b64 s[2:3], vcc
	s_cbranch_execz .LBB152_9
.LBB152_12:
	v_mov_b32_e32 v1, 0
	v_lshlrev_b64 v[2:3], 3, v[0:1]
	v_mov_b32_e32 v0, s1
	v_add_co_u32_e32 v2, vcc, s0, v2
	v_addc_co_u32_e32 v3, vcc, v0, v3, vcc
	v_mov_b32_e32 v5, 0xff
	v_mov_b32_e32 v4, v1
	global_store_dwordx2 v[2:3], v[4:5], off
	s_endpgm
	.section	.rodata,"a",@progbits
	.p2align	6, 0x0
	.amdhsa_kernel _ZN7rocprim17ROCPRIM_400000_NS6detail31init_lookback_scan_state_kernelINS1_19lookback_scan_stateIfLb0ELb1EEENS1_16block_id_wrapperIjLb1EEEEEvT_jT0_jPNS7_10value_typeE
		.amdhsa_group_segment_fixed_size 0
		.amdhsa_private_segment_fixed_size 0
		.amdhsa_kernarg_size 296
		.amdhsa_user_sgpr_count 6
		.amdhsa_user_sgpr_private_segment_buffer 1
		.amdhsa_user_sgpr_dispatch_ptr 0
		.amdhsa_user_sgpr_queue_ptr 0
		.amdhsa_user_sgpr_kernarg_segment_ptr 1
		.amdhsa_user_sgpr_dispatch_id 0
		.amdhsa_user_sgpr_flat_scratch_init 0
		.amdhsa_user_sgpr_private_segment_size 0
		.amdhsa_uses_dynamic_stack 0
		.amdhsa_system_sgpr_private_segment_wavefront_offset 0
		.amdhsa_system_sgpr_workgroup_id_x 1
		.amdhsa_system_sgpr_workgroup_id_y 0
		.amdhsa_system_sgpr_workgroup_id_z 0
		.amdhsa_system_sgpr_workgroup_info 0
		.amdhsa_system_vgpr_workitem_id 0
		.amdhsa_next_free_vgpr 6
		.amdhsa_next_free_sgpr 11
		.amdhsa_reserve_vcc 1
		.amdhsa_reserve_flat_scratch 0
		.amdhsa_float_round_mode_32 0
		.amdhsa_float_round_mode_16_64 0
		.amdhsa_float_denorm_mode_32 3
		.amdhsa_float_denorm_mode_16_64 3
		.amdhsa_dx10_clamp 1
		.amdhsa_ieee_mode 1
		.amdhsa_fp16_overflow 0
		.amdhsa_exception_fp_ieee_invalid_op 0
		.amdhsa_exception_fp_denorm_src 0
		.amdhsa_exception_fp_ieee_div_zero 0
		.amdhsa_exception_fp_ieee_overflow 0
		.amdhsa_exception_fp_ieee_underflow 0
		.amdhsa_exception_fp_ieee_inexact 0
		.amdhsa_exception_int_div_zero 0
	.end_amdhsa_kernel
	.section	.text._ZN7rocprim17ROCPRIM_400000_NS6detail31init_lookback_scan_state_kernelINS1_19lookback_scan_stateIfLb0ELb1EEENS1_16block_id_wrapperIjLb1EEEEEvT_jT0_jPNS7_10value_typeE,"axG",@progbits,_ZN7rocprim17ROCPRIM_400000_NS6detail31init_lookback_scan_state_kernelINS1_19lookback_scan_stateIfLb0ELb1EEENS1_16block_id_wrapperIjLb1EEEEEvT_jT0_jPNS7_10value_typeE,comdat
.Lfunc_end152:
	.size	_ZN7rocprim17ROCPRIM_400000_NS6detail31init_lookback_scan_state_kernelINS1_19lookback_scan_stateIfLb0ELb1EEENS1_16block_id_wrapperIjLb1EEEEEvT_jT0_jPNS7_10value_typeE, .Lfunc_end152-_ZN7rocprim17ROCPRIM_400000_NS6detail31init_lookback_scan_state_kernelINS1_19lookback_scan_stateIfLb0ELb1EEENS1_16block_id_wrapperIjLb1EEEEEvT_jT0_jPNS7_10value_typeE
                                        ; -- End function
	.set _ZN7rocprim17ROCPRIM_400000_NS6detail31init_lookback_scan_state_kernelINS1_19lookback_scan_stateIfLb0ELb1EEENS1_16block_id_wrapperIjLb1EEEEEvT_jT0_jPNS7_10value_typeE.num_vgpr, 6
	.set _ZN7rocprim17ROCPRIM_400000_NS6detail31init_lookback_scan_state_kernelINS1_19lookback_scan_stateIfLb0ELb1EEENS1_16block_id_wrapperIjLb1EEEEEvT_jT0_jPNS7_10value_typeE.num_agpr, 0
	.set _ZN7rocprim17ROCPRIM_400000_NS6detail31init_lookback_scan_state_kernelINS1_19lookback_scan_stateIfLb0ELb1EEENS1_16block_id_wrapperIjLb1EEEEEvT_jT0_jPNS7_10value_typeE.numbered_sgpr, 11
	.set _ZN7rocprim17ROCPRIM_400000_NS6detail31init_lookback_scan_state_kernelINS1_19lookback_scan_stateIfLb0ELb1EEENS1_16block_id_wrapperIjLb1EEEEEvT_jT0_jPNS7_10value_typeE.num_named_barrier, 0
	.set _ZN7rocprim17ROCPRIM_400000_NS6detail31init_lookback_scan_state_kernelINS1_19lookback_scan_stateIfLb0ELb1EEENS1_16block_id_wrapperIjLb1EEEEEvT_jT0_jPNS7_10value_typeE.private_seg_size, 0
	.set _ZN7rocprim17ROCPRIM_400000_NS6detail31init_lookback_scan_state_kernelINS1_19lookback_scan_stateIfLb0ELb1EEENS1_16block_id_wrapperIjLb1EEEEEvT_jT0_jPNS7_10value_typeE.uses_vcc, 1
	.set _ZN7rocprim17ROCPRIM_400000_NS6detail31init_lookback_scan_state_kernelINS1_19lookback_scan_stateIfLb0ELb1EEENS1_16block_id_wrapperIjLb1EEEEEvT_jT0_jPNS7_10value_typeE.uses_flat_scratch, 0
	.set _ZN7rocprim17ROCPRIM_400000_NS6detail31init_lookback_scan_state_kernelINS1_19lookback_scan_stateIfLb0ELb1EEENS1_16block_id_wrapperIjLb1EEEEEvT_jT0_jPNS7_10value_typeE.has_dyn_sized_stack, 0
	.set _ZN7rocprim17ROCPRIM_400000_NS6detail31init_lookback_scan_state_kernelINS1_19lookback_scan_stateIfLb0ELb1EEENS1_16block_id_wrapperIjLb1EEEEEvT_jT0_jPNS7_10value_typeE.has_recursion, 0
	.set _ZN7rocprim17ROCPRIM_400000_NS6detail31init_lookback_scan_state_kernelINS1_19lookback_scan_stateIfLb0ELb1EEENS1_16block_id_wrapperIjLb1EEEEEvT_jT0_jPNS7_10value_typeE.has_indirect_call, 0
	.section	.AMDGPU.csdata,"",@progbits
; Kernel info:
; codeLenInByte = 380
; TotalNumSgprs: 15
; NumVgprs: 6
; ScratchSize: 0
; MemoryBound: 0
; FloatMode: 240
; IeeeMode: 1
; LDSByteSize: 0 bytes/workgroup (compile time only)
; SGPRBlocks: 1
; VGPRBlocks: 1
; NumSGPRsForWavesPerEU: 15
; NumVGPRsForWavesPerEU: 6
; Occupancy: 10
; WaveLimiterHint : 0
; COMPUTE_PGM_RSRC2:SCRATCH_EN: 0
; COMPUTE_PGM_RSRC2:USER_SGPR: 6
; COMPUTE_PGM_RSRC2:TRAP_HANDLER: 0
; COMPUTE_PGM_RSRC2:TGID_X_EN: 1
; COMPUTE_PGM_RSRC2:TGID_Y_EN: 0
; COMPUTE_PGM_RSRC2:TGID_Z_EN: 0
; COMPUTE_PGM_RSRC2:TIDIG_COMP_CNT: 0
	.section	.text._ZN7rocprim17ROCPRIM_400000_NS6detail17trampoline_kernelINS0_14default_configENS1_20scan_config_selectorIfEEZZNS1_9scan_implILNS1_25lookback_scan_determinismE0ELb0ELb0ES3_PKfPffZZZN2at6native31launch_logcumsumexp_cuda_kernelERKNSB_10TensorBaseESF_lENKUlvE_clEvENKUlvE0_clEvEUlffE_fEEDaPvRmT3_T4_T5_mT6_P12ihipStream_tbENKUlT_T0_E_clISt17integral_constantIbLb0EESV_IbLb1EEEEDaSR_SS_EUlSR_E_NS1_11comp_targetILNS1_3genE0ELNS1_11target_archE4294967295ELNS1_3gpuE0ELNS1_3repE0EEENS1_30default_config_static_selectorELNS0_4arch9wavefront6targetE1EEEvT1_,"axG",@progbits,_ZN7rocprim17ROCPRIM_400000_NS6detail17trampoline_kernelINS0_14default_configENS1_20scan_config_selectorIfEEZZNS1_9scan_implILNS1_25lookback_scan_determinismE0ELb0ELb0ES3_PKfPffZZZN2at6native31launch_logcumsumexp_cuda_kernelERKNSB_10TensorBaseESF_lENKUlvE_clEvENKUlvE0_clEvEUlffE_fEEDaPvRmT3_T4_T5_mT6_P12ihipStream_tbENKUlT_T0_E_clISt17integral_constantIbLb0EESV_IbLb1EEEEDaSR_SS_EUlSR_E_NS1_11comp_targetILNS1_3genE0ELNS1_11target_archE4294967295ELNS1_3gpuE0ELNS1_3repE0EEENS1_30default_config_static_selectorELNS0_4arch9wavefront6targetE1EEEvT1_,comdat
	.globl	_ZN7rocprim17ROCPRIM_400000_NS6detail17trampoline_kernelINS0_14default_configENS1_20scan_config_selectorIfEEZZNS1_9scan_implILNS1_25lookback_scan_determinismE0ELb0ELb0ES3_PKfPffZZZN2at6native31launch_logcumsumexp_cuda_kernelERKNSB_10TensorBaseESF_lENKUlvE_clEvENKUlvE0_clEvEUlffE_fEEDaPvRmT3_T4_T5_mT6_P12ihipStream_tbENKUlT_T0_E_clISt17integral_constantIbLb0EESV_IbLb1EEEEDaSR_SS_EUlSR_E_NS1_11comp_targetILNS1_3genE0ELNS1_11target_archE4294967295ELNS1_3gpuE0ELNS1_3repE0EEENS1_30default_config_static_selectorELNS0_4arch9wavefront6targetE1EEEvT1_ ; -- Begin function _ZN7rocprim17ROCPRIM_400000_NS6detail17trampoline_kernelINS0_14default_configENS1_20scan_config_selectorIfEEZZNS1_9scan_implILNS1_25lookback_scan_determinismE0ELb0ELb0ES3_PKfPffZZZN2at6native31launch_logcumsumexp_cuda_kernelERKNSB_10TensorBaseESF_lENKUlvE_clEvENKUlvE0_clEvEUlffE_fEEDaPvRmT3_T4_T5_mT6_P12ihipStream_tbENKUlT_T0_E_clISt17integral_constantIbLb0EESV_IbLb1EEEEDaSR_SS_EUlSR_E_NS1_11comp_targetILNS1_3genE0ELNS1_11target_archE4294967295ELNS1_3gpuE0ELNS1_3repE0EEENS1_30default_config_static_selectorELNS0_4arch9wavefront6targetE1EEEvT1_
	.p2align	8
	.type	_ZN7rocprim17ROCPRIM_400000_NS6detail17trampoline_kernelINS0_14default_configENS1_20scan_config_selectorIfEEZZNS1_9scan_implILNS1_25lookback_scan_determinismE0ELb0ELb0ES3_PKfPffZZZN2at6native31launch_logcumsumexp_cuda_kernelERKNSB_10TensorBaseESF_lENKUlvE_clEvENKUlvE0_clEvEUlffE_fEEDaPvRmT3_T4_T5_mT6_P12ihipStream_tbENKUlT_T0_E_clISt17integral_constantIbLb0EESV_IbLb1EEEEDaSR_SS_EUlSR_E_NS1_11comp_targetILNS1_3genE0ELNS1_11target_archE4294967295ELNS1_3gpuE0ELNS1_3repE0EEENS1_30default_config_static_selectorELNS0_4arch9wavefront6targetE1EEEvT1_,@function
_ZN7rocprim17ROCPRIM_400000_NS6detail17trampoline_kernelINS0_14default_configENS1_20scan_config_selectorIfEEZZNS1_9scan_implILNS1_25lookback_scan_determinismE0ELb0ELb0ES3_PKfPffZZZN2at6native31launch_logcumsumexp_cuda_kernelERKNSB_10TensorBaseESF_lENKUlvE_clEvENKUlvE0_clEvEUlffE_fEEDaPvRmT3_T4_T5_mT6_P12ihipStream_tbENKUlT_T0_E_clISt17integral_constantIbLb0EESV_IbLb1EEEEDaSR_SS_EUlSR_E_NS1_11comp_targetILNS1_3genE0ELNS1_11target_archE4294967295ELNS1_3gpuE0ELNS1_3repE0EEENS1_30default_config_static_selectorELNS0_4arch9wavefront6targetE1EEEvT1_: ; @_ZN7rocprim17ROCPRIM_400000_NS6detail17trampoline_kernelINS0_14default_configENS1_20scan_config_selectorIfEEZZNS1_9scan_implILNS1_25lookback_scan_determinismE0ELb0ELb0ES3_PKfPffZZZN2at6native31launch_logcumsumexp_cuda_kernelERKNSB_10TensorBaseESF_lENKUlvE_clEvENKUlvE0_clEvEUlffE_fEEDaPvRmT3_T4_T5_mT6_P12ihipStream_tbENKUlT_T0_E_clISt17integral_constantIbLb0EESV_IbLb1EEEEDaSR_SS_EUlSR_E_NS1_11comp_targetILNS1_3genE0ELNS1_11target_archE4294967295ELNS1_3gpuE0ELNS1_3repE0EEENS1_30default_config_static_selectorELNS0_4arch9wavefront6targetE1EEEvT1_
; %bb.0:
	.section	.rodata,"a",@progbits
	.p2align	6, 0x0
	.amdhsa_kernel _ZN7rocprim17ROCPRIM_400000_NS6detail17trampoline_kernelINS0_14default_configENS1_20scan_config_selectorIfEEZZNS1_9scan_implILNS1_25lookback_scan_determinismE0ELb0ELb0ES3_PKfPffZZZN2at6native31launch_logcumsumexp_cuda_kernelERKNSB_10TensorBaseESF_lENKUlvE_clEvENKUlvE0_clEvEUlffE_fEEDaPvRmT3_T4_T5_mT6_P12ihipStream_tbENKUlT_T0_E_clISt17integral_constantIbLb0EESV_IbLb1EEEEDaSR_SS_EUlSR_E_NS1_11comp_targetILNS1_3genE0ELNS1_11target_archE4294967295ELNS1_3gpuE0ELNS1_3repE0EEENS1_30default_config_static_selectorELNS0_4arch9wavefront6targetE1EEEvT1_
		.amdhsa_group_segment_fixed_size 0
		.amdhsa_private_segment_fixed_size 0
		.amdhsa_kernarg_size 96
		.amdhsa_user_sgpr_count 6
		.amdhsa_user_sgpr_private_segment_buffer 1
		.amdhsa_user_sgpr_dispatch_ptr 0
		.amdhsa_user_sgpr_queue_ptr 0
		.amdhsa_user_sgpr_kernarg_segment_ptr 1
		.amdhsa_user_sgpr_dispatch_id 0
		.amdhsa_user_sgpr_flat_scratch_init 0
		.amdhsa_user_sgpr_private_segment_size 0
		.amdhsa_uses_dynamic_stack 0
		.amdhsa_system_sgpr_private_segment_wavefront_offset 0
		.amdhsa_system_sgpr_workgroup_id_x 1
		.amdhsa_system_sgpr_workgroup_id_y 0
		.amdhsa_system_sgpr_workgroup_id_z 0
		.amdhsa_system_sgpr_workgroup_info 0
		.amdhsa_system_vgpr_workitem_id 0
		.amdhsa_next_free_vgpr 1
		.amdhsa_next_free_sgpr 0
		.amdhsa_reserve_vcc 0
		.amdhsa_reserve_flat_scratch 0
		.amdhsa_float_round_mode_32 0
		.amdhsa_float_round_mode_16_64 0
		.amdhsa_float_denorm_mode_32 3
		.amdhsa_float_denorm_mode_16_64 3
		.amdhsa_dx10_clamp 1
		.amdhsa_ieee_mode 1
		.amdhsa_fp16_overflow 0
		.amdhsa_exception_fp_ieee_invalid_op 0
		.amdhsa_exception_fp_denorm_src 0
		.amdhsa_exception_fp_ieee_div_zero 0
		.amdhsa_exception_fp_ieee_overflow 0
		.amdhsa_exception_fp_ieee_underflow 0
		.amdhsa_exception_fp_ieee_inexact 0
		.amdhsa_exception_int_div_zero 0
	.end_amdhsa_kernel
	.section	.text._ZN7rocprim17ROCPRIM_400000_NS6detail17trampoline_kernelINS0_14default_configENS1_20scan_config_selectorIfEEZZNS1_9scan_implILNS1_25lookback_scan_determinismE0ELb0ELb0ES3_PKfPffZZZN2at6native31launch_logcumsumexp_cuda_kernelERKNSB_10TensorBaseESF_lENKUlvE_clEvENKUlvE0_clEvEUlffE_fEEDaPvRmT3_T4_T5_mT6_P12ihipStream_tbENKUlT_T0_E_clISt17integral_constantIbLb0EESV_IbLb1EEEEDaSR_SS_EUlSR_E_NS1_11comp_targetILNS1_3genE0ELNS1_11target_archE4294967295ELNS1_3gpuE0ELNS1_3repE0EEENS1_30default_config_static_selectorELNS0_4arch9wavefront6targetE1EEEvT1_,"axG",@progbits,_ZN7rocprim17ROCPRIM_400000_NS6detail17trampoline_kernelINS0_14default_configENS1_20scan_config_selectorIfEEZZNS1_9scan_implILNS1_25lookback_scan_determinismE0ELb0ELb0ES3_PKfPffZZZN2at6native31launch_logcumsumexp_cuda_kernelERKNSB_10TensorBaseESF_lENKUlvE_clEvENKUlvE0_clEvEUlffE_fEEDaPvRmT3_T4_T5_mT6_P12ihipStream_tbENKUlT_T0_E_clISt17integral_constantIbLb0EESV_IbLb1EEEEDaSR_SS_EUlSR_E_NS1_11comp_targetILNS1_3genE0ELNS1_11target_archE4294967295ELNS1_3gpuE0ELNS1_3repE0EEENS1_30default_config_static_selectorELNS0_4arch9wavefront6targetE1EEEvT1_,comdat
.Lfunc_end153:
	.size	_ZN7rocprim17ROCPRIM_400000_NS6detail17trampoline_kernelINS0_14default_configENS1_20scan_config_selectorIfEEZZNS1_9scan_implILNS1_25lookback_scan_determinismE0ELb0ELb0ES3_PKfPffZZZN2at6native31launch_logcumsumexp_cuda_kernelERKNSB_10TensorBaseESF_lENKUlvE_clEvENKUlvE0_clEvEUlffE_fEEDaPvRmT3_T4_T5_mT6_P12ihipStream_tbENKUlT_T0_E_clISt17integral_constantIbLb0EESV_IbLb1EEEEDaSR_SS_EUlSR_E_NS1_11comp_targetILNS1_3genE0ELNS1_11target_archE4294967295ELNS1_3gpuE0ELNS1_3repE0EEENS1_30default_config_static_selectorELNS0_4arch9wavefront6targetE1EEEvT1_, .Lfunc_end153-_ZN7rocprim17ROCPRIM_400000_NS6detail17trampoline_kernelINS0_14default_configENS1_20scan_config_selectorIfEEZZNS1_9scan_implILNS1_25lookback_scan_determinismE0ELb0ELb0ES3_PKfPffZZZN2at6native31launch_logcumsumexp_cuda_kernelERKNSB_10TensorBaseESF_lENKUlvE_clEvENKUlvE0_clEvEUlffE_fEEDaPvRmT3_T4_T5_mT6_P12ihipStream_tbENKUlT_T0_E_clISt17integral_constantIbLb0EESV_IbLb1EEEEDaSR_SS_EUlSR_E_NS1_11comp_targetILNS1_3genE0ELNS1_11target_archE4294967295ELNS1_3gpuE0ELNS1_3repE0EEENS1_30default_config_static_selectorELNS0_4arch9wavefront6targetE1EEEvT1_
                                        ; -- End function
	.set _ZN7rocprim17ROCPRIM_400000_NS6detail17trampoline_kernelINS0_14default_configENS1_20scan_config_selectorIfEEZZNS1_9scan_implILNS1_25lookback_scan_determinismE0ELb0ELb0ES3_PKfPffZZZN2at6native31launch_logcumsumexp_cuda_kernelERKNSB_10TensorBaseESF_lENKUlvE_clEvENKUlvE0_clEvEUlffE_fEEDaPvRmT3_T4_T5_mT6_P12ihipStream_tbENKUlT_T0_E_clISt17integral_constantIbLb0EESV_IbLb1EEEEDaSR_SS_EUlSR_E_NS1_11comp_targetILNS1_3genE0ELNS1_11target_archE4294967295ELNS1_3gpuE0ELNS1_3repE0EEENS1_30default_config_static_selectorELNS0_4arch9wavefront6targetE1EEEvT1_.num_vgpr, 0
	.set _ZN7rocprim17ROCPRIM_400000_NS6detail17trampoline_kernelINS0_14default_configENS1_20scan_config_selectorIfEEZZNS1_9scan_implILNS1_25lookback_scan_determinismE0ELb0ELb0ES3_PKfPffZZZN2at6native31launch_logcumsumexp_cuda_kernelERKNSB_10TensorBaseESF_lENKUlvE_clEvENKUlvE0_clEvEUlffE_fEEDaPvRmT3_T4_T5_mT6_P12ihipStream_tbENKUlT_T0_E_clISt17integral_constantIbLb0EESV_IbLb1EEEEDaSR_SS_EUlSR_E_NS1_11comp_targetILNS1_3genE0ELNS1_11target_archE4294967295ELNS1_3gpuE0ELNS1_3repE0EEENS1_30default_config_static_selectorELNS0_4arch9wavefront6targetE1EEEvT1_.num_agpr, 0
	.set _ZN7rocprim17ROCPRIM_400000_NS6detail17trampoline_kernelINS0_14default_configENS1_20scan_config_selectorIfEEZZNS1_9scan_implILNS1_25lookback_scan_determinismE0ELb0ELb0ES3_PKfPffZZZN2at6native31launch_logcumsumexp_cuda_kernelERKNSB_10TensorBaseESF_lENKUlvE_clEvENKUlvE0_clEvEUlffE_fEEDaPvRmT3_T4_T5_mT6_P12ihipStream_tbENKUlT_T0_E_clISt17integral_constantIbLb0EESV_IbLb1EEEEDaSR_SS_EUlSR_E_NS1_11comp_targetILNS1_3genE0ELNS1_11target_archE4294967295ELNS1_3gpuE0ELNS1_3repE0EEENS1_30default_config_static_selectorELNS0_4arch9wavefront6targetE1EEEvT1_.numbered_sgpr, 0
	.set _ZN7rocprim17ROCPRIM_400000_NS6detail17trampoline_kernelINS0_14default_configENS1_20scan_config_selectorIfEEZZNS1_9scan_implILNS1_25lookback_scan_determinismE0ELb0ELb0ES3_PKfPffZZZN2at6native31launch_logcumsumexp_cuda_kernelERKNSB_10TensorBaseESF_lENKUlvE_clEvENKUlvE0_clEvEUlffE_fEEDaPvRmT3_T4_T5_mT6_P12ihipStream_tbENKUlT_T0_E_clISt17integral_constantIbLb0EESV_IbLb1EEEEDaSR_SS_EUlSR_E_NS1_11comp_targetILNS1_3genE0ELNS1_11target_archE4294967295ELNS1_3gpuE0ELNS1_3repE0EEENS1_30default_config_static_selectorELNS0_4arch9wavefront6targetE1EEEvT1_.num_named_barrier, 0
	.set _ZN7rocprim17ROCPRIM_400000_NS6detail17trampoline_kernelINS0_14default_configENS1_20scan_config_selectorIfEEZZNS1_9scan_implILNS1_25lookback_scan_determinismE0ELb0ELb0ES3_PKfPffZZZN2at6native31launch_logcumsumexp_cuda_kernelERKNSB_10TensorBaseESF_lENKUlvE_clEvENKUlvE0_clEvEUlffE_fEEDaPvRmT3_T4_T5_mT6_P12ihipStream_tbENKUlT_T0_E_clISt17integral_constantIbLb0EESV_IbLb1EEEEDaSR_SS_EUlSR_E_NS1_11comp_targetILNS1_3genE0ELNS1_11target_archE4294967295ELNS1_3gpuE0ELNS1_3repE0EEENS1_30default_config_static_selectorELNS0_4arch9wavefront6targetE1EEEvT1_.private_seg_size, 0
	.set _ZN7rocprim17ROCPRIM_400000_NS6detail17trampoline_kernelINS0_14default_configENS1_20scan_config_selectorIfEEZZNS1_9scan_implILNS1_25lookback_scan_determinismE0ELb0ELb0ES3_PKfPffZZZN2at6native31launch_logcumsumexp_cuda_kernelERKNSB_10TensorBaseESF_lENKUlvE_clEvENKUlvE0_clEvEUlffE_fEEDaPvRmT3_T4_T5_mT6_P12ihipStream_tbENKUlT_T0_E_clISt17integral_constantIbLb0EESV_IbLb1EEEEDaSR_SS_EUlSR_E_NS1_11comp_targetILNS1_3genE0ELNS1_11target_archE4294967295ELNS1_3gpuE0ELNS1_3repE0EEENS1_30default_config_static_selectorELNS0_4arch9wavefront6targetE1EEEvT1_.uses_vcc, 0
	.set _ZN7rocprim17ROCPRIM_400000_NS6detail17trampoline_kernelINS0_14default_configENS1_20scan_config_selectorIfEEZZNS1_9scan_implILNS1_25lookback_scan_determinismE0ELb0ELb0ES3_PKfPffZZZN2at6native31launch_logcumsumexp_cuda_kernelERKNSB_10TensorBaseESF_lENKUlvE_clEvENKUlvE0_clEvEUlffE_fEEDaPvRmT3_T4_T5_mT6_P12ihipStream_tbENKUlT_T0_E_clISt17integral_constantIbLb0EESV_IbLb1EEEEDaSR_SS_EUlSR_E_NS1_11comp_targetILNS1_3genE0ELNS1_11target_archE4294967295ELNS1_3gpuE0ELNS1_3repE0EEENS1_30default_config_static_selectorELNS0_4arch9wavefront6targetE1EEEvT1_.uses_flat_scratch, 0
	.set _ZN7rocprim17ROCPRIM_400000_NS6detail17trampoline_kernelINS0_14default_configENS1_20scan_config_selectorIfEEZZNS1_9scan_implILNS1_25lookback_scan_determinismE0ELb0ELb0ES3_PKfPffZZZN2at6native31launch_logcumsumexp_cuda_kernelERKNSB_10TensorBaseESF_lENKUlvE_clEvENKUlvE0_clEvEUlffE_fEEDaPvRmT3_T4_T5_mT6_P12ihipStream_tbENKUlT_T0_E_clISt17integral_constantIbLb0EESV_IbLb1EEEEDaSR_SS_EUlSR_E_NS1_11comp_targetILNS1_3genE0ELNS1_11target_archE4294967295ELNS1_3gpuE0ELNS1_3repE0EEENS1_30default_config_static_selectorELNS0_4arch9wavefront6targetE1EEEvT1_.has_dyn_sized_stack, 0
	.set _ZN7rocprim17ROCPRIM_400000_NS6detail17trampoline_kernelINS0_14default_configENS1_20scan_config_selectorIfEEZZNS1_9scan_implILNS1_25lookback_scan_determinismE0ELb0ELb0ES3_PKfPffZZZN2at6native31launch_logcumsumexp_cuda_kernelERKNSB_10TensorBaseESF_lENKUlvE_clEvENKUlvE0_clEvEUlffE_fEEDaPvRmT3_T4_T5_mT6_P12ihipStream_tbENKUlT_T0_E_clISt17integral_constantIbLb0EESV_IbLb1EEEEDaSR_SS_EUlSR_E_NS1_11comp_targetILNS1_3genE0ELNS1_11target_archE4294967295ELNS1_3gpuE0ELNS1_3repE0EEENS1_30default_config_static_selectorELNS0_4arch9wavefront6targetE1EEEvT1_.has_recursion, 0
	.set _ZN7rocprim17ROCPRIM_400000_NS6detail17trampoline_kernelINS0_14default_configENS1_20scan_config_selectorIfEEZZNS1_9scan_implILNS1_25lookback_scan_determinismE0ELb0ELb0ES3_PKfPffZZZN2at6native31launch_logcumsumexp_cuda_kernelERKNSB_10TensorBaseESF_lENKUlvE_clEvENKUlvE0_clEvEUlffE_fEEDaPvRmT3_T4_T5_mT6_P12ihipStream_tbENKUlT_T0_E_clISt17integral_constantIbLb0EESV_IbLb1EEEEDaSR_SS_EUlSR_E_NS1_11comp_targetILNS1_3genE0ELNS1_11target_archE4294967295ELNS1_3gpuE0ELNS1_3repE0EEENS1_30default_config_static_selectorELNS0_4arch9wavefront6targetE1EEEvT1_.has_indirect_call, 0
	.section	.AMDGPU.csdata,"",@progbits
; Kernel info:
; codeLenInByte = 0
; TotalNumSgprs: 4
; NumVgprs: 0
; ScratchSize: 0
; MemoryBound: 0
; FloatMode: 240
; IeeeMode: 1
; LDSByteSize: 0 bytes/workgroup (compile time only)
; SGPRBlocks: 0
; VGPRBlocks: 0
; NumSGPRsForWavesPerEU: 4
; NumVGPRsForWavesPerEU: 1
; Occupancy: 10
; WaveLimiterHint : 0
; COMPUTE_PGM_RSRC2:SCRATCH_EN: 0
; COMPUTE_PGM_RSRC2:USER_SGPR: 6
; COMPUTE_PGM_RSRC2:TRAP_HANDLER: 0
; COMPUTE_PGM_RSRC2:TGID_X_EN: 1
; COMPUTE_PGM_RSRC2:TGID_Y_EN: 0
; COMPUTE_PGM_RSRC2:TGID_Z_EN: 0
; COMPUTE_PGM_RSRC2:TIDIG_COMP_CNT: 0
	.section	.text._ZN7rocprim17ROCPRIM_400000_NS6detail17trampoline_kernelINS0_14default_configENS1_20scan_config_selectorIfEEZZNS1_9scan_implILNS1_25lookback_scan_determinismE0ELb0ELb0ES3_PKfPffZZZN2at6native31launch_logcumsumexp_cuda_kernelERKNSB_10TensorBaseESF_lENKUlvE_clEvENKUlvE0_clEvEUlffE_fEEDaPvRmT3_T4_T5_mT6_P12ihipStream_tbENKUlT_T0_E_clISt17integral_constantIbLb0EESV_IbLb1EEEEDaSR_SS_EUlSR_E_NS1_11comp_targetILNS1_3genE5ELNS1_11target_archE942ELNS1_3gpuE9ELNS1_3repE0EEENS1_30default_config_static_selectorELNS0_4arch9wavefront6targetE1EEEvT1_,"axG",@progbits,_ZN7rocprim17ROCPRIM_400000_NS6detail17trampoline_kernelINS0_14default_configENS1_20scan_config_selectorIfEEZZNS1_9scan_implILNS1_25lookback_scan_determinismE0ELb0ELb0ES3_PKfPffZZZN2at6native31launch_logcumsumexp_cuda_kernelERKNSB_10TensorBaseESF_lENKUlvE_clEvENKUlvE0_clEvEUlffE_fEEDaPvRmT3_T4_T5_mT6_P12ihipStream_tbENKUlT_T0_E_clISt17integral_constantIbLb0EESV_IbLb1EEEEDaSR_SS_EUlSR_E_NS1_11comp_targetILNS1_3genE5ELNS1_11target_archE942ELNS1_3gpuE9ELNS1_3repE0EEENS1_30default_config_static_selectorELNS0_4arch9wavefront6targetE1EEEvT1_,comdat
	.globl	_ZN7rocprim17ROCPRIM_400000_NS6detail17trampoline_kernelINS0_14default_configENS1_20scan_config_selectorIfEEZZNS1_9scan_implILNS1_25lookback_scan_determinismE0ELb0ELb0ES3_PKfPffZZZN2at6native31launch_logcumsumexp_cuda_kernelERKNSB_10TensorBaseESF_lENKUlvE_clEvENKUlvE0_clEvEUlffE_fEEDaPvRmT3_T4_T5_mT6_P12ihipStream_tbENKUlT_T0_E_clISt17integral_constantIbLb0EESV_IbLb1EEEEDaSR_SS_EUlSR_E_NS1_11comp_targetILNS1_3genE5ELNS1_11target_archE942ELNS1_3gpuE9ELNS1_3repE0EEENS1_30default_config_static_selectorELNS0_4arch9wavefront6targetE1EEEvT1_ ; -- Begin function _ZN7rocprim17ROCPRIM_400000_NS6detail17trampoline_kernelINS0_14default_configENS1_20scan_config_selectorIfEEZZNS1_9scan_implILNS1_25lookback_scan_determinismE0ELb0ELb0ES3_PKfPffZZZN2at6native31launch_logcumsumexp_cuda_kernelERKNSB_10TensorBaseESF_lENKUlvE_clEvENKUlvE0_clEvEUlffE_fEEDaPvRmT3_T4_T5_mT6_P12ihipStream_tbENKUlT_T0_E_clISt17integral_constantIbLb0EESV_IbLb1EEEEDaSR_SS_EUlSR_E_NS1_11comp_targetILNS1_3genE5ELNS1_11target_archE942ELNS1_3gpuE9ELNS1_3repE0EEENS1_30default_config_static_selectorELNS0_4arch9wavefront6targetE1EEEvT1_
	.p2align	8
	.type	_ZN7rocprim17ROCPRIM_400000_NS6detail17trampoline_kernelINS0_14default_configENS1_20scan_config_selectorIfEEZZNS1_9scan_implILNS1_25lookback_scan_determinismE0ELb0ELb0ES3_PKfPffZZZN2at6native31launch_logcumsumexp_cuda_kernelERKNSB_10TensorBaseESF_lENKUlvE_clEvENKUlvE0_clEvEUlffE_fEEDaPvRmT3_T4_T5_mT6_P12ihipStream_tbENKUlT_T0_E_clISt17integral_constantIbLb0EESV_IbLb1EEEEDaSR_SS_EUlSR_E_NS1_11comp_targetILNS1_3genE5ELNS1_11target_archE942ELNS1_3gpuE9ELNS1_3repE0EEENS1_30default_config_static_selectorELNS0_4arch9wavefront6targetE1EEEvT1_,@function
_ZN7rocprim17ROCPRIM_400000_NS6detail17trampoline_kernelINS0_14default_configENS1_20scan_config_selectorIfEEZZNS1_9scan_implILNS1_25lookback_scan_determinismE0ELb0ELb0ES3_PKfPffZZZN2at6native31launch_logcumsumexp_cuda_kernelERKNSB_10TensorBaseESF_lENKUlvE_clEvENKUlvE0_clEvEUlffE_fEEDaPvRmT3_T4_T5_mT6_P12ihipStream_tbENKUlT_T0_E_clISt17integral_constantIbLb0EESV_IbLb1EEEEDaSR_SS_EUlSR_E_NS1_11comp_targetILNS1_3genE5ELNS1_11target_archE942ELNS1_3gpuE9ELNS1_3repE0EEENS1_30default_config_static_selectorELNS0_4arch9wavefront6targetE1EEEvT1_: ; @_ZN7rocprim17ROCPRIM_400000_NS6detail17trampoline_kernelINS0_14default_configENS1_20scan_config_selectorIfEEZZNS1_9scan_implILNS1_25lookback_scan_determinismE0ELb0ELb0ES3_PKfPffZZZN2at6native31launch_logcumsumexp_cuda_kernelERKNSB_10TensorBaseESF_lENKUlvE_clEvENKUlvE0_clEvEUlffE_fEEDaPvRmT3_T4_T5_mT6_P12ihipStream_tbENKUlT_T0_E_clISt17integral_constantIbLb0EESV_IbLb1EEEEDaSR_SS_EUlSR_E_NS1_11comp_targetILNS1_3genE5ELNS1_11target_archE942ELNS1_3gpuE9ELNS1_3repE0EEENS1_30default_config_static_selectorELNS0_4arch9wavefront6targetE1EEEvT1_
; %bb.0:
	.section	.rodata,"a",@progbits
	.p2align	6, 0x0
	.amdhsa_kernel _ZN7rocprim17ROCPRIM_400000_NS6detail17trampoline_kernelINS0_14default_configENS1_20scan_config_selectorIfEEZZNS1_9scan_implILNS1_25lookback_scan_determinismE0ELb0ELb0ES3_PKfPffZZZN2at6native31launch_logcumsumexp_cuda_kernelERKNSB_10TensorBaseESF_lENKUlvE_clEvENKUlvE0_clEvEUlffE_fEEDaPvRmT3_T4_T5_mT6_P12ihipStream_tbENKUlT_T0_E_clISt17integral_constantIbLb0EESV_IbLb1EEEEDaSR_SS_EUlSR_E_NS1_11comp_targetILNS1_3genE5ELNS1_11target_archE942ELNS1_3gpuE9ELNS1_3repE0EEENS1_30default_config_static_selectorELNS0_4arch9wavefront6targetE1EEEvT1_
		.amdhsa_group_segment_fixed_size 0
		.amdhsa_private_segment_fixed_size 0
		.amdhsa_kernarg_size 96
		.amdhsa_user_sgpr_count 6
		.amdhsa_user_sgpr_private_segment_buffer 1
		.amdhsa_user_sgpr_dispatch_ptr 0
		.amdhsa_user_sgpr_queue_ptr 0
		.amdhsa_user_sgpr_kernarg_segment_ptr 1
		.amdhsa_user_sgpr_dispatch_id 0
		.amdhsa_user_sgpr_flat_scratch_init 0
		.amdhsa_user_sgpr_private_segment_size 0
		.amdhsa_uses_dynamic_stack 0
		.amdhsa_system_sgpr_private_segment_wavefront_offset 0
		.amdhsa_system_sgpr_workgroup_id_x 1
		.amdhsa_system_sgpr_workgroup_id_y 0
		.amdhsa_system_sgpr_workgroup_id_z 0
		.amdhsa_system_sgpr_workgroup_info 0
		.amdhsa_system_vgpr_workitem_id 0
		.amdhsa_next_free_vgpr 1
		.amdhsa_next_free_sgpr 0
		.amdhsa_reserve_vcc 0
		.amdhsa_reserve_flat_scratch 0
		.amdhsa_float_round_mode_32 0
		.amdhsa_float_round_mode_16_64 0
		.amdhsa_float_denorm_mode_32 3
		.amdhsa_float_denorm_mode_16_64 3
		.amdhsa_dx10_clamp 1
		.amdhsa_ieee_mode 1
		.amdhsa_fp16_overflow 0
		.amdhsa_exception_fp_ieee_invalid_op 0
		.amdhsa_exception_fp_denorm_src 0
		.amdhsa_exception_fp_ieee_div_zero 0
		.amdhsa_exception_fp_ieee_overflow 0
		.amdhsa_exception_fp_ieee_underflow 0
		.amdhsa_exception_fp_ieee_inexact 0
		.amdhsa_exception_int_div_zero 0
	.end_amdhsa_kernel
	.section	.text._ZN7rocprim17ROCPRIM_400000_NS6detail17trampoline_kernelINS0_14default_configENS1_20scan_config_selectorIfEEZZNS1_9scan_implILNS1_25lookback_scan_determinismE0ELb0ELb0ES3_PKfPffZZZN2at6native31launch_logcumsumexp_cuda_kernelERKNSB_10TensorBaseESF_lENKUlvE_clEvENKUlvE0_clEvEUlffE_fEEDaPvRmT3_T4_T5_mT6_P12ihipStream_tbENKUlT_T0_E_clISt17integral_constantIbLb0EESV_IbLb1EEEEDaSR_SS_EUlSR_E_NS1_11comp_targetILNS1_3genE5ELNS1_11target_archE942ELNS1_3gpuE9ELNS1_3repE0EEENS1_30default_config_static_selectorELNS0_4arch9wavefront6targetE1EEEvT1_,"axG",@progbits,_ZN7rocprim17ROCPRIM_400000_NS6detail17trampoline_kernelINS0_14default_configENS1_20scan_config_selectorIfEEZZNS1_9scan_implILNS1_25lookback_scan_determinismE0ELb0ELb0ES3_PKfPffZZZN2at6native31launch_logcumsumexp_cuda_kernelERKNSB_10TensorBaseESF_lENKUlvE_clEvENKUlvE0_clEvEUlffE_fEEDaPvRmT3_T4_T5_mT6_P12ihipStream_tbENKUlT_T0_E_clISt17integral_constantIbLb0EESV_IbLb1EEEEDaSR_SS_EUlSR_E_NS1_11comp_targetILNS1_3genE5ELNS1_11target_archE942ELNS1_3gpuE9ELNS1_3repE0EEENS1_30default_config_static_selectorELNS0_4arch9wavefront6targetE1EEEvT1_,comdat
.Lfunc_end154:
	.size	_ZN7rocprim17ROCPRIM_400000_NS6detail17trampoline_kernelINS0_14default_configENS1_20scan_config_selectorIfEEZZNS1_9scan_implILNS1_25lookback_scan_determinismE0ELb0ELb0ES3_PKfPffZZZN2at6native31launch_logcumsumexp_cuda_kernelERKNSB_10TensorBaseESF_lENKUlvE_clEvENKUlvE0_clEvEUlffE_fEEDaPvRmT3_T4_T5_mT6_P12ihipStream_tbENKUlT_T0_E_clISt17integral_constantIbLb0EESV_IbLb1EEEEDaSR_SS_EUlSR_E_NS1_11comp_targetILNS1_3genE5ELNS1_11target_archE942ELNS1_3gpuE9ELNS1_3repE0EEENS1_30default_config_static_selectorELNS0_4arch9wavefront6targetE1EEEvT1_, .Lfunc_end154-_ZN7rocprim17ROCPRIM_400000_NS6detail17trampoline_kernelINS0_14default_configENS1_20scan_config_selectorIfEEZZNS1_9scan_implILNS1_25lookback_scan_determinismE0ELb0ELb0ES3_PKfPffZZZN2at6native31launch_logcumsumexp_cuda_kernelERKNSB_10TensorBaseESF_lENKUlvE_clEvENKUlvE0_clEvEUlffE_fEEDaPvRmT3_T4_T5_mT6_P12ihipStream_tbENKUlT_T0_E_clISt17integral_constantIbLb0EESV_IbLb1EEEEDaSR_SS_EUlSR_E_NS1_11comp_targetILNS1_3genE5ELNS1_11target_archE942ELNS1_3gpuE9ELNS1_3repE0EEENS1_30default_config_static_selectorELNS0_4arch9wavefront6targetE1EEEvT1_
                                        ; -- End function
	.set _ZN7rocprim17ROCPRIM_400000_NS6detail17trampoline_kernelINS0_14default_configENS1_20scan_config_selectorIfEEZZNS1_9scan_implILNS1_25lookback_scan_determinismE0ELb0ELb0ES3_PKfPffZZZN2at6native31launch_logcumsumexp_cuda_kernelERKNSB_10TensorBaseESF_lENKUlvE_clEvENKUlvE0_clEvEUlffE_fEEDaPvRmT3_T4_T5_mT6_P12ihipStream_tbENKUlT_T0_E_clISt17integral_constantIbLb0EESV_IbLb1EEEEDaSR_SS_EUlSR_E_NS1_11comp_targetILNS1_3genE5ELNS1_11target_archE942ELNS1_3gpuE9ELNS1_3repE0EEENS1_30default_config_static_selectorELNS0_4arch9wavefront6targetE1EEEvT1_.num_vgpr, 0
	.set _ZN7rocprim17ROCPRIM_400000_NS6detail17trampoline_kernelINS0_14default_configENS1_20scan_config_selectorIfEEZZNS1_9scan_implILNS1_25lookback_scan_determinismE0ELb0ELb0ES3_PKfPffZZZN2at6native31launch_logcumsumexp_cuda_kernelERKNSB_10TensorBaseESF_lENKUlvE_clEvENKUlvE0_clEvEUlffE_fEEDaPvRmT3_T4_T5_mT6_P12ihipStream_tbENKUlT_T0_E_clISt17integral_constantIbLb0EESV_IbLb1EEEEDaSR_SS_EUlSR_E_NS1_11comp_targetILNS1_3genE5ELNS1_11target_archE942ELNS1_3gpuE9ELNS1_3repE0EEENS1_30default_config_static_selectorELNS0_4arch9wavefront6targetE1EEEvT1_.num_agpr, 0
	.set _ZN7rocprim17ROCPRIM_400000_NS6detail17trampoline_kernelINS0_14default_configENS1_20scan_config_selectorIfEEZZNS1_9scan_implILNS1_25lookback_scan_determinismE0ELb0ELb0ES3_PKfPffZZZN2at6native31launch_logcumsumexp_cuda_kernelERKNSB_10TensorBaseESF_lENKUlvE_clEvENKUlvE0_clEvEUlffE_fEEDaPvRmT3_T4_T5_mT6_P12ihipStream_tbENKUlT_T0_E_clISt17integral_constantIbLb0EESV_IbLb1EEEEDaSR_SS_EUlSR_E_NS1_11comp_targetILNS1_3genE5ELNS1_11target_archE942ELNS1_3gpuE9ELNS1_3repE0EEENS1_30default_config_static_selectorELNS0_4arch9wavefront6targetE1EEEvT1_.numbered_sgpr, 0
	.set _ZN7rocprim17ROCPRIM_400000_NS6detail17trampoline_kernelINS0_14default_configENS1_20scan_config_selectorIfEEZZNS1_9scan_implILNS1_25lookback_scan_determinismE0ELb0ELb0ES3_PKfPffZZZN2at6native31launch_logcumsumexp_cuda_kernelERKNSB_10TensorBaseESF_lENKUlvE_clEvENKUlvE0_clEvEUlffE_fEEDaPvRmT3_T4_T5_mT6_P12ihipStream_tbENKUlT_T0_E_clISt17integral_constantIbLb0EESV_IbLb1EEEEDaSR_SS_EUlSR_E_NS1_11comp_targetILNS1_3genE5ELNS1_11target_archE942ELNS1_3gpuE9ELNS1_3repE0EEENS1_30default_config_static_selectorELNS0_4arch9wavefront6targetE1EEEvT1_.num_named_barrier, 0
	.set _ZN7rocprim17ROCPRIM_400000_NS6detail17trampoline_kernelINS0_14default_configENS1_20scan_config_selectorIfEEZZNS1_9scan_implILNS1_25lookback_scan_determinismE0ELb0ELb0ES3_PKfPffZZZN2at6native31launch_logcumsumexp_cuda_kernelERKNSB_10TensorBaseESF_lENKUlvE_clEvENKUlvE0_clEvEUlffE_fEEDaPvRmT3_T4_T5_mT6_P12ihipStream_tbENKUlT_T0_E_clISt17integral_constantIbLb0EESV_IbLb1EEEEDaSR_SS_EUlSR_E_NS1_11comp_targetILNS1_3genE5ELNS1_11target_archE942ELNS1_3gpuE9ELNS1_3repE0EEENS1_30default_config_static_selectorELNS0_4arch9wavefront6targetE1EEEvT1_.private_seg_size, 0
	.set _ZN7rocprim17ROCPRIM_400000_NS6detail17trampoline_kernelINS0_14default_configENS1_20scan_config_selectorIfEEZZNS1_9scan_implILNS1_25lookback_scan_determinismE0ELb0ELb0ES3_PKfPffZZZN2at6native31launch_logcumsumexp_cuda_kernelERKNSB_10TensorBaseESF_lENKUlvE_clEvENKUlvE0_clEvEUlffE_fEEDaPvRmT3_T4_T5_mT6_P12ihipStream_tbENKUlT_T0_E_clISt17integral_constantIbLb0EESV_IbLb1EEEEDaSR_SS_EUlSR_E_NS1_11comp_targetILNS1_3genE5ELNS1_11target_archE942ELNS1_3gpuE9ELNS1_3repE0EEENS1_30default_config_static_selectorELNS0_4arch9wavefront6targetE1EEEvT1_.uses_vcc, 0
	.set _ZN7rocprim17ROCPRIM_400000_NS6detail17trampoline_kernelINS0_14default_configENS1_20scan_config_selectorIfEEZZNS1_9scan_implILNS1_25lookback_scan_determinismE0ELb0ELb0ES3_PKfPffZZZN2at6native31launch_logcumsumexp_cuda_kernelERKNSB_10TensorBaseESF_lENKUlvE_clEvENKUlvE0_clEvEUlffE_fEEDaPvRmT3_T4_T5_mT6_P12ihipStream_tbENKUlT_T0_E_clISt17integral_constantIbLb0EESV_IbLb1EEEEDaSR_SS_EUlSR_E_NS1_11comp_targetILNS1_3genE5ELNS1_11target_archE942ELNS1_3gpuE9ELNS1_3repE0EEENS1_30default_config_static_selectorELNS0_4arch9wavefront6targetE1EEEvT1_.uses_flat_scratch, 0
	.set _ZN7rocprim17ROCPRIM_400000_NS6detail17trampoline_kernelINS0_14default_configENS1_20scan_config_selectorIfEEZZNS1_9scan_implILNS1_25lookback_scan_determinismE0ELb0ELb0ES3_PKfPffZZZN2at6native31launch_logcumsumexp_cuda_kernelERKNSB_10TensorBaseESF_lENKUlvE_clEvENKUlvE0_clEvEUlffE_fEEDaPvRmT3_T4_T5_mT6_P12ihipStream_tbENKUlT_T0_E_clISt17integral_constantIbLb0EESV_IbLb1EEEEDaSR_SS_EUlSR_E_NS1_11comp_targetILNS1_3genE5ELNS1_11target_archE942ELNS1_3gpuE9ELNS1_3repE0EEENS1_30default_config_static_selectorELNS0_4arch9wavefront6targetE1EEEvT1_.has_dyn_sized_stack, 0
	.set _ZN7rocprim17ROCPRIM_400000_NS6detail17trampoline_kernelINS0_14default_configENS1_20scan_config_selectorIfEEZZNS1_9scan_implILNS1_25lookback_scan_determinismE0ELb0ELb0ES3_PKfPffZZZN2at6native31launch_logcumsumexp_cuda_kernelERKNSB_10TensorBaseESF_lENKUlvE_clEvENKUlvE0_clEvEUlffE_fEEDaPvRmT3_T4_T5_mT6_P12ihipStream_tbENKUlT_T0_E_clISt17integral_constantIbLb0EESV_IbLb1EEEEDaSR_SS_EUlSR_E_NS1_11comp_targetILNS1_3genE5ELNS1_11target_archE942ELNS1_3gpuE9ELNS1_3repE0EEENS1_30default_config_static_selectorELNS0_4arch9wavefront6targetE1EEEvT1_.has_recursion, 0
	.set _ZN7rocprim17ROCPRIM_400000_NS6detail17trampoline_kernelINS0_14default_configENS1_20scan_config_selectorIfEEZZNS1_9scan_implILNS1_25lookback_scan_determinismE0ELb0ELb0ES3_PKfPffZZZN2at6native31launch_logcumsumexp_cuda_kernelERKNSB_10TensorBaseESF_lENKUlvE_clEvENKUlvE0_clEvEUlffE_fEEDaPvRmT3_T4_T5_mT6_P12ihipStream_tbENKUlT_T0_E_clISt17integral_constantIbLb0EESV_IbLb1EEEEDaSR_SS_EUlSR_E_NS1_11comp_targetILNS1_3genE5ELNS1_11target_archE942ELNS1_3gpuE9ELNS1_3repE0EEENS1_30default_config_static_selectorELNS0_4arch9wavefront6targetE1EEEvT1_.has_indirect_call, 0
	.section	.AMDGPU.csdata,"",@progbits
; Kernel info:
; codeLenInByte = 0
; TotalNumSgprs: 4
; NumVgprs: 0
; ScratchSize: 0
; MemoryBound: 0
; FloatMode: 240
; IeeeMode: 1
; LDSByteSize: 0 bytes/workgroup (compile time only)
; SGPRBlocks: 0
; VGPRBlocks: 0
; NumSGPRsForWavesPerEU: 4
; NumVGPRsForWavesPerEU: 1
; Occupancy: 10
; WaveLimiterHint : 0
; COMPUTE_PGM_RSRC2:SCRATCH_EN: 0
; COMPUTE_PGM_RSRC2:USER_SGPR: 6
; COMPUTE_PGM_RSRC2:TRAP_HANDLER: 0
; COMPUTE_PGM_RSRC2:TGID_X_EN: 1
; COMPUTE_PGM_RSRC2:TGID_Y_EN: 0
; COMPUTE_PGM_RSRC2:TGID_Z_EN: 0
; COMPUTE_PGM_RSRC2:TIDIG_COMP_CNT: 0
	.section	.text._ZN7rocprim17ROCPRIM_400000_NS6detail17trampoline_kernelINS0_14default_configENS1_20scan_config_selectorIfEEZZNS1_9scan_implILNS1_25lookback_scan_determinismE0ELb0ELb0ES3_PKfPffZZZN2at6native31launch_logcumsumexp_cuda_kernelERKNSB_10TensorBaseESF_lENKUlvE_clEvENKUlvE0_clEvEUlffE_fEEDaPvRmT3_T4_T5_mT6_P12ihipStream_tbENKUlT_T0_E_clISt17integral_constantIbLb0EESV_IbLb1EEEEDaSR_SS_EUlSR_E_NS1_11comp_targetILNS1_3genE4ELNS1_11target_archE910ELNS1_3gpuE8ELNS1_3repE0EEENS1_30default_config_static_selectorELNS0_4arch9wavefront6targetE1EEEvT1_,"axG",@progbits,_ZN7rocprim17ROCPRIM_400000_NS6detail17trampoline_kernelINS0_14default_configENS1_20scan_config_selectorIfEEZZNS1_9scan_implILNS1_25lookback_scan_determinismE0ELb0ELb0ES3_PKfPffZZZN2at6native31launch_logcumsumexp_cuda_kernelERKNSB_10TensorBaseESF_lENKUlvE_clEvENKUlvE0_clEvEUlffE_fEEDaPvRmT3_T4_T5_mT6_P12ihipStream_tbENKUlT_T0_E_clISt17integral_constantIbLb0EESV_IbLb1EEEEDaSR_SS_EUlSR_E_NS1_11comp_targetILNS1_3genE4ELNS1_11target_archE910ELNS1_3gpuE8ELNS1_3repE0EEENS1_30default_config_static_selectorELNS0_4arch9wavefront6targetE1EEEvT1_,comdat
	.globl	_ZN7rocprim17ROCPRIM_400000_NS6detail17trampoline_kernelINS0_14default_configENS1_20scan_config_selectorIfEEZZNS1_9scan_implILNS1_25lookback_scan_determinismE0ELb0ELb0ES3_PKfPffZZZN2at6native31launch_logcumsumexp_cuda_kernelERKNSB_10TensorBaseESF_lENKUlvE_clEvENKUlvE0_clEvEUlffE_fEEDaPvRmT3_T4_T5_mT6_P12ihipStream_tbENKUlT_T0_E_clISt17integral_constantIbLb0EESV_IbLb1EEEEDaSR_SS_EUlSR_E_NS1_11comp_targetILNS1_3genE4ELNS1_11target_archE910ELNS1_3gpuE8ELNS1_3repE0EEENS1_30default_config_static_selectorELNS0_4arch9wavefront6targetE1EEEvT1_ ; -- Begin function _ZN7rocprim17ROCPRIM_400000_NS6detail17trampoline_kernelINS0_14default_configENS1_20scan_config_selectorIfEEZZNS1_9scan_implILNS1_25lookback_scan_determinismE0ELb0ELb0ES3_PKfPffZZZN2at6native31launch_logcumsumexp_cuda_kernelERKNSB_10TensorBaseESF_lENKUlvE_clEvENKUlvE0_clEvEUlffE_fEEDaPvRmT3_T4_T5_mT6_P12ihipStream_tbENKUlT_T0_E_clISt17integral_constantIbLb0EESV_IbLb1EEEEDaSR_SS_EUlSR_E_NS1_11comp_targetILNS1_3genE4ELNS1_11target_archE910ELNS1_3gpuE8ELNS1_3repE0EEENS1_30default_config_static_selectorELNS0_4arch9wavefront6targetE1EEEvT1_
	.p2align	8
	.type	_ZN7rocprim17ROCPRIM_400000_NS6detail17trampoline_kernelINS0_14default_configENS1_20scan_config_selectorIfEEZZNS1_9scan_implILNS1_25lookback_scan_determinismE0ELb0ELb0ES3_PKfPffZZZN2at6native31launch_logcumsumexp_cuda_kernelERKNSB_10TensorBaseESF_lENKUlvE_clEvENKUlvE0_clEvEUlffE_fEEDaPvRmT3_T4_T5_mT6_P12ihipStream_tbENKUlT_T0_E_clISt17integral_constantIbLb0EESV_IbLb1EEEEDaSR_SS_EUlSR_E_NS1_11comp_targetILNS1_3genE4ELNS1_11target_archE910ELNS1_3gpuE8ELNS1_3repE0EEENS1_30default_config_static_selectorELNS0_4arch9wavefront6targetE1EEEvT1_,@function
_ZN7rocprim17ROCPRIM_400000_NS6detail17trampoline_kernelINS0_14default_configENS1_20scan_config_selectorIfEEZZNS1_9scan_implILNS1_25lookback_scan_determinismE0ELb0ELb0ES3_PKfPffZZZN2at6native31launch_logcumsumexp_cuda_kernelERKNSB_10TensorBaseESF_lENKUlvE_clEvENKUlvE0_clEvEUlffE_fEEDaPvRmT3_T4_T5_mT6_P12ihipStream_tbENKUlT_T0_E_clISt17integral_constantIbLb0EESV_IbLb1EEEEDaSR_SS_EUlSR_E_NS1_11comp_targetILNS1_3genE4ELNS1_11target_archE910ELNS1_3gpuE8ELNS1_3repE0EEENS1_30default_config_static_selectorELNS0_4arch9wavefront6targetE1EEEvT1_: ; @_ZN7rocprim17ROCPRIM_400000_NS6detail17trampoline_kernelINS0_14default_configENS1_20scan_config_selectorIfEEZZNS1_9scan_implILNS1_25lookback_scan_determinismE0ELb0ELb0ES3_PKfPffZZZN2at6native31launch_logcumsumexp_cuda_kernelERKNSB_10TensorBaseESF_lENKUlvE_clEvENKUlvE0_clEvEUlffE_fEEDaPvRmT3_T4_T5_mT6_P12ihipStream_tbENKUlT_T0_E_clISt17integral_constantIbLb0EESV_IbLb1EEEEDaSR_SS_EUlSR_E_NS1_11comp_targetILNS1_3genE4ELNS1_11target_archE910ELNS1_3gpuE8ELNS1_3repE0EEENS1_30default_config_static_selectorELNS0_4arch9wavefront6targetE1EEEvT1_
; %bb.0:
	.section	.rodata,"a",@progbits
	.p2align	6, 0x0
	.amdhsa_kernel _ZN7rocprim17ROCPRIM_400000_NS6detail17trampoline_kernelINS0_14default_configENS1_20scan_config_selectorIfEEZZNS1_9scan_implILNS1_25lookback_scan_determinismE0ELb0ELb0ES3_PKfPffZZZN2at6native31launch_logcumsumexp_cuda_kernelERKNSB_10TensorBaseESF_lENKUlvE_clEvENKUlvE0_clEvEUlffE_fEEDaPvRmT3_T4_T5_mT6_P12ihipStream_tbENKUlT_T0_E_clISt17integral_constantIbLb0EESV_IbLb1EEEEDaSR_SS_EUlSR_E_NS1_11comp_targetILNS1_3genE4ELNS1_11target_archE910ELNS1_3gpuE8ELNS1_3repE0EEENS1_30default_config_static_selectorELNS0_4arch9wavefront6targetE1EEEvT1_
		.amdhsa_group_segment_fixed_size 0
		.amdhsa_private_segment_fixed_size 0
		.amdhsa_kernarg_size 96
		.amdhsa_user_sgpr_count 6
		.amdhsa_user_sgpr_private_segment_buffer 1
		.amdhsa_user_sgpr_dispatch_ptr 0
		.amdhsa_user_sgpr_queue_ptr 0
		.amdhsa_user_sgpr_kernarg_segment_ptr 1
		.amdhsa_user_sgpr_dispatch_id 0
		.amdhsa_user_sgpr_flat_scratch_init 0
		.amdhsa_user_sgpr_private_segment_size 0
		.amdhsa_uses_dynamic_stack 0
		.amdhsa_system_sgpr_private_segment_wavefront_offset 0
		.amdhsa_system_sgpr_workgroup_id_x 1
		.amdhsa_system_sgpr_workgroup_id_y 0
		.amdhsa_system_sgpr_workgroup_id_z 0
		.amdhsa_system_sgpr_workgroup_info 0
		.amdhsa_system_vgpr_workitem_id 0
		.amdhsa_next_free_vgpr 1
		.amdhsa_next_free_sgpr 0
		.amdhsa_reserve_vcc 0
		.amdhsa_reserve_flat_scratch 0
		.amdhsa_float_round_mode_32 0
		.amdhsa_float_round_mode_16_64 0
		.amdhsa_float_denorm_mode_32 3
		.amdhsa_float_denorm_mode_16_64 3
		.amdhsa_dx10_clamp 1
		.amdhsa_ieee_mode 1
		.amdhsa_fp16_overflow 0
		.amdhsa_exception_fp_ieee_invalid_op 0
		.amdhsa_exception_fp_denorm_src 0
		.amdhsa_exception_fp_ieee_div_zero 0
		.amdhsa_exception_fp_ieee_overflow 0
		.amdhsa_exception_fp_ieee_underflow 0
		.amdhsa_exception_fp_ieee_inexact 0
		.amdhsa_exception_int_div_zero 0
	.end_amdhsa_kernel
	.section	.text._ZN7rocprim17ROCPRIM_400000_NS6detail17trampoline_kernelINS0_14default_configENS1_20scan_config_selectorIfEEZZNS1_9scan_implILNS1_25lookback_scan_determinismE0ELb0ELb0ES3_PKfPffZZZN2at6native31launch_logcumsumexp_cuda_kernelERKNSB_10TensorBaseESF_lENKUlvE_clEvENKUlvE0_clEvEUlffE_fEEDaPvRmT3_T4_T5_mT6_P12ihipStream_tbENKUlT_T0_E_clISt17integral_constantIbLb0EESV_IbLb1EEEEDaSR_SS_EUlSR_E_NS1_11comp_targetILNS1_3genE4ELNS1_11target_archE910ELNS1_3gpuE8ELNS1_3repE0EEENS1_30default_config_static_selectorELNS0_4arch9wavefront6targetE1EEEvT1_,"axG",@progbits,_ZN7rocprim17ROCPRIM_400000_NS6detail17trampoline_kernelINS0_14default_configENS1_20scan_config_selectorIfEEZZNS1_9scan_implILNS1_25lookback_scan_determinismE0ELb0ELb0ES3_PKfPffZZZN2at6native31launch_logcumsumexp_cuda_kernelERKNSB_10TensorBaseESF_lENKUlvE_clEvENKUlvE0_clEvEUlffE_fEEDaPvRmT3_T4_T5_mT6_P12ihipStream_tbENKUlT_T0_E_clISt17integral_constantIbLb0EESV_IbLb1EEEEDaSR_SS_EUlSR_E_NS1_11comp_targetILNS1_3genE4ELNS1_11target_archE910ELNS1_3gpuE8ELNS1_3repE0EEENS1_30default_config_static_selectorELNS0_4arch9wavefront6targetE1EEEvT1_,comdat
.Lfunc_end155:
	.size	_ZN7rocprim17ROCPRIM_400000_NS6detail17trampoline_kernelINS0_14default_configENS1_20scan_config_selectorIfEEZZNS1_9scan_implILNS1_25lookback_scan_determinismE0ELb0ELb0ES3_PKfPffZZZN2at6native31launch_logcumsumexp_cuda_kernelERKNSB_10TensorBaseESF_lENKUlvE_clEvENKUlvE0_clEvEUlffE_fEEDaPvRmT3_T4_T5_mT6_P12ihipStream_tbENKUlT_T0_E_clISt17integral_constantIbLb0EESV_IbLb1EEEEDaSR_SS_EUlSR_E_NS1_11comp_targetILNS1_3genE4ELNS1_11target_archE910ELNS1_3gpuE8ELNS1_3repE0EEENS1_30default_config_static_selectorELNS0_4arch9wavefront6targetE1EEEvT1_, .Lfunc_end155-_ZN7rocprim17ROCPRIM_400000_NS6detail17trampoline_kernelINS0_14default_configENS1_20scan_config_selectorIfEEZZNS1_9scan_implILNS1_25lookback_scan_determinismE0ELb0ELb0ES3_PKfPffZZZN2at6native31launch_logcumsumexp_cuda_kernelERKNSB_10TensorBaseESF_lENKUlvE_clEvENKUlvE0_clEvEUlffE_fEEDaPvRmT3_T4_T5_mT6_P12ihipStream_tbENKUlT_T0_E_clISt17integral_constantIbLb0EESV_IbLb1EEEEDaSR_SS_EUlSR_E_NS1_11comp_targetILNS1_3genE4ELNS1_11target_archE910ELNS1_3gpuE8ELNS1_3repE0EEENS1_30default_config_static_selectorELNS0_4arch9wavefront6targetE1EEEvT1_
                                        ; -- End function
	.set _ZN7rocprim17ROCPRIM_400000_NS6detail17trampoline_kernelINS0_14default_configENS1_20scan_config_selectorIfEEZZNS1_9scan_implILNS1_25lookback_scan_determinismE0ELb0ELb0ES3_PKfPffZZZN2at6native31launch_logcumsumexp_cuda_kernelERKNSB_10TensorBaseESF_lENKUlvE_clEvENKUlvE0_clEvEUlffE_fEEDaPvRmT3_T4_T5_mT6_P12ihipStream_tbENKUlT_T0_E_clISt17integral_constantIbLb0EESV_IbLb1EEEEDaSR_SS_EUlSR_E_NS1_11comp_targetILNS1_3genE4ELNS1_11target_archE910ELNS1_3gpuE8ELNS1_3repE0EEENS1_30default_config_static_selectorELNS0_4arch9wavefront6targetE1EEEvT1_.num_vgpr, 0
	.set _ZN7rocprim17ROCPRIM_400000_NS6detail17trampoline_kernelINS0_14default_configENS1_20scan_config_selectorIfEEZZNS1_9scan_implILNS1_25lookback_scan_determinismE0ELb0ELb0ES3_PKfPffZZZN2at6native31launch_logcumsumexp_cuda_kernelERKNSB_10TensorBaseESF_lENKUlvE_clEvENKUlvE0_clEvEUlffE_fEEDaPvRmT3_T4_T5_mT6_P12ihipStream_tbENKUlT_T0_E_clISt17integral_constantIbLb0EESV_IbLb1EEEEDaSR_SS_EUlSR_E_NS1_11comp_targetILNS1_3genE4ELNS1_11target_archE910ELNS1_3gpuE8ELNS1_3repE0EEENS1_30default_config_static_selectorELNS0_4arch9wavefront6targetE1EEEvT1_.num_agpr, 0
	.set _ZN7rocprim17ROCPRIM_400000_NS6detail17trampoline_kernelINS0_14default_configENS1_20scan_config_selectorIfEEZZNS1_9scan_implILNS1_25lookback_scan_determinismE0ELb0ELb0ES3_PKfPffZZZN2at6native31launch_logcumsumexp_cuda_kernelERKNSB_10TensorBaseESF_lENKUlvE_clEvENKUlvE0_clEvEUlffE_fEEDaPvRmT3_T4_T5_mT6_P12ihipStream_tbENKUlT_T0_E_clISt17integral_constantIbLb0EESV_IbLb1EEEEDaSR_SS_EUlSR_E_NS1_11comp_targetILNS1_3genE4ELNS1_11target_archE910ELNS1_3gpuE8ELNS1_3repE0EEENS1_30default_config_static_selectorELNS0_4arch9wavefront6targetE1EEEvT1_.numbered_sgpr, 0
	.set _ZN7rocprim17ROCPRIM_400000_NS6detail17trampoline_kernelINS0_14default_configENS1_20scan_config_selectorIfEEZZNS1_9scan_implILNS1_25lookback_scan_determinismE0ELb0ELb0ES3_PKfPffZZZN2at6native31launch_logcumsumexp_cuda_kernelERKNSB_10TensorBaseESF_lENKUlvE_clEvENKUlvE0_clEvEUlffE_fEEDaPvRmT3_T4_T5_mT6_P12ihipStream_tbENKUlT_T0_E_clISt17integral_constantIbLb0EESV_IbLb1EEEEDaSR_SS_EUlSR_E_NS1_11comp_targetILNS1_3genE4ELNS1_11target_archE910ELNS1_3gpuE8ELNS1_3repE0EEENS1_30default_config_static_selectorELNS0_4arch9wavefront6targetE1EEEvT1_.num_named_barrier, 0
	.set _ZN7rocprim17ROCPRIM_400000_NS6detail17trampoline_kernelINS0_14default_configENS1_20scan_config_selectorIfEEZZNS1_9scan_implILNS1_25lookback_scan_determinismE0ELb0ELb0ES3_PKfPffZZZN2at6native31launch_logcumsumexp_cuda_kernelERKNSB_10TensorBaseESF_lENKUlvE_clEvENKUlvE0_clEvEUlffE_fEEDaPvRmT3_T4_T5_mT6_P12ihipStream_tbENKUlT_T0_E_clISt17integral_constantIbLb0EESV_IbLb1EEEEDaSR_SS_EUlSR_E_NS1_11comp_targetILNS1_3genE4ELNS1_11target_archE910ELNS1_3gpuE8ELNS1_3repE0EEENS1_30default_config_static_selectorELNS0_4arch9wavefront6targetE1EEEvT1_.private_seg_size, 0
	.set _ZN7rocprim17ROCPRIM_400000_NS6detail17trampoline_kernelINS0_14default_configENS1_20scan_config_selectorIfEEZZNS1_9scan_implILNS1_25lookback_scan_determinismE0ELb0ELb0ES3_PKfPffZZZN2at6native31launch_logcumsumexp_cuda_kernelERKNSB_10TensorBaseESF_lENKUlvE_clEvENKUlvE0_clEvEUlffE_fEEDaPvRmT3_T4_T5_mT6_P12ihipStream_tbENKUlT_T0_E_clISt17integral_constantIbLb0EESV_IbLb1EEEEDaSR_SS_EUlSR_E_NS1_11comp_targetILNS1_3genE4ELNS1_11target_archE910ELNS1_3gpuE8ELNS1_3repE0EEENS1_30default_config_static_selectorELNS0_4arch9wavefront6targetE1EEEvT1_.uses_vcc, 0
	.set _ZN7rocprim17ROCPRIM_400000_NS6detail17trampoline_kernelINS0_14default_configENS1_20scan_config_selectorIfEEZZNS1_9scan_implILNS1_25lookback_scan_determinismE0ELb0ELb0ES3_PKfPffZZZN2at6native31launch_logcumsumexp_cuda_kernelERKNSB_10TensorBaseESF_lENKUlvE_clEvENKUlvE0_clEvEUlffE_fEEDaPvRmT3_T4_T5_mT6_P12ihipStream_tbENKUlT_T0_E_clISt17integral_constantIbLb0EESV_IbLb1EEEEDaSR_SS_EUlSR_E_NS1_11comp_targetILNS1_3genE4ELNS1_11target_archE910ELNS1_3gpuE8ELNS1_3repE0EEENS1_30default_config_static_selectorELNS0_4arch9wavefront6targetE1EEEvT1_.uses_flat_scratch, 0
	.set _ZN7rocprim17ROCPRIM_400000_NS6detail17trampoline_kernelINS0_14default_configENS1_20scan_config_selectorIfEEZZNS1_9scan_implILNS1_25lookback_scan_determinismE0ELb0ELb0ES3_PKfPffZZZN2at6native31launch_logcumsumexp_cuda_kernelERKNSB_10TensorBaseESF_lENKUlvE_clEvENKUlvE0_clEvEUlffE_fEEDaPvRmT3_T4_T5_mT6_P12ihipStream_tbENKUlT_T0_E_clISt17integral_constantIbLb0EESV_IbLb1EEEEDaSR_SS_EUlSR_E_NS1_11comp_targetILNS1_3genE4ELNS1_11target_archE910ELNS1_3gpuE8ELNS1_3repE0EEENS1_30default_config_static_selectorELNS0_4arch9wavefront6targetE1EEEvT1_.has_dyn_sized_stack, 0
	.set _ZN7rocprim17ROCPRIM_400000_NS6detail17trampoline_kernelINS0_14default_configENS1_20scan_config_selectorIfEEZZNS1_9scan_implILNS1_25lookback_scan_determinismE0ELb0ELb0ES3_PKfPffZZZN2at6native31launch_logcumsumexp_cuda_kernelERKNSB_10TensorBaseESF_lENKUlvE_clEvENKUlvE0_clEvEUlffE_fEEDaPvRmT3_T4_T5_mT6_P12ihipStream_tbENKUlT_T0_E_clISt17integral_constantIbLb0EESV_IbLb1EEEEDaSR_SS_EUlSR_E_NS1_11comp_targetILNS1_3genE4ELNS1_11target_archE910ELNS1_3gpuE8ELNS1_3repE0EEENS1_30default_config_static_selectorELNS0_4arch9wavefront6targetE1EEEvT1_.has_recursion, 0
	.set _ZN7rocprim17ROCPRIM_400000_NS6detail17trampoline_kernelINS0_14default_configENS1_20scan_config_selectorIfEEZZNS1_9scan_implILNS1_25lookback_scan_determinismE0ELb0ELb0ES3_PKfPffZZZN2at6native31launch_logcumsumexp_cuda_kernelERKNSB_10TensorBaseESF_lENKUlvE_clEvENKUlvE0_clEvEUlffE_fEEDaPvRmT3_T4_T5_mT6_P12ihipStream_tbENKUlT_T0_E_clISt17integral_constantIbLb0EESV_IbLb1EEEEDaSR_SS_EUlSR_E_NS1_11comp_targetILNS1_3genE4ELNS1_11target_archE910ELNS1_3gpuE8ELNS1_3repE0EEENS1_30default_config_static_selectorELNS0_4arch9wavefront6targetE1EEEvT1_.has_indirect_call, 0
	.section	.AMDGPU.csdata,"",@progbits
; Kernel info:
; codeLenInByte = 0
; TotalNumSgprs: 4
; NumVgprs: 0
; ScratchSize: 0
; MemoryBound: 0
; FloatMode: 240
; IeeeMode: 1
; LDSByteSize: 0 bytes/workgroup (compile time only)
; SGPRBlocks: 0
; VGPRBlocks: 0
; NumSGPRsForWavesPerEU: 4
; NumVGPRsForWavesPerEU: 1
; Occupancy: 10
; WaveLimiterHint : 0
; COMPUTE_PGM_RSRC2:SCRATCH_EN: 0
; COMPUTE_PGM_RSRC2:USER_SGPR: 6
; COMPUTE_PGM_RSRC2:TRAP_HANDLER: 0
; COMPUTE_PGM_RSRC2:TGID_X_EN: 1
; COMPUTE_PGM_RSRC2:TGID_Y_EN: 0
; COMPUTE_PGM_RSRC2:TGID_Z_EN: 0
; COMPUTE_PGM_RSRC2:TIDIG_COMP_CNT: 0
	.section	.text._ZN7rocprim17ROCPRIM_400000_NS6detail17trampoline_kernelINS0_14default_configENS1_20scan_config_selectorIfEEZZNS1_9scan_implILNS1_25lookback_scan_determinismE0ELb0ELb0ES3_PKfPffZZZN2at6native31launch_logcumsumexp_cuda_kernelERKNSB_10TensorBaseESF_lENKUlvE_clEvENKUlvE0_clEvEUlffE_fEEDaPvRmT3_T4_T5_mT6_P12ihipStream_tbENKUlT_T0_E_clISt17integral_constantIbLb0EESV_IbLb1EEEEDaSR_SS_EUlSR_E_NS1_11comp_targetILNS1_3genE3ELNS1_11target_archE908ELNS1_3gpuE7ELNS1_3repE0EEENS1_30default_config_static_selectorELNS0_4arch9wavefront6targetE1EEEvT1_,"axG",@progbits,_ZN7rocprim17ROCPRIM_400000_NS6detail17trampoline_kernelINS0_14default_configENS1_20scan_config_selectorIfEEZZNS1_9scan_implILNS1_25lookback_scan_determinismE0ELb0ELb0ES3_PKfPffZZZN2at6native31launch_logcumsumexp_cuda_kernelERKNSB_10TensorBaseESF_lENKUlvE_clEvENKUlvE0_clEvEUlffE_fEEDaPvRmT3_T4_T5_mT6_P12ihipStream_tbENKUlT_T0_E_clISt17integral_constantIbLb0EESV_IbLb1EEEEDaSR_SS_EUlSR_E_NS1_11comp_targetILNS1_3genE3ELNS1_11target_archE908ELNS1_3gpuE7ELNS1_3repE0EEENS1_30default_config_static_selectorELNS0_4arch9wavefront6targetE1EEEvT1_,comdat
	.globl	_ZN7rocprim17ROCPRIM_400000_NS6detail17trampoline_kernelINS0_14default_configENS1_20scan_config_selectorIfEEZZNS1_9scan_implILNS1_25lookback_scan_determinismE0ELb0ELb0ES3_PKfPffZZZN2at6native31launch_logcumsumexp_cuda_kernelERKNSB_10TensorBaseESF_lENKUlvE_clEvENKUlvE0_clEvEUlffE_fEEDaPvRmT3_T4_T5_mT6_P12ihipStream_tbENKUlT_T0_E_clISt17integral_constantIbLb0EESV_IbLb1EEEEDaSR_SS_EUlSR_E_NS1_11comp_targetILNS1_3genE3ELNS1_11target_archE908ELNS1_3gpuE7ELNS1_3repE0EEENS1_30default_config_static_selectorELNS0_4arch9wavefront6targetE1EEEvT1_ ; -- Begin function _ZN7rocprim17ROCPRIM_400000_NS6detail17trampoline_kernelINS0_14default_configENS1_20scan_config_selectorIfEEZZNS1_9scan_implILNS1_25lookback_scan_determinismE0ELb0ELb0ES3_PKfPffZZZN2at6native31launch_logcumsumexp_cuda_kernelERKNSB_10TensorBaseESF_lENKUlvE_clEvENKUlvE0_clEvEUlffE_fEEDaPvRmT3_T4_T5_mT6_P12ihipStream_tbENKUlT_T0_E_clISt17integral_constantIbLb0EESV_IbLb1EEEEDaSR_SS_EUlSR_E_NS1_11comp_targetILNS1_3genE3ELNS1_11target_archE908ELNS1_3gpuE7ELNS1_3repE0EEENS1_30default_config_static_selectorELNS0_4arch9wavefront6targetE1EEEvT1_
	.p2align	8
	.type	_ZN7rocprim17ROCPRIM_400000_NS6detail17trampoline_kernelINS0_14default_configENS1_20scan_config_selectorIfEEZZNS1_9scan_implILNS1_25lookback_scan_determinismE0ELb0ELb0ES3_PKfPffZZZN2at6native31launch_logcumsumexp_cuda_kernelERKNSB_10TensorBaseESF_lENKUlvE_clEvENKUlvE0_clEvEUlffE_fEEDaPvRmT3_T4_T5_mT6_P12ihipStream_tbENKUlT_T0_E_clISt17integral_constantIbLb0EESV_IbLb1EEEEDaSR_SS_EUlSR_E_NS1_11comp_targetILNS1_3genE3ELNS1_11target_archE908ELNS1_3gpuE7ELNS1_3repE0EEENS1_30default_config_static_selectorELNS0_4arch9wavefront6targetE1EEEvT1_,@function
_ZN7rocprim17ROCPRIM_400000_NS6detail17trampoline_kernelINS0_14default_configENS1_20scan_config_selectorIfEEZZNS1_9scan_implILNS1_25lookback_scan_determinismE0ELb0ELb0ES3_PKfPffZZZN2at6native31launch_logcumsumexp_cuda_kernelERKNSB_10TensorBaseESF_lENKUlvE_clEvENKUlvE0_clEvEUlffE_fEEDaPvRmT3_T4_T5_mT6_P12ihipStream_tbENKUlT_T0_E_clISt17integral_constantIbLb0EESV_IbLb1EEEEDaSR_SS_EUlSR_E_NS1_11comp_targetILNS1_3genE3ELNS1_11target_archE908ELNS1_3gpuE7ELNS1_3repE0EEENS1_30default_config_static_selectorELNS0_4arch9wavefront6targetE1EEEvT1_: ; @_ZN7rocprim17ROCPRIM_400000_NS6detail17trampoline_kernelINS0_14default_configENS1_20scan_config_selectorIfEEZZNS1_9scan_implILNS1_25lookback_scan_determinismE0ELb0ELb0ES3_PKfPffZZZN2at6native31launch_logcumsumexp_cuda_kernelERKNSB_10TensorBaseESF_lENKUlvE_clEvENKUlvE0_clEvEUlffE_fEEDaPvRmT3_T4_T5_mT6_P12ihipStream_tbENKUlT_T0_E_clISt17integral_constantIbLb0EESV_IbLb1EEEEDaSR_SS_EUlSR_E_NS1_11comp_targetILNS1_3genE3ELNS1_11target_archE908ELNS1_3gpuE7ELNS1_3repE0EEENS1_30default_config_static_selectorELNS0_4arch9wavefront6targetE1EEEvT1_
; %bb.0:
	.section	.rodata,"a",@progbits
	.p2align	6, 0x0
	.amdhsa_kernel _ZN7rocprim17ROCPRIM_400000_NS6detail17trampoline_kernelINS0_14default_configENS1_20scan_config_selectorIfEEZZNS1_9scan_implILNS1_25lookback_scan_determinismE0ELb0ELb0ES3_PKfPffZZZN2at6native31launch_logcumsumexp_cuda_kernelERKNSB_10TensorBaseESF_lENKUlvE_clEvENKUlvE0_clEvEUlffE_fEEDaPvRmT3_T4_T5_mT6_P12ihipStream_tbENKUlT_T0_E_clISt17integral_constantIbLb0EESV_IbLb1EEEEDaSR_SS_EUlSR_E_NS1_11comp_targetILNS1_3genE3ELNS1_11target_archE908ELNS1_3gpuE7ELNS1_3repE0EEENS1_30default_config_static_selectorELNS0_4arch9wavefront6targetE1EEEvT1_
		.amdhsa_group_segment_fixed_size 0
		.amdhsa_private_segment_fixed_size 0
		.amdhsa_kernarg_size 96
		.amdhsa_user_sgpr_count 6
		.amdhsa_user_sgpr_private_segment_buffer 1
		.amdhsa_user_sgpr_dispatch_ptr 0
		.amdhsa_user_sgpr_queue_ptr 0
		.amdhsa_user_sgpr_kernarg_segment_ptr 1
		.amdhsa_user_sgpr_dispatch_id 0
		.amdhsa_user_sgpr_flat_scratch_init 0
		.amdhsa_user_sgpr_private_segment_size 0
		.amdhsa_uses_dynamic_stack 0
		.amdhsa_system_sgpr_private_segment_wavefront_offset 0
		.amdhsa_system_sgpr_workgroup_id_x 1
		.amdhsa_system_sgpr_workgroup_id_y 0
		.amdhsa_system_sgpr_workgroup_id_z 0
		.amdhsa_system_sgpr_workgroup_info 0
		.amdhsa_system_vgpr_workitem_id 0
		.amdhsa_next_free_vgpr 1
		.amdhsa_next_free_sgpr 0
		.amdhsa_reserve_vcc 0
		.amdhsa_reserve_flat_scratch 0
		.amdhsa_float_round_mode_32 0
		.amdhsa_float_round_mode_16_64 0
		.amdhsa_float_denorm_mode_32 3
		.amdhsa_float_denorm_mode_16_64 3
		.amdhsa_dx10_clamp 1
		.amdhsa_ieee_mode 1
		.amdhsa_fp16_overflow 0
		.amdhsa_exception_fp_ieee_invalid_op 0
		.amdhsa_exception_fp_denorm_src 0
		.amdhsa_exception_fp_ieee_div_zero 0
		.amdhsa_exception_fp_ieee_overflow 0
		.amdhsa_exception_fp_ieee_underflow 0
		.amdhsa_exception_fp_ieee_inexact 0
		.amdhsa_exception_int_div_zero 0
	.end_amdhsa_kernel
	.section	.text._ZN7rocprim17ROCPRIM_400000_NS6detail17trampoline_kernelINS0_14default_configENS1_20scan_config_selectorIfEEZZNS1_9scan_implILNS1_25lookback_scan_determinismE0ELb0ELb0ES3_PKfPffZZZN2at6native31launch_logcumsumexp_cuda_kernelERKNSB_10TensorBaseESF_lENKUlvE_clEvENKUlvE0_clEvEUlffE_fEEDaPvRmT3_T4_T5_mT6_P12ihipStream_tbENKUlT_T0_E_clISt17integral_constantIbLb0EESV_IbLb1EEEEDaSR_SS_EUlSR_E_NS1_11comp_targetILNS1_3genE3ELNS1_11target_archE908ELNS1_3gpuE7ELNS1_3repE0EEENS1_30default_config_static_selectorELNS0_4arch9wavefront6targetE1EEEvT1_,"axG",@progbits,_ZN7rocprim17ROCPRIM_400000_NS6detail17trampoline_kernelINS0_14default_configENS1_20scan_config_selectorIfEEZZNS1_9scan_implILNS1_25lookback_scan_determinismE0ELb0ELb0ES3_PKfPffZZZN2at6native31launch_logcumsumexp_cuda_kernelERKNSB_10TensorBaseESF_lENKUlvE_clEvENKUlvE0_clEvEUlffE_fEEDaPvRmT3_T4_T5_mT6_P12ihipStream_tbENKUlT_T0_E_clISt17integral_constantIbLb0EESV_IbLb1EEEEDaSR_SS_EUlSR_E_NS1_11comp_targetILNS1_3genE3ELNS1_11target_archE908ELNS1_3gpuE7ELNS1_3repE0EEENS1_30default_config_static_selectorELNS0_4arch9wavefront6targetE1EEEvT1_,comdat
.Lfunc_end156:
	.size	_ZN7rocprim17ROCPRIM_400000_NS6detail17trampoline_kernelINS0_14default_configENS1_20scan_config_selectorIfEEZZNS1_9scan_implILNS1_25lookback_scan_determinismE0ELb0ELb0ES3_PKfPffZZZN2at6native31launch_logcumsumexp_cuda_kernelERKNSB_10TensorBaseESF_lENKUlvE_clEvENKUlvE0_clEvEUlffE_fEEDaPvRmT3_T4_T5_mT6_P12ihipStream_tbENKUlT_T0_E_clISt17integral_constantIbLb0EESV_IbLb1EEEEDaSR_SS_EUlSR_E_NS1_11comp_targetILNS1_3genE3ELNS1_11target_archE908ELNS1_3gpuE7ELNS1_3repE0EEENS1_30default_config_static_selectorELNS0_4arch9wavefront6targetE1EEEvT1_, .Lfunc_end156-_ZN7rocprim17ROCPRIM_400000_NS6detail17trampoline_kernelINS0_14default_configENS1_20scan_config_selectorIfEEZZNS1_9scan_implILNS1_25lookback_scan_determinismE0ELb0ELb0ES3_PKfPffZZZN2at6native31launch_logcumsumexp_cuda_kernelERKNSB_10TensorBaseESF_lENKUlvE_clEvENKUlvE0_clEvEUlffE_fEEDaPvRmT3_T4_T5_mT6_P12ihipStream_tbENKUlT_T0_E_clISt17integral_constantIbLb0EESV_IbLb1EEEEDaSR_SS_EUlSR_E_NS1_11comp_targetILNS1_3genE3ELNS1_11target_archE908ELNS1_3gpuE7ELNS1_3repE0EEENS1_30default_config_static_selectorELNS0_4arch9wavefront6targetE1EEEvT1_
                                        ; -- End function
	.set _ZN7rocprim17ROCPRIM_400000_NS6detail17trampoline_kernelINS0_14default_configENS1_20scan_config_selectorIfEEZZNS1_9scan_implILNS1_25lookback_scan_determinismE0ELb0ELb0ES3_PKfPffZZZN2at6native31launch_logcumsumexp_cuda_kernelERKNSB_10TensorBaseESF_lENKUlvE_clEvENKUlvE0_clEvEUlffE_fEEDaPvRmT3_T4_T5_mT6_P12ihipStream_tbENKUlT_T0_E_clISt17integral_constantIbLb0EESV_IbLb1EEEEDaSR_SS_EUlSR_E_NS1_11comp_targetILNS1_3genE3ELNS1_11target_archE908ELNS1_3gpuE7ELNS1_3repE0EEENS1_30default_config_static_selectorELNS0_4arch9wavefront6targetE1EEEvT1_.num_vgpr, 0
	.set _ZN7rocprim17ROCPRIM_400000_NS6detail17trampoline_kernelINS0_14default_configENS1_20scan_config_selectorIfEEZZNS1_9scan_implILNS1_25lookback_scan_determinismE0ELb0ELb0ES3_PKfPffZZZN2at6native31launch_logcumsumexp_cuda_kernelERKNSB_10TensorBaseESF_lENKUlvE_clEvENKUlvE0_clEvEUlffE_fEEDaPvRmT3_T4_T5_mT6_P12ihipStream_tbENKUlT_T0_E_clISt17integral_constantIbLb0EESV_IbLb1EEEEDaSR_SS_EUlSR_E_NS1_11comp_targetILNS1_3genE3ELNS1_11target_archE908ELNS1_3gpuE7ELNS1_3repE0EEENS1_30default_config_static_selectorELNS0_4arch9wavefront6targetE1EEEvT1_.num_agpr, 0
	.set _ZN7rocprim17ROCPRIM_400000_NS6detail17trampoline_kernelINS0_14default_configENS1_20scan_config_selectorIfEEZZNS1_9scan_implILNS1_25lookback_scan_determinismE0ELb0ELb0ES3_PKfPffZZZN2at6native31launch_logcumsumexp_cuda_kernelERKNSB_10TensorBaseESF_lENKUlvE_clEvENKUlvE0_clEvEUlffE_fEEDaPvRmT3_T4_T5_mT6_P12ihipStream_tbENKUlT_T0_E_clISt17integral_constantIbLb0EESV_IbLb1EEEEDaSR_SS_EUlSR_E_NS1_11comp_targetILNS1_3genE3ELNS1_11target_archE908ELNS1_3gpuE7ELNS1_3repE0EEENS1_30default_config_static_selectorELNS0_4arch9wavefront6targetE1EEEvT1_.numbered_sgpr, 0
	.set _ZN7rocprim17ROCPRIM_400000_NS6detail17trampoline_kernelINS0_14default_configENS1_20scan_config_selectorIfEEZZNS1_9scan_implILNS1_25lookback_scan_determinismE0ELb0ELb0ES3_PKfPffZZZN2at6native31launch_logcumsumexp_cuda_kernelERKNSB_10TensorBaseESF_lENKUlvE_clEvENKUlvE0_clEvEUlffE_fEEDaPvRmT3_T4_T5_mT6_P12ihipStream_tbENKUlT_T0_E_clISt17integral_constantIbLb0EESV_IbLb1EEEEDaSR_SS_EUlSR_E_NS1_11comp_targetILNS1_3genE3ELNS1_11target_archE908ELNS1_3gpuE7ELNS1_3repE0EEENS1_30default_config_static_selectorELNS0_4arch9wavefront6targetE1EEEvT1_.num_named_barrier, 0
	.set _ZN7rocprim17ROCPRIM_400000_NS6detail17trampoline_kernelINS0_14default_configENS1_20scan_config_selectorIfEEZZNS1_9scan_implILNS1_25lookback_scan_determinismE0ELb0ELb0ES3_PKfPffZZZN2at6native31launch_logcumsumexp_cuda_kernelERKNSB_10TensorBaseESF_lENKUlvE_clEvENKUlvE0_clEvEUlffE_fEEDaPvRmT3_T4_T5_mT6_P12ihipStream_tbENKUlT_T0_E_clISt17integral_constantIbLb0EESV_IbLb1EEEEDaSR_SS_EUlSR_E_NS1_11comp_targetILNS1_3genE3ELNS1_11target_archE908ELNS1_3gpuE7ELNS1_3repE0EEENS1_30default_config_static_selectorELNS0_4arch9wavefront6targetE1EEEvT1_.private_seg_size, 0
	.set _ZN7rocprim17ROCPRIM_400000_NS6detail17trampoline_kernelINS0_14default_configENS1_20scan_config_selectorIfEEZZNS1_9scan_implILNS1_25lookback_scan_determinismE0ELb0ELb0ES3_PKfPffZZZN2at6native31launch_logcumsumexp_cuda_kernelERKNSB_10TensorBaseESF_lENKUlvE_clEvENKUlvE0_clEvEUlffE_fEEDaPvRmT3_T4_T5_mT6_P12ihipStream_tbENKUlT_T0_E_clISt17integral_constantIbLb0EESV_IbLb1EEEEDaSR_SS_EUlSR_E_NS1_11comp_targetILNS1_3genE3ELNS1_11target_archE908ELNS1_3gpuE7ELNS1_3repE0EEENS1_30default_config_static_selectorELNS0_4arch9wavefront6targetE1EEEvT1_.uses_vcc, 0
	.set _ZN7rocprim17ROCPRIM_400000_NS6detail17trampoline_kernelINS0_14default_configENS1_20scan_config_selectorIfEEZZNS1_9scan_implILNS1_25lookback_scan_determinismE0ELb0ELb0ES3_PKfPffZZZN2at6native31launch_logcumsumexp_cuda_kernelERKNSB_10TensorBaseESF_lENKUlvE_clEvENKUlvE0_clEvEUlffE_fEEDaPvRmT3_T4_T5_mT6_P12ihipStream_tbENKUlT_T0_E_clISt17integral_constantIbLb0EESV_IbLb1EEEEDaSR_SS_EUlSR_E_NS1_11comp_targetILNS1_3genE3ELNS1_11target_archE908ELNS1_3gpuE7ELNS1_3repE0EEENS1_30default_config_static_selectorELNS0_4arch9wavefront6targetE1EEEvT1_.uses_flat_scratch, 0
	.set _ZN7rocprim17ROCPRIM_400000_NS6detail17trampoline_kernelINS0_14default_configENS1_20scan_config_selectorIfEEZZNS1_9scan_implILNS1_25lookback_scan_determinismE0ELb0ELb0ES3_PKfPffZZZN2at6native31launch_logcumsumexp_cuda_kernelERKNSB_10TensorBaseESF_lENKUlvE_clEvENKUlvE0_clEvEUlffE_fEEDaPvRmT3_T4_T5_mT6_P12ihipStream_tbENKUlT_T0_E_clISt17integral_constantIbLb0EESV_IbLb1EEEEDaSR_SS_EUlSR_E_NS1_11comp_targetILNS1_3genE3ELNS1_11target_archE908ELNS1_3gpuE7ELNS1_3repE0EEENS1_30default_config_static_selectorELNS0_4arch9wavefront6targetE1EEEvT1_.has_dyn_sized_stack, 0
	.set _ZN7rocprim17ROCPRIM_400000_NS6detail17trampoline_kernelINS0_14default_configENS1_20scan_config_selectorIfEEZZNS1_9scan_implILNS1_25lookback_scan_determinismE0ELb0ELb0ES3_PKfPffZZZN2at6native31launch_logcumsumexp_cuda_kernelERKNSB_10TensorBaseESF_lENKUlvE_clEvENKUlvE0_clEvEUlffE_fEEDaPvRmT3_T4_T5_mT6_P12ihipStream_tbENKUlT_T0_E_clISt17integral_constantIbLb0EESV_IbLb1EEEEDaSR_SS_EUlSR_E_NS1_11comp_targetILNS1_3genE3ELNS1_11target_archE908ELNS1_3gpuE7ELNS1_3repE0EEENS1_30default_config_static_selectorELNS0_4arch9wavefront6targetE1EEEvT1_.has_recursion, 0
	.set _ZN7rocprim17ROCPRIM_400000_NS6detail17trampoline_kernelINS0_14default_configENS1_20scan_config_selectorIfEEZZNS1_9scan_implILNS1_25lookback_scan_determinismE0ELb0ELb0ES3_PKfPffZZZN2at6native31launch_logcumsumexp_cuda_kernelERKNSB_10TensorBaseESF_lENKUlvE_clEvENKUlvE0_clEvEUlffE_fEEDaPvRmT3_T4_T5_mT6_P12ihipStream_tbENKUlT_T0_E_clISt17integral_constantIbLb0EESV_IbLb1EEEEDaSR_SS_EUlSR_E_NS1_11comp_targetILNS1_3genE3ELNS1_11target_archE908ELNS1_3gpuE7ELNS1_3repE0EEENS1_30default_config_static_selectorELNS0_4arch9wavefront6targetE1EEEvT1_.has_indirect_call, 0
	.section	.AMDGPU.csdata,"",@progbits
; Kernel info:
; codeLenInByte = 0
; TotalNumSgprs: 4
; NumVgprs: 0
; ScratchSize: 0
; MemoryBound: 0
; FloatMode: 240
; IeeeMode: 1
; LDSByteSize: 0 bytes/workgroup (compile time only)
; SGPRBlocks: 0
; VGPRBlocks: 0
; NumSGPRsForWavesPerEU: 4
; NumVGPRsForWavesPerEU: 1
; Occupancy: 10
; WaveLimiterHint : 0
; COMPUTE_PGM_RSRC2:SCRATCH_EN: 0
; COMPUTE_PGM_RSRC2:USER_SGPR: 6
; COMPUTE_PGM_RSRC2:TRAP_HANDLER: 0
; COMPUTE_PGM_RSRC2:TGID_X_EN: 1
; COMPUTE_PGM_RSRC2:TGID_Y_EN: 0
; COMPUTE_PGM_RSRC2:TGID_Z_EN: 0
; COMPUTE_PGM_RSRC2:TIDIG_COMP_CNT: 0
	.section	.text._ZN7rocprim17ROCPRIM_400000_NS6detail17trampoline_kernelINS0_14default_configENS1_20scan_config_selectorIfEEZZNS1_9scan_implILNS1_25lookback_scan_determinismE0ELb0ELb0ES3_PKfPffZZZN2at6native31launch_logcumsumexp_cuda_kernelERKNSB_10TensorBaseESF_lENKUlvE_clEvENKUlvE0_clEvEUlffE_fEEDaPvRmT3_T4_T5_mT6_P12ihipStream_tbENKUlT_T0_E_clISt17integral_constantIbLb0EESV_IbLb1EEEEDaSR_SS_EUlSR_E_NS1_11comp_targetILNS1_3genE2ELNS1_11target_archE906ELNS1_3gpuE6ELNS1_3repE0EEENS1_30default_config_static_selectorELNS0_4arch9wavefront6targetE1EEEvT1_,"axG",@progbits,_ZN7rocprim17ROCPRIM_400000_NS6detail17trampoline_kernelINS0_14default_configENS1_20scan_config_selectorIfEEZZNS1_9scan_implILNS1_25lookback_scan_determinismE0ELb0ELb0ES3_PKfPffZZZN2at6native31launch_logcumsumexp_cuda_kernelERKNSB_10TensorBaseESF_lENKUlvE_clEvENKUlvE0_clEvEUlffE_fEEDaPvRmT3_T4_T5_mT6_P12ihipStream_tbENKUlT_T0_E_clISt17integral_constantIbLb0EESV_IbLb1EEEEDaSR_SS_EUlSR_E_NS1_11comp_targetILNS1_3genE2ELNS1_11target_archE906ELNS1_3gpuE6ELNS1_3repE0EEENS1_30default_config_static_selectorELNS0_4arch9wavefront6targetE1EEEvT1_,comdat
	.globl	_ZN7rocprim17ROCPRIM_400000_NS6detail17trampoline_kernelINS0_14default_configENS1_20scan_config_selectorIfEEZZNS1_9scan_implILNS1_25lookback_scan_determinismE0ELb0ELb0ES3_PKfPffZZZN2at6native31launch_logcumsumexp_cuda_kernelERKNSB_10TensorBaseESF_lENKUlvE_clEvENKUlvE0_clEvEUlffE_fEEDaPvRmT3_T4_T5_mT6_P12ihipStream_tbENKUlT_T0_E_clISt17integral_constantIbLb0EESV_IbLb1EEEEDaSR_SS_EUlSR_E_NS1_11comp_targetILNS1_3genE2ELNS1_11target_archE906ELNS1_3gpuE6ELNS1_3repE0EEENS1_30default_config_static_selectorELNS0_4arch9wavefront6targetE1EEEvT1_ ; -- Begin function _ZN7rocprim17ROCPRIM_400000_NS6detail17trampoline_kernelINS0_14default_configENS1_20scan_config_selectorIfEEZZNS1_9scan_implILNS1_25lookback_scan_determinismE0ELb0ELb0ES3_PKfPffZZZN2at6native31launch_logcumsumexp_cuda_kernelERKNSB_10TensorBaseESF_lENKUlvE_clEvENKUlvE0_clEvEUlffE_fEEDaPvRmT3_T4_T5_mT6_P12ihipStream_tbENKUlT_T0_E_clISt17integral_constantIbLb0EESV_IbLb1EEEEDaSR_SS_EUlSR_E_NS1_11comp_targetILNS1_3genE2ELNS1_11target_archE906ELNS1_3gpuE6ELNS1_3repE0EEENS1_30default_config_static_selectorELNS0_4arch9wavefront6targetE1EEEvT1_
	.p2align	8
	.type	_ZN7rocprim17ROCPRIM_400000_NS6detail17trampoline_kernelINS0_14default_configENS1_20scan_config_selectorIfEEZZNS1_9scan_implILNS1_25lookback_scan_determinismE0ELb0ELb0ES3_PKfPffZZZN2at6native31launch_logcumsumexp_cuda_kernelERKNSB_10TensorBaseESF_lENKUlvE_clEvENKUlvE0_clEvEUlffE_fEEDaPvRmT3_T4_T5_mT6_P12ihipStream_tbENKUlT_T0_E_clISt17integral_constantIbLb0EESV_IbLb1EEEEDaSR_SS_EUlSR_E_NS1_11comp_targetILNS1_3genE2ELNS1_11target_archE906ELNS1_3gpuE6ELNS1_3repE0EEENS1_30default_config_static_selectorELNS0_4arch9wavefront6targetE1EEEvT1_,@function
_ZN7rocprim17ROCPRIM_400000_NS6detail17trampoline_kernelINS0_14default_configENS1_20scan_config_selectorIfEEZZNS1_9scan_implILNS1_25lookback_scan_determinismE0ELb0ELb0ES3_PKfPffZZZN2at6native31launch_logcumsumexp_cuda_kernelERKNSB_10TensorBaseESF_lENKUlvE_clEvENKUlvE0_clEvEUlffE_fEEDaPvRmT3_T4_T5_mT6_P12ihipStream_tbENKUlT_T0_E_clISt17integral_constantIbLb0EESV_IbLb1EEEEDaSR_SS_EUlSR_E_NS1_11comp_targetILNS1_3genE2ELNS1_11target_archE906ELNS1_3gpuE6ELNS1_3repE0EEENS1_30default_config_static_selectorELNS0_4arch9wavefront6targetE1EEEvT1_: ; @_ZN7rocprim17ROCPRIM_400000_NS6detail17trampoline_kernelINS0_14default_configENS1_20scan_config_selectorIfEEZZNS1_9scan_implILNS1_25lookback_scan_determinismE0ELb0ELb0ES3_PKfPffZZZN2at6native31launch_logcumsumexp_cuda_kernelERKNSB_10TensorBaseESF_lENKUlvE_clEvENKUlvE0_clEvEUlffE_fEEDaPvRmT3_T4_T5_mT6_P12ihipStream_tbENKUlT_T0_E_clISt17integral_constantIbLb0EESV_IbLb1EEEEDaSR_SS_EUlSR_E_NS1_11comp_targetILNS1_3genE2ELNS1_11target_archE906ELNS1_3gpuE6ELNS1_3repE0EEENS1_30default_config_static_selectorELNS0_4arch9wavefront6targetE1EEEvT1_
; %bb.0:
	s_load_dwordx2 s[42:43], s[4:5], 0x28
	v_cmp_ne_u32_e64 s[2:3], 0, v0
	v_cmp_eq_u32_e64 s[40:41], 0, v0
	s_and_saveexec_b64 s[0:1], s[40:41]
	s_cbranch_execz .LBB157_4
; %bb.1:
	s_mov_b64 s[8:9], exec
	v_mbcnt_lo_u32_b32 v1, s8, 0
	v_mbcnt_hi_u32_b32 v1, s9, v1
	v_cmp_eq_u32_e32 vcc, 0, v1
                                        ; implicit-def: $vgpr2
	s_and_saveexec_b64 s[6:7], vcc
	s_cbranch_execz .LBB157_3
; %bb.2:
	s_load_dwordx2 s[10:11], s[4:5], 0x58
	s_bcnt1_i32_b64 s8, s[8:9]
	v_mov_b32_e32 v2, 0
	v_mov_b32_e32 v3, s8
	s_waitcnt lgkmcnt(0)
	global_atomic_add v2, v2, v3, s[10:11] glc
.LBB157_3:
	s_or_b64 exec, exec, s[6:7]
	s_waitcnt vmcnt(0)
	v_readfirstlane_b32 s6, v2
	v_add_u32_e32 v1, s6, v1
	v_mov_b32_e32 v2, 0
	ds_write_b32 v2, v1
.LBB157_4:
	s_or_b64 exec, exec, s[0:1]
	s_load_dwordx8 s[52:59], s[4:5], 0x0
	s_load_dword s0, s[4:5], 0x30
	s_load_dwordx8 s[44:51], s[4:5], 0x38
	v_mov_b32_e32 v1, 0
	s_waitcnt lgkmcnt(0)
	s_barrier
	ds_read_b32 v1, v1
	s_lshl_b64 s[54:55], s[54:55], 2
	s_add_u32 s6, s52, s54
	s_addc_u32 s7, s53, s55
	s_add_i32 s0, s0, -1
	s_waitcnt lgkmcnt(0)
	v_readfirstlane_b32 s63, v1
	s_mul_i32 s1, s0, 0xf00
	s_mul_i32 s4, s63, 0xf00
	s_mov_b32 s5, 0
	s_sub_u32 s33, s58, s1
	s_subb_u32 s62, s59, 0
	s_lshl_b64 s[52:53], s[4:5], 2
	v_cmp_ne_u32_e64 s[0:1], s0, v1
	s_add_u32 s6, s6, s52
	s_addc_u32 s7, s7, s53
	s_mov_b64 s[4:5], -1
	s_and_b64 vcc, exec, s[0:1]
	v_lshlrev_b32_e32 v31, 2, v0
	s_barrier
	s_cbranch_vccz .LBB157_6
; %bb.5:
	v_mov_b32_e32 v1, s7
	v_add_co_u32_e32 v5, vcc, s6, v31
	v_addc_co_u32_e32 v6, vcc, 0, v1, vcc
	v_add_co_u32_e32 v1, vcc, 0x1000, v5
	v_addc_co_u32_e32 v2, vcc, 0, v6, vcc
	;; [unrolled: 2-line block ×3, first 2 shown]
	global_load_dword v7, v31, s[6:7]
	global_load_dword v8, v31, s[6:7] offset:1024
	global_load_dword v9, v31, s[6:7] offset:2048
	;; [unrolled: 1-line block ×3, first 2 shown]
	global_load_dword v11, v[1:2], off
	global_load_dword v12, v[1:2], off offset:1024
	global_load_dword v13, v[1:2], off offset:2048
	;; [unrolled: 1-line block ×3, first 2 shown]
	global_load_dword v15, v[3:4], off
	global_load_dword v16, v[3:4], off offset:1024
	global_load_dword v17, v[3:4], off offset:2048
	;; [unrolled: 1-line block ×3, first 2 shown]
	v_add_co_u32_e32 v1, vcc, 0x3000, v5
	v_addc_co_u32_e32 v2, vcc, 0, v6, vcc
	global_load_dword v3, v[1:2], off
	global_load_dword v4, v[1:2], off offset:1024
	global_load_dword v5, v[1:2], off offset:2048
	s_mov_b64 s[4:5], 0
	s_waitcnt vmcnt(13)
	ds_write2st64_b32 v31, v7, v8 offset1:4
	s_waitcnt vmcnt(11)
	ds_write2st64_b32 v31, v9, v10 offset0:8 offset1:12
	s_waitcnt vmcnt(9)
	ds_write2st64_b32 v31, v11, v12 offset0:16 offset1:20
	;; [unrolled: 2-line block ×6, first 2 shown]
	s_waitcnt vmcnt(0)
	ds_write_b32 v31, v5 offset:14336
	s_waitcnt lgkmcnt(0)
	s_barrier
.LBB157_6:
	s_andn2_b64 vcc, exec, s[4:5]
	v_cmp_gt_u32_e64 s[4:5], s33, v0
	s_cbranch_vccnz .LBB157_38
; %bb.7:
	v_mov_b32_e32 v1, 0
	global_load_dword v1, v1, s[6:7]
	s_waitcnt vmcnt(0)
	v_mov_b32_e32 v2, v1
	v_mov_b32_e32 v3, v1
	;; [unrolled: 1-line block ×29, first 2 shown]
	s_and_saveexec_b64 s[8:9], s[4:5]
	s_cbranch_execz .LBB157_9
; %bb.8:
	global_load_dword v18, v31, s[6:7]
	v_mov_b32_e32 v2, v1
	v_mov_b32_e32 v3, v1
	;; [unrolled: 1-line block ×29, first 2 shown]
	s_waitcnt vmcnt(0)
	v_mov_b32_e32 v1, v18
.LBB157_9:
	s_or_b64 exec, exec, s[8:9]
	v_or_b32_e32 v2, 0x100, v0
	v_cmp_gt_u32_e32 vcc, s33, v2
	s_and_saveexec_b64 s[4:5], vcc
	s_cbranch_execz .LBB157_11
; %bb.10:
	global_load_dword v3, v31, s[6:7] offset:1024
.LBB157_11:
	s_or_b64 exec, exec, s[4:5]
	v_or_b32_e32 v2, 0x200, v0
	v_cmp_gt_u32_e32 vcc, s33, v2
	s_and_saveexec_b64 s[4:5], vcc
	s_cbranch_execz .LBB157_13
; %bb.12:
	global_load_dword v4, v31, s[6:7] offset:2048
.LBB157_13:
	;; [unrolled: 8-line block ×3, first 2 shown]
	s_or_b64 exec, exec, s[4:5]
	v_or_b32_e32 v2, 0x400, v0
	v_cmp_gt_u32_e32 vcc, s33, v2
	s_and_saveexec_b64 s[4:5], vcc
	s_cbranch_execz .LBB157_17
; %bb.16:
	v_lshlrev_b32_e32 v2, 2, v2
	global_load_dword v6, v2, s[6:7]
.LBB157_17:
	s_or_b64 exec, exec, s[4:5]
	v_or_b32_e32 v2, 0x500, v0
	v_cmp_gt_u32_e32 vcc, s33, v2
	s_and_saveexec_b64 s[4:5], vcc
	s_cbranch_execz .LBB157_19
; %bb.18:
	v_lshlrev_b32_e32 v2, 2, v2
	global_load_dword v7, v2, s[6:7]
.LBB157_19:
	;; [unrolled: 9-line block ×11, first 2 shown]
	s_or_b64 exec, exec, s[4:5]
	s_waitcnt vmcnt(0)
	ds_write2st64_b32 v31, v1, v3 offset1:4
	ds_write2st64_b32 v31, v4, v5 offset0:8 offset1:12
	ds_write2st64_b32 v31, v6, v7 offset0:16 offset1:20
	;; [unrolled: 1-line block ×6, first 2 shown]
	ds_write_b32 v31, v16 offset:14336
	s_waitcnt lgkmcnt(0)
	s_barrier
.LBB157_38:
	v_mul_u32_u24_e32 v32, 60, v0
	ds_read2_b32 v[1:2], v32 offset1:1
	ds_read2_b32 v[29:30], v32 offset0:2 offset1:3
	ds_read2_b32 v[27:28], v32 offset0:4 offset1:5
	;; [unrolled: 1-line block ×6, first 2 shown]
	ds_read_b32 v33, v32 offset:56
	s_cmp_lg_u32 s63, 0
	s_waitcnt lgkmcnt(7)
	v_cmp_u_f32_e64 s[6:7], v2, v2
	v_max_f32_e32 v34, v2, v2
	s_waitcnt lgkmcnt(0)
	s_barrier
	s_cbranch_scc0 .LBB157_172
; %bb.39:
	v_max_f32_e32 v41, v1, v1
	v_min_f32_e32 v3, v41, v34
	v_cmp_u_f32_e64 s[36:37], v1, v1
	v_cndmask_b32_e64 v3, v3, v1, s[36:37]
	v_cndmask_b32_e64 v5, v3, v2, s[6:7]
	v_max_f32_e32 v3, v41, v34
	v_cndmask_b32_e64 v3, v3, v1, s[36:37]
	v_cndmask_b32_e64 v4, v3, v2, s[6:7]
	s_movk_i32 s10, 0x1f8
	v_cmp_neq_f32_e32 vcc, v5, v4
	v_cmp_class_f32_e64 s[4:5], v5, s10
	s_or_b64 s[8:9], vcc, s[4:5]
	v_mov_b32_e32 v3, v1
	s_and_saveexec_b64 s[4:5], s[8:9]
	s_cbranch_execz .LBB157_41
; %bb.40:
	v_sub_f32_e32 v3, v5, v4
	s_mov_b32 s8, 0x3fb8aa3b
	v_mul_f32_e32 v5, 0x3fb8aa3b, v3
	v_fma_f32 v6, v3, s8, -v5
	v_rndne_f32_e32 v7, v5
	v_fmac_f32_e32 v6, 0x32a5705f, v3
	v_sub_f32_e32 v5, v5, v7
	v_add_f32_e32 v5, v5, v6
	v_exp_f32_e32 v5, v5
	v_cvt_i32_f32_e32 v6, v7
	s_mov_b32 s8, 0xc2ce8ed0
	v_cmp_ngt_f32_e32 vcc, s8, v3
	s_mov_b32 s8, 0x42b17218
	v_ldexp_f32 v5, v5, v6
	v_cndmask_b32_e32 v5, 0, v5, vcc
	v_mov_b32_e32 v7, 0x7f800000
	v_cmp_nlt_f32_e32 vcc, s8, v3
	v_cndmask_b32_e32 v3, v7, v5, vcc
	v_add_f32_e32 v8, 1.0, v3
	v_cvt_f64_f32_e32 v[5:6], v8
	v_add_f32_e32 v9, -1.0, v8
	v_sub_f32_e32 v10, v9, v8
	v_sub_f32_e32 v9, v3, v9
	v_frexp_exp_i32_f64_e32 v5, v[5:6]
	v_add_f32_e32 v6, 1.0, v10
	v_add_f32_e32 v6, v9, v6
	v_frexp_mant_f32_e32 v9, v8
	s_mov_b32 s9, 0x3f2aaaab
	v_cmp_gt_f32_e32 vcc, s9, v9
	s_mov_b32 s9, 0x3f317218
	s_mov_b32 s8, 0x7f800000
	v_subbrev_co_u32_e32 v5, vcc, 0, v5, vcc
	v_sub_u32_e32 v9, 0, v5
	v_ldexp_f32 v8, v8, v9
	v_ldexp_f32 v6, v6, v9
	v_add_f32_e32 v9, -1.0, v8
	v_add_f32_e32 v12, 1.0, v8
	v_add_f32_e32 v10, 1.0, v9
	v_add_f32_e32 v13, -1.0, v12
	v_sub_f32_e32 v10, v8, v10
	v_sub_f32_e32 v8, v8, v13
	v_add_f32_e32 v10, v6, v10
	v_add_f32_e32 v6, v6, v8
	;; [unrolled: 1-line block ×3, first 2 shown]
	v_rcp_f32_e32 v13, v8
	v_add_f32_e32 v11, v9, v10
	v_sub_f32_e32 v9, v9, v11
	v_add_f32_e32 v9, v10, v9
	v_sub_f32_e32 v10, v12, v8
	v_add_f32_e32 v6, v6, v10
	v_mul_f32_e32 v10, v11, v13
	v_mul_f32_e32 v12, v8, v10
	v_fma_f32 v14, v10, v8, -v12
	v_fmac_f32_e32 v14, v10, v6
	v_add_f32_e32 v15, v12, v14
	v_sub_f32_e32 v16, v11, v15
	v_sub_f32_e32 v11, v11, v16
	;; [unrolled: 1-line block ×4, first 2 shown]
	v_add_f32_e32 v9, v9, v11
	v_sub_f32_e32 v11, v12, v14
	v_add_f32_e32 v9, v11, v9
	v_add_f32_e32 v11, v16, v9
	v_mul_f32_e32 v12, v13, v11
	v_mul_f32_e32 v14, v8, v12
	v_fma_f32 v8, v12, v8, -v14
	v_fmac_f32_e32 v8, v12, v6
	v_sub_f32_e32 v6, v16, v11
	v_add_f32_e32 v6, v9, v6
	v_add_f32_e32 v9, v14, v8
	v_sub_f32_e32 v15, v11, v9
	v_sub_f32_e32 v11, v11, v15
	;; [unrolled: 1-line block ×4, first 2 shown]
	v_add_f32_e32 v6, v6, v9
	v_sub_f32_e32 v8, v14, v8
	v_add_f32_e32 v6, v8, v6
	v_add_f32_e32 v8, v10, v12
	;; [unrolled: 1-line block ×3, first 2 shown]
	v_sub_f32_e32 v9, v8, v10
	v_mul_f32_e32 v6, v13, v6
	v_sub_f32_e32 v9, v12, v9
	v_add_f32_e32 v6, v9, v6
	v_cvt_f32_i32_e32 v5, v5
	v_add_f32_e32 v9, v8, v6
	v_mul_f32_e32 v10, v9, v9
	v_mov_b32_e32 v11, 0x3ecc95a3
	v_fmac_f32_e32 v11, 0x3e9b6dac, v10
	v_mov_b32_e32 v12, 0x3f2aaada
	v_fmac_f32_e32 v12, v10, v11
	v_mul_f32_e32 v11, 0x3f317218, v5
	v_fma_f32 v13, v5, s9, -v11
	v_fmac_f32_e32 v13, 0xb102e308, v5
	v_sub_f32_e32 v5, v9, v8
	v_sub_f32_e32 v5, v6, v5
	v_add_f32_e32 v6, v11, v13
	v_sub_f32_e32 v8, v6, v11
	v_ldexp_f32 v11, v9, 1
	v_mul_f32_e32 v9, v9, v10
	v_mul_f32_e32 v9, v9, v12
	v_add_f32_e32 v10, v11, v9
	v_sub_f32_e32 v11, v10, v11
	v_ldexp_f32 v5, v5, 1
	v_sub_f32_e32 v9, v9, v11
	v_add_f32_e32 v5, v5, v9
	v_add_f32_e32 v9, v10, v5
	v_sub_f32_e32 v10, v9, v10
	v_sub_f32_e32 v5, v5, v10
	v_add_f32_e32 v10, v6, v9
	v_sub_f32_e32 v11, v10, v6
	v_sub_f32_e32 v12, v10, v11
	;; [unrolled: 1-line block ×5, first 2 shown]
	v_add_f32_e32 v6, v9, v6
	v_add_f32_e32 v9, v8, v5
	v_sub_f32_e32 v11, v9, v8
	v_sub_f32_e32 v12, v9, v11
	;; [unrolled: 1-line block ×4, first 2 shown]
	v_add_f32_e32 v6, v9, v6
	v_add_f32_e32 v5, v5, v8
	;; [unrolled: 1-line block ×3, first 2 shown]
	v_sub_f32_e32 v9, v8, v10
	v_sub_f32_e32 v6, v6, v9
	v_add_f32_e32 v5, v5, v6
	v_add_f32_e32 v5, v8, v5
	v_cmp_neq_f32_e32 vcc, s8, v3
	s_mov_b32 s8, 0x33800000
	v_cndmask_b32_e32 v5, v7, v5, vcc
	v_cmp_lt_f32_e64 vcc, |v3|, s8
	v_cndmask_b32_e32 v3, v5, v3, vcc
	v_add_f32_e32 v3, v4, v3
.LBB157_41:
	s_or_b64 exec, exec, s[4:5]
	v_max_f32_e32 v12, v29, v29
	v_max_f32_e32 v4, v3, v3
	v_min_f32_e32 v5, v4, v12
	v_cmp_u_f32_e32 vcc, v3, v3
	v_max_f32_e32 v4, v4, v12
	v_cndmask_b32_e32 v5, v5, v3, vcc
	v_cmp_u_f32_e64 s[8:9], v29, v29
	v_cndmask_b32_e32 v4, v4, v3, vcc
	v_cndmask_b32_e64 v5, v5, v29, s[8:9]
	v_cndmask_b32_e64 v4, v4, v29, s[8:9]
	v_cmp_neq_f32_e32 vcc, v5, v4
	v_cmp_class_f32_e64 s[4:5], v5, s10
	s_or_b64 s[10:11], vcc, s[4:5]
	s_and_saveexec_b64 s[4:5], s[10:11]
	s_cbranch_execz .LBB157_43
; %bb.42:
	v_sub_f32_e32 v3, v5, v4
	s_mov_b32 s10, 0x3fb8aa3b
	v_mul_f32_e32 v5, 0x3fb8aa3b, v3
	v_fma_f32 v6, v3, s10, -v5
	v_rndne_f32_e32 v7, v5
	v_fmac_f32_e32 v6, 0x32a5705f, v3
	v_sub_f32_e32 v5, v5, v7
	v_add_f32_e32 v5, v5, v6
	v_exp_f32_e32 v5, v5
	v_cvt_i32_f32_e32 v6, v7
	s_mov_b32 s10, 0xc2ce8ed0
	v_cmp_ngt_f32_e32 vcc, s10, v3
	s_mov_b32 s10, 0x42b17218
	v_ldexp_f32 v5, v5, v6
	v_cndmask_b32_e32 v5, 0, v5, vcc
	v_mov_b32_e32 v7, 0x7f800000
	v_cmp_nlt_f32_e32 vcc, s10, v3
	v_cndmask_b32_e32 v3, v7, v5, vcc
	v_add_f32_e32 v8, 1.0, v3
	v_cvt_f64_f32_e32 v[5:6], v8
	v_add_f32_e32 v9, -1.0, v8
	v_sub_f32_e32 v10, v9, v8
	v_sub_f32_e32 v9, v3, v9
	v_frexp_exp_i32_f64_e32 v5, v[5:6]
	v_add_f32_e32 v6, 1.0, v10
	v_add_f32_e32 v6, v9, v6
	v_frexp_mant_f32_e32 v9, v8
	s_mov_b32 s11, 0x3f2aaaab
	v_cmp_gt_f32_e32 vcc, s11, v9
	s_mov_b32 s11, 0x3f317218
	s_mov_b32 s10, 0x7f800000
	v_subbrev_co_u32_e32 v5, vcc, 0, v5, vcc
	v_sub_u32_e32 v9, 0, v5
	v_ldexp_f32 v8, v8, v9
	v_ldexp_f32 v6, v6, v9
	v_add_f32_e32 v9, -1.0, v8
	v_add_f32_e32 v13, 1.0, v8
	v_add_f32_e32 v10, 1.0, v9
	v_add_f32_e32 v14, -1.0, v13
	v_sub_f32_e32 v10, v8, v10
	v_sub_f32_e32 v8, v8, v14
	v_add_f32_e32 v10, v6, v10
	v_add_f32_e32 v6, v6, v8
	;; [unrolled: 1-line block ×3, first 2 shown]
	v_rcp_f32_e32 v14, v8
	v_add_f32_e32 v11, v9, v10
	v_sub_f32_e32 v9, v9, v11
	v_add_f32_e32 v9, v10, v9
	v_sub_f32_e32 v10, v13, v8
	v_add_f32_e32 v6, v6, v10
	v_mul_f32_e32 v10, v11, v14
	v_mul_f32_e32 v13, v8, v10
	v_fma_f32 v15, v10, v8, -v13
	v_fmac_f32_e32 v15, v10, v6
	v_add_f32_e32 v16, v13, v15
	v_sub_f32_e32 v17, v11, v16
	v_sub_f32_e32 v11, v11, v17
	v_sub_f32_e32 v13, v16, v13
	v_sub_f32_e32 v11, v11, v16
	v_add_f32_e32 v9, v9, v11
	v_sub_f32_e32 v11, v13, v15
	v_add_f32_e32 v9, v11, v9
	v_add_f32_e32 v11, v17, v9
	v_mul_f32_e32 v13, v14, v11
	v_mul_f32_e32 v15, v8, v13
	v_fma_f32 v8, v13, v8, -v15
	v_fmac_f32_e32 v8, v13, v6
	v_sub_f32_e32 v6, v17, v11
	v_add_f32_e32 v6, v9, v6
	v_add_f32_e32 v9, v15, v8
	v_sub_f32_e32 v16, v11, v9
	v_sub_f32_e32 v11, v11, v16
	;; [unrolled: 1-line block ×4, first 2 shown]
	v_add_f32_e32 v6, v6, v9
	v_sub_f32_e32 v8, v15, v8
	v_add_f32_e32 v6, v8, v6
	v_add_f32_e32 v8, v10, v13
	;; [unrolled: 1-line block ×3, first 2 shown]
	v_sub_f32_e32 v9, v8, v10
	v_mul_f32_e32 v6, v14, v6
	v_sub_f32_e32 v9, v13, v9
	v_add_f32_e32 v6, v9, v6
	v_cvt_f32_i32_e32 v5, v5
	v_add_f32_e32 v9, v8, v6
	v_mul_f32_e32 v10, v9, v9
	v_mov_b32_e32 v11, 0x3ecc95a3
	v_fmac_f32_e32 v11, 0x3e9b6dac, v10
	v_mov_b32_e32 v13, 0x3f2aaada
	v_fmac_f32_e32 v13, v10, v11
	v_mul_f32_e32 v11, 0x3f317218, v5
	v_fma_f32 v14, v5, s11, -v11
	v_fmac_f32_e32 v14, 0xb102e308, v5
	v_sub_f32_e32 v5, v9, v8
	v_sub_f32_e32 v5, v6, v5
	v_add_f32_e32 v6, v11, v14
	v_sub_f32_e32 v8, v6, v11
	v_ldexp_f32 v11, v9, 1
	v_mul_f32_e32 v9, v9, v10
	v_mul_f32_e32 v9, v9, v13
	v_add_f32_e32 v10, v11, v9
	v_sub_f32_e32 v11, v10, v11
	v_ldexp_f32 v5, v5, 1
	v_sub_f32_e32 v9, v9, v11
	v_add_f32_e32 v5, v5, v9
	v_add_f32_e32 v9, v10, v5
	v_sub_f32_e32 v10, v9, v10
	v_sub_f32_e32 v5, v5, v10
	v_add_f32_e32 v10, v6, v9
	v_sub_f32_e32 v11, v10, v6
	v_sub_f32_e32 v13, v10, v11
	;; [unrolled: 1-line block ×5, first 2 shown]
	v_add_f32_e32 v6, v9, v6
	v_add_f32_e32 v9, v8, v5
	v_sub_f32_e32 v11, v9, v8
	v_sub_f32_e32 v13, v9, v11
	;; [unrolled: 1-line block ×4, first 2 shown]
	v_add_f32_e32 v6, v9, v6
	v_add_f32_e32 v5, v5, v8
	;; [unrolled: 1-line block ×3, first 2 shown]
	v_sub_f32_e32 v9, v8, v10
	v_sub_f32_e32 v6, v6, v9
	v_add_f32_e32 v5, v5, v6
	v_add_f32_e32 v5, v8, v5
	v_cmp_neq_f32_e32 vcc, s10, v3
	s_mov_b32 s10, 0x33800000
	v_cndmask_b32_e32 v5, v7, v5, vcc
	v_cmp_lt_f32_e64 vcc, |v3|, s10
	v_cndmask_b32_e32 v3, v5, v3, vcc
	v_add_f32_e32 v3, v4, v3
.LBB157_43:
	s_or_b64 exec, exec, s[4:5]
	v_max_f32_e32 v13, v30, v30
	v_max_f32_e32 v4, v3, v3
	v_min_f32_e32 v5, v4, v13
	v_cmp_u_f32_e32 vcc, v3, v3
	v_max_f32_e32 v4, v4, v13
	v_cndmask_b32_e32 v5, v5, v3, vcc
	v_cmp_u_f32_e64 s[10:11], v30, v30
	v_cndmask_b32_e32 v4, v4, v3, vcc
	v_cndmask_b32_e64 v5, v5, v30, s[10:11]
	v_cndmask_b32_e64 v4, v4, v30, s[10:11]
	s_movk_i32 s14, 0x1f8
	v_cmp_neq_f32_e32 vcc, v5, v4
	v_cmp_class_f32_e64 s[4:5], v5, s14
	s_or_b64 s[12:13], vcc, s[4:5]
	s_and_saveexec_b64 s[4:5], s[12:13]
	s_cbranch_execz .LBB157_45
; %bb.44:
	v_sub_f32_e32 v3, v5, v4
	s_mov_b32 s12, 0x3fb8aa3b
	v_mul_f32_e32 v5, 0x3fb8aa3b, v3
	v_fma_f32 v6, v3, s12, -v5
	v_rndne_f32_e32 v7, v5
	v_fmac_f32_e32 v6, 0x32a5705f, v3
	v_sub_f32_e32 v5, v5, v7
	v_add_f32_e32 v5, v5, v6
	v_exp_f32_e32 v5, v5
	v_cvt_i32_f32_e32 v6, v7
	s_mov_b32 s12, 0xc2ce8ed0
	v_cmp_ngt_f32_e32 vcc, s12, v3
	s_mov_b32 s12, 0x42b17218
	v_ldexp_f32 v5, v5, v6
	v_cndmask_b32_e32 v5, 0, v5, vcc
	v_mov_b32_e32 v7, 0x7f800000
	v_cmp_nlt_f32_e32 vcc, s12, v3
	v_cndmask_b32_e32 v3, v7, v5, vcc
	v_add_f32_e32 v8, 1.0, v3
	v_cvt_f64_f32_e32 v[5:6], v8
	v_add_f32_e32 v9, -1.0, v8
	v_sub_f32_e32 v10, v9, v8
	v_sub_f32_e32 v9, v3, v9
	v_frexp_exp_i32_f64_e32 v5, v[5:6]
	v_add_f32_e32 v6, 1.0, v10
	v_add_f32_e32 v6, v9, v6
	v_frexp_mant_f32_e32 v9, v8
	s_mov_b32 s13, 0x3f2aaaab
	v_cmp_gt_f32_e32 vcc, s13, v9
	s_mov_b32 s13, 0x3f317218
	s_mov_b32 s12, 0x7f800000
	v_subbrev_co_u32_e32 v5, vcc, 0, v5, vcc
	v_sub_u32_e32 v9, 0, v5
	v_ldexp_f32 v8, v8, v9
	v_ldexp_f32 v6, v6, v9
	v_add_f32_e32 v9, -1.0, v8
	v_add_f32_e32 v14, 1.0, v8
	v_add_f32_e32 v10, 1.0, v9
	v_add_f32_e32 v15, -1.0, v14
	v_sub_f32_e32 v10, v8, v10
	v_sub_f32_e32 v8, v8, v15
	v_add_f32_e32 v10, v6, v10
	v_add_f32_e32 v6, v6, v8
	;; [unrolled: 1-line block ×3, first 2 shown]
	v_rcp_f32_e32 v15, v8
	v_add_f32_e32 v11, v9, v10
	v_sub_f32_e32 v9, v9, v11
	v_add_f32_e32 v9, v10, v9
	v_sub_f32_e32 v10, v14, v8
	v_add_f32_e32 v6, v6, v10
	v_mul_f32_e32 v10, v11, v15
	v_mul_f32_e32 v14, v8, v10
	v_fma_f32 v16, v10, v8, -v14
	v_fmac_f32_e32 v16, v10, v6
	v_add_f32_e32 v17, v14, v16
	v_sub_f32_e32 v18, v11, v17
	v_sub_f32_e32 v11, v11, v18
	;; [unrolled: 1-line block ×4, first 2 shown]
	v_add_f32_e32 v9, v9, v11
	v_sub_f32_e32 v11, v14, v16
	v_add_f32_e32 v9, v11, v9
	v_add_f32_e32 v11, v18, v9
	v_mul_f32_e32 v14, v15, v11
	v_mul_f32_e32 v16, v8, v14
	v_fma_f32 v8, v14, v8, -v16
	v_fmac_f32_e32 v8, v14, v6
	v_sub_f32_e32 v6, v18, v11
	v_add_f32_e32 v6, v9, v6
	v_add_f32_e32 v9, v16, v8
	v_sub_f32_e32 v17, v11, v9
	v_sub_f32_e32 v11, v11, v17
	;; [unrolled: 1-line block ×4, first 2 shown]
	v_add_f32_e32 v6, v6, v9
	v_sub_f32_e32 v8, v16, v8
	v_add_f32_e32 v6, v8, v6
	v_add_f32_e32 v8, v10, v14
	;; [unrolled: 1-line block ×3, first 2 shown]
	v_sub_f32_e32 v9, v8, v10
	v_mul_f32_e32 v6, v15, v6
	v_sub_f32_e32 v9, v14, v9
	v_add_f32_e32 v6, v9, v6
	v_cvt_f32_i32_e32 v5, v5
	v_add_f32_e32 v9, v8, v6
	v_mul_f32_e32 v10, v9, v9
	v_mov_b32_e32 v11, 0x3ecc95a3
	v_fmac_f32_e32 v11, 0x3e9b6dac, v10
	v_mov_b32_e32 v14, 0x3f2aaada
	v_fmac_f32_e32 v14, v10, v11
	v_mul_f32_e32 v11, 0x3f317218, v5
	v_fma_f32 v15, v5, s13, -v11
	v_fmac_f32_e32 v15, 0xb102e308, v5
	v_sub_f32_e32 v5, v9, v8
	v_sub_f32_e32 v5, v6, v5
	v_add_f32_e32 v6, v11, v15
	v_sub_f32_e32 v8, v6, v11
	v_ldexp_f32 v11, v9, 1
	v_mul_f32_e32 v9, v9, v10
	v_mul_f32_e32 v9, v9, v14
	v_add_f32_e32 v10, v11, v9
	v_sub_f32_e32 v11, v10, v11
	v_ldexp_f32 v5, v5, 1
	v_sub_f32_e32 v9, v9, v11
	v_add_f32_e32 v5, v5, v9
	v_add_f32_e32 v9, v10, v5
	v_sub_f32_e32 v10, v9, v10
	v_sub_f32_e32 v5, v5, v10
	v_add_f32_e32 v10, v6, v9
	v_sub_f32_e32 v11, v10, v6
	v_sub_f32_e32 v14, v10, v11
	v_sub_f32_e32 v8, v15, v8
	v_sub_f32_e32 v6, v6, v14
	v_sub_f32_e32 v9, v9, v11
	v_add_f32_e32 v6, v9, v6
	v_add_f32_e32 v9, v8, v5
	v_sub_f32_e32 v11, v9, v8
	v_sub_f32_e32 v14, v9, v11
	;; [unrolled: 1-line block ×4, first 2 shown]
	v_add_f32_e32 v6, v9, v6
	v_add_f32_e32 v5, v5, v8
	;; [unrolled: 1-line block ×3, first 2 shown]
	v_sub_f32_e32 v9, v8, v10
	v_sub_f32_e32 v6, v6, v9
	v_add_f32_e32 v5, v5, v6
	v_add_f32_e32 v5, v8, v5
	v_cmp_neq_f32_e32 vcc, s12, v3
	s_mov_b32 s12, 0x33800000
	v_cndmask_b32_e32 v5, v7, v5, vcc
	v_cmp_lt_f32_e64 vcc, |v3|, s12
	v_cndmask_b32_e32 v3, v5, v3, vcc
	v_add_f32_e32 v3, v4, v3
.LBB157_45:
	s_or_b64 exec, exec, s[4:5]
	v_max_f32_e32 v14, v27, v27
	v_max_f32_e32 v4, v3, v3
	v_min_f32_e32 v5, v4, v14
	v_cmp_u_f32_e32 vcc, v3, v3
	v_max_f32_e32 v4, v4, v14
	v_cndmask_b32_e32 v5, v5, v3, vcc
	v_cmp_u_f32_e64 s[12:13], v27, v27
	v_cndmask_b32_e32 v4, v4, v3, vcc
	v_cndmask_b32_e64 v5, v5, v27, s[12:13]
	v_cndmask_b32_e64 v4, v4, v27, s[12:13]
	v_cmp_neq_f32_e32 vcc, v5, v4
	v_cmp_class_f32_e64 s[4:5], v5, s14
	s_or_b64 s[14:15], vcc, s[4:5]
	s_and_saveexec_b64 s[4:5], s[14:15]
	s_cbranch_execz .LBB157_47
; %bb.46:
	v_sub_f32_e32 v3, v5, v4
	s_mov_b32 s14, 0x3fb8aa3b
	v_mul_f32_e32 v5, 0x3fb8aa3b, v3
	v_fma_f32 v6, v3, s14, -v5
	v_rndne_f32_e32 v7, v5
	v_fmac_f32_e32 v6, 0x32a5705f, v3
	v_sub_f32_e32 v5, v5, v7
	v_add_f32_e32 v5, v5, v6
	v_exp_f32_e32 v5, v5
	v_cvt_i32_f32_e32 v6, v7
	s_mov_b32 s14, 0xc2ce8ed0
	v_cmp_ngt_f32_e32 vcc, s14, v3
	s_mov_b32 s14, 0x42b17218
	v_ldexp_f32 v5, v5, v6
	v_cndmask_b32_e32 v5, 0, v5, vcc
	v_mov_b32_e32 v7, 0x7f800000
	v_cmp_nlt_f32_e32 vcc, s14, v3
	v_cndmask_b32_e32 v3, v7, v5, vcc
	v_add_f32_e32 v8, 1.0, v3
	v_cvt_f64_f32_e32 v[5:6], v8
	v_add_f32_e32 v9, -1.0, v8
	v_sub_f32_e32 v10, v9, v8
	v_sub_f32_e32 v9, v3, v9
	v_frexp_exp_i32_f64_e32 v5, v[5:6]
	v_add_f32_e32 v6, 1.0, v10
	v_add_f32_e32 v6, v9, v6
	v_frexp_mant_f32_e32 v9, v8
	s_mov_b32 s15, 0x3f2aaaab
	v_cmp_gt_f32_e32 vcc, s15, v9
	s_mov_b32 s15, 0x3f317218
	s_mov_b32 s14, 0x7f800000
	v_subbrev_co_u32_e32 v5, vcc, 0, v5, vcc
	v_sub_u32_e32 v9, 0, v5
	v_ldexp_f32 v8, v8, v9
	v_ldexp_f32 v6, v6, v9
	v_add_f32_e32 v9, -1.0, v8
	v_add_f32_e32 v15, 1.0, v8
	v_add_f32_e32 v10, 1.0, v9
	v_add_f32_e32 v16, -1.0, v15
	v_sub_f32_e32 v10, v8, v10
	v_sub_f32_e32 v8, v8, v16
	v_add_f32_e32 v10, v6, v10
	v_add_f32_e32 v6, v6, v8
	;; [unrolled: 1-line block ×3, first 2 shown]
	v_rcp_f32_e32 v16, v8
	v_add_f32_e32 v11, v9, v10
	v_sub_f32_e32 v9, v9, v11
	v_add_f32_e32 v9, v10, v9
	v_sub_f32_e32 v10, v15, v8
	v_add_f32_e32 v6, v6, v10
	v_mul_f32_e32 v10, v11, v16
	v_mul_f32_e32 v15, v8, v10
	v_fma_f32 v17, v10, v8, -v15
	v_fmac_f32_e32 v17, v10, v6
	v_add_f32_e32 v18, v15, v17
	v_sub_f32_e32 v35, v11, v18
	v_sub_f32_e32 v11, v11, v35
	v_sub_f32_e32 v15, v18, v15
	v_sub_f32_e32 v11, v11, v18
	v_add_f32_e32 v9, v9, v11
	v_sub_f32_e32 v11, v15, v17
	v_add_f32_e32 v9, v11, v9
	v_add_f32_e32 v11, v35, v9
	v_mul_f32_e32 v15, v16, v11
	v_mul_f32_e32 v17, v8, v15
	v_fma_f32 v8, v15, v8, -v17
	v_fmac_f32_e32 v8, v15, v6
	v_sub_f32_e32 v6, v35, v11
	v_add_f32_e32 v6, v9, v6
	v_add_f32_e32 v9, v17, v8
	v_sub_f32_e32 v18, v11, v9
	v_sub_f32_e32 v11, v11, v18
	;; [unrolled: 1-line block ×4, first 2 shown]
	v_add_f32_e32 v6, v6, v9
	v_sub_f32_e32 v8, v17, v8
	v_add_f32_e32 v6, v8, v6
	v_add_f32_e32 v8, v10, v15
	;; [unrolled: 1-line block ×3, first 2 shown]
	v_sub_f32_e32 v9, v8, v10
	v_mul_f32_e32 v6, v16, v6
	v_sub_f32_e32 v9, v15, v9
	v_add_f32_e32 v6, v9, v6
	v_cvt_f32_i32_e32 v5, v5
	v_add_f32_e32 v9, v8, v6
	v_mul_f32_e32 v10, v9, v9
	v_mov_b32_e32 v11, 0x3ecc95a3
	v_fmac_f32_e32 v11, 0x3e9b6dac, v10
	v_mov_b32_e32 v15, 0x3f2aaada
	v_fmac_f32_e32 v15, v10, v11
	v_mul_f32_e32 v11, 0x3f317218, v5
	v_fma_f32 v16, v5, s15, -v11
	v_fmac_f32_e32 v16, 0xb102e308, v5
	v_sub_f32_e32 v5, v9, v8
	v_sub_f32_e32 v5, v6, v5
	v_add_f32_e32 v6, v11, v16
	v_sub_f32_e32 v8, v6, v11
	v_ldexp_f32 v11, v9, 1
	v_mul_f32_e32 v9, v9, v10
	v_mul_f32_e32 v9, v9, v15
	v_add_f32_e32 v10, v11, v9
	v_sub_f32_e32 v11, v10, v11
	v_ldexp_f32 v5, v5, 1
	v_sub_f32_e32 v9, v9, v11
	v_add_f32_e32 v5, v5, v9
	v_add_f32_e32 v9, v10, v5
	v_sub_f32_e32 v10, v9, v10
	v_sub_f32_e32 v5, v5, v10
	v_add_f32_e32 v10, v6, v9
	v_sub_f32_e32 v11, v10, v6
	v_sub_f32_e32 v15, v10, v11
	;; [unrolled: 1-line block ×5, first 2 shown]
	v_add_f32_e32 v6, v9, v6
	v_add_f32_e32 v9, v8, v5
	v_sub_f32_e32 v11, v9, v8
	v_sub_f32_e32 v15, v9, v11
	;; [unrolled: 1-line block ×4, first 2 shown]
	v_add_f32_e32 v6, v9, v6
	v_add_f32_e32 v5, v5, v8
	;; [unrolled: 1-line block ×3, first 2 shown]
	v_sub_f32_e32 v9, v8, v10
	v_sub_f32_e32 v6, v6, v9
	v_add_f32_e32 v5, v5, v6
	v_add_f32_e32 v5, v8, v5
	v_cmp_neq_f32_e32 vcc, s14, v3
	s_mov_b32 s14, 0x33800000
	v_cndmask_b32_e32 v5, v7, v5, vcc
	v_cmp_lt_f32_e64 vcc, |v3|, s14
	v_cndmask_b32_e32 v3, v5, v3, vcc
	v_add_f32_e32 v3, v4, v3
.LBB157_47:
	s_or_b64 exec, exec, s[4:5]
	v_max_f32_e32 v15, v28, v28
	v_max_f32_e32 v4, v3, v3
	v_min_f32_e32 v5, v4, v15
	v_cmp_u_f32_e32 vcc, v3, v3
	v_max_f32_e32 v4, v4, v15
	v_cndmask_b32_e32 v5, v5, v3, vcc
	v_cmp_u_f32_e64 s[14:15], v28, v28
	v_cndmask_b32_e32 v4, v4, v3, vcc
	v_cndmask_b32_e64 v5, v5, v28, s[14:15]
	v_cndmask_b32_e64 v4, v4, v28, s[14:15]
	s_movk_i32 s18, 0x1f8
	v_cmp_neq_f32_e32 vcc, v5, v4
	v_cmp_class_f32_e64 s[4:5], v5, s18
	s_or_b64 s[16:17], vcc, s[4:5]
	s_and_saveexec_b64 s[4:5], s[16:17]
	s_cbranch_execz .LBB157_49
; %bb.48:
	v_sub_f32_e32 v3, v5, v4
	s_mov_b32 s16, 0x3fb8aa3b
	v_mul_f32_e32 v5, 0x3fb8aa3b, v3
	v_fma_f32 v6, v3, s16, -v5
	v_rndne_f32_e32 v7, v5
	v_fmac_f32_e32 v6, 0x32a5705f, v3
	v_sub_f32_e32 v5, v5, v7
	v_add_f32_e32 v5, v5, v6
	v_exp_f32_e32 v5, v5
	v_cvt_i32_f32_e32 v6, v7
	s_mov_b32 s16, 0xc2ce8ed0
	v_cmp_ngt_f32_e32 vcc, s16, v3
	s_mov_b32 s16, 0x42b17218
	v_ldexp_f32 v5, v5, v6
	v_cndmask_b32_e32 v5, 0, v5, vcc
	v_mov_b32_e32 v7, 0x7f800000
	v_cmp_nlt_f32_e32 vcc, s16, v3
	v_cndmask_b32_e32 v3, v7, v5, vcc
	v_add_f32_e32 v8, 1.0, v3
	v_cvt_f64_f32_e32 v[5:6], v8
	v_add_f32_e32 v9, -1.0, v8
	v_sub_f32_e32 v10, v9, v8
	v_sub_f32_e32 v9, v3, v9
	v_frexp_exp_i32_f64_e32 v5, v[5:6]
	v_add_f32_e32 v6, 1.0, v10
	v_add_f32_e32 v6, v9, v6
	v_frexp_mant_f32_e32 v9, v8
	s_mov_b32 s17, 0x3f2aaaab
	v_cmp_gt_f32_e32 vcc, s17, v9
	s_mov_b32 s17, 0x3f317218
	s_mov_b32 s16, 0x7f800000
	v_subbrev_co_u32_e32 v5, vcc, 0, v5, vcc
	v_sub_u32_e32 v9, 0, v5
	v_ldexp_f32 v8, v8, v9
	v_ldexp_f32 v6, v6, v9
	v_add_f32_e32 v9, -1.0, v8
	v_add_f32_e32 v16, 1.0, v8
	v_add_f32_e32 v10, 1.0, v9
	v_add_f32_e32 v17, -1.0, v16
	v_sub_f32_e32 v10, v8, v10
	v_sub_f32_e32 v8, v8, v17
	v_add_f32_e32 v10, v6, v10
	v_add_f32_e32 v6, v6, v8
	;; [unrolled: 1-line block ×3, first 2 shown]
	v_rcp_f32_e32 v17, v8
	v_add_f32_e32 v11, v9, v10
	v_sub_f32_e32 v9, v9, v11
	v_add_f32_e32 v9, v10, v9
	v_sub_f32_e32 v10, v16, v8
	v_add_f32_e32 v6, v6, v10
	v_mul_f32_e32 v10, v11, v17
	v_mul_f32_e32 v16, v8, v10
	v_fma_f32 v18, v10, v8, -v16
	v_fmac_f32_e32 v18, v10, v6
	v_add_f32_e32 v35, v16, v18
	v_sub_f32_e32 v36, v11, v35
	v_sub_f32_e32 v11, v11, v36
	;; [unrolled: 1-line block ×4, first 2 shown]
	v_add_f32_e32 v9, v9, v11
	v_sub_f32_e32 v11, v16, v18
	v_add_f32_e32 v9, v11, v9
	v_add_f32_e32 v11, v36, v9
	v_mul_f32_e32 v16, v17, v11
	v_mul_f32_e32 v18, v8, v16
	v_fma_f32 v8, v16, v8, -v18
	v_fmac_f32_e32 v8, v16, v6
	v_sub_f32_e32 v6, v36, v11
	v_add_f32_e32 v6, v9, v6
	v_add_f32_e32 v9, v18, v8
	v_sub_f32_e32 v35, v11, v9
	v_sub_f32_e32 v11, v11, v35
	;; [unrolled: 1-line block ×4, first 2 shown]
	v_add_f32_e32 v6, v6, v9
	v_sub_f32_e32 v8, v18, v8
	v_add_f32_e32 v6, v8, v6
	v_add_f32_e32 v8, v10, v16
	;; [unrolled: 1-line block ×3, first 2 shown]
	v_sub_f32_e32 v9, v8, v10
	v_mul_f32_e32 v6, v17, v6
	v_sub_f32_e32 v9, v16, v9
	v_add_f32_e32 v6, v9, v6
	v_cvt_f32_i32_e32 v5, v5
	v_add_f32_e32 v9, v8, v6
	v_mul_f32_e32 v10, v9, v9
	v_mov_b32_e32 v11, 0x3ecc95a3
	v_fmac_f32_e32 v11, 0x3e9b6dac, v10
	v_mov_b32_e32 v16, 0x3f2aaada
	v_fmac_f32_e32 v16, v10, v11
	v_mul_f32_e32 v11, 0x3f317218, v5
	v_fma_f32 v17, v5, s17, -v11
	v_fmac_f32_e32 v17, 0xb102e308, v5
	v_sub_f32_e32 v5, v9, v8
	v_sub_f32_e32 v5, v6, v5
	v_add_f32_e32 v6, v11, v17
	v_sub_f32_e32 v8, v6, v11
	v_ldexp_f32 v11, v9, 1
	v_mul_f32_e32 v9, v9, v10
	v_mul_f32_e32 v9, v9, v16
	v_add_f32_e32 v10, v11, v9
	v_sub_f32_e32 v11, v10, v11
	v_ldexp_f32 v5, v5, 1
	v_sub_f32_e32 v9, v9, v11
	v_add_f32_e32 v5, v5, v9
	v_add_f32_e32 v9, v10, v5
	v_sub_f32_e32 v10, v9, v10
	v_sub_f32_e32 v5, v5, v10
	v_add_f32_e32 v10, v6, v9
	v_sub_f32_e32 v11, v10, v6
	v_sub_f32_e32 v16, v10, v11
	;; [unrolled: 1-line block ×5, first 2 shown]
	v_add_f32_e32 v6, v9, v6
	v_add_f32_e32 v9, v8, v5
	v_sub_f32_e32 v11, v9, v8
	v_sub_f32_e32 v16, v9, v11
	;; [unrolled: 1-line block ×4, first 2 shown]
	v_add_f32_e32 v6, v9, v6
	v_add_f32_e32 v5, v5, v8
	;; [unrolled: 1-line block ×3, first 2 shown]
	v_sub_f32_e32 v9, v8, v10
	v_sub_f32_e32 v6, v6, v9
	v_add_f32_e32 v5, v5, v6
	v_add_f32_e32 v5, v8, v5
	v_cmp_neq_f32_e32 vcc, s16, v3
	s_mov_b32 s16, 0x33800000
	v_cndmask_b32_e32 v5, v7, v5, vcc
	v_cmp_lt_f32_e64 vcc, |v3|, s16
	v_cndmask_b32_e32 v3, v5, v3, vcc
	v_add_f32_e32 v3, v4, v3
.LBB157_49:
	s_or_b64 exec, exec, s[4:5]
	v_max_f32_e32 v16, v25, v25
	v_max_f32_e32 v4, v3, v3
	v_min_f32_e32 v5, v4, v16
	v_cmp_u_f32_e32 vcc, v3, v3
	v_max_f32_e32 v4, v4, v16
	v_cndmask_b32_e32 v5, v5, v3, vcc
	v_cmp_u_f32_e64 s[16:17], v25, v25
	v_cndmask_b32_e32 v4, v4, v3, vcc
	v_cndmask_b32_e64 v5, v5, v25, s[16:17]
	v_cndmask_b32_e64 v4, v4, v25, s[16:17]
	v_cmp_neq_f32_e32 vcc, v5, v4
	v_cmp_class_f32_e64 s[4:5], v5, s18
	s_or_b64 s[18:19], vcc, s[4:5]
	s_and_saveexec_b64 s[4:5], s[18:19]
	s_cbranch_execz .LBB157_51
; %bb.50:
	v_sub_f32_e32 v3, v5, v4
	s_mov_b32 s18, 0x3fb8aa3b
	v_mul_f32_e32 v5, 0x3fb8aa3b, v3
	v_fma_f32 v6, v3, s18, -v5
	v_rndne_f32_e32 v7, v5
	v_fmac_f32_e32 v6, 0x32a5705f, v3
	v_sub_f32_e32 v5, v5, v7
	v_add_f32_e32 v5, v5, v6
	v_exp_f32_e32 v5, v5
	v_cvt_i32_f32_e32 v6, v7
	s_mov_b32 s18, 0xc2ce8ed0
	v_cmp_ngt_f32_e32 vcc, s18, v3
	s_mov_b32 s18, 0x42b17218
	v_ldexp_f32 v5, v5, v6
	v_cndmask_b32_e32 v5, 0, v5, vcc
	v_mov_b32_e32 v7, 0x7f800000
	v_cmp_nlt_f32_e32 vcc, s18, v3
	v_cndmask_b32_e32 v3, v7, v5, vcc
	v_add_f32_e32 v8, 1.0, v3
	v_cvt_f64_f32_e32 v[5:6], v8
	v_add_f32_e32 v9, -1.0, v8
	v_sub_f32_e32 v10, v9, v8
	v_sub_f32_e32 v9, v3, v9
	v_frexp_exp_i32_f64_e32 v5, v[5:6]
	v_add_f32_e32 v6, 1.0, v10
	v_add_f32_e32 v6, v9, v6
	v_frexp_mant_f32_e32 v9, v8
	s_mov_b32 s19, 0x3f2aaaab
	v_cmp_gt_f32_e32 vcc, s19, v9
	s_mov_b32 s19, 0x3f317218
	s_mov_b32 s18, 0x7f800000
	v_subbrev_co_u32_e32 v5, vcc, 0, v5, vcc
	v_sub_u32_e32 v9, 0, v5
	v_ldexp_f32 v8, v8, v9
	v_ldexp_f32 v6, v6, v9
	v_add_f32_e32 v9, -1.0, v8
	v_add_f32_e32 v17, 1.0, v8
	v_add_f32_e32 v10, 1.0, v9
	v_add_f32_e32 v18, -1.0, v17
	v_sub_f32_e32 v10, v8, v10
	v_sub_f32_e32 v8, v8, v18
	v_add_f32_e32 v10, v6, v10
	v_add_f32_e32 v6, v6, v8
	;; [unrolled: 1-line block ×3, first 2 shown]
	v_rcp_f32_e32 v18, v8
	v_add_f32_e32 v11, v9, v10
	v_sub_f32_e32 v9, v9, v11
	v_add_f32_e32 v9, v10, v9
	v_sub_f32_e32 v10, v17, v8
	v_add_f32_e32 v6, v6, v10
	v_mul_f32_e32 v10, v11, v18
	v_mul_f32_e32 v17, v8, v10
	v_fma_f32 v35, v10, v8, -v17
	v_fmac_f32_e32 v35, v10, v6
	v_add_f32_e32 v36, v17, v35
	v_sub_f32_e32 v37, v11, v36
	v_sub_f32_e32 v11, v11, v37
	;; [unrolled: 1-line block ×4, first 2 shown]
	v_add_f32_e32 v9, v9, v11
	v_sub_f32_e32 v11, v17, v35
	v_add_f32_e32 v9, v11, v9
	v_add_f32_e32 v11, v37, v9
	v_mul_f32_e32 v17, v18, v11
	v_mul_f32_e32 v35, v8, v17
	v_fma_f32 v8, v17, v8, -v35
	v_fmac_f32_e32 v8, v17, v6
	v_sub_f32_e32 v6, v37, v11
	v_add_f32_e32 v6, v9, v6
	v_add_f32_e32 v9, v35, v8
	v_sub_f32_e32 v36, v11, v9
	v_sub_f32_e32 v11, v11, v36
	v_sub_f32_e32 v35, v9, v35
	v_sub_f32_e32 v9, v11, v9
	v_add_f32_e32 v6, v6, v9
	v_sub_f32_e32 v8, v35, v8
	v_add_f32_e32 v6, v8, v6
	v_add_f32_e32 v8, v10, v17
	;; [unrolled: 1-line block ×3, first 2 shown]
	v_sub_f32_e32 v9, v8, v10
	v_mul_f32_e32 v6, v18, v6
	v_sub_f32_e32 v9, v17, v9
	v_add_f32_e32 v6, v9, v6
	v_cvt_f32_i32_e32 v5, v5
	v_add_f32_e32 v9, v8, v6
	v_mul_f32_e32 v10, v9, v9
	v_mov_b32_e32 v11, 0x3ecc95a3
	v_fmac_f32_e32 v11, 0x3e9b6dac, v10
	v_mov_b32_e32 v17, 0x3f2aaada
	v_fmac_f32_e32 v17, v10, v11
	v_mul_f32_e32 v11, 0x3f317218, v5
	v_fma_f32 v18, v5, s19, -v11
	v_fmac_f32_e32 v18, 0xb102e308, v5
	v_sub_f32_e32 v5, v9, v8
	v_sub_f32_e32 v5, v6, v5
	v_add_f32_e32 v6, v11, v18
	v_sub_f32_e32 v8, v6, v11
	v_ldexp_f32 v11, v9, 1
	v_mul_f32_e32 v9, v9, v10
	v_mul_f32_e32 v9, v9, v17
	v_add_f32_e32 v10, v11, v9
	v_sub_f32_e32 v11, v10, v11
	v_ldexp_f32 v5, v5, 1
	v_sub_f32_e32 v9, v9, v11
	v_add_f32_e32 v5, v5, v9
	v_add_f32_e32 v9, v10, v5
	v_sub_f32_e32 v10, v9, v10
	v_sub_f32_e32 v5, v5, v10
	v_add_f32_e32 v10, v6, v9
	v_sub_f32_e32 v11, v10, v6
	v_sub_f32_e32 v17, v10, v11
	;; [unrolled: 1-line block ×5, first 2 shown]
	v_add_f32_e32 v6, v9, v6
	v_add_f32_e32 v9, v8, v5
	v_sub_f32_e32 v11, v9, v8
	v_sub_f32_e32 v17, v9, v11
	;; [unrolled: 1-line block ×4, first 2 shown]
	v_add_f32_e32 v6, v9, v6
	v_add_f32_e32 v5, v5, v8
	v_add_f32_e32 v8, v10, v6
	v_sub_f32_e32 v9, v8, v10
	v_sub_f32_e32 v6, v6, v9
	v_add_f32_e32 v5, v5, v6
	v_add_f32_e32 v5, v8, v5
	v_cmp_neq_f32_e32 vcc, s18, v3
	s_mov_b32 s18, 0x33800000
	v_cndmask_b32_e32 v5, v7, v5, vcc
	v_cmp_lt_f32_e64 vcc, |v3|, s18
	v_cndmask_b32_e32 v3, v5, v3, vcc
	v_add_f32_e32 v3, v4, v3
.LBB157_51:
	s_or_b64 exec, exec, s[4:5]
	v_max_f32_e32 v17, v26, v26
	v_max_f32_e32 v4, v3, v3
	v_min_f32_e32 v5, v4, v17
	v_cmp_u_f32_e32 vcc, v3, v3
	v_max_f32_e32 v4, v4, v17
	v_cndmask_b32_e32 v5, v5, v3, vcc
	v_cmp_u_f32_e64 s[18:19], v26, v26
	v_cndmask_b32_e32 v4, v4, v3, vcc
	v_cndmask_b32_e64 v5, v5, v26, s[18:19]
	v_cndmask_b32_e64 v4, v4, v26, s[18:19]
	s_movk_i32 s22, 0x1f8
	v_cmp_neq_f32_e32 vcc, v5, v4
	v_cmp_class_f32_e64 s[4:5], v5, s22
	s_or_b64 s[20:21], vcc, s[4:5]
	s_and_saveexec_b64 s[4:5], s[20:21]
	s_cbranch_execz .LBB157_53
; %bb.52:
	v_sub_f32_e32 v3, v5, v4
	s_mov_b32 s20, 0x3fb8aa3b
	v_mul_f32_e32 v5, 0x3fb8aa3b, v3
	v_fma_f32 v6, v3, s20, -v5
	v_rndne_f32_e32 v7, v5
	v_fmac_f32_e32 v6, 0x32a5705f, v3
	v_sub_f32_e32 v5, v5, v7
	v_add_f32_e32 v5, v5, v6
	v_exp_f32_e32 v5, v5
	v_cvt_i32_f32_e32 v6, v7
	s_mov_b32 s20, 0xc2ce8ed0
	v_cmp_ngt_f32_e32 vcc, s20, v3
	s_mov_b32 s20, 0x42b17218
	v_ldexp_f32 v5, v5, v6
	v_cndmask_b32_e32 v5, 0, v5, vcc
	v_mov_b32_e32 v7, 0x7f800000
	v_cmp_nlt_f32_e32 vcc, s20, v3
	v_cndmask_b32_e32 v3, v7, v5, vcc
	v_add_f32_e32 v8, 1.0, v3
	v_cvt_f64_f32_e32 v[5:6], v8
	v_add_f32_e32 v9, -1.0, v8
	v_sub_f32_e32 v10, v9, v8
	v_sub_f32_e32 v9, v3, v9
	v_frexp_exp_i32_f64_e32 v5, v[5:6]
	v_add_f32_e32 v6, 1.0, v10
	v_add_f32_e32 v6, v9, v6
	v_frexp_mant_f32_e32 v9, v8
	s_mov_b32 s21, 0x3f2aaaab
	v_cmp_gt_f32_e32 vcc, s21, v9
	s_mov_b32 s21, 0x3f317218
	s_mov_b32 s20, 0x7f800000
	v_subbrev_co_u32_e32 v5, vcc, 0, v5, vcc
	v_sub_u32_e32 v9, 0, v5
	v_ldexp_f32 v8, v8, v9
	v_ldexp_f32 v6, v6, v9
	v_add_f32_e32 v9, -1.0, v8
	v_add_f32_e32 v18, 1.0, v8
	v_add_f32_e32 v10, 1.0, v9
	v_add_f32_e32 v35, -1.0, v18
	v_sub_f32_e32 v10, v8, v10
	v_sub_f32_e32 v8, v8, v35
	v_add_f32_e32 v10, v6, v10
	v_add_f32_e32 v6, v6, v8
	;; [unrolled: 1-line block ×3, first 2 shown]
	v_rcp_f32_e32 v35, v8
	v_add_f32_e32 v11, v9, v10
	v_sub_f32_e32 v9, v9, v11
	v_add_f32_e32 v9, v10, v9
	v_sub_f32_e32 v10, v18, v8
	v_add_f32_e32 v6, v6, v10
	v_mul_f32_e32 v10, v11, v35
	v_mul_f32_e32 v18, v8, v10
	v_fma_f32 v36, v10, v8, -v18
	v_fmac_f32_e32 v36, v10, v6
	v_add_f32_e32 v37, v18, v36
	v_sub_f32_e32 v38, v11, v37
	v_sub_f32_e32 v11, v11, v38
	v_sub_f32_e32 v18, v37, v18
	v_sub_f32_e32 v11, v11, v37
	v_add_f32_e32 v9, v9, v11
	v_sub_f32_e32 v11, v18, v36
	v_add_f32_e32 v9, v11, v9
	v_add_f32_e32 v11, v38, v9
	v_mul_f32_e32 v18, v35, v11
	v_mul_f32_e32 v36, v8, v18
	v_fma_f32 v8, v18, v8, -v36
	v_fmac_f32_e32 v8, v18, v6
	v_sub_f32_e32 v6, v38, v11
	v_add_f32_e32 v6, v9, v6
	v_add_f32_e32 v9, v36, v8
	v_sub_f32_e32 v37, v11, v9
	v_sub_f32_e32 v11, v11, v37
	;; [unrolled: 1-line block ×4, first 2 shown]
	v_add_f32_e32 v6, v6, v9
	v_sub_f32_e32 v8, v36, v8
	v_add_f32_e32 v6, v8, v6
	v_add_f32_e32 v8, v10, v18
	;; [unrolled: 1-line block ×3, first 2 shown]
	v_sub_f32_e32 v9, v8, v10
	v_mul_f32_e32 v6, v35, v6
	v_sub_f32_e32 v9, v18, v9
	v_add_f32_e32 v6, v9, v6
	v_cvt_f32_i32_e32 v5, v5
	v_add_f32_e32 v9, v8, v6
	v_mul_f32_e32 v10, v9, v9
	v_mov_b32_e32 v11, 0x3ecc95a3
	v_fmac_f32_e32 v11, 0x3e9b6dac, v10
	v_mov_b32_e32 v18, 0x3f2aaada
	v_fmac_f32_e32 v18, v10, v11
	v_mul_f32_e32 v11, 0x3f317218, v5
	v_fma_f32 v35, v5, s21, -v11
	v_fmac_f32_e32 v35, 0xb102e308, v5
	v_sub_f32_e32 v5, v9, v8
	v_sub_f32_e32 v5, v6, v5
	v_add_f32_e32 v6, v11, v35
	v_sub_f32_e32 v8, v6, v11
	v_ldexp_f32 v11, v9, 1
	v_mul_f32_e32 v9, v9, v10
	v_mul_f32_e32 v9, v9, v18
	v_add_f32_e32 v10, v11, v9
	v_sub_f32_e32 v11, v10, v11
	v_ldexp_f32 v5, v5, 1
	v_sub_f32_e32 v9, v9, v11
	v_add_f32_e32 v5, v5, v9
	v_add_f32_e32 v9, v10, v5
	v_sub_f32_e32 v10, v9, v10
	v_sub_f32_e32 v5, v5, v10
	v_add_f32_e32 v10, v6, v9
	v_sub_f32_e32 v11, v10, v6
	v_sub_f32_e32 v18, v10, v11
	;; [unrolled: 1-line block ×5, first 2 shown]
	v_add_f32_e32 v6, v9, v6
	v_add_f32_e32 v9, v8, v5
	v_sub_f32_e32 v11, v9, v8
	v_sub_f32_e32 v18, v9, v11
	;; [unrolled: 1-line block ×4, first 2 shown]
	v_add_f32_e32 v6, v9, v6
	v_add_f32_e32 v5, v5, v8
	;; [unrolled: 1-line block ×3, first 2 shown]
	v_sub_f32_e32 v9, v8, v10
	v_sub_f32_e32 v6, v6, v9
	v_add_f32_e32 v5, v5, v6
	v_add_f32_e32 v5, v8, v5
	v_cmp_neq_f32_e32 vcc, s20, v3
	s_mov_b32 s20, 0x33800000
	v_cndmask_b32_e32 v5, v7, v5, vcc
	v_cmp_lt_f32_e64 vcc, |v3|, s20
	v_cndmask_b32_e32 v3, v5, v3, vcc
	v_add_f32_e32 v3, v4, v3
.LBB157_53:
	s_or_b64 exec, exec, s[4:5]
	v_max_f32_e32 v18, v23, v23
	v_max_f32_e32 v4, v3, v3
	v_min_f32_e32 v5, v4, v18
	v_cmp_u_f32_e32 vcc, v3, v3
	v_max_f32_e32 v4, v4, v18
	v_cndmask_b32_e32 v5, v5, v3, vcc
	v_cmp_u_f32_e64 s[20:21], v23, v23
	v_cndmask_b32_e32 v4, v4, v3, vcc
	v_cndmask_b32_e64 v5, v5, v23, s[20:21]
	v_cndmask_b32_e64 v4, v4, v23, s[20:21]
	v_cmp_neq_f32_e32 vcc, v5, v4
	v_cmp_class_f32_e64 s[4:5], v5, s22
	s_or_b64 s[22:23], vcc, s[4:5]
	s_and_saveexec_b64 s[4:5], s[22:23]
	s_cbranch_execz .LBB157_55
; %bb.54:
	v_sub_f32_e32 v3, v5, v4
	s_mov_b32 s22, 0x3fb8aa3b
	v_mul_f32_e32 v5, 0x3fb8aa3b, v3
	v_fma_f32 v6, v3, s22, -v5
	v_rndne_f32_e32 v7, v5
	v_fmac_f32_e32 v6, 0x32a5705f, v3
	v_sub_f32_e32 v5, v5, v7
	v_add_f32_e32 v5, v5, v6
	v_exp_f32_e32 v5, v5
	v_cvt_i32_f32_e32 v6, v7
	s_mov_b32 s22, 0xc2ce8ed0
	v_cmp_ngt_f32_e32 vcc, s22, v3
	s_mov_b32 s22, 0x42b17218
	v_ldexp_f32 v5, v5, v6
	v_cndmask_b32_e32 v5, 0, v5, vcc
	v_mov_b32_e32 v7, 0x7f800000
	v_cmp_nlt_f32_e32 vcc, s22, v3
	v_cndmask_b32_e32 v3, v7, v5, vcc
	v_add_f32_e32 v8, 1.0, v3
	v_cvt_f64_f32_e32 v[5:6], v8
	v_add_f32_e32 v9, -1.0, v8
	v_sub_f32_e32 v10, v9, v8
	v_sub_f32_e32 v9, v3, v9
	v_frexp_exp_i32_f64_e32 v5, v[5:6]
	v_add_f32_e32 v6, 1.0, v10
	v_add_f32_e32 v6, v9, v6
	v_frexp_mant_f32_e32 v9, v8
	s_mov_b32 s23, 0x3f2aaaab
	v_cmp_gt_f32_e32 vcc, s23, v9
	s_mov_b32 s23, 0x3f317218
	s_mov_b32 s22, 0x7f800000
	v_subbrev_co_u32_e32 v5, vcc, 0, v5, vcc
	v_sub_u32_e32 v9, 0, v5
	v_ldexp_f32 v8, v8, v9
	v_ldexp_f32 v6, v6, v9
	v_add_f32_e32 v9, -1.0, v8
	v_add_f32_e32 v35, 1.0, v8
	v_add_f32_e32 v10, 1.0, v9
	v_add_f32_e32 v36, -1.0, v35
	v_sub_f32_e32 v10, v8, v10
	v_sub_f32_e32 v8, v8, v36
	v_add_f32_e32 v10, v6, v10
	v_add_f32_e32 v6, v6, v8
	;; [unrolled: 1-line block ×3, first 2 shown]
	v_rcp_f32_e32 v36, v8
	v_add_f32_e32 v11, v9, v10
	v_sub_f32_e32 v9, v9, v11
	v_add_f32_e32 v9, v10, v9
	v_sub_f32_e32 v10, v35, v8
	v_add_f32_e32 v6, v6, v10
	v_mul_f32_e32 v10, v11, v36
	v_mul_f32_e32 v35, v8, v10
	v_fma_f32 v37, v10, v8, -v35
	v_fmac_f32_e32 v37, v10, v6
	v_add_f32_e32 v38, v35, v37
	v_sub_f32_e32 v39, v11, v38
	v_sub_f32_e32 v11, v11, v39
	;; [unrolled: 1-line block ×4, first 2 shown]
	v_add_f32_e32 v9, v9, v11
	v_sub_f32_e32 v11, v35, v37
	v_add_f32_e32 v9, v11, v9
	v_add_f32_e32 v11, v39, v9
	v_mul_f32_e32 v35, v36, v11
	v_mul_f32_e32 v37, v8, v35
	v_fma_f32 v8, v35, v8, -v37
	v_fmac_f32_e32 v8, v35, v6
	v_sub_f32_e32 v6, v39, v11
	v_add_f32_e32 v6, v9, v6
	v_add_f32_e32 v9, v37, v8
	v_sub_f32_e32 v38, v11, v9
	v_sub_f32_e32 v11, v11, v38
	;; [unrolled: 1-line block ×4, first 2 shown]
	v_add_f32_e32 v6, v6, v9
	v_sub_f32_e32 v8, v37, v8
	v_add_f32_e32 v6, v8, v6
	v_add_f32_e32 v8, v10, v35
	;; [unrolled: 1-line block ×3, first 2 shown]
	v_sub_f32_e32 v9, v8, v10
	v_mul_f32_e32 v6, v36, v6
	v_sub_f32_e32 v9, v35, v9
	v_add_f32_e32 v6, v9, v6
	v_cvt_f32_i32_e32 v5, v5
	v_add_f32_e32 v9, v8, v6
	v_mul_f32_e32 v10, v9, v9
	v_mov_b32_e32 v11, 0x3ecc95a3
	v_fmac_f32_e32 v11, 0x3e9b6dac, v10
	v_mov_b32_e32 v35, 0x3f2aaada
	v_fmac_f32_e32 v35, v10, v11
	v_mul_f32_e32 v11, 0x3f317218, v5
	v_fma_f32 v36, v5, s23, -v11
	v_fmac_f32_e32 v36, 0xb102e308, v5
	v_sub_f32_e32 v5, v9, v8
	v_sub_f32_e32 v5, v6, v5
	v_add_f32_e32 v6, v11, v36
	v_sub_f32_e32 v8, v6, v11
	v_ldexp_f32 v11, v9, 1
	v_mul_f32_e32 v9, v9, v10
	v_mul_f32_e32 v9, v9, v35
	v_add_f32_e32 v10, v11, v9
	v_sub_f32_e32 v11, v10, v11
	v_ldexp_f32 v5, v5, 1
	v_sub_f32_e32 v9, v9, v11
	v_add_f32_e32 v5, v5, v9
	v_add_f32_e32 v9, v10, v5
	v_sub_f32_e32 v10, v9, v10
	v_sub_f32_e32 v5, v5, v10
	v_add_f32_e32 v10, v6, v9
	v_sub_f32_e32 v11, v10, v6
	v_sub_f32_e32 v35, v10, v11
	;; [unrolled: 1-line block ×5, first 2 shown]
	v_add_f32_e32 v6, v9, v6
	v_add_f32_e32 v9, v8, v5
	v_sub_f32_e32 v11, v9, v8
	v_sub_f32_e32 v35, v9, v11
	;; [unrolled: 1-line block ×4, first 2 shown]
	v_add_f32_e32 v6, v9, v6
	v_add_f32_e32 v5, v5, v8
	;; [unrolled: 1-line block ×3, first 2 shown]
	v_sub_f32_e32 v9, v8, v10
	v_sub_f32_e32 v6, v6, v9
	v_add_f32_e32 v5, v5, v6
	v_add_f32_e32 v5, v8, v5
	v_cmp_neq_f32_e32 vcc, s22, v3
	s_mov_b32 s22, 0x33800000
	v_cndmask_b32_e32 v5, v7, v5, vcc
	v_cmp_lt_f32_e64 vcc, |v3|, s22
	v_cndmask_b32_e32 v3, v5, v3, vcc
	v_add_f32_e32 v3, v4, v3
.LBB157_55:
	s_or_b64 exec, exec, s[4:5]
	v_max_f32_e32 v35, v24, v24
	v_max_f32_e32 v4, v3, v3
	v_min_f32_e32 v5, v4, v35
	v_cmp_u_f32_e32 vcc, v3, v3
	v_max_f32_e32 v4, v4, v35
	v_cndmask_b32_e32 v5, v5, v3, vcc
	v_cmp_u_f32_e64 s[22:23], v24, v24
	v_cndmask_b32_e32 v4, v4, v3, vcc
	v_cndmask_b32_e64 v5, v5, v24, s[22:23]
	v_cndmask_b32_e64 v4, v4, v24, s[22:23]
	s_movk_i32 s26, 0x1f8
	v_cmp_neq_f32_e32 vcc, v5, v4
	v_cmp_class_f32_e64 s[4:5], v5, s26
	s_or_b64 s[24:25], vcc, s[4:5]
	s_and_saveexec_b64 s[4:5], s[24:25]
	s_cbranch_execz .LBB157_57
; %bb.56:
	v_sub_f32_e32 v3, v5, v4
	s_mov_b32 s24, 0x3fb8aa3b
	v_mul_f32_e32 v5, 0x3fb8aa3b, v3
	v_fma_f32 v6, v3, s24, -v5
	v_rndne_f32_e32 v7, v5
	v_fmac_f32_e32 v6, 0x32a5705f, v3
	v_sub_f32_e32 v5, v5, v7
	v_add_f32_e32 v5, v5, v6
	v_exp_f32_e32 v5, v5
	v_cvt_i32_f32_e32 v6, v7
	s_mov_b32 s24, 0xc2ce8ed0
	v_cmp_ngt_f32_e32 vcc, s24, v3
	s_mov_b32 s24, 0x42b17218
	v_ldexp_f32 v5, v5, v6
	v_cndmask_b32_e32 v5, 0, v5, vcc
	v_mov_b32_e32 v7, 0x7f800000
	v_cmp_nlt_f32_e32 vcc, s24, v3
	v_cndmask_b32_e32 v3, v7, v5, vcc
	v_add_f32_e32 v8, 1.0, v3
	v_cvt_f64_f32_e32 v[5:6], v8
	v_add_f32_e32 v9, -1.0, v8
	v_sub_f32_e32 v10, v9, v8
	v_sub_f32_e32 v9, v3, v9
	v_frexp_exp_i32_f64_e32 v5, v[5:6]
	v_add_f32_e32 v6, 1.0, v10
	v_add_f32_e32 v6, v9, v6
	v_frexp_mant_f32_e32 v9, v8
	s_mov_b32 s25, 0x3f2aaaab
	v_cmp_gt_f32_e32 vcc, s25, v9
	s_mov_b32 s25, 0x3f317218
	s_mov_b32 s24, 0x7f800000
	v_subbrev_co_u32_e32 v5, vcc, 0, v5, vcc
	v_sub_u32_e32 v9, 0, v5
	v_ldexp_f32 v8, v8, v9
	v_ldexp_f32 v6, v6, v9
	v_add_f32_e32 v9, -1.0, v8
	v_add_f32_e32 v36, 1.0, v8
	v_add_f32_e32 v10, 1.0, v9
	v_add_f32_e32 v37, -1.0, v36
	v_sub_f32_e32 v10, v8, v10
	v_sub_f32_e32 v8, v8, v37
	v_add_f32_e32 v10, v6, v10
	v_add_f32_e32 v6, v6, v8
	;; [unrolled: 1-line block ×3, first 2 shown]
	v_rcp_f32_e32 v37, v8
	v_add_f32_e32 v11, v9, v10
	v_sub_f32_e32 v9, v9, v11
	v_add_f32_e32 v9, v10, v9
	v_sub_f32_e32 v10, v36, v8
	v_add_f32_e32 v6, v6, v10
	v_mul_f32_e32 v10, v11, v37
	v_mul_f32_e32 v36, v8, v10
	v_fma_f32 v38, v10, v8, -v36
	v_fmac_f32_e32 v38, v10, v6
	v_add_f32_e32 v39, v36, v38
	v_sub_f32_e32 v40, v11, v39
	v_sub_f32_e32 v11, v11, v40
	v_sub_f32_e32 v36, v39, v36
	v_sub_f32_e32 v11, v11, v39
	v_add_f32_e32 v9, v9, v11
	v_sub_f32_e32 v11, v36, v38
	v_add_f32_e32 v9, v11, v9
	v_add_f32_e32 v11, v40, v9
	v_mul_f32_e32 v36, v37, v11
	v_mul_f32_e32 v38, v8, v36
	v_fma_f32 v8, v36, v8, -v38
	v_fmac_f32_e32 v8, v36, v6
	v_sub_f32_e32 v6, v40, v11
	v_add_f32_e32 v6, v9, v6
	v_add_f32_e32 v9, v38, v8
	v_sub_f32_e32 v39, v11, v9
	v_sub_f32_e32 v11, v11, v39
	;; [unrolled: 1-line block ×4, first 2 shown]
	v_add_f32_e32 v6, v6, v9
	v_sub_f32_e32 v8, v38, v8
	v_add_f32_e32 v6, v8, v6
	v_add_f32_e32 v8, v10, v36
	;; [unrolled: 1-line block ×3, first 2 shown]
	v_sub_f32_e32 v9, v8, v10
	v_mul_f32_e32 v6, v37, v6
	v_sub_f32_e32 v9, v36, v9
	v_add_f32_e32 v6, v9, v6
	v_cvt_f32_i32_e32 v5, v5
	v_add_f32_e32 v9, v8, v6
	v_mul_f32_e32 v10, v9, v9
	v_mov_b32_e32 v11, 0x3ecc95a3
	v_fmac_f32_e32 v11, 0x3e9b6dac, v10
	v_mov_b32_e32 v36, 0x3f2aaada
	v_fmac_f32_e32 v36, v10, v11
	v_mul_f32_e32 v11, 0x3f317218, v5
	v_fma_f32 v37, v5, s25, -v11
	v_fmac_f32_e32 v37, 0xb102e308, v5
	v_sub_f32_e32 v5, v9, v8
	v_sub_f32_e32 v5, v6, v5
	v_add_f32_e32 v6, v11, v37
	v_sub_f32_e32 v8, v6, v11
	v_ldexp_f32 v11, v9, 1
	v_mul_f32_e32 v9, v9, v10
	v_mul_f32_e32 v9, v9, v36
	v_add_f32_e32 v10, v11, v9
	v_sub_f32_e32 v11, v10, v11
	v_ldexp_f32 v5, v5, 1
	v_sub_f32_e32 v9, v9, v11
	v_add_f32_e32 v5, v5, v9
	v_add_f32_e32 v9, v10, v5
	v_sub_f32_e32 v10, v9, v10
	v_sub_f32_e32 v5, v5, v10
	v_add_f32_e32 v10, v6, v9
	v_sub_f32_e32 v11, v10, v6
	v_sub_f32_e32 v36, v10, v11
	;; [unrolled: 1-line block ×5, first 2 shown]
	v_add_f32_e32 v6, v9, v6
	v_add_f32_e32 v9, v8, v5
	v_sub_f32_e32 v11, v9, v8
	v_sub_f32_e32 v36, v9, v11
	;; [unrolled: 1-line block ×4, first 2 shown]
	v_add_f32_e32 v6, v9, v6
	v_add_f32_e32 v5, v5, v8
	;; [unrolled: 1-line block ×3, first 2 shown]
	v_sub_f32_e32 v9, v8, v10
	v_sub_f32_e32 v6, v6, v9
	v_add_f32_e32 v5, v5, v6
	v_add_f32_e32 v5, v8, v5
	v_cmp_neq_f32_e32 vcc, s24, v3
	s_mov_b32 s24, 0x33800000
	v_cndmask_b32_e32 v5, v7, v5, vcc
	v_cmp_lt_f32_e64 vcc, |v3|, s24
	v_cndmask_b32_e32 v3, v5, v3, vcc
	v_add_f32_e32 v3, v4, v3
.LBB157_57:
	s_or_b64 exec, exec, s[4:5]
	v_max_f32_e32 v36, v21, v21
	v_max_f32_e32 v4, v3, v3
	v_min_f32_e32 v5, v4, v36
	v_cmp_u_f32_e32 vcc, v3, v3
	v_max_f32_e32 v4, v4, v36
	v_cndmask_b32_e32 v5, v5, v3, vcc
	v_cmp_u_f32_e64 s[24:25], v21, v21
	v_cndmask_b32_e32 v4, v4, v3, vcc
	v_cndmask_b32_e64 v5, v5, v21, s[24:25]
	v_cndmask_b32_e64 v4, v4, v21, s[24:25]
	v_cmp_neq_f32_e32 vcc, v5, v4
	v_cmp_class_f32_e64 s[4:5], v5, s26
	s_or_b64 s[26:27], vcc, s[4:5]
	s_and_saveexec_b64 s[4:5], s[26:27]
	s_cbranch_execz .LBB157_59
; %bb.58:
	v_sub_f32_e32 v3, v5, v4
	s_mov_b32 s26, 0x3fb8aa3b
	v_mul_f32_e32 v5, 0x3fb8aa3b, v3
	v_fma_f32 v6, v3, s26, -v5
	v_rndne_f32_e32 v7, v5
	v_fmac_f32_e32 v6, 0x32a5705f, v3
	v_sub_f32_e32 v5, v5, v7
	v_add_f32_e32 v5, v5, v6
	v_exp_f32_e32 v5, v5
	v_cvt_i32_f32_e32 v6, v7
	s_mov_b32 s26, 0xc2ce8ed0
	v_cmp_ngt_f32_e32 vcc, s26, v3
	s_mov_b32 s26, 0x42b17218
	v_ldexp_f32 v5, v5, v6
	v_cndmask_b32_e32 v5, 0, v5, vcc
	v_mov_b32_e32 v7, 0x7f800000
	v_cmp_nlt_f32_e32 vcc, s26, v3
	v_cndmask_b32_e32 v3, v7, v5, vcc
	v_add_f32_e32 v8, 1.0, v3
	v_cvt_f64_f32_e32 v[5:6], v8
	v_add_f32_e32 v9, -1.0, v8
	v_sub_f32_e32 v10, v9, v8
	v_sub_f32_e32 v9, v3, v9
	v_frexp_exp_i32_f64_e32 v5, v[5:6]
	v_add_f32_e32 v6, 1.0, v10
	v_add_f32_e32 v6, v9, v6
	v_frexp_mant_f32_e32 v9, v8
	s_mov_b32 s27, 0x3f2aaaab
	v_cmp_gt_f32_e32 vcc, s27, v9
	s_mov_b32 s27, 0x3f317218
	s_mov_b32 s26, 0x7f800000
	v_subbrev_co_u32_e32 v5, vcc, 0, v5, vcc
	v_sub_u32_e32 v9, 0, v5
	v_ldexp_f32 v8, v8, v9
	v_ldexp_f32 v6, v6, v9
	v_add_f32_e32 v9, -1.0, v8
	v_add_f32_e32 v37, 1.0, v8
	v_add_f32_e32 v10, 1.0, v9
	v_add_f32_e32 v38, -1.0, v37
	v_sub_f32_e32 v10, v8, v10
	v_sub_f32_e32 v8, v8, v38
	v_add_f32_e32 v10, v6, v10
	v_add_f32_e32 v6, v6, v8
	;; [unrolled: 1-line block ×3, first 2 shown]
	v_rcp_f32_e32 v38, v8
	v_add_f32_e32 v11, v9, v10
	v_sub_f32_e32 v9, v9, v11
	v_add_f32_e32 v9, v10, v9
	v_sub_f32_e32 v10, v37, v8
	v_add_f32_e32 v6, v6, v10
	v_mul_f32_e32 v10, v11, v38
	v_mul_f32_e32 v37, v8, v10
	v_fma_f32 v39, v10, v8, -v37
	v_fmac_f32_e32 v39, v10, v6
	v_add_f32_e32 v40, v37, v39
	v_sub_f32_e32 v42, v11, v40
	v_sub_f32_e32 v11, v11, v42
	;; [unrolled: 1-line block ×4, first 2 shown]
	v_add_f32_e32 v9, v9, v11
	v_sub_f32_e32 v11, v37, v39
	v_add_f32_e32 v9, v11, v9
	v_add_f32_e32 v11, v42, v9
	v_mul_f32_e32 v37, v38, v11
	v_mul_f32_e32 v39, v8, v37
	v_fma_f32 v8, v37, v8, -v39
	v_fmac_f32_e32 v8, v37, v6
	v_sub_f32_e32 v6, v42, v11
	v_add_f32_e32 v6, v9, v6
	v_add_f32_e32 v9, v39, v8
	v_sub_f32_e32 v40, v11, v9
	v_sub_f32_e32 v11, v11, v40
	v_sub_f32_e32 v39, v9, v39
	v_sub_f32_e32 v9, v11, v9
	v_add_f32_e32 v6, v6, v9
	v_sub_f32_e32 v8, v39, v8
	v_add_f32_e32 v6, v8, v6
	v_add_f32_e32 v8, v10, v37
	;; [unrolled: 1-line block ×3, first 2 shown]
	v_sub_f32_e32 v9, v8, v10
	v_mul_f32_e32 v6, v38, v6
	v_sub_f32_e32 v9, v37, v9
	v_add_f32_e32 v6, v9, v6
	v_cvt_f32_i32_e32 v5, v5
	v_add_f32_e32 v9, v8, v6
	v_mul_f32_e32 v10, v9, v9
	v_mov_b32_e32 v11, 0x3ecc95a3
	v_fmac_f32_e32 v11, 0x3e9b6dac, v10
	v_mov_b32_e32 v37, 0x3f2aaada
	v_fmac_f32_e32 v37, v10, v11
	v_mul_f32_e32 v11, 0x3f317218, v5
	v_fma_f32 v38, v5, s27, -v11
	v_fmac_f32_e32 v38, 0xb102e308, v5
	v_sub_f32_e32 v5, v9, v8
	v_sub_f32_e32 v5, v6, v5
	v_add_f32_e32 v6, v11, v38
	v_sub_f32_e32 v8, v6, v11
	v_ldexp_f32 v11, v9, 1
	v_mul_f32_e32 v9, v9, v10
	v_mul_f32_e32 v9, v9, v37
	v_add_f32_e32 v10, v11, v9
	v_sub_f32_e32 v11, v10, v11
	v_ldexp_f32 v5, v5, 1
	v_sub_f32_e32 v9, v9, v11
	v_add_f32_e32 v5, v5, v9
	v_add_f32_e32 v9, v10, v5
	v_sub_f32_e32 v10, v9, v10
	v_sub_f32_e32 v5, v5, v10
	v_add_f32_e32 v10, v6, v9
	v_sub_f32_e32 v11, v10, v6
	v_sub_f32_e32 v37, v10, v11
	;; [unrolled: 1-line block ×5, first 2 shown]
	v_add_f32_e32 v6, v9, v6
	v_add_f32_e32 v9, v8, v5
	v_sub_f32_e32 v11, v9, v8
	v_sub_f32_e32 v37, v9, v11
	;; [unrolled: 1-line block ×4, first 2 shown]
	v_add_f32_e32 v6, v9, v6
	v_add_f32_e32 v5, v5, v8
	;; [unrolled: 1-line block ×3, first 2 shown]
	v_sub_f32_e32 v9, v8, v10
	v_sub_f32_e32 v6, v6, v9
	v_add_f32_e32 v5, v5, v6
	v_add_f32_e32 v5, v8, v5
	v_cmp_neq_f32_e32 vcc, s26, v3
	s_mov_b32 s26, 0x33800000
	v_cndmask_b32_e32 v5, v7, v5, vcc
	v_cmp_lt_f32_e64 vcc, |v3|, s26
	v_cndmask_b32_e32 v3, v5, v3, vcc
	v_add_f32_e32 v3, v4, v3
.LBB157_59:
	s_or_b64 exec, exec, s[4:5]
	v_max_f32_e32 v37, v22, v22
	v_max_f32_e32 v4, v3, v3
	v_min_f32_e32 v5, v4, v37
	v_cmp_u_f32_e32 vcc, v3, v3
	v_max_f32_e32 v4, v4, v37
	v_cndmask_b32_e32 v5, v5, v3, vcc
	v_cmp_u_f32_e64 s[26:27], v22, v22
	v_cndmask_b32_e32 v4, v4, v3, vcc
	v_cndmask_b32_e64 v5, v5, v22, s[26:27]
	v_cndmask_b32_e64 v4, v4, v22, s[26:27]
	s_movk_i32 s30, 0x1f8
	v_cmp_neq_f32_e32 vcc, v5, v4
	v_cmp_class_f32_e64 s[4:5], v5, s30
	s_or_b64 s[28:29], vcc, s[4:5]
	s_and_saveexec_b64 s[4:5], s[28:29]
	s_cbranch_execz .LBB157_61
; %bb.60:
	v_sub_f32_e32 v3, v5, v4
	s_mov_b32 s28, 0x3fb8aa3b
	v_mul_f32_e32 v5, 0x3fb8aa3b, v3
	v_fma_f32 v6, v3, s28, -v5
	v_rndne_f32_e32 v7, v5
	v_fmac_f32_e32 v6, 0x32a5705f, v3
	v_sub_f32_e32 v5, v5, v7
	v_add_f32_e32 v5, v5, v6
	v_exp_f32_e32 v5, v5
	v_cvt_i32_f32_e32 v6, v7
	s_mov_b32 s28, 0xc2ce8ed0
	v_cmp_ngt_f32_e32 vcc, s28, v3
	s_mov_b32 s28, 0x42b17218
	v_ldexp_f32 v5, v5, v6
	v_cndmask_b32_e32 v5, 0, v5, vcc
	v_mov_b32_e32 v7, 0x7f800000
	v_cmp_nlt_f32_e32 vcc, s28, v3
	v_cndmask_b32_e32 v3, v7, v5, vcc
	v_add_f32_e32 v8, 1.0, v3
	v_cvt_f64_f32_e32 v[5:6], v8
	v_add_f32_e32 v9, -1.0, v8
	v_sub_f32_e32 v10, v9, v8
	v_sub_f32_e32 v9, v3, v9
	v_frexp_exp_i32_f64_e32 v5, v[5:6]
	v_add_f32_e32 v6, 1.0, v10
	v_add_f32_e32 v6, v9, v6
	v_frexp_mant_f32_e32 v9, v8
	s_mov_b32 s29, 0x3f2aaaab
	v_cmp_gt_f32_e32 vcc, s29, v9
	s_mov_b32 s29, 0x3f317218
	s_mov_b32 s28, 0x7f800000
	v_subbrev_co_u32_e32 v5, vcc, 0, v5, vcc
	v_sub_u32_e32 v9, 0, v5
	v_ldexp_f32 v8, v8, v9
	v_ldexp_f32 v6, v6, v9
	v_add_f32_e32 v9, -1.0, v8
	v_add_f32_e32 v38, 1.0, v8
	v_add_f32_e32 v10, 1.0, v9
	v_add_f32_e32 v39, -1.0, v38
	v_sub_f32_e32 v10, v8, v10
	v_sub_f32_e32 v8, v8, v39
	v_add_f32_e32 v10, v6, v10
	v_add_f32_e32 v6, v6, v8
	;; [unrolled: 1-line block ×3, first 2 shown]
	v_rcp_f32_e32 v39, v8
	v_add_f32_e32 v11, v9, v10
	v_sub_f32_e32 v9, v9, v11
	v_add_f32_e32 v9, v10, v9
	v_sub_f32_e32 v10, v38, v8
	v_add_f32_e32 v6, v6, v10
	v_mul_f32_e32 v10, v11, v39
	v_mul_f32_e32 v38, v8, v10
	v_fma_f32 v40, v10, v8, -v38
	v_fmac_f32_e32 v40, v10, v6
	v_add_f32_e32 v42, v38, v40
	v_sub_f32_e32 v43, v11, v42
	v_sub_f32_e32 v11, v11, v43
	;; [unrolled: 1-line block ×4, first 2 shown]
	v_add_f32_e32 v9, v9, v11
	v_sub_f32_e32 v11, v38, v40
	v_add_f32_e32 v9, v11, v9
	v_add_f32_e32 v11, v43, v9
	v_mul_f32_e32 v38, v39, v11
	v_mul_f32_e32 v40, v8, v38
	v_fma_f32 v8, v38, v8, -v40
	v_fmac_f32_e32 v8, v38, v6
	v_sub_f32_e32 v6, v43, v11
	v_add_f32_e32 v6, v9, v6
	v_add_f32_e32 v9, v40, v8
	v_sub_f32_e32 v42, v11, v9
	v_sub_f32_e32 v11, v11, v42
	;; [unrolled: 1-line block ×4, first 2 shown]
	v_add_f32_e32 v6, v6, v9
	v_sub_f32_e32 v8, v40, v8
	v_add_f32_e32 v6, v8, v6
	v_add_f32_e32 v8, v10, v38
	;; [unrolled: 1-line block ×3, first 2 shown]
	v_sub_f32_e32 v9, v8, v10
	v_mul_f32_e32 v6, v39, v6
	v_sub_f32_e32 v9, v38, v9
	v_add_f32_e32 v6, v9, v6
	v_cvt_f32_i32_e32 v5, v5
	v_add_f32_e32 v9, v8, v6
	v_mul_f32_e32 v10, v9, v9
	v_mov_b32_e32 v11, 0x3ecc95a3
	v_fmac_f32_e32 v11, 0x3e9b6dac, v10
	v_mov_b32_e32 v38, 0x3f2aaada
	v_fmac_f32_e32 v38, v10, v11
	v_mul_f32_e32 v11, 0x3f317218, v5
	v_fma_f32 v39, v5, s29, -v11
	v_fmac_f32_e32 v39, 0xb102e308, v5
	v_sub_f32_e32 v5, v9, v8
	v_sub_f32_e32 v5, v6, v5
	v_add_f32_e32 v6, v11, v39
	v_sub_f32_e32 v8, v6, v11
	v_ldexp_f32 v11, v9, 1
	v_mul_f32_e32 v9, v9, v10
	v_mul_f32_e32 v9, v9, v38
	v_add_f32_e32 v10, v11, v9
	v_sub_f32_e32 v11, v10, v11
	v_ldexp_f32 v5, v5, 1
	v_sub_f32_e32 v9, v9, v11
	v_add_f32_e32 v5, v5, v9
	v_add_f32_e32 v9, v10, v5
	v_sub_f32_e32 v10, v9, v10
	v_sub_f32_e32 v5, v5, v10
	v_add_f32_e32 v10, v6, v9
	v_sub_f32_e32 v11, v10, v6
	v_sub_f32_e32 v38, v10, v11
	;; [unrolled: 1-line block ×5, first 2 shown]
	v_add_f32_e32 v6, v9, v6
	v_add_f32_e32 v9, v8, v5
	v_sub_f32_e32 v11, v9, v8
	v_sub_f32_e32 v38, v9, v11
	v_sub_f32_e32 v8, v8, v38
	v_sub_f32_e32 v5, v5, v11
	v_add_f32_e32 v6, v9, v6
	v_add_f32_e32 v5, v5, v8
	;; [unrolled: 1-line block ×3, first 2 shown]
	v_sub_f32_e32 v9, v8, v10
	v_sub_f32_e32 v6, v6, v9
	v_add_f32_e32 v5, v5, v6
	v_add_f32_e32 v5, v8, v5
	v_cmp_neq_f32_e32 vcc, s28, v3
	s_mov_b32 s28, 0x33800000
	v_cndmask_b32_e32 v5, v7, v5, vcc
	v_cmp_lt_f32_e64 vcc, |v3|, s28
	v_cndmask_b32_e32 v3, v5, v3, vcc
	v_add_f32_e32 v3, v4, v3
.LBB157_61:
	s_or_b64 exec, exec, s[4:5]
	v_max_f32_e32 v38, v19, v19
	v_max_f32_e32 v4, v3, v3
	v_min_f32_e32 v5, v4, v38
	v_cmp_u_f32_e32 vcc, v3, v3
	v_max_f32_e32 v4, v4, v38
	v_cndmask_b32_e32 v5, v5, v3, vcc
	v_cmp_u_f32_e64 s[28:29], v19, v19
	v_cndmask_b32_e32 v4, v4, v3, vcc
	v_cndmask_b32_e64 v5, v5, v19, s[28:29]
	v_cndmask_b32_e64 v4, v4, v19, s[28:29]
	v_cmp_neq_f32_e32 vcc, v5, v4
	v_cmp_class_f32_e64 s[4:5], v5, s30
	s_or_b64 s[30:31], vcc, s[4:5]
	s_and_saveexec_b64 s[4:5], s[30:31]
	s_cbranch_execz .LBB157_63
; %bb.62:
	v_sub_f32_e32 v3, v5, v4
	s_mov_b32 s30, 0x3fb8aa3b
	v_mul_f32_e32 v5, 0x3fb8aa3b, v3
	v_fma_f32 v6, v3, s30, -v5
	v_rndne_f32_e32 v7, v5
	v_fmac_f32_e32 v6, 0x32a5705f, v3
	v_sub_f32_e32 v5, v5, v7
	v_add_f32_e32 v5, v5, v6
	v_exp_f32_e32 v5, v5
	v_cvt_i32_f32_e32 v6, v7
	s_mov_b32 s30, 0xc2ce8ed0
	v_cmp_ngt_f32_e32 vcc, s30, v3
	s_mov_b32 s30, 0x42b17218
	v_ldexp_f32 v5, v5, v6
	v_cndmask_b32_e32 v5, 0, v5, vcc
	v_mov_b32_e32 v7, 0x7f800000
	v_cmp_nlt_f32_e32 vcc, s30, v3
	v_cndmask_b32_e32 v3, v7, v5, vcc
	v_add_f32_e32 v8, 1.0, v3
	v_cvt_f64_f32_e32 v[5:6], v8
	v_add_f32_e32 v9, -1.0, v8
	v_sub_f32_e32 v10, v9, v8
	v_sub_f32_e32 v9, v3, v9
	v_frexp_exp_i32_f64_e32 v5, v[5:6]
	v_add_f32_e32 v6, 1.0, v10
	v_add_f32_e32 v6, v9, v6
	v_frexp_mant_f32_e32 v9, v8
	s_mov_b32 s31, 0x3f2aaaab
	v_cmp_gt_f32_e32 vcc, s31, v9
	s_mov_b32 s31, 0x3f317218
	s_mov_b32 s30, 0x7f800000
	v_subbrev_co_u32_e32 v5, vcc, 0, v5, vcc
	v_sub_u32_e32 v9, 0, v5
	v_ldexp_f32 v8, v8, v9
	v_ldexp_f32 v6, v6, v9
	v_add_f32_e32 v9, -1.0, v8
	v_add_f32_e32 v39, 1.0, v8
	v_add_f32_e32 v10, 1.0, v9
	v_add_f32_e32 v40, -1.0, v39
	v_sub_f32_e32 v10, v8, v10
	v_sub_f32_e32 v8, v8, v40
	v_add_f32_e32 v10, v6, v10
	v_add_f32_e32 v6, v6, v8
	;; [unrolled: 1-line block ×3, first 2 shown]
	v_rcp_f32_e32 v40, v8
	v_add_f32_e32 v11, v9, v10
	v_sub_f32_e32 v9, v9, v11
	v_add_f32_e32 v9, v10, v9
	v_sub_f32_e32 v10, v39, v8
	v_add_f32_e32 v6, v6, v10
	v_mul_f32_e32 v10, v11, v40
	v_mul_f32_e32 v39, v8, v10
	v_fma_f32 v42, v10, v8, -v39
	v_fmac_f32_e32 v42, v10, v6
	v_add_f32_e32 v43, v39, v42
	v_sub_f32_e32 v44, v11, v43
	v_sub_f32_e32 v11, v11, v44
	;; [unrolled: 1-line block ×4, first 2 shown]
	v_add_f32_e32 v9, v9, v11
	v_sub_f32_e32 v11, v39, v42
	v_add_f32_e32 v9, v11, v9
	v_add_f32_e32 v11, v44, v9
	v_mul_f32_e32 v39, v40, v11
	v_mul_f32_e32 v42, v8, v39
	v_fma_f32 v8, v39, v8, -v42
	v_fmac_f32_e32 v8, v39, v6
	v_sub_f32_e32 v6, v44, v11
	v_add_f32_e32 v6, v9, v6
	v_add_f32_e32 v9, v42, v8
	v_sub_f32_e32 v43, v11, v9
	v_sub_f32_e32 v11, v11, v43
	;; [unrolled: 1-line block ×4, first 2 shown]
	v_add_f32_e32 v6, v6, v9
	v_sub_f32_e32 v8, v42, v8
	v_add_f32_e32 v6, v8, v6
	v_add_f32_e32 v8, v10, v39
	;; [unrolled: 1-line block ×3, first 2 shown]
	v_sub_f32_e32 v9, v8, v10
	v_mul_f32_e32 v6, v40, v6
	v_sub_f32_e32 v9, v39, v9
	v_add_f32_e32 v6, v9, v6
	v_cvt_f32_i32_e32 v5, v5
	v_add_f32_e32 v9, v8, v6
	v_mul_f32_e32 v10, v9, v9
	v_mov_b32_e32 v11, 0x3ecc95a3
	v_fmac_f32_e32 v11, 0x3e9b6dac, v10
	v_mov_b32_e32 v39, 0x3f2aaada
	v_fmac_f32_e32 v39, v10, v11
	v_mul_f32_e32 v11, 0x3f317218, v5
	v_fma_f32 v40, v5, s31, -v11
	v_fmac_f32_e32 v40, 0xb102e308, v5
	v_sub_f32_e32 v5, v9, v8
	v_sub_f32_e32 v5, v6, v5
	v_add_f32_e32 v6, v11, v40
	v_sub_f32_e32 v8, v6, v11
	v_ldexp_f32 v11, v9, 1
	v_mul_f32_e32 v9, v9, v10
	v_mul_f32_e32 v9, v9, v39
	v_add_f32_e32 v10, v11, v9
	v_sub_f32_e32 v11, v10, v11
	v_ldexp_f32 v5, v5, 1
	v_sub_f32_e32 v9, v9, v11
	v_add_f32_e32 v5, v5, v9
	v_add_f32_e32 v9, v10, v5
	v_sub_f32_e32 v10, v9, v10
	v_sub_f32_e32 v5, v5, v10
	v_add_f32_e32 v10, v6, v9
	v_sub_f32_e32 v11, v10, v6
	v_sub_f32_e32 v39, v10, v11
	;; [unrolled: 1-line block ×5, first 2 shown]
	v_add_f32_e32 v6, v9, v6
	v_add_f32_e32 v9, v8, v5
	v_sub_f32_e32 v11, v9, v8
	v_sub_f32_e32 v39, v9, v11
	;; [unrolled: 1-line block ×4, first 2 shown]
	v_add_f32_e32 v6, v9, v6
	v_add_f32_e32 v5, v5, v8
	;; [unrolled: 1-line block ×3, first 2 shown]
	v_sub_f32_e32 v9, v8, v10
	v_sub_f32_e32 v6, v6, v9
	v_add_f32_e32 v5, v5, v6
	v_add_f32_e32 v5, v8, v5
	v_cmp_neq_f32_e32 vcc, s30, v3
	s_mov_b32 s30, 0x33800000
	v_cndmask_b32_e32 v5, v7, v5, vcc
	v_cmp_lt_f32_e64 vcc, |v3|, s30
	v_cndmask_b32_e32 v3, v5, v3, vcc
	v_add_f32_e32 v3, v4, v3
.LBB157_63:
	s_or_b64 exec, exec, s[4:5]
	v_max_f32_e32 v39, v20, v20
	v_max_f32_e32 v4, v3, v3
	v_min_f32_e32 v5, v4, v39
	v_cmp_u_f32_e32 vcc, v3, v3
	v_max_f32_e32 v4, v4, v39
	v_cndmask_b32_e32 v5, v5, v3, vcc
	v_cmp_u_f32_e64 s[30:31], v20, v20
	v_cndmask_b32_e32 v4, v4, v3, vcc
	v_cndmask_b32_e64 v5, v5, v20, s[30:31]
	v_cndmask_b32_e64 v4, v4, v20, s[30:31]
	s_movk_i32 s38, 0x1f8
	v_cmp_neq_f32_e32 vcc, v5, v4
	v_cmp_class_f32_e64 s[4:5], v5, s38
	s_or_b64 s[34:35], vcc, s[4:5]
	s_and_saveexec_b64 s[4:5], s[34:35]
	s_cbranch_execz .LBB157_65
; %bb.64:
	v_sub_f32_e32 v3, v5, v4
	s_mov_b32 s34, 0x3fb8aa3b
	v_mul_f32_e32 v5, 0x3fb8aa3b, v3
	v_fma_f32 v6, v3, s34, -v5
	v_rndne_f32_e32 v7, v5
	v_fmac_f32_e32 v6, 0x32a5705f, v3
	v_sub_f32_e32 v5, v5, v7
	v_add_f32_e32 v5, v5, v6
	v_exp_f32_e32 v5, v5
	v_cvt_i32_f32_e32 v6, v7
	s_mov_b32 s34, 0xc2ce8ed0
	v_cmp_ngt_f32_e32 vcc, s34, v3
	s_mov_b32 s34, 0x42b17218
	v_ldexp_f32 v5, v5, v6
	v_cndmask_b32_e32 v5, 0, v5, vcc
	v_mov_b32_e32 v7, 0x7f800000
	v_cmp_nlt_f32_e32 vcc, s34, v3
	v_cndmask_b32_e32 v3, v7, v5, vcc
	v_add_f32_e32 v8, 1.0, v3
	v_cvt_f64_f32_e32 v[5:6], v8
	v_add_f32_e32 v9, -1.0, v8
	v_sub_f32_e32 v10, v9, v8
	v_sub_f32_e32 v9, v3, v9
	v_frexp_exp_i32_f64_e32 v5, v[5:6]
	v_add_f32_e32 v6, 1.0, v10
	v_add_f32_e32 v6, v9, v6
	v_frexp_mant_f32_e32 v9, v8
	s_mov_b32 s35, 0x3f2aaaab
	v_cmp_gt_f32_e32 vcc, s35, v9
	s_mov_b32 s35, 0x3f317218
	s_mov_b32 s34, 0x7f800000
	v_subbrev_co_u32_e32 v5, vcc, 0, v5, vcc
	v_sub_u32_e32 v9, 0, v5
	v_ldexp_f32 v8, v8, v9
	v_ldexp_f32 v6, v6, v9
	v_add_f32_e32 v9, -1.0, v8
	v_add_f32_e32 v40, 1.0, v8
	v_add_f32_e32 v10, 1.0, v9
	v_add_f32_e32 v42, -1.0, v40
	v_sub_f32_e32 v10, v8, v10
	v_sub_f32_e32 v8, v8, v42
	v_add_f32_e32 v10, v6, v10
	v_add_f32_e32 v6, v6, v8
	;; [unrolled: 1-line block ×3, first 2 shown]
	v_rcp_f32_e32 v42, v8
	v_add_f32_e32 v11, v9, v10
	v_sub_f32_e32 v9, v9, v11
	v_add_f32_e32 v9, v10, v9
	v_sub_f32_e32 v10, v40, v8
	v_add_f32_e32 v6, v6, v10
	v_mul_f32_e32 v10, v11, v42
	v_mul_f32_e32 v40, v8, v10
	v_fma_f32 v43, v10, v8, -v40
	v_fmac_f32_e32 v43, v10, v6
	v_add_f32_e32 v44, v40, v43
	v_sub_f32_e32 v45, v11, v44
	v_sub_f32_e32 v11, v11, v45
	;; [unrolled: 1-line block ×4, first 2 shown]
	v_add_f32_e32 v9, v9, v11
	v_sub_f32_e32 v11, v40, v43
	v_add_f32_e32 v9, v11, v9
	v_add_f32_e32 v11, v45, v9
	v_mul_f32_e32 v40, v42, v11
	v_mul_f32_e32 v43, v8, v40
	v_fma_f32 v8, v40, v8, -v43
	v_fmac_f32_e32 v8, v40, v6
	v_sub_f32_e32 v6, v45, v11
	v_add_f32_e32 v6, v9, v6
	v_add_f32_e32 v9, v43, v8
	v_sub_f32_e32 v44, v11, v9
	v_sub_f32_e32 v11, v11, v44
	;; [unrolled: 1-line block ×4, first 2 shown]
	v_add_f32_e32 v6, v6, v9
	v_sub_f32_e32 v8, v43, v8
	v_add_f32_e32 v6, v8, v6
	v_add_f32_e32 v8, v10, v40
	v_add_f32_e32 v6, v44, v6
	v_sub_f32_e32 v9, v8, v10
	v_mul_f32_e32 v6, v42, v6
	v_sub_f32_e32 v9, v40, v9
	v_add_f32_e32 v6, v9, v6
	v_cvt_f32_i32_e32 v5, v5
	v_add_f32_e32 v9, v8, v6
	v_mul_f32_e32 v10, v9, v9
	v_mov_b32_e32 v11, 0x3ecc95a3
	v_fmac_f32_e32 v11, 0x3e9b6dac, v10
	v_mov_b32_e32 v40, 0x3f2aaada
	v_fmac_f32_e32 v40, v10, v11
	v_mul_f32_e32 v11, 0x3f317218, v5
	v_fma_f32 v42, v5, s35, -v11
	v_fmac_f32_e32 v42, 0xb102e308, v5
	v_sub_f32_e32 v5, v9, v8
	v_sub_f32_e32 v5, v6, v5
	v_add_f32_e32 v6, v11, v42
	v_sub_f32_e32 v8, v6, v11
	v_ldexp_f32 v11, v9, 1
	v_mul_f32_e32 v9, v9, v10
	v_mul_f32_e32 v9, v9, v40
	v_add_f32_e32 v10, v11, v9
	v_sub_f32_e32 v11, v10, v11
	v_ldexp_f32 v5, v5, 1
	v_sub_f32_e32 v9, v9, v11
	v_add_f32_e32 v5, v5, v9
	v_add_f32_e32 v9, v10, v5
	v_sub_f32_e32 v10, v9, v10
	v_sub_f32_e32 v5, v5, v10
	v_add_f32_e32 v10, v6, v9
	v_sub_f32_e32 v11, v10, v6
	v_sub_f32_e32 v40, v10, v11
	;; [unrolled: 1-line block ×5, first 2 shown]
	v_add_f32_e32 v6, v9, v6
	v_add_f32_e32 v9, v8, v5
	v_sub_f32_e32 v11, v9, v8
	v_sub_f32_e32 v40, v9, v11
	;; [unrolled: 1-line block ×4, first 2 shown]
	v_add_f32_e32 v6, v9, v6
	v_add_f32_e32 v5, v5, v8
	;; [unrolled: 1-line block ×3, first 2 shown]
	v_sub_f32_e32 v9, v8, v10
	v_sub_f32_e32 v6, v6, v9
	v_add_f32_e32 v5, v5, v6
	v_add_f32_e32 v5, v8, v5
	v_cmp_neq_f32_e32 vcc, s34, v3
	s_mov_b32 s34, 0x33800000
	v_cndmask_b32_e32 v5, v7, v5, vcc
	v_cmp_lt_f32_e64 vcc, |v3|, s34
	v_cndmask_b32_e32 v3, v5, v3, vcc
	v_add_f32_e32 v3, v4, v3
.LBB157_65:
	s_or_b64 exec, exec, s[4:5]
	v_max_f32_e32 v40, v33, v33
	v_max_f32_e32 v4, v3, v3
	v_min_f32_e32 v5, v4, v40
	v_cmp_u_f32_e32 vcc, v3, v3
	v_max_f32_e32 v4, v4, v40
	v_cndmask_b32_e32 v5, v5, v3, vcc
	v_cmp_u_f32_e64 s[34:35], v33, v33
	v_cndmask_b32_e32 v4, v4, v3, vcc
	v_cndmask_b32_e64 v5, v5, v33, s[34:35]
	v_cndmask_b32_e64 v4, v4, v33, s[34:35]
	v_cmp_neq_f32_e32 vcc, v5, v4
	v_cmp_class_f32_e64 s[4:5], v5, s38
	s_or_b64 s[38:39], vcc, s[4:5]
	s_and_saveexec_b64 s[4:5], s[38:39]
	s_cbranch_execz .LBB157_67
; %bb.66:
	v_sub_f32_e32 v3, v5, v4
	s_mov_b32 s38, 0x3fb8aa3b
	v_mul_f32_e32 v5, 0x3fb8aa3b, v3
	v_fma_f32 v6, v3, s38, -v5
	v_rndne_f32_e32 v7, v5
	v_fmac_f32_e32 v6, 0x32a5705f, v3
	v_sub_f32_e32 v5, v5, v7
	v_add_f32_e32 v5, v5, v6
	v_exp_f32_e32 v5, v5
	v_cvt_i32_f32_e32 v6, v7
	s_mov_b32 s38, 0xc2ce8ed0
	v_cmp_ngt_f32_e32 vcc, s38, v3
	s_mov_b32 s38, 0x42b17218
	v_ldexp_f32 v5, v5, v6
	v_cndmask_b32_e32 v5, 0, v5, vcc
	v_mov_b32_e32 v7, 0x7f800000
	v_cmp_nlt_f32_e32 vcc, s38, v3
	v_cndmask_b32_e32 v3, v7, v5, vcc
	v_add_f32_e32 v8, 1.0, v3
	v_cvt_f64_f32_e32 v[5:6], v8
	v_add_f32_e32 v9, -1.0, v8
	v_sub_f32_e32 v10, v9, v8
	v_sub_f32_e32 v9, v3, v9
	v_frexp_exp_i32_f64_e32 v5, v[5:6]
	v_add_f32_e32 v6, 1.0, v10
	v_add_f32_e32 v6, v9, v6
	v_frexp_mant_f32_e32 v9, v8
	s_mov_b32 s39, 0x3f2aaaab
	v_cmp_gt_f32_e32 vcc, s39, v9
	s_mov_b32 s39, 0x3f317218
	s_mov_b32 s38, 0x7f800000
	v_subbrev_co_u32_e32 v5, vcc, 0, v5, vcc
	v_sub_u32_e32 v9, 0, v5
	v_ldexp_f32 v8, v8, v9
	v_ldexp_f32 v6, v6, v9
	v_add_f32_e32 v9, -1.0, v8
	v_add_f32_e32 v42, 1.0, v8
	v_add_f32_e32 v10, 1.0, v9
	v_add_f32_e32 v43, -1.0, v42
	v_sub_f32_e32 v10, v8, v10
	v_sub_f32_e32 v8, v8, v43
	v_add_f32_e32 v10, v6, v10
	v_add_f32_e32 v6, v6, v8
	;; [unrolled: 1-line block ×3, first 2 shown]
	v_rcp_f32_e32 v43, v8
	v_add_f32_e32 v11, v9, v10
	v_sub_f32_e32 v9, v9, v11
	v_add_f32_e32 v9, v10, v9
	v_sub_f32_e32 v10, v42, v8
	v_add_f32_e32 v6, v6, v10
	v_mul_f32_e32 v10, v11, v43
	v_mul_f32_e32 v42, v8, v10
	v_fma_f32 v44, v10, v8, -v42
	v_fmac_f32_e32 v44, v10, v6
	v_add_f32_e32 v45, v42, v44
	v_sub_f32_e32 v46, v11, v45
	v_sub_f32_e32 v11, v11, v46
	;; [unrolled: 1-line block ×4, first 2 shown]
	v_add_f32_e32 v9, v9, v11
	v_sub_f32_e32 v11, v42, v44
	v_add_f32_e32 v9, v11, v9
	v_add_f32_e32 v11, v46, v9
	v_mul_f32_e32 v42, v43, v11
	v_mul_f32_e32 v44, v8, v42
	v_fma_f32 v8, v42, v8, -v44
	v_fmac_f32_e32 v8, v42, v6
	v_sub_f32_e32 v6, v46, v11
	v_add_f32_e32 v6, v9, v6
	v_add_f32_e32 v9, v44, v8
	v_sub_f32_e32 v45, v11, v9
	v_sub_f32_e32 v11, v11, v45
	;; [unrolled: 1-line block ×4, first 2 shown]
	v_add_f32_e32 v6, v6, v9
	v_sub_f32_e32 v8, v44, v8
	v_add_f32_e32 v6, v8, v6
	v_add_f32_e32 v8, v10, v42
	v_add_f32_e32 v6, v45, v6
	v_sub_f32_e32 v9, v8, v10
	v_mul_f32_e32 v6, v43, v6
	v_sub_f32_e32 v9, v42, v9
	v_add_f32_e32 v6, v9, v6
	v_cvt_f32_i32_e32 v5, v5
	v_add_f32_e32 v9, v8, v6
	v_mul_f32_e32 v10, v9, v9
	v_mov_b32_e32 v11, 0x3ecc95a3
	v_fmac_f32_e32 v11, 0x3e9b6dac, v10
	v_mov_b32_e32 v42, 0x3f2aaada
	v_fmac_f32_e32 v42, v10, v11
	v_mul_f32_e32 v11, 0x3f317218, v5
	v_fma_f32 v43, v5, s39, -v11
	v_fmac_f32_e32 v43, 0xb102e308, v5
	v_sub_f32_e32 v5, v9, v8
	v_sub_f32_e32 v5, v6, v5
	v_add_f32_e32 v6, v11, v43
	v_sub_f32_e32 v8, v6, v11
	v_ldexp_f32 v11, v9, 1
	v_mul_f32_e32 v9, v9, v10
	v_mul_f32_e32 v9, v9, v42
	v_add_f32_e32 v10, v11, v9
	v_sub_f32_e32 v11, v10, v11
	v_ldexp_f32 v5, v5, 1
	v_sub_f32_e32 v9, v9, v11
	v_add_f32_e32 v5, v5, v9
	v_add_f32_e32 v9, v10, v5
	v_sub_f32_e32 v10, v9, v10
	v_sub_f32_e32 v5, v5, v10
	v_add_f32_e32 v10, v6, v9
	v_sub_f32_e32 v11, v10, v6
	v_sub_f32_e32 v42, v10, v11
	;; [unrolled: 1-line block ×5, first 2 shown]
	v_add_f32_e32 v6, v9, v6
	v_add_f32_e32 v9, v8, v5
	v_sub_f32_e32 v11, v9, v8
	v_sub_f32_e32 v42, v9, v11
	v_sub_f32_e32 v8, v8, v42
	v_sub_f32_e32 v5, v5, v11
	v_add_f32_e32 v6, v9, v6
	v_add_f32_e32 v5, v5, v8
	;; [unrolled: 1-line block ×3, first 2 shown]
	v_sub_f32_e32 v9, v8, v10
	v_sub_f32_e32 v6, v6, v9
	v_add_f32_e32 v5, v5, v6
	v_add_f32_e32 v5, v8, v5
	v_cmp_neq_f32_e32 vcc, s38, v3
	s_mov_b32 s38, 0x33800000
	v_cndmask_b32_e32 v5, v7, v5, vcc
	v_cmp_lt_f32_e64 vcc, |v3|, s38
	v_cndmask_b32_e32 v3, v5, v3, vcc
	v_add_f32_e32 v3, v4, v3
.LBB157_67:
	s_or_b64 exec, exec, s[4:5]
	v_mbcnt_lo_u32_b32 v4, -1, 0
	v_mbcnt_hi_u32_b32 v5, -1, v4
	v_and_b32_e32 v4, 15, v5
	v_mov_b32_dpp v6, v3 row_shr:1 row_mask:0xf bank_mask:0xf
	v_cmp_ne_u32_e32 vcc, 0, v4
	s_and_saveexec_b64 s[38:39], vcc
	s_cbranch_execz .LBB157_71
; %bb.68:
	v_max_f32_e32 v8, v3, v3
	v_max_f32_e32 v9, v6, v6
	v_min_f32_e32 v7, v9, v8
	v_cmp_u_f32_e32 vcc, v6, v6
	v_max_f32_e32 v8, v9, v8
	v_cndmask_b32_e32 v7, v7, v6, vcc
	v_cmp_u_f32_e64 s[4:5], v3, v3
	v_cndmask_b32_e32 v8, v8, v6, vcc
	v_cndmask_b32_e64 v7, v7, v3, s[4:5]
	v_cndmask_b32_e64 v3, v8, v3, s[4:5]
	s_movk_i32 s4, 0x1f8
	v_cmp_neq_f32_e32 vcc, v7, v3
	v_cmp_class_f32_e64 s[4:5], v7, s4
	s_or_b64 s[58:59], vcc, s[4:5]
	s_and_saveexec_b64 s[4:5], s[58:59]
	s_cbranch_execz .LBB157_70
; %bb.69:
	v_sub_f32_e32 v6, v7, v3
	s_mov_b32 s58, 0x3fb8aa3b
	v_mul_f32_e32 v7, 0x3fb8aa3b, v6
	v_fma_f32 v8, v6, s58, -v7
	v_rndne_f32_e32 v9, v7
	v_fmac_f32_e32 v8, 0x32a5705f, v6
	v_sub_f32_e32 v7, v7, v9
	v_add_f32_e32 v7, v7, v8
	v_exp_f32_e32 v7, v7
	v_cvt_i32_f32_e32 v8, v9
	s_mov_b32 s58, 0xc2ce8ed0
	v_cmp_ngt_f32_e32 vcc, s58, v6
	s_mov_b32 s58, 0x42b17218
	v_ldexp_f32 v7, v7, v8
	v_cndmask_b32_e32 v7, 0, v7, vcc
	v_mov_b32_e32 v8, 0x7f800000
	v_cmp_nlt_f32_e32 vcc, s58, v6
	v_cndmask_b32_e32 v9, v8, v7, vcc
	v_add_f32_e32 v10, 1.0, v9
	v_cvt_f64_f32_e32 v[6:7], v10
	v_add_f32_e32 v11, -1.0, v10
	v_sub_f32_e32 v42, v11, v10
	v_sub_f32_e32 v11, v9, v11
	v_frexp_exp_i32_f64_e32 v6, v[6:7]
	v_add_f32_e32 v7, 1.0, v42
	v_add_f32_e32 v7, v11, v7
	v_frexp_mant_f32_e32 v11, v10
	s_mov_b32 s59, 0x3f2aaaab
	v_cmp_gt_f32_e32 vcc, s59, v11
	s_mov_b32 s59, 0x3f317218
	s_mov_b32 s58, 0x7f800000
	v_subbrev_co_u32_e32 v6, vcc, 0, v6, vcc
	v_sub_u32_e32 v11, 0, v6
	v_ldexp_f32 v10, v10, v11
	v_ldexp_f32 v7, v7, v11
	v_add_f32_e32 v11, -1.0, v10
	v_add_f32_e32 v44, 1.0, v10
	v_add_f32_e32 v42, 1.0, v11
	v_add_f32_e32 v45, -1.0, v44
	v_sub_f32_e32 v42, v10, v42
	v_sub_f32_e32 v10, v10, v45
	v_add_f32_e32 v42, v7, v42
	v_add_f32_e32 v7, v7, v10
	;; [unrolled: 1-line block ×3, first 2 shown]
	v_rcp_f32_e32 v45, v10
	v_add_f32_e32 v43, v11, v42
	v_sub_f32_e32 v11, v11, v43
	v_add_f32_e32 v11, v42, v11
	v_sub_f32_e32 v42, v44, v10
	v_add_f32_e32 v7, v7, v42
	v_mul_f32_e32 v42, v43, v45
	v_mul_f32_e32 v44, v10, v42
	v_fma_f32 v46, v42, v10, -v44
	v_fmac_f32_e32 v46, v42, v7
	v_add_f32_e32 v47, v44, v46
	v_sub_f32_e32 v48, v43, v47
	v_sub_f32_e32 v43, v43, v48
	;; [unrolled: 1-line block ×4, first 2 shown]
	v_add_f32_e32 v11, v11, v43
	v_sub_f32_e32 v43, v44, v46
	v_add_f32_e32 v11, v43, v11
	v_add_f32_e32 v43, v48, v11
	v_mul_f32_e32 v44, v45, v43
	v_mul_f32_e32 v46, v10, v44
	v_fma_f32 v10, v44, v10, -v46
	v_fmac_f32_e32 v10, v44, v7
	v_sub_f32_e32 v7, v48, v43
	v_add_f32_e32 v7, v11, v7
	v_add_f32_e32 v11, v46, v10
	v_sub_f32_e32 v47, v43, v11
	v_sub_f32_e32 v43, v43, v47
	;; [unrolled: 1-line block ×4, first 2 shown]
	v_add_f32_e32 v7, v7, v11
	v_sub_f32_e32 v10, v46, v10
	v_add_f32_e32 v7, v10, v7
	v_add_f32_e32 v10, v42, v44
	;; [unrolled: 1-line block ×3, first 2 shown]
	v_sub_f32_e32 v11, v10, v42
	v_mul_f32_e32 v7, v45, v7
	v_sub_f32_e32 v11, v44, v11
	v_add_f32_e32 v7, v11, v7
	v_cvt_f32_i32_e32 v6, v6
	v_add_f32_e32 v11, v10, v7
	v_mul_f32_e32 v42, v11, v11
	v_mov_b32_e32 v43, 0x3ecc95a3
	v_fmac_f32_e32 v43, 0x3e9b6dac, v42
	v_mov_b32_e32 v44, 0x3f2aaada
	v_fmac_f32_e32 v44, v42, v43
	v_mul_f32_e32 v43, 0x3f317218, v6
	v_fma_f32 v45, v6, s59, -v43
	v_fmac_f32_e32 v45, 0xb102e308, v6
	v_sub_f32_e32 v6, v11, v10
	v_sub_f32_e32 v6, v7, v6
	v_add_f32_e32 v7, v43, v45
	v_sub_f32_e32 v10, v7, v43
	v_ldexp_f32 v43, v11, 1
	v_mul_f32_e32 v11, v11, v42
	v_mul_f32_e32 v11, v11, v44
	v_add_f32_e32 v42, v43, v11
	v_sub_f32_e32 v43, v42, v43
	v_ldexp_f32 v6, v6, 1
	v_sub_f32_e32 v11, v11, v43
	v_add_f32_e32 v6, v6, v11
	v_add_f32_e32 v11, v42, v6
	v_sub_f32_e32 v42, v11, v42
	v_sub_f32_e32 v6, v6, v42
	v_add_f32_e32 v42, v7, v11
	v_sub_f32_e32 v43, v42, v7
	v_sub_f32_e32 v44, v42, v43
	;; [unrolled: 1-line block ×5, first 2 shown]
	v_add_f32_e32 v7, v11, v7
	v_add_f32_e32 v11, v10, v6
	v_sub_f32_e32 v43, v11, v10
	v_sub_f32_e32 v44, v11, v43
	;; [unrolled: 1-line block ×4, first 2 shown]
	v_add_f32_e32 v7, v11, v7
	v_add_f32_e32 v6, v6, v10
	;; [unrolled: 1-line block ×3, first 2 shown]
	v_sub_f32_e32 v11, v10, v42
	v_sub_f32_e32 v7, v7, v11
	v_add_f32_e32 v6, v6, v7
	v_add_f32_e32 v6, v10, v6
	v_cmp_neq_f32_e32 vcc, s58, v9
	s_mov_b32 s58, 0x33800000
	v_cndmask_b32_e32 v6, v8, v6, vcc
	v_cmp_lt_f32_e64 vcc, |v9|, s58
	v_cndmask_b32_e32 v6, v6, v9, vcc
	v_add_f32_e32 v6, v3, v6
.LBB157_70:
	s_or_b64 exec, exec, s[4:5]
	v_mov_b32_e32 v3, v6
.LBB157_71:
	s_or_b64 exec, exec, s[38:39]
	s_nop 0
	v_mov_b32_dpp v6, v3 row_shr:2 row_mask:0xf bank_mask:0xf
	v_cmp_lt_u32_e32 vcc, 1, v4
	s_and_saveexec_b64 s[38:39], vcc
	s_cbranch_execz .LBB157_75
; %bb.72:
	v_max_f32_e32 v8, v3, v3
	v_max_f32_e32 v9, v6, v6
	v_min_f32_e32 v7, v9, v8
	v_cmp_u_f32_e32 vcc, v6, v6
	v_max_f32_e32 v8, v9, v8
	v_cndmask_b32_e32 v7, v7, v6, vcc
	v_cmp_u_f32_e64 s[4:5], v3, v3
	v_cndmask_b32_e32 v8, v8, v6, vcc
	v_cndmask_b32_e64 v7, v7, v3, s[4:5]
	v_cndmask_b32_e64 v3, v8, v3, s[4:5]
	s_movk_i32 s4, 0x1f8
	v_cmp_neq_f32_e32 vcc, v7, v3
	v_cmp_class_f32_e64 s[4:5], v7, s4
	s_or_b64 s[58:59], vcc, s[4:5]
	s_and_saveexec_b64 s[4:5], s[58:59]
	s_cbranch_execz .LBB157_74
; %bb.73:
	v_sub_f32_e32 v6, v7, v3
	s_mov_b32 s58, 0x3fb8aa3b
	v_mul_f32_e32 v7, 0x3fb8aa3b, v6
	v_fma_f32 v8, v6, s58, -v7
	v_rndne_f32_e32 v9, v7
	v_fmac_f32_e32 v8, 0x32a5705f, v6
	v_sub_f32_e32 v7, v7, v9
	v_add_f32_e32 v7, v7, v8
	v_exp_f32_e32 v7, v7
	v_cvt_i32_f32_e32 v8, v9
	s_mov_b32 s58, 0xc2ce8ed0
	v_cmp_ngt_f32_e32 vcc, s58, v6
	s_mov_b32 s58, 0x42b17218
	v_ldexp_f32 v7, v7, v8
	v_cndmask_b32_e32 v7, 0, v7, vcc
	v_mov_b32_e32 v8, 0x7f800000
	v_cmp_nlt_f32_e32 vcc, s58, v6
	v_cndmask_b32_e32 v9, v8, v7, vcc
	v_add_f32_e32 v10, 1.0, v9
	v_cvt_f64_f32_e32 v[6:7], v10
	v_add_f32_e32 v11, -1.0, v10
	v_sub_f32_e32 v42, v11, v10
	v_sub_f32_e32 v11, v9, v11
	v_frexp_exp_i32_f64_e32 v6, v[6:7]
	v_add_f32_e32 v7, 1.0, v42
	v_add_f32_e32 v7, v11, v7
	v_frexp_mant_f32_e32 v11, v10
	s_mov_b32 s59, 0x3f2aaaab
	v_cmp_gt_f32_e32 vcc, s59, v11
	s_mov_b32 s59, 0x3f317218
	s_mov_b32 s58, 0x7f800000
	v_subbrev_co_u32_e32 v6, vcc, 0, v6, vcc
	v_sub_u32_e32 v11, 0, v6
	v_ldexp_f32 v10, v10, v11
	v_ldexp_f32 v7, v7, v11
	v_add_f32_e32 v11, -1.0, v10
	v_add_f32_e32 v44, 1.0, v10
	v_add_f32_e32 v42, 1.0, v11
	v_add_f32_e32 v45, -1.0, v44
	v_sub_f32_e32 v42, v10, v42
	v_sub_f32_e32 v10, v10, v45
	v_add_f32_e32 v42, v7, v42
	v_add_f32_e32 v7, v7, v10
	;; [unrolled: 1-line block ×3, first 2 shown]
	v_rcp_f32_e32 v45, v10
	v_add_f32_e32 v43, v11, v42
	v_sub_f32_e32 v11, v11, v43
	v_add_f32_e32 v11, v42, v11
	v_sub_f32_e32 v42, v44, v10
	v_add_f32_e32 v7, v7, v42
	v_mul_f32_e32 v42, v43, v45
	v_mul_f32_e32 v44, v10, v42
	v_fma_f32 v46, v42, v10, -v44
	v_fmac_f32_e32 v46, v42, v7
	v_add_f32_e32 v47, v44, v46
	v_sub_f32_e32 v48, v43, v47
	v_sub_f32_e32 v43, v43, v48
	;; [unrolled: 1-line block ×4, first 2 shown]
	v_add_f32_e32 v11, v11, v43
	v_sub_f32_e32 v43, v44, v46
	v_add_f32_e32 v11, v43, v11
	v_add_f32_e32 v43, v48, v11
	v_mul_f32_e32 v44, v45, v43
	v_mul_f32_e32 v46, v10, v44
	v_fma_f32 v10, v44, v10, -v46
	v_fmac_f32_e32 v10, v44, v7
	v_sub_f32_e32 v7, v48, v43
	v_add_f32_e32 v7, v11, v7
	v_add_f32_e32 v11, v46, v10
	v_sub_f32_e32 v47, v43, v11
	v_sub_f32_e32 v43, v43, v47
	;; [unrolled: 1-line block ×4, first 2 shown]
	v_add_f32_e32 v7, v7, v11
	v_sub_f32_e32 v10, v46, v10
	v_add_f32_e32 v7, v10, v7
	v_add_f32_e32 v10, v42, v44
	;; [unrolled: 1-line block ×3, first 2 shown]
	v_sub_f32_e32 v11, v10, v42
	v_mul_f32_e32 v7, v45, v7
	v_sub_f32_e32 v11, v44, v11
	v_add_f32_e32 v7, v11, v7
	v_cvt_f32_i32_e32 v6, v6
	v_add_f32_e32 v11, v10, v7
	v_mul_f32_e32 v42, v11, v11
	v_mov_b32_e32 v43, 0x3ecc95a3
	v_fmac_f32_e32 v43, 0x3e9b6dac, v42
	v_mov_b32_e32 v44, 0x3f2aaada
	v_fmac_f32_e32 v44, v42, v43
	v_mul_f32_e32 v43, 0x3f317218, v6
	v_fma_f32 v45, v6, s59, -v43
	v_fmac_f32_e32 v45, 0xb102e308, v6
	v_sub_f32_e32 v6, v11, v10
	v_sub_f32_e32 v6, v7, v6
	v_add_f32_e32 v7, v43, v45
	v_sub_f32_e32 v10, v7, v43
	v_ldexp_f32 v43, v11, 1
	v_mul_f32_e32 v11, v11, v42
	v_mul_f32_e32 v11, v11, v44
	v_add_f32_e32 v42, v43, v11
	v_sub_f32_e32 v43, v42, v43
	v_ldexp_f32 v6, v6, 1
	v_sub_f32_e32 v11, v11, v43
	v_add_f32_e32 v6, v6, v11
	v_add_f32_e32 v11, v42, v6
	v_sub_f32_e32 v42, v11, v42
	v_sub_f32_e32 v6, v6, v42
	v_add_f32_e32 v42, v7, v11
	v_sub_f32_e32 v43, v42, v7
	v_sub_f32_e32 v44, v42, v43
	;; [unrolled: 1-line block ×5, first 2 shown]
	v_add_f32_e32 v7, v11, v7
	v_add_f32_e32 v11, v10, v6
	v_sub_f32_e32 v43, v11, v10
	v_sub_f32_e32 v44, v11, v43
	;; [unrolled: 1-line block ×4, first 2 shown]
	v_add_f32_e32 v7, v11, v7
	v_add_f32_e32 v6, v6, v10
	;; [unrolled: 1-line block ×3, first 2 shown]
	v_sub_f32_e32 v11, v10, v42
	v_sub_f32_e32 v7, v7, v11
	v_add_f32_e32 v6, v6, v7
	v_add_f32_e32 v6, v10, v6
	v_cmp_neq_f32_e32 vcc, s58, v9
	s_mov_b32 s58, 0x33800000
	v_cndmask_b32_e32 v6, v8, v6, vcc
	v_cmp_lt_f32_e64 vcc, |v9|, s58
	v_cndmask_b32_e32 v6, v6, v9, vcc
	v_add_f32_e32 v6, v3, v6
.LBB157_74:
	s_or_b64 exec, exec, s[4:5]
	v_mov_b32_e32 v3, v6
.LBB157_75:
	s_or_b64 exec, exec, s[38:39]
	s_nop 0
	v_mov_b32_dpp v6, v3 row_shr:4 row_mask:0xf bank_mask:0xf
	v_cmp_lt_u32_e32 vcc, 3, v4
	s_and_saveexec_b64 s[38:39], vcc
	s_cbranch_execz .LBB157_79
; %bb.76:
	v_max_f32_e32 v8, v3, v3
	v_max_f32_e32 v9, v6, v6
	v_min_f32_e32 v7, v9, v8
	v_cmp_u_f32_e32 vcc, v6, v6
	v_max_f32_e32 v8, v9, v8
	v_cndmask_b32_e32 v7, v7, v6, vcc
	v_cmp_u_f32_e64 s[4:5], v3, v3
	v_cndmask_b32_e32 v8, v8, v6, vcc
	v_cndmask_b32_e64 v7, v7, v3, s[4:5]
	v_cndmask_b32_e64 v3, v8, v3, s[4:5]
	s_movk_i32 s4, 0x1f8
	v_cmp_neq_f32_e32 vcc, v7, v3
	v_cmp_class_f32_e64 s[4:5], v7, s4
	s_or_b64 s[58:59], vcc, s[4:5]
	s_and_saveexec_b64 s[4:5], s[58:59]
	s_cbranch_execz .LBB157_78
; %bb.77:
	v_sub_f32_e32 v6, v7, v3
	s_mov_b32 s58, 0x3fb8aa3b
	v_mul_f32_e32 v7, 0x3fb8aa3b, v6
	v_fma_f32 v8, v6, s58, -v7
	v_rndne_f32_e32 v9, v7
	v_fmac_f32_e32 v8, 0x32a5705f, v6
	v_sub_f32_e32 v7, v7, v9
	v_add_f32_e32 v7, v7, v8
	v_exp_f32_e32 v7, v7
	v_cvt_i32_f32_e32 v8, v9
	s_mov_b32 s58, 0xc2ce8ed0
	v_cmp_ngt_f32_e32 vcc, s58, v6
	s_mov_b32 s58, 0x42b17218
	v_ldexp_f32 v7, v7, v8
	v_cndmask_b32_e32 v7, 0, v7, vcc
	v_mov_b32_e32 v8, 0x7f800000
	v_cmp_nlt_f32_e32 vcc, s58, v6
	v_cndmask_b32_e32 v9, v8, v7, vcc
	v_add_f32_e32 v10, 1.0, v9
	v_cvt_f64_f32_e32 v[6:7], v10
	v_add_f32_e32 v11, -1.0, v10
	v_sub_f32_e32 v42, v11, v10
	v_sub_f32_e32 v11, v9, v11
	v_frexp_exp_i32_f64_e32 v6, v[6:7]
	v_add_f32_e32 v7, 1.0, v42
	v_add_f32_e32 v7, v11, v7
	v_frexp_mant_f32_e32 v11, v10
	s_mov_b32 s59, 0x3f2aaaab
	v_cmp_gt_f32_e32 vcc, s59, v11
	s_mov_b32 s59, 0x3f317218
	s_mov_b32 s58, 0x7f800000
	v_subbrev_co_u32_e32 v6, vcc, 0, v6, vcc
	v_sub_u32_e32 v11, 0, v6
	v_ldexp_f32 v10, v10, v11
	v_ldexp_f32 v7, v7, v11
	v_add_f32_e32 v11, -1.0, v10
	v_add_f32_e32 v44, 1.0, v10
	v_add_f32_e32 v42, 1.0, v11
	v_add_f32_e32 v45, -1.0, v44
	v_sub_f32_e32 v42, v10, v42
	v_sub_f32_e32 v10, v10, v45
	v_add_f32_e32 v42, v7, v42
	v_add_f32_e32 v7, v7, v10
	;; [unrolled: 1-line block ×3, first 2 shown]
	v_rcp_f32_e32 v45, v10
	v_add_f32_e32 v43, v11, v42
	v_sub_f32_e32 v11, v11, v43
	v_add_f32_e32 v11, v42, v11
	v_sub_f32_e32 v42, v44, v10
	v_add_f32_e32 v7, v7, v42
	v_mul_f32_e32 v42, v43, v45
	v_mul_f32_e32 v44, v10, v42
	v_fma_f32 v46, v42, v10, -v44
	v_fmac_f32_e32 v46, v42, v7
	v_add_f32_e32 v47, v44, v46
	v_sub_f32_e32 v48, v43, v47
	v_sub_f32_e32 v43, v43, v48
	;; [unrolled: 1-line block ×4, first 2 shown]
	v_add_f32_e32 v11, v11, v43
	v_sub_f32_e32 v43, v44, v46
	v_add_f32_e32 v11, v43, v11
	v_add_f32_e32 v43, v48, v11
	v_mul_f32_e32 v44, v45, v43
	v_mul_f32_e32 v46, v10, v44
	v_fma_f32 v10, v44, v10, -v46
	v_fmac_f32_e32 v10, v44, v7
	v_sub_f32_e32 v7, v48, v43
	v_add_f32_e32 v7, v11, v7
	v_add_f32_e32 v11, v46, v10
	v_sub_f32_e32 v47, v43, v11
	v_sub_f32_e32 v43, v43, v47
	;; [unrolled: 1-line block ×4, first 2 shown]
	v_add_f32_e32 v7, v7, v11
	v_sub_f32_e32 v10, v46, v10
	v_add_f32_e32 v7, v10, v7
	v_add_f32_e32 v10, v42, v44
	;; [unrolled: 1-line block ×3, first 2 shown]
	v_sub_f32_e32 v11, v10, v42
	v_mul_f32_e32 v7, v45, v7
	v_sub_f32_e32 v11, v44, v11
	v_add_f32_e32 v7, v11, v7
	v_cvt_f32_i32_e32 v6, v6
	v_add_f32_e32 v11, v10, v7
	v_mul_f32_e32 v42, v11, v11
	v_mov_b32_e32 v43, 0x3ecc95a3
	v_fmac_f32_e32 v43, 0x3e9b6dac, v42
	v_mov_b32_e32 v44, 0x3f2aaada
	v_fmac_f32_e32 v44, v42, v43
	v_mul_f32_e32 v43, 0x3f317218, v6
	v_fma_f32 v45, v6, s59, -v43
	v_fmac_f32_e32 v45, 0xb102e308, v6
	v_sub_f32_e32 v6, v11, v10
	v_sub_f32_e32 v6, v7, v6
	v_add_f32_e32 v7, v43, v45
	v_sub_f32_e32 v10, v7, v43
	v_ldexp_f32 v43, v11, 1
	v_mul_f32_e32 v11, v11, v42
	v_mul_f32_e32 v11, v11, v44
	v_add_f32_e32 v42, v43, v11
	v_sub_f32_e32 v43, v42, v43
	v_ldexp_f32 v6, v6, 1
	v_sub_f32_e32 v11, v11, v43
	v_add_f32_e32 v6, v6, v11
	v_add_f32_e32 v11, v42, v6
	v_sub_f32_e32 v42, v11, v42
	v_sub_f32_e32 v6, v6, v42
	v_add_f32_e32 v42, v7, v11
	v_sub_f32_e32 v43, v42, v7
	v_sub_f32_e32 v44, v42, v43
	;; [unrolled: 1-line block ×5, first 2 shown]
	v_add_f32_e32 v7, v11, v7
	v_add_f32_e32 v11, v10, v6
	v_sub_f32_e32 v43, v11, v10
	v_sub_f32_e32 v44, v11, v43
	;; [unrolled: 1-line block ×4, first 2 shown]
	v_add_f32_e32 v7, v11, v7
	v_add_f32_e32 v6, v6, v10
	;; [unrolled: 1-line block ×3, first 2 shown]
	v_sub_f32_e32 v11, v10, v42
	v_sub_f32_e32 v7, v7, v11
	v_add_f32_e32 v6, v6, v7
	v_add_f32_e32 v6, v10, v6
	v_cmp_neq_f32_e32 vcc, s58, v9
	s_mov_b32 s58, 0x33800000
	v_cndmask_b32_e32 v6, v8, v6, vcc
	v_cmp_lt_f32_e64 vcc, |v9|, s58
	v_cndmask_b32_e32 v6, v6, v9, vcc
	v_add_f32_e32 v6, v3, v6
.LBB157_78:
	s_or_b64 exec, exec, s[4:5]
	v_mov_b32_e32 v3, v6
.LBB157_79:
	s_or_b64 exec, exec, s[38:39]
	s_nop 0
	v_mov_b32_dpp v6, v3 row_shr:8 row_mask:0xf bank_mask:0xf
	v_cmp_lt_u32_e32 vcc, 7, v4
	s_and_saveexec_b64 s[38:39], vcc
	s_cbranch_execz .LBB157_83
; %bb.80:
	v_max_f32_e32 v7, v3, v3
	v_max_f32_e32 v8, v6, v6
	v_min_f32_e32 v4, v8, v7
	v_cmp_u_f32_e32 vcc, v6, v6
	v_max_f32_e32 v7, v8, v7
	v_cndmask_b32_e32 v4, v4, v6, vcc
	v_cmp_u_f32_e64 s[4:5], v3, v3
	v_cndmask_b32_e32 v7, v7, v6, vcc
	v_cndmask_b32_e64 v4, v4, v3, s[4:5]
	v_cndmask_b32_e64 v3, v7, v3, s[4:5]
	s_movk_i32 s4, 0x1f8
	v_cmp_neq_f32_e32 vcc, v4, v3
	v_cmp_class_f32_e64 s[4:5], v4, s4
	s_or_b64 s[58:59], vcc, s[4:5]
	s_and_saveexec_b64 s[4:5], s[58:59]
	s_cbranch_execz .LBB157_82
; %bb.81:
	v_sub_f32_e32 v4, v4, v3
	s_mov_b32 s58, 0x3fb8aa3b
	v_mul_f32_e32 v6, 0x3fb8aa3b, v4
	v_fma_f32 v7, v4, s58, -v6
	v_rndne_f32_e32 v8, v6
	v_fmac_f32_e32 v7, 0x32a5705f, v4
	v_sub_f32_e32 v6, v6, v8
	v_add_f32_e32 v6, v6, v7
	v_exp_f32_e32 v6, v6
	v_cvt_i32_f32_e32 v7, v8
	s_mov_b32 s58, 0xc2ce8ed0
	v_cmp_ngt_f32_e32 vcc, s58, v4
	s_mov_b32 s58, 0x42b17218
	v_ldexp_f32 v6, v6, v7
	v_cndmask_b32_e32 v6, 0, v6, vcc
	v_mov_b32_e32 v8, 0x7f800000
	v_cmp_nlt_f32_e32 vcc, s58, v4
	v_cndmask_b32_e32 v4, v8, v6, vcc
	v_add_f32_e32 v9, 1.0, v4
	v_cvt_f64_f32_e32 v[6:7], v9
	v_add_f32_e32 v10, -1.0, v9
	v_sub_f32_e32 v11, v10, v9
	v_sub_f32_e32 v10, v4, v10
	v_frexp_exp_i32_f64_e32 v6, v[6:7]
	v_add_f32_e32 v7, 1.0, v11
	v_add_f32_e32 v7, v10, v7
	v_frexp_mant_f32_e32 v10, v9
	s_mov_b32 s59, 0x3f2aaaab
	v_cmp_gt_f32_e32 vcc, s59, v10
	s_mov_b32 s59, 0x3f317218
	s_mov_b32 s58, 0x7f800000
	v_subbrev_co_u32_e32 v6, vcc, 0, v6, vcc
	v_sub_u32_e32 v10, 0, v6
	v_ldexp_f32 v9, v9, v10
	v_ldexp_f32 v7, v7, v10
	v_add_f32_e32 v10, -1.0, v9
	v_add_f32_e32 v43, 1.0, v9
	v_add_f32_e32 v11, 1.0, v10
	v_add_f32_e32 v44, -1.0, v43
	v_sub_f32_e32 v11, v9, v11
	v_sub_f32_e32 v9, v9, v44
	v_add_f32_e32 v11, v7, v11
	v_add_f32_e32 v7, v7, v9
	;; [unrolled: 1-line block ×3, first 2 shown]
	v_rcp_f32_e32 v44, v9
	v_add_f32_e32 v42, v10, v11
	v_sub_f32_e32 v10, v10, v42
	v_add_f32_e32 v10, v11, v10
	v_sub_f32_e32 v11, v43, v9
	v_add_f32_e32 v7, v7, v11
	v_mul_f32_e32 v11, v42, v44
	v_mul_f32_e32 v43, v9, v11
	v_fma_f32 v45, v11, v9, -v43
	v_fmac_f32_e32 v45, v11, v7
	v_add_f32_e32 v46, v43, v45
	v_sub_f32_e32 v47, v42, v46
	v_sub_f32_e32 v42, v42, v47
	;; [unrolled: 1-line block ×4, first 2 shown]
	v_add_f32_e32 v10, v10, v42
	v_sub_f32_e32 v42, v43, v45
	v_add_f32_e32 v10, v42, v10
	v_add_f32_e32 v42, v47, v10
	v_mul_f32_e32 v43, v44, v42
	v_mul_f32_e32 v45, v9, v43
	v_fma_f32 v9, v43, v9, -v45
	v_fmac_f32_e32 v9, v43, v7
	v_sub_f32_e32 v7, v47, v42
	v_add_f32_e32 v7, v10, v7
	v_add_f32_e32 v10, v45, v9
	v_sub_f32_e32 v46, v42, v10
	v_sub_f32_e32 v42, v42, v46
	;; [unrolled: 1-line block ×4, first 2 shown]
	v_add_f32_e32 v7, v7, v10
	v_sub_f32_e32 v9, v45, v9
	v_add_f32_e32 v7, v9, v7
	v_add_f32_e32 v9, v11, v43
	v_add_f32_e32 v7, v46, v7
	v_sub_f32_e32 v10, v9, v11
	v_mul_f32_e32 v7, v44, v7
	v_sub_f32_e32 v10, v43, v10
	v_add_f32_e32 v7, v10, v7
	v_cvt_f32_i32_e32 v6, v6
	v_add_f32_e32 v10, v9, v7
	v_mul_f32_e32 v11, v10, v10
	v_mov_b32_e32 v42, 0x3ecc95a3
	v_fmac_f32_e32 v42, 0x3e9b6dac, v11
	v_mov_b32_e32 v43, 0x3f2aaada
	v_fmac_f32_e32 v43, v11, v42
	v_mul_f32_e32 v42, 0x3f317218, v6
	v_fma_f32 v44, v6, s59, -v42
	v_fmac_f32_e32 v44, 0xb102e308, v6
	v_sub_f32_e32 v6, v10, v9
	v_sub_f32_e32 v6, v7, v6
	v_add_f32_e32 v7, v42, v44
	v_sub_f32_e32 v9, v7, v42
	v_ldexp_f32 v42, v10, 1
	v_mul_f32_e32 v10, v10, v11
	v_mul_f32_e32 v10, v10, v43
	v_add_f32_e32 v11, v42, v10
	v_sub_f32_e32 v42, v11, v42
	v_ldexp_f32 v6, v6, 1
	v_sub_f32_e32 v10, v10, v42
	v_add_f32_e32 v6, v6, v10
	v_add_f32_e32 v10, v11, v6
	v_sub_f32_e32 v11, v10, v11
	v_sub_f32_e32 v6, v6, v11
	v_add_f32_e32 v11, v7, v10
	v_sub_f32_e32 v42, v11, v7
	v_sub_f32_e32 v43, v11, v42
	;; [unrolled: 1-line block ×5, first 2 shown]
	v_add_f32_e32 v7, v10, v7
	v_add_f32_e32 v10, v9, v6
	v_sub_f32_e32 v42, v10, v9
	v_sub_f32_e32 v43, v10, v42
	;; [unrolled: 1-line block ×4, first 2 shown]
	v_add_f32_e32 v7, v10, v7
	v_add_f32_e32 v6, v6, v9
	v_add_f32_e32 v9, v11, v7
	v_sub_f32_e32 v10, v9, v11
	v_sub_f32_e32 v7, v7, v10
	v_add_f32_e32 v6, v6, v7
	v_add_f32_e32 v6, v9, v6
	v_cmp_neq_f32_e32 vcc, s58, v4
	s_mov_b32 s58, 0x33800000
	v_cndmask_b32_e32 v6, v8, v6, vcc
	v_cmp_lt_f32_e64 vcc, |v4|, s58
	v_cndmask_b32_e32 v4, v6, v4, vcc
	v_add_f32_e32 v6, v3, v4
.LBB157_82:
	s_or_b64 exec, exec, s[4:5]
	v_mov_b32_e32 v3, v6
.LBB157_83:
	s_or_b64 exec, exec, s[38:39]
	v_and_b32_e32 v6, 16, v5
	v_mov_b32_dpp v4, v3 row_bcast:15 row_mask:0xf bank_mask:0xf
	v_cmp_ne_u32_e32 vcc, 0, v6
	s_and_saveexec_b64 s[38:39], vcc
	s_cbranch_execz .LBB157_87
; %bb.84:
	v_max_f32_e32 v7, v3, v3
	v_max_f32_e32 v8, v4, v4
	v_min_f32_e32 v6, v8, v7
	v_cmp_u_f32_e32 vcc, v4, v4
	v_max_f32_e32 v7, v8, v7
	v_cndmask_b32_e32 v6, v6, v4, vcc
	v_cmp_u_f32_e64 s[4:5], v3, v3
	v_cndmask_b32_e32 v7, v7, v4, vcc
	v_cndmask_b32_e64 v6, v6, v3, s[4:5]
	v_cndmask_b32_e64 v3, v7, v3, s[4:5]
	s_movk_i32 s4, 0x1f8
	v_cmp_neq_f32_e32 vcc, v6, v3
	v_cmp_class_f32_e64 s[4:5], v6, s4
	s_or_b64 s[58:59], vcc, s[4:5]
	s_and_saveexec_b64 s[4:5], s[58:59]
	s_cbranch_execz .LBB157_86
; %bb.85:
	v_sub_f32_e32 v4, v6, v3
	s_mov_b32 s58, 0x3fb8aa3b
	v_mul_f32_e32 v6, 0x3fb8aa3b, v4
	v_fma_f32 v7, v4, s58, -v6
	v_rndne_f32_e32 v8, v6
	v_fmac_f32_e32 v7, 0x32a5705f, v4
	v_sub_f32_e32 v6, v6, v8
	v_add_f32_e32 v6, v6, v7
	v_exp_f32_e32 v6, v6
	v_cvt_i32_f32_e32 v7, v8
	s_mov_b32 s58, 0xc2ce8ed0
	v_cmp_ngt_f32_e32 vcc, s58, v4
	s_mov_b32 s58, 0x42b17218
	v_ldexp_f32 v6, v6, v7
	v_cndmask_b32_e32 v6, 0, v6, vcc
	v_mov_b32_e32 v8, 0x7f800000
	v_cmp_nlt_f32_e32 vcc, s58, v4
	v_cndmask_b32_e32 v4, v8, v6, vcc
	v_add_f32_e32 v9, 1.0, v4
	v_cvt_f64_f32_e32 v[6:7], v9
	v_add_f32_e32 v10, -1.0, v9
	v_sub_f32_e32 v11, v10, v9
	v_sub_f32_e32 v10, v4, v10
	v_frexp_exp_i32_f64_e32 v6, v[6:7]
	v_add_f32_e32 v7, 1.0, v11
	v_add_f32_e32 v7, v10, v7
	v_frexp_mant_f32_e32 v10, v9
	s_mov_b32 s59, 0x3f2aaaab
	v_cmp_gt_f32_e32 vcc, s59, v10
	s_mov_b32 s59, 0x3f317218
	s_mov_b32 s58, 0x7f800000
	v_subbrev_co_u32_e32 v6, vcc, 0, v6, vcc
	v_sub_u32_e32 v10, 0, v6
	v_ldexp_f32 v9, v9, v10
	v_ldexp_f32 v7, v7, v10
	v_add_f32_e32 v10, -1.0, v9
	v_add_f32_e32 v43, 1.0, v9
	v_add_f32_e32 v11, 1.0, v10
	v_add_f32_e32 v44, -1.0, v43
	v_sub_f32_e32 v11, v9, v11
	v_sub_f32_e32 v9, v9, v44
	v_add_f32_e32 v11, v7, v11
	v_add_f32_e32 v7, v7, v9
	;; [unrolled: 1-line block ×3, first 2 shown]
	v_rcp_f32_e32 v44, v9
	v_add_f32_e32 v42, v10, v11
	v_sub_f32_e32 v10, v10, v42
	v_add_f32_e32 v10, v11, v10
	v_sub_f32_e32 v11, v43, v9
	v_add_f32_e32 v7, v7, v11
	v_mul_f32_e32 v11, v42, v44
	v_mul_f32_e32 v43, v9, v11
	v_fma_f32 v45, v11, v9, -v43
	v_fmac_f32_e32 v45, v11, v7
	v_add_f32_e32 v46, v43, v45
	v_sub_f32_e32 v47, v42, v46
	v_sub_f32_e32 v42, v42, v47
	;; [unrolled: 1-line block ×4, first 2 shown]
	v_add_f32_e32 v10, v10, v42
	v_sub_f32_e32 v42, v43, v45
	v_add_f32_e32 v10, v42, v10
	v_add_f32_e32 v42, v47, v10
	v_mul_f32_e32 v43, v44, v42
	v_mul_f32_e32 v45, v9, v43
	v_fma_f32 v9, v43, v9, -v45
	v_fmac_f32_e32 v9, v43, v7
	v_sub_f32_e32 v7, v47, v42
	v_add_f32_e32 v7, v10, v7
	v_add_f32_e32 v10, v45, v9
	v_sub_f32_e32 v46, v42, v10
	v_sub_f32_e32 v42, v42, v46
	v_sub_f32_e32 v45, v10, v45
	v_sub_f32_e32 v10, v42, v10
	v_add_f32_e32 v7, v7, v10
	v_sub_f32_e32 v9, v45, v9
	v_add_f32_e32 v7, v9, v7
	v_add_f32_e32 v9, v11, v43
	;; [unrolled: 1-line block ×3, first 2 shown]
	v_sub_f32_e32 v10, v9, v11
	v_mul_f32_e32 v7, v44, v7
	v_sub_f32_e32 v10, v43, v10
	v_add_f32_e32 v7, v10, v7
	v_cvt_f32_i32_e32 v6, v6
	v_add_f32_e32 v10, v9, v7
	v_mul_f32_e32 v11, v10, v10
	v_mov_b32_e32 v42, 0x3ecc95a3
	v_fmac_f32_e32 v42, 0x3e9b6dac, v11
	v_mov_b32_e32 v43, 0x3f2aaada
	v_fmac_f32_e32 v43, v11, v42
	v_mul_f32_e32 v42, 0x3f317218, v6
	v_fma_f32 v44, v6, s59, -v42
	v_fmac_f32_e32 v44, 0xb102e308, v6
	v_sub_f32_e32 v6, v10, v9
	v_sub_f32_e32 v6, v7, v6
	v_add_f32_e32 v7, v42, v44
	v_sub_f32_e32 v9, v7, v42
	v_ldexp_f32 v42, v10, 1
	v_mul_f32_e32 v10, v10, v11
	v_mul_f32_e32 v10, v10, v43
	v_add_f32_e32 v11, v42, v10
	v_sub_f32_e32 v42, v11, v42
	v_ldexp_f32 v6, v6, 1
	v_sub_f32_e32 v10, v10, v42
	v_add_f32_e32 v6, v6, v10
	v_add_f32_e32 v10, v11, v6
	v_sub_f32_e32 v11, v10, v11
	v_sub_f32_e32 v6, v6, v11
	v_add_f32_e32 v11, v7, v10
	v_sub_f32_e32 v42, v11, v7
	v_sub_f32_e32 v43, v11, v42
	;; [unrolled: 1-line block ×5, first 2 shown]
	v_add_f32_e32 v7, v10, v7
	v_add_f32_e32 v10, v9, v6
	v_sub_f32_e32 v42, v10, v9
	v_sub_f32_e32 v43, v10, v42
	;; [unrolled: 1-line block ×4, first 2 shown]
	v_add_f32_e32 v7, v10, v7
	v_add_f32_e32 v6, v6, v9
	;; [unrolled: 1-line block ×3, first 2 shown]
	v_sub_f32_e32 v10, v9, v11
	v_sub_f32_e32 v7, v7, v10
	v_add_f32_e32 v6, v6, v7
	v_add_f32_e32 v6, v9, v6
	v_cmp_neq_f32_e32 vcc, s58, v4
	s_mov_b32 s58, 0x33800000
	v_cndmask_b32_e32 v6, v8, v6, vcc
	v_cmp_lt_f32_e64 vcc, |v4|, s58
	v_cndmask_b32_e32 v4, v6, v4, vcc
	v_add_f32_e32 v4, v3, v4
.LBB157_86:
	s_or_b64 exec, exec, s[4:5]
	v_mov_b32_e32 v3, v4
.LBB157_87:
	s_or_b64 exec, exec, s[38:39]
	s_nop 0
	v_mov_b32_dpp v4, v3 row_bcast:31 row_mask:0xf bank_mask:0xf
	v_cmp_lt_u32_e32 vcc, 31, v5
	s_and_saveexec_b64 s[38:39], vcc
	s_cbranch_execz .LBB157_91
; %bb.88:
	v_max_f32_e32 v7, v3, v3
	v_max_f32_e32 v8, v4, v4
	v_min_f32_e32 v6, v8, v7
	v_cmp_u_f32_e32 vcc, v4, v4
	v_max_f32_e32 v7, v8, v7
	v_cndmask_b32_e32 v6, v6, v4, vcc
	v_cmp_u_f32_e64 s[4:5], v3, v3
	v_cndmask_b32_e32 v7, v7, v4, vcc
	v_cndmask_b32_e64 v6, v6, v3, s[4:5]
	v_cndmask_b32_e64 v3, v7, v3, s[4:5]
	s_movk_i32 s4, 0x1f8
	v_cmp_neq_f32_e32 vcc, v6, v3
	v_cmp_class_f32_e64 s[4:5], v6, s4
	s_or_b64 s[58:59], vcc, s[4:5]
	s_and_saveexec_b64 s[4:5], s[58:59]
	s_cbranch_execz .LBB157_90
; %bb.89:
	v_sub_f32_e32 v4, v6, v3
	s_mov_b32 s58, 0x3fb8aa3b
	v_mul_f32_e32 v6, 0x3fb8aa3b, v4
	v_fma_f32 v7, v4, s58, -v6
	v_rndne_f32_e32 v8, v6
	v_fmac_f32_e32 v7, 0x32a5705f, v4
	v_sub_f32_e32 v6, v6, v8
	v_add_f32_e32 v6, v6, v7
	v_exp_f32_e32 v6, v6
	v_cvt_i32_f32_e32 v7, v8
	s_mov_b32 s58, 0xc2ce8ed0
	v_cmp_ngt_f32_e32 vcc, s58, v4
	s_mov_b32 s58, 0x42b17218
	v_ldexp_f32 v6, v6, v7
	v_cndmask_b32_e32 v6, 0, v6, vcc
	v_mov_b32_e32 v8, 0x7f800000
	v_cmp_nlt_f32_e32 vcc, s58, v4
	v_cndmask_b32_e32 v4, v8, v6, vcc
	v_add_f32_e32 v9, 1.0, v4
	v_cvt_f64_f32_e32 v[6:7], v9
	v_add_f32_e32 v10, -1.0, v9
	v_sub_f32_e32 v11, v10, v9
	v_sub_f32_e32 v10, v4, v10
	v_frexp_exp_i32_f64_e32 v6, v[6:7]
	v_add_f32_e32 v7, 1.0, v11
	v_add_f32_e32 v7, v10, v7
	v_frexp_mant_f32_e32 v10, v9
	s_mov_b32 s59, 0x3f2aaaab
	v_cmp_gt_f32_e32 vcc, s59, v10
	s_mov_b32 s59, 0x3f317218
	s_mov_b32 s58, 0x7f800000
	v_subbrev_co_u32_e32 v6, vcc, 0, v6, vcc
	v_sub_u32_e32 v10, 0, v6
	v_ldexp_f32 v9, v9, v10
	v_ldexp_f32 v7, v7, v10
	v_add_f32_e32 v10, -1.0, v9
	v_add_f32_e32 v43, 1.0, v9
	v_add_f32_e32 v11, 1.0, v10
	v_add_f32_e32 v44, -1.0, v43
	v_sub_f32_e32 v11, v9, v11
	v_sub_f32_e32 v9, v9, v44
	v_add_f32_e32 v11, v7, v11
	v_add_f32_e32 v7, v7, v9
	;; [unrolled: 1-line block ×3, first 2 shown]
	v_rcp_f32_e32 v44, v9
	v_add_f32_e32 v42, v10, v11
	v_sub_f32_e32 v10, v10, v42
	v_add_f32_e32 v10, v11, v10
	v_sub_f32_e32 v11, v43, v9
	v_add_f32_e32 v7, v7, v11
	v_mul_f32_e32 v11, v42, v44
	v_mul_f32_e32 v43, v9, v11
	v_fma_f32 v45, v11, v9, -v43
	v_fmac_f32_e32 v45, v11, v7
	v_add_f32_e32 v46, v43, v45
	v_sub_f32_e32 v47, v42, v46
	v_sub_f32_e32 v42, v42, v47
	;; [unrolled: 1-line block ×4, first 2 shown]
	v_add_f32_e32 v10, v10, v42
	v_sub_f32_e32 v42, v43, v45
	v_add_f32_e32 v10, v42, v10
	v_add_f32_e32 v42, v47, v10
	v_mul_f32_e32 v43, v44, v42
	v_mul_f32_e32 v45, v9, v43
	v_fma_f32 v9, v43, v9, -v45
	v_fmac_f32_e32 v9, v43, v7
	v_sub_f32_e32 v7, v47, v42
	v_add_f32_e32 v7, v10, v7
	v_add_f32_e32 v10, v45, v9
	v_sub_f32_e32 v46, v42, v10
	v_sub_f32_e32 v42, v42, v46
	;; [unrolled: 1-line block ×4, first 2 shown]
	v_add_f32_e32 v7, v7, v10
	v_sub_f32_e32 v9, v45, v9
	v_add_f32_e32 v7, v9, v7
	v_add_f32_e32 v9, v11, v43
	;; [unrolled: 1-line block ×3, first 2 shown]
	v_sub_f32_e32 v10, v9, v11
	v_mul_f32_e32 v7, v44, v7
	v_sub_f32_e32 v10, v43, v10
	v_add_f32_e32 v7, v10, v7
	v_cvt_f32_i32_e32 v6, v6
	v_add_f32_e32 v10, v9, v7
	v_mul_f32_e32 v11, v10, v10
	v_mov_b32_e32 v42, 0x3ecc95a3
	v_fmac_f32_e32 v42, 0x3e9b6dac, v11
	v_mov_b32_e32 v43, 0x3f2aaada
	v_fmac_f32_e32 v43, v11, v42
	v_mul_f32_e32 v42, 0x3f317218, v6
	v_fma_f32 v44, v6, s59, -v42
	v_fmac_f32_e32 v44, 0xb102e308, v6
	v_sub_f32_e32 v6, v10, v9
	v_sub_f32_e32 v6, v7, v6
	v_add_f32_e32 v7, v42, v44
	v_sub_f32_e32 v9, v7, v42
	v_ldexp_f32 v42, v10, 1
	v_mul_f32_e32 v10, v10, v11
	v_mul_f32_e32 v10, v10, v43
	v_add_f32_e32 v11, v42, v10
	v_sub_f32_e32 v42, v11, v42
	v_ldexp_f32 v6, v6, 1
	v_sub_f32_e32 v10, v10, v42
	v_add_f32_e32 v6, v6, v10
	v_add_f32_e32 v10, v11, v6
	v_sub_f32_e32 v11, v10, v11
	v_sub_f32_e32 v6, v6, v11
	v_add_f32_e32 v11, v7, v10
	v_sub_f32_e32 v42, v11, v7
	v_sub_f32_e32 v43, v11, v42
	;; [unrolled: 1-line block ×5, first 2 shown]
	v_add_f32_e32 v7, v10, v7
	v_add_f32_e32 v10, v9, v6
	v_sub_f32_e32 v42, v10, v9
	v_sub_f32_e32 v43, v10, v42
	;; [unrolled: 1-line block ×4, first 2 shown]
	v_add_f32_e32 v7, v10, v7
	v_add_f32_e32 v6, v6, v9
	;; [unrolled: 1-line block ×3, first 2 shown]
	v_sub_f32_e32 v10, v9, v11
	v_sub_f32_e32 v7, v7, v10
	v_add_f32_e32 v6, v6, v7
	v_add_f32_e32 v6, v9, v6
	v_cmp_neq_f32_e32 vcc, s58, v4
	s_mov_b32 s58, 0x33800000
	v_cndmask_b32_e32 v6, v8, v6, vcc
	v_cmp_lt_f32_e64 vcc, |v4|, s58
	v_cndmask_b32_e32 v4, v6, v4, vcc
	v_add_f32_e32 v4, v3, v4
.LBB157_90:
	s_or_b64 exec, exec, s[4:5]
	v_mov_b32_e32 v3, v4
.LBB157_91:
	s_or_b64 exec, exec, s[38:39]
	v_or_b32_e32 v6, 63, v0
	v_lshrrev_b32_e32 v4, 6, v0
	v_cmp_eq_u32_e32 vcc, v0, v6
	s_and_saveexec_b64 s[4:5], vcc
; %bb.92:
	v_lshlrev_b32_e32 v6, 2, v4
	ds_write_b32 v6, v3
; %bb.93:
	s_or_b64 exec, exec, s[4:5]
	v_cmp_gt_u32_e32 vcc, 4, v0
	s_waitcnt lgkmcnt(0)
	s_barrier
	s_and_saveexec_b64 s[38:39], vcc
	s_cbranch_execz .LBB157_103
; %bb.94:
	ds_read_b32 v7, v31
	v_and_b32_e32 v6, 3, v5
	v_cmp_ne_u32_e32 vcc, 0, v6
	s_waitcnt lgkmcnt(0)
	v_mov_b32_dpp v8, v7 row_shr:1 row_mask:0xf bank_mask:0xf
	s_and_saveexec_b64 s[58:59], vcc
	s_cbranch_execz .LBB157_98
; %bb.95:
	v_max_f32_e32 v10, v7, v7
	v_max_f32_e32 v11, v8, v8
	v_min_f32_e32 v9, v11, v10
	v_cmp_u_f32_e32 vcc, v8, v8
	v_max_f32_e32 v10, v11, v10
	v_cndmask_b32_e32 v9, v9, v8, vcc
	v_cmp_u_f32_e64 s[4:5], v7, v7
	v_cndmask_b32_e32 v10, v10, v8, vcc
	v_cndmask_b32_e64 v9, v9, v7, s[4:5]
	v_cndmask_b32_e64 v7, v10, v7, s[4:5]
	s_movk_i32 s4, 0x1f8
	v_cmp_neq_f32_e32 vcc, v9, v7
	v_cmp_class_f32_e64 s[4:5], v9, s4
	s_or_b64 s[60:61], vcc, s[4:5]
	s_and_saveexec_b64 s[4:5], s[60:61]
	s_cbranch_execz .LBB157_97
; %bb.96:
	v_sub_f32_e32 v8, v9, v7
	s_mov_b32 s60, 0x3fb8aa3b
	v_mul_f32_e32 v9, 0x3fb8aa3b, v8
	v_fma_f32 v10, v8, s60, -v9
	v_rndne_f32_e32 v11, v9
	v_fmac_f32_e32 v10, 0x32a5705f, v8
	v_sub_f32_e32 v9, v9, v11
	v_add_f32_e32 v9, v9, v10
	v_exp_f32_e32 v9, v9
	v_cvt_i32_f32_e32 v10, v11
	s_mov_b32 s60, 0xc2ce8ed0
	v_cmp_ngt_f32_e32 vcc, s60, v8
	s_mov_b32 s60, 0x42b17218
	v_ldexp_f32 v9, v9, v10
	v_cndmask_b32_e32 v9, 0, v9, vcc
	v_mov_b32_e32 v10, 0x7f800000
	v_cmp_nlt_f32_e32 vcc, s60, v8
	v_cndmask_b32_e32 v11, v10, v9, vcc
	v_add_f32_e32 v42, 1.0, v11
	v_cvt_f64_f32_e32 v[8:9], v42
	v_add_f32_e32 v43, -1.0, v42
	v_sub_f32_e32 v44, v43, v42
	v_sub_f32_e32 v43, v11, v43
	v_frexp_exp_i32_f64_e32 v8, v[8:9]
	v_add_f32_e32 v9, 1.0, v44
	v_add_f32_e32 v9, v43, v9
	v_frexp_mant_f32_e32 v43, v42
	s_mov_b32 s61, 0x3f2aaaab
	v_cmp_gt_f32_e32 vcc, s61, v43
	s_mov_b32 s61, 0x3f317218
	s_mov_b32 s60, 0x7f800000
	v_subbrev_co_u32_e32 v8, vcc, 0, v8, vcc
	v_sub_u32_e32 v43, 0, v8
	v_ldexp_f32 v42, v42, v43
	v_ldexp_f32 v9, v9, v43
	v_add_f32_e32 v43, -1.0, v42
	v_add_f32_e32 v46, 1.0, v42
	v_add_f32_e32 v44, 1.0, v43
	v_add_f32_e32 v47, -1.0, v46
	v_sub_f32_e32 v44, v42, v44
	v_sub_f32_e32 v42, v42, v47
	v_add_f32_e32 v44, v9, v44
	v_add_f32_e32 v9, v9, v42
	;; [unrolled: 1-line block ×3, first 2 shown]
	v_rcp_f32_e32 v47, v42
	v_add_f32_e32 v45, v43, v44
	v_sub_f32_e32 v43, v43, v45
	v_add_f32_e32 v43, v44, v43
	v_sub_f32_e32 v44, v46, v42
	v_add_f32_e32 v9, v9, v44
	v_mul_f32_e32 v44, v45, v47
	v_mul_f32_e32 v46, v42, v44
	v_fma_f32 v48, v44, v42, -v46
	v_fmac_f32_e32 v48, v44, v9
	v_add_f32_e32 v49, v46, v48
	v_sub_f32_e32 v50, v45, v49
	v_sub_f32_e32 v45, v45, v50
	;; [unrolled: 1-line block ×4, first 2 shown]
	v_add_f32_e32 v43, v43, v45
	v_sub_f32_e32 v45, v46, v48
	v_add_f32_e32 v43, v45, v43
	v_add_f32_e32 v45, v50, v43
	v_mul_f32_e32 v46, v47, v45
	v_mul_f32_e32 v48, v42, v46
	v_fma_f32 v42, v46, v42, -v48
	v_fmac_f32_e32 v42, v46, v9
	v_sub_f32_e32 v9, v50, v45
	v_add_f32_e32 v9, v43, v9
	v_add_f32_e32 v43, v48, v42
	v_sub_f32_e32 v49, v45, v43
	v_sub_f32_e32 v45, v45, v49
	;; [unrolled: 1-line block ×4, first 2 shown]
	v_add_f32_e32 v9, v9, v43
	v_sub_f32_e32 v42, v48, v42
	v_add_f32_e32 v9, v42, v9
	v_add_f32_e32 v42, v44, v46
	;; [unrolled: 1-line block ×3, first 2 shown]
	v_sub_f32_e32 v43, v42, v44
	v_mul_f32_e32 v9, v47, v9
	v_sub_f32_e32 v43, v46, v43
	v_add_f32_e32 v9, v43, v9
	v_cvt_f32_i32_e32 v8, v8
	v_add_f32_e32 v43, v42, v9
	v_mul_f32_e32 v44, v43, v43
	v_mov_b32_e32 v45, 0x3ecc95a3
	v_fmac_f32_e32 v45, 0x3e9b6dac, v44
	v_mov_b32_e32 v46, 0x3f2aaada
	v_fmac_f32_e32 v46, v44, v45
	v_mul_f32_e32 v45, 0x3f317218, v8
	v_fma_f32 v47, v8, s61, -v45
	v_fmac_f32_e32 v47, 0xb102e308, v8
	v_sub_f32_e32 v8, v43, v42
	v_sub_f32_e32 v8, v9, v8
	v_add_f32_e32 v9, v45, v47
	v_sub_f32_e32 v42, v9, v45
	v_ldexp_f32 v45, v43, 1
	v_mul_f32_e32 v43, v43, v44
	v_mul_f32_e32 v43, v43, v46
	v_add_f32_e32 v44, v45, v43
	v_sub_f32_e32 v45, v44, v45
	v_ldexp_f32 v8, v8, 1
	v_sub_f32_e32 v43, v43, v45
	v_add_f32_e32 v8, v8, v43
	v_add_f32_e32 v43, v44, v8
	v_sub_f32_e32 v44, v43, v44
	v_sub_f32_e32 v8, v8, v44
	v_add_f32_e32 v44, v9, v43
	v_sub_f32_e32 v45, v44, v9
	v_sub_f32_e32 v46, v44, v45
	;; [unrolled: 1-line block ×5, first 2 shown]
	v_add_f32_e32 v9, v43, v9
	v_add_f32_e32 v43, v42, v8
	v_sub_f32_e32 v45, v43, v42
	v_sub_f32_e32 v46, v43, v45
	;; [unrolled: 1-line block ×4, first 2 shown]
	v_add_f32_e32 v9, v43, v9
	v_add_f32_e32 v8, v8, v42
	;; [unrolled: 1-line block ×3, first 2 shown]
	v_sub_f32_e32 v43, v42, v44
	v_sub_f32_e32 v9, v9, v43
	v_add_f32_e32 v8, v8, v9
	v_add_f32_e32 v8, v42, v8
	v_cmp_neq_f32_e32 vcc, s60, v11
	s_mov_b32 s60, 0x33800000
	v_cndmask_b32_e32 v8, v10, v8, vcc
	v_cmp_lt_f32_e64 vcc, |v11|, s60
	v_cndmask_b32_e32 v8, v8, v11, vcc
	v_add_f32_e32 v8, v7, v8
.LBB157_97:
	s_or_b64 exec, exec, s[4:5]
	v_mov_b32_e32 v7, v8
.LBB157_98:
	s_or_b64 exec, exec, s[58:59]
	s_nop 0
	v_mov_b32_dpp v8, v7 row_shr:2 row_mask:0xf bank_mask:0xf
	v_cmp_lt_u32_e32 vcc, 1, v6
	s_and_saveexec_b64 s[58:59], vcc
	s_cbranch_execz .LBB157_102
; %bb.99:
	v_max_f32_e32 v6, v7, v7
	v_max_f32_e32 v10, v8, v8
	v_min_f32_e32 v9, v10, v6
	v_cmp_u_f32_e32 vcc, v8, v8
	v_max_f32_e32 v6, v10, v6
	v_cndmask_b32_e32 v9, v9, v8, vcc
	v_cmp_u_f32_e64 s[4:5], v7, v7
	v_cndmask_b32_e32 v6, v6, v8, vcc
	v_cndmask_b32_e64 v9, v9, v7, s[4:5]
	v_cndmask_b32_e64 v6, v6, v7, s[4:5]
	s_movk_i32 s4, 0x1f8
	v_cmp_neq_f32_e32 vcc, v9, v6
	v_cmp_class_f32_e64 s[4:5], v9, s4
	s_or_b64 s[60:61], vcc, s[4:5]
	s_and_saveexec_b64 s[4:5], s[60:61]
	s_cbranch_execz .LBB157_101
; %bb.100:
	v_sub_f32_e32 v7, v9, v6
	s_mov_b32 s60, 0x3fb8aa3b
	v_mul_f32_e32 v8, 0x3fb8aa3b, v7
	v_fma_f32 v9, v7, s60, -v8
	v_rndne_f32_e32 v10, v8
	v_fmac_f32_e32 v9, 0x32a5705f, v7
	v_sub_f32_e32 v8, v8, v10
	v_add_f32_e32 v8, v8, v9
	v_exp_f32_e32 v8, v8
	v_cvt_i32_f32_e32 v9, v10
	s_mov_b32 s60, 0xc2ce8ed0
	v_cmp_ngt_f32_e32 vcc, s60, v7
	s_mov_b32 s60, 0x42b17218
	v_ldexp_f32 v8, v8, v9
	v_cndmask_b32_e32 v8, 0, v8, vcc
	v_mov_b32_e32 v9, 0x7f800000
	v_cmp_nlt_f32_e32 vcc, s60, v7
	v_cndmask_b32_e32 v10, v9, v8, vcc
	v_add_f32_e32 v11, 1.0, v10
	v_cvt_f64_f32_e32 v[7:8], v11
	v_add_f32_e32 v42, -1.0, v11
	v_sub_f32_e32 v43, v42, v11
	v_sub_f32_e32 v42, v10, v42
	v_frexp_exp_i32_f64_e32 v7, v[7:8]
	v_add_f32_e32 v8, 1.0, v43
	v_add_f32_e32 v8, v42, v8
	v_frexp_mant_f32_e32 v42, v11
	s_mov_b32 s61, 0x3f2aaaab
	v_cmp_gt_f32_e32 vcc, s61, v42
	s_mov_b32 s61, 0x3f317218
	s_mov_b32 s60, 0x7f800000
	v_subbrev_co_u32_e32 v7, vcc, 0, v7, vcc
	v_sub_u32_e32 v42, 0, v7
	v_ldexp_f32 v11, v11, v42
	v_ldexp_f32 v8, v8, v42
	v_add_f32_e32 v42, -1.0, v11
	v_add_f32_e32 v45, 1.0, v11
	v_add_f32_e32 v43, 1.0, v42
	v_add_f32_e32 v46, -1.0, v45
	v_sub_f32_e32 v43, v11, v43
	v_sub_f32_e32 v11, v11, v46
	v_add_f32_e32 v43, v8, v43
	v_add_f32_e32 v8, v8, v11
	;; [unrolled: 1-line block ×3, first 2 shown]
	v_rcp_f32_e32 v46, v11
	v_add_f32_e32 v44, v42, v43
	v_sub_f32_e32 v42, v42, v44
	v_add_f32_e32 v42, v43, v42
	v_sub_f32_e32 v43, v45, v11
	v_add_f32_e32 v8, v8, v43
	v_mul_f32_e32 v43, v44, v46
	v_mul_f32_e32 v45, v11, v43
	v_fma_f32 v47, v43, v11, -v45
	v_fmac_f32_e32 v47, v43, v8
	v_add_f32_e32 v48, v45, v47
	v_sub_f32_e32 v49, v44, v48
	v_sub_f32_e32 v44, v44, v49
	;; [unrolled: 1-line block ×4, first 2 shown]
	v_add_f32_e32 v42, v42, v44
	v_sub_f32_e32 v44, v45, v47
	v_add_f32_e32 v42, v44, v42
	v_add_f32_e32 v44, v49, v42
	v_mul_f32_e32 v45, v46, v44
	v_mul_f32_e32 v47, v11, v45
	v_fma_f32 v11, v45, v11, -v47
	v_fmac_f32_e32 v11, v45, v8
	v_sub_f32_e32 v8, v49, v44
	v_add_f32_e32 v8, v42, v8
	v_add_f32_e32 v42, v47, v11
	v_sub_f32_e32 v48, v44, v42
	v_sub_f32_e32 v44, v44, v48
	;; [unrolled: 1-line block ×4, first 2 shown]
	v_add_f32_e32 v8, v8, v42
	v_sub_f32_e32 v11, v47, v11
	v_add_f32_e32 v8, v11, v8
	v_add_f32_e32 v11, v43, v45
	;; [unrolled: 1-line block ×3, first 2 shown]
	v_sub_f32_e32 v42, v11, v43
	v_mul_f32_e32 v8, v46, v8
	v_sub_f32_e32 v42, v45, v42
	v_add_f32_e32 v8, v42, v8
	v_cvt_f32_i32_e32 v7, v7
	v_add_f32_e32 v42, v11, v8
	v_mul_f32_e32 v43, v42, v42
	v_mov_b32_e32 v44, 0x3ecc95a3
	v_fmac_f32_e32 v44, 0x3e9b6dac, v43
	v_mov_b32_e32 v45, 0x3f2aaada
	v_fmac_f32_e32 v45, v43, v44
	v_mul_f32_e32 v44, 0x3f317218, v7
	v_fma_f32 v46, v7, s61, -v44
	v_fmac_f32_e32 v46, 0xb102e308, v7
	v_sub_f32_e32 v7, v42, v11
	v_sub_f32_e32 v7, v8, v7
	v_add_f32_e32 v8, v44, v46
	v_sub_f32_e32 v11, v8, v44
	v_ldexp_f32 v44, v42, 1
	v_mul_f32_e32 v42, v42, v43
	v_mul_f32_e32 v42, v42, v45
	v_add_f32_e32 v43, v44, v42
	v_sub_f32_e32 v44, v43, v44
	v_ldexp_f32 v7, v7, 1
	v_sub_f32_e32 v42, v42, v44
	v_add_f32_e32 v7, v7, v42
	v_add_f32_e32 v42, v43, v7
	v_sub_f32_e32 v43, v42, v43
	v_sub_f32_e32 v7, v7, v43
	v_add_f32_e32 v43, v8, v42
	v_sub_f32_e32 v44, v43, v8
	v_sub_f32_e32 v45, v43, v44
	;; [unrolled: 1-line block ×5, first 2 shown]
	v_add_f32_e32 v8, v42, v8
	v_add_f32_e32 v42, v11, v7
	v_sub_f32_e32 v44, v42, v11
	v_sub_f32_e32 v45, v42, v44
	;; [unrolled: 1-line block ×4, first 2 shown]
	v_add_f32_e32 v8, v42, v8
	v_add_f32_e32 v7, v7, v11
	;; [unrolled: 1-line block ×3, first 2 shown]
	v_sub_f32_e32 v42, v11, v43
	v_sub_f32_e32 v8, v8, v42
	v_add_f32_e32 v7, v7, v8
	v_add_f32_e32 v7, v11, v7
	v_cmp_neq_f32_e32 vcc, s60, v10
	s_mov_b32 s60, 0x33800000
	v_cndmask_b32_e32 v7, v9, v7, vcc
	v_cmp_lt_f32_e64 vcc, |v10|, s60
	v_cndmask_b32_e32 v7, v7, v10, vcc
	v_add_f32_e32 v8, v6, v7
.LBB157_101:
	s_or_b64 exec, exec, s[4:5]
	v_mov_b32_e32 v7, v8
.LBB157_102:
	s_or_b64 exec, exec, s[58:59]
	ds_write_b32 v31, v7
.LBB157_103:
	s_or_b64 exec, exec, s[38:39]
	v_cmp_gt_u32_e32 vcc, 64, v0
	v_cmp_lt_u32_e64 s[4:5], 63, v0
	s_waitcnt lgkmcnt(0)
	s_barrier
                                        ; implicit-def: $vgpr42
	s_and_saveexec_b64 s[58:59], s[4:5]
	s_cbranch_execz .LBB157_107
; %bb.104:
	v_lshl_add_u32 v4, v4, 2, -4
	ds_read_b32 v42, v4
	v_max_f32_e32 v4, v3, v3
	v_cmp_u_f32_e64 s[38:39], v3, v3
	s_waitcnt lgkmcnt(0)
	v_max_f32_e32 v6, v42, v42
	v_min_f32_e32 v7, v6, v4
	v_max_f32_e32 v4, v6, v4
	v_cmp_u_f32_e64 s[4:5], v42, v42
	v_cndmask_b32_e64 v6, v7, v42, s[4:5]
	v_cndmask_b32_e64 v4, v4, v42, s[4:5]
	;; [unrolled: 1-line block ×4, first 2 shown]
	s_movk_i32 s38, 0x1f8
	v_cmp_neq_f32_e64 s[4:5], v6, v4
	v_cmp_class_f32_e64 s[38:39], v6, s38
	s_or_b64 s[4:5], s[4:5], s[38:39]
	v_mov_b32_e32 v3, v42
	s_and_saveexec_b64 s[38:39], s[4:5]
	s_cbranch_execz .LBB157_106
; %bb.105:
	v_sub_f32_e32 v3, v6, v4
	s_mov_b32 s4, 0x3fb8aa3b
	v_mul_f32_e32 v6, 0x3fb8aa3b, v3
	v_fma_f32 v7, v3, s4, -v6
	v_rndne_f32_e32 v8, v6
	v_fmac_f32_e32 v7, 0x32a5705f, v3
	v_sub_f32_e32 v6, v6, v8
	v_add_f32_e32 v6, v6, v7
	v_exp_f32_e32 v6, v6
	v_cvt_i32_f32_e32 v7, v8
	s_mov_b32 s4, 0xc2ce8ed0
	v_cmp_ngt_f32_e64 s[4:5], s4, v3
	v_mov_b32_e32 v8, 0x7f800000
	v_ldexp_f32 v6, v6, v7
	v_cndmask_b32_e64 v6, 0, v6, s[4:5]
	s_mov_b32 s4, 0x42b17218
	v_cmp_nlt_f32_e64 s[4:5], s4, v3
	v_cndmask_b32_e64 v3, v8, v6, s[4:5]
	v_add_f32_e32 v9, 1.0, v3
	v_cvt_f64_f32_e32 v[6:7], v9
	v_add_f32_e32 v10, -1.0, v9
	v_sub_f32_e32 v11, v10, v9
	v_sub_f32_e32 v10, v3, v10
	v_frexp_exp_i32_f64_e32 v6, v[6:7]
	v_add_f32_e32 v7, 1.0, v11
	v_add_f32_e32 v7, v10, v7
	v_frexp_mant_f32_e32 v10, v9
	s_mov_b32 s4, 0x3f2aaaab
	v_cmp_gt_f32_e64 s[4:5], s4, v10
	s_mov_b32 s60, 0x7f800000
	v_subbrev_co_u32_e64 v6, s[4:5], 0, v6, s[4:5]
	v_sub_u32_e32 v10, 0, v6
	v_ldexp_f32 v9, v9, v10
	v_ldexp_f32 v7, v7, v10
	v_add_f32_e32 v10, -1.0, v9
	v_add_f32_e32 v44, 1.0, v9
	v_add_f32_e32 v11, 1.0, v10
	v_add_f32_e32 v45, -1.0, v44
	v_sub_f32_e32 v11, v9, v11
	v_sub_f32_e32 v9, v9, v45
	v_add_f32_e32 v11, v7, v11
	v_add_f32_e32 v7, v7, v9
	;; [unrolled: 1-line block ×3, first 2 shown]
	v_rcp_f32_e32 v45, v9
	v_add_f32_e32 v43, v10, v11
	v_sub_f32_e32 v10, v10, v43
	v_add_f32_e32 v10, v11, v10
	v_sub_f32_e32 v11, v44, v9
	v_add_f32_e32 v7, v7, v11
	v_mul_f32_e32 v11, v43, v45
	v_mul_f32_e32 v44, v9, v11
	v_fma_f32 v46, v11, v9, -v44
	v_fmac_f32_e32 v46, v11, v7
	v_add_f32_e32 v47, v44, v46
	v_sub_f32_e32 v48, v43, v47
	v_sub_f32_e32 v43, v43, v48
	;; [unrolled: 1-line block ×4, first 2 shown]
	v_add_f32_e32 v10, v10, v43
	v_sub_f32_e32 v43, v44, v46
	v_add_f32_e32 v10, v43, v10
	v_add_f32_e32 v43, v48, v10
	v_mul_f32_e32 v44, v45, v43
	v_mul_f32_e32 v46, v9, v44
	v_fma_f32 v9, v44, v9, -v46
	v_fmac_f32_e32 v9, v44, v7
	v_sub_f32_e32 v7, v48, v43
	v_add_f32_e32 v7, v10, v7
	v_add_f32_e32 v10, v46, v9
	v_sub_f32_e32 v47, v43, v10
	v_sub_f32_e32 v43, v43, v47
	;; [unrolled: 1-line block ×4, first 2 shown]
	v_add_f32_e32 v7, v7, v10
	v_sub_f32_e32 v9, v46, v9
	v_add_f32_e32 v7, v9, v7
	v_add_f32_e32 v9, v11, v44
	;; [unrolled: 1-line block ×3, first 2 shown]
	v_sub_f32_e32 v10, v9, v11
	v_mul_f32_e32 v7, v45, v7
	v_sub_f32_e32 v10, v44, v10
	v_add_f32_e32 v7, v10, v7
	v_cvt_f32_i32_e32 v6, v6
	v_add_f32_e32 v10, v9, v7
	v_mul_f32_e32 v11, v10, v10
	v_mov_b32_e32 v43, 0x3ecc95a3
	v_fmac_f32_e32 v43, 0x3e9b6dac, v11
	v_mov_b32_e32 v44, 0x3f2aaada
	v_fmac_f32_e32 v44, v11, v43
	s_mov_b32 s4, 0x3f317218
	v_mul_f32_e32 v43, 0x3f317218, v6
	v_fma_f32 v45, v6, s4, -v43
	v_fmac_f32_e32 v45, 0xb102e308, v6
	v_sub_f32_e32 v6, v10, v9
	v_sub_f32_e32 v6, v7, v6
	v_add_f32_e32 v7, v43, v45
	v_sub_f32_e32 v9, v7, v43
	v_ldexp_f32 v43, v10, 1
	v_mul_f32_e32 v10, v10, v11
	v_mul_f32_e32 v10, v10, v44
	v_add_f32_e32 v11, v43, v10
	v_sub_f32_e32 v43, v11, v43
	v_ldexp_f32 v6, v6, 1
	v_sub_f32_e32 v10, v10, v43
	v_add_f32_e32 v6, v6, v10
	v_add_f32_e32 v10, v11, v6
	v_sub_f32_e32 v11, v10, v11
	v_sub_f32_e32 v6, v6, v11
	v_add_f32_e32 v11, v7, v10
	v_sub_f32_e32 v43, v11, v7
	v_sub_f32_e32 v44, v11, v43
	;; [unrolled: 1-line block ×5, first 2 shown]
	v_add_f32_e32 v7, v10, v7
	v_add_f32_e32 v10, v9, v6
	v_sub_f32_e32 v43, v10, v9
	v_sub_f32_e32 v44, v10, v43
	;; [unrolled: 1-line block ×4, first 2 shown]
	v_add_f32_e32 v7, v10, v7
	v_add_f32_e32 v6, v6, v9
	v_add_f32_e32 v9, v11, v7
	v_sub_f32_e32 v10, v9, v11
	v_sub_f32_e32 v7, v7, v10
	v_add_f32_e32 v6, v6, v7
	v_add_f32_e32 v6, v9, v6
	v_cmp_neq_f32_e64 s[4:5], s60, v3
	v_cndmask_b32_e64 v6, v8, v6, s[4:5]
	s_mov_b32 s4, 0x33800000
	v_cmp_lt_f32_e64 s[4:5], |v3|, s4
	v_cndmask_b32_e64 v3, v6, v3, s[4:5]
	v_add_f32_e32 v3, v4, v3
.LBB157_106:
	s_or_b64 exec, exec, s[38:39]
.LBB157_107:
	s_or_b64 exec, exec, s[58:59]
	v_subrev_co_u32_e64 v4, s[38:39], 1, v5
	v_and_b32_e32 v6, 64, v5
	v_cmp_lt_i32_e64 s[4:5], v4, v6
	v_cndmask_b32_e64 v4, v4, v5, s[4:5]
	v_lshlrev_b32_e32 v4, 2, v4
	ds_bpermute_b32 v43, v4, v3
	s_and_saveexec_b64 s[58:59], vcc
	s_cbranch_execz .LBB157_179
; %bb.108:
	v_mov_b32_e32 v8, 0
	ds_read_b32 v3, v8 offset:12
	s_and_saveexec_b64 s[4:5], s[38:39]
	s_cbranch_execz .LBB157_110
; %bb.109:
	s_add_i32 s60, s63, 64
	s_mov_b32 s61, 0
	s_lshl_b64 s[60:61], s[60:61], 3
	s_add_u32 s60, s42, s60
	s_addc_u32 s61, s43, s61
	v_mov_b32_e32 v4, 1
	s_waitcnt lgkmcnt(0)
	global_store_dwordx2 v8, v[3:4], s[60:61]
.LBB157_110:
	s_or_b64 exec, exec, s[4:5]
	v_xad_u32 v4, v5, -1, s63
	v_add_u32_e32 v7, 64, v4
	v_lshlrev_b64 v[6:7], 3, v[7:8]
	v_mov_b32_e32 v10, s43
	v_add_co_u32_e32 v9, vcc, s42, v6
	v_addc_co_u32_e32 v10, vcc, v10, v7, vcc
	global_load_dwordx2 v[6:7], v[9:10], off glc
	s_waitcnt vmcnt(0)
	v_cmp_eq_u16_sdwa s[60:61], v7, v8 src0_sel:BYTE_0 src1_sel:DWORD
	s_and_saveexec_b64 s[4:5], s[60:61]
	s_cbranch_execz .LBB157_114
; %bb.111:
	s_mov_b64 s[60:61], 0
	v_mov_b32_e32 v8, 0
.LBB157_112:                            ; =>This Inner Loop Header: Depth=1
	global_load_dwordx2 v[6:7], v[9:10], off glc
	s_waitcnt vmcnt(0)
	v_cmp_ne_u16_sdwa s[64:65], v7, v8 src0_sel:BYTE_0 src1_sel:DWORD
	s_or_b64 s[60:61], s[64:65], s[60:61]
	s_andn2_b64 exec, exec, s[60:61]
	s_cbranch_execnz .LBB157_112
; %bb.113:
	s_or_b64 exec, exec, s[60:61]
.LBB157_114:
	s_or_b64 exec, exec, s[4:5]
	v_and_b32_e32 v44, 63, v5
	v_mov_b32_e32 v10, 2
	v_lshlrev_b64 v[8:9], v5, -1
	v_cmp_ne_u32_e32 vcc, 63, v44
	v_cmp_eq_u16_sdwa s[4:5], v7, v10 src0_sel:BYTE_0 src1_sel:DWORD
	v_addc_co_u32_e32 v45, vcc, 0, v5, vcc
	v_and_b32_e32 v10, s5, v9
	v_lshlrev_b32_e32 v45, 2, v45
	v_or_b32_e32 v10, 0x80000000, v10
	ds_bpermute_b32 v46, v45, v6
	v_and_b32_e32 v11, s4, v8
	v_ffbl_b32_e32 v10, v10
	v_add_u32_e32 v10, 32, v10
	v_ffbl_b32_e32 v11, v11
	v_min_u32_e32 v10, v11, v10
	v_cmp_lt_u32_e32 vcc, v44, v10
	v_mov_b32_e32 v11, v6
	s_and_saveexec_b64 s[60:61], vcc
	s_cbranch_execz .LBB157_118
; %bb.115:
	v_max_f32_e32 v47, v6, v6
	s_waitcnt lgkmcnt(0)
	v_max_f32_e32 v48, v46, v46
	v_min_f32_e32 v11, v48, v47
	v_cmp_u_f32_e32 vcc, v46, v46
	v_max_f32_e32 v47, v48, v47
	v_cndmask_b32_e32 v11, v11, v46, vcc
	v_cmp_u_f32_e64 s[4:5], v6, v6
	v_cndmask_b32_e32 v47, v47, v46, vcc
	v_cndmask_b32_e64 v11, v11, v6, s[4:5]
	v_cndmask_b32_e64 v6, v47, v6, s[4:5]
	s_movk_i32 s4, 0x1f8
	v_cmp_neq_f32_e32 vcc, v11, v6
	v_cmp_class_f32_e64 s[4:5], v11, s4
	s_or_b64 s[64:65], vcc, s[4:5]
	s_and_saveexec_b64 s[4:5], s[64:65]
	s_cbranch_execz .LBB157_117
; %bb.116:
	v_sub_f32_e32 v11, v11, v6
	s_mov_b32 s64, 0x3fb8aa3b
	v_mul_f32_e32 v46, 0x3fb8aa3b, v11
	v_fma_f32 v47, v11, s64, -v46
	v_rndne_f32_e32 v48, v46
	v_fmac_f32_e32 v47, 0x32a5705f, v11
	v_sub_f32_e32 v46, v46, v48
	v_add_f32_e32 v46, v46, v47
	v_exp_f32_e32 v46, v46
	v_cvt_i32_f32_e32 v47, v48
	s_mov_b32 s64, 0xc2ce8ed0
	v_cmp_ngt_f32_e32 vcc, s64, v11
	s_mov_b32 s64, 0x42b17218
	v_ldexp_f32 v46, v46, v47
	v_cndmask_b32_e32 v46, 0, v46, vcc
	v_mov_b32_e32 v48, 0x7f800000
	v_cmp_nlt_f32_e32 vcc, s64, v11
	v_cndmask_b32_e32 v11, v48, v46, vcc
	v_add_f32_e32 v49, 1.0, v11
	v_cvt_f64_f32_e32 v[46:47], v49
	v_add_f32_e32 v50, -1.0, v49
	v_sub_f32_e32 v51, v50, v49
	v_sub_f32_e32 v50, v11, v50
	v_frexp_exp_i32_f64_e32 v46, v[46:47]
	v_add_f32_e32 v47, 1.0, v51
	v_add_f32_e32 v47, v50, v47
	v_frexp_mant_f32_e32 v50, v49
	s_mov_b32 s65, 0x3f2aaaab
	v_cmp_gt_f32_e32 vcc, s65, v50
	s_mov_b32 s65, 0x3f317218
	s_mov_b32 s64, 0x7f800000
	v_subbrev_co_u32_e32 v46, vcc, 0, v46, vcc
	v_sub_u32_e32 v50, 0, v46
	v_ldexp_f32 v49, v49, v50
	v_ldexp_f32 v47, v47, v50
	v_add_f32_e32 v50, -1.0, v49
	v_add_f32_e32 v53, 1.0, v49
	v_add_f32_e32 v51, 1.0, v50
	v_add_f32_e32 v54, -1.0, v53
	v_sub_f32_e32 v51, v49, v51
	v_sub_f32_e32 v49, v49, v54
	v_add_f32_e32 v51, v47, v51
	v_add_f32_e32 v47, v47, v49
	;; [unrolled: 1-line block ×3, first 2 shown]
	v_rcp_f32_e32 v54, v49
	v_add_f32_e32 v52, v50, v51
	v_sub_f32_e32 v50, v50, v52
	v_add_f32_e32 v50, v51, v50
	v_sub_f32_e32 v51, v53, v49
	v_add_f32_e32 v47, v47, v51
	v_mul_f32_e32 v51, v52, v54
	v_mul_f32_e32 v53, v49, v51
	v_fma_f32 v55, v51, v49, -v53
	v_fmac_f32_e32 v55, v51, v47
	v_add_f32_e32 v56, v53, v55
	v_sub_f32_e32 v57, v52, v56
	v_sub_f32_e32 v52, v52, v57
	;; [unrolled: 1-line block ×4, first 2 shown]
	v_add_f32_e32 v50, v50, v52
	v_sub_f32_e32 v52, v53, v55
	v_add_f32_e32 v50, v52, v50
	v_add_f32_e32 v52, v57, v50
	v_mul_f32_e32 v53, v54, v52
	v_mul_f32_e32 v55, v49, v53
	v_fma_f32 v49, v53, v49, -v55
	v_fmac_f32_e32 v49, v53, v47
	v_sub_f32_e32 v47, v57, v52
	v_add_f32_e32 v47, v50, v47
	v_add_f32_e32 v50, v55, v49
	v_sub_f32_e32 v56, v52, v50
	v_sub_f32_e32 v52, v52, v56
	;; [unrolled: 1-line block ×4, first 2 shown]
	v_add_f32_e32 v47, v47, v50
	v_sub_f32_e32 v49, v55, v49
	v_add_f32_e32 v47, v49, v47
	v_add_f32_e32 v49, v51, v53
	;; [unrolled: 1-line block ×3, first 2 shown]
	v_sub_f32_e32 v50, v49, v51
	v_mul_f32_e32 v47, v54, v47
	v_sub_f32_e32 v50, v53, v50
	v_add_f32_e32 v47, v50, v47
	v_cvt_f32_i32_e32 v46, v46
	v_add_f32_e32 v50, v49, v47
	v_mul_f32_e32 v51, v50, v50
	v_mov_b32_e32 v52, 0x3ecc95a3
	v_fmac_f32_e32 v52, 0x3e9b6dac, v51
	v_mov_b32_e32 v53, 0x3f2aaada
	v_fmac_f32_e32 v53, v51, v52
	v_mul_f32_e32 v52, 0x3f317218, v46
	v_fma_f32 v54, v46, s65, -v52
	v_fmac_f32_e32 v54, 0xb102e308, v46
	v_sub_f32_e32 v46, v50, v49
	v_sub_f32_e32 v46, v47, v46
	v_add_f32_e32 v47, v52, v54
	v_sub_f32_e32 v49, v47, v52
	v_ldexp_f32 v52, v50, 1
	v_mul_f32_e32 v50, v50, v51
	v_mul_f32_e32 v50, v50, v53
	v_add_f32_e32 v51, v52, v50
	v_sub_f32_e32 v52, v51, v52
	v_ldexp_f32 v46, v46, 1
	v_sub_f32_e32 v50, v50, v52
	v_add_f32_e32 v46, v46, v50
	v_add_f32_e32 v50, v51, v46
	v_sub_f32_e32 v51, v50, v51
	v_sub_f32_e32 v46, v46, v51
	v_add_f32_e32 v51, v47, v50
	v_sub_f32_e32 v52, v51, v47
	v_sub_f32_e32 v53, v51, v52
	;; [unrolled: 1-line block ×5, first 2 shown]
	v_add_f32_e32 v47, v50, v47
	v_add_f32_e32 v50, v49, v46
	v_sub_f32_e32 v52, v50, v49
	v_sub_f32_e32 v53, v50, v52
	;; [unrolled: 1-line block ×4, first 2 shown]
	v_add_f32_e32 v47, v50, v47
	v_add_f32_e32 v46, v46, v49
	;; [unrolled: 1-line block ×3, first 2 shown]
	v_sub_f32_e32 v50, v49, v51
	v_sub_f32_e32 v47, v47, v50
	v_add_f32_e32 v46, v46, v47
	v_add_f32_e32 v46, v49, v46
	v_cmp_neq_f32_e32 vcc, s64, v11
	s_mov_b32 s64, 0x33800000
	v_cndmask_b32_e32 v46, v48, v46, vcc
	v_cmp_lt_f32_e64 vcc, |v11|, s64
	v_cndmask_b32_e32 v11, v46, v11, vcc
	v_add_f32_e32 v46, v6, v11
.LBB157_117:
	s_or_b64 exec, exec, s[4:5]
	v_mov_b32_e32 v6, v46
	v_mov_b32_e32 v11, v46
.LBB157_118:
	s_or_b64 exec, exec, s[60:61]
	v_cmp_gt_u32_e32 vcc, 62, v44
	s_waitcnt lgkmcnt(0)
	v_cndmask_b32_e64 v46, 0, 2, vcc
	v_add_lshl_u32 v46, v46, v5, 2
	ds_bpermute_b32 v48, v46, v6
	v_add_u32_e32 v47, 2, v44
	v_cmp_le_u32_e32 vcc, v47, v10
	s_and_saveexec_b64 s[60:61], vcc
	s_cbranch_execz .LBB157_122
; %bb.119:
	v_max_f32_e32 v6, v11, v11
	s_waitcnt lgkmcnt(0)
	v_max_f32_e32 v50, v48, v48
	v_min_f32_e32 v49, v50, v6
	v_cmp_u_f32_e32 vcc, v48, v48
	v_max_f32_e32 v6, v50, v6
	v_cndmask_b32_e32 v49, v49, v48, vcc
	v_cmp_u_f32_e64 s[4:5], v11, v11
	v_cndmask_b32_e32 v6, v6, v48, vcc
	v_cndmask_b32_e64 v49, v49, v11, s[4:5]
	v_cndmask_b32_e64 v6, v6, v11, s[4:5]
	s_movk_i32 s4, 0x1f8
	v_cmp_neq_f32_e32 vcc, v49, v6
	v_cmp_class_f32_e64 s[4:5], v49, s4
	s_or_b64 s[64:65], vcc, s[4:5]
	s_and_saveexec_b64 s[4:5], s[64:65]
	s_cbranch_execz .LBB157_121
; %bb.120:
	v_sub_f32_e32 v11, v49, v6
	s_mov_b32 s64, 0x3fb8aa3b
	v_mul_f32_e32 v48, 0x3fb8aa3b, v11
	v_fma_f32 v49, v11, s64, -v48
	v_rndne_f32_e32 v50, v48
	v_fmac_f32_e32 v49, 0x32a5705f, v11
	v_sub_f32_e32 v48, v48, v50
	v_add_f32_e32 v48, v48, v49
	v_exp_f32_e32 v48, v48
	v_cvt_i32_f32_e32 v49, v50
	s_mov_b32 s64, 0xc2ce8ed0
	v_cmp_ngt_f32_e32 vcc, s64, v11
	s_mov_b32 s64, 0x42b17218
	v_ldexp_f32 v48, v48, v49
	v_cndmask_b32_e32 v48, 0, v48, vcc
	v_mov_b32_e32 v50, 0x7f800000
	v_cmp_nlt_f32_e32 vcc, s64, v11
	v_cndmask_b32_e32 v11, v50, v48, vcc
	v_add_f32_e32 v51, 1.0, v11
	v_cvt_f64_f32_e32 v[48:49], v51
	v_add_f32_e32 v52, -1.0, v51
	v_sub_f32_e32 v53, v52, v51
	v_sub_f32_e32 v52, v11, v52
	v_frexp_exp_i32_f64_e32 v48, v[48:49]
	v_add_f32_e32 v49, 1.0, v53
	v_add_f32_e32 v49, v52, v49
	v_frexp_mant_f32_e32 v52, v51
	s_mov_b32 s65, 0x3f2aaaab
	v_cmp_gt_f32_e32 vcc, s65, v52
	s_mov_b32 s65, 0x3f317218
	s_mov_b32 s64, 0x7f800000
	v_subbrev_co_u32_e32 v48, vcc, 0, v48, vcc
	v_sub_u32_e32 v52, 0, v48
	v_ldexp_f32 v51, v51, v52
	v_ldexp_f32 v49, v49, v52
	v_add_f32_e32 v52, -1.0, v51
	v_add_f32_e32 v55, 1.0, v51
	v_add_f32_e32 v53, 1.0, v52
	v_add_f32_e32 v56, -1.0, v55
	v_sub_f32_e32 v53, v51, v53
	v_sub_f32_e32 v51, v51, v56
	v_add_f32_e32 v53, v49, v53
	v_add_f32_e32 v49, v49, v51
	;; [unrolled: 1-line block ×3, first 2 shown]
	v_rcp_f32_e32 v56, v51
	v_add_f32_e32 v54, v52, v53
	v_sub_f32_e32 v52, v52, v54
	v_add_f32_e32 v52, v53, v52
	v_sub_f32_e32 v53, v55, v51
	v_add_f32_e32 v49, v49, v53
	v_mul_f32_e32 v53, v54, v56
	v_mul_f32_e32 v55, v51, v53
	v_fma_f32 v57, v53, v51, -v55
	v_fmac_f32_e32 v57, v53, v49
	v_add_f32_e32 v58, v55, v57
	v_sub_f32_e32 v59, v54, v58
	v_sub_f32_e32 v54, v54, v59
	v_sub_f32_e32 v55, v58, v55
	v_sub_f32_e32 v54, v54, v58
	v_add_f32_e32 v52, v52, v54
	v_sub_f32_e32 v54, v55, v57
	v_add_f32_e32 v52, v54, v52
	v_add_f32_e32 v54, v59, v52
	v_mul_f32_e32 v55, v56, v54
	v_mul_f32_e32 v57, v51, v55
	v_fma_f32 v51, v55, v51, -v57
	v_fmac_f32_e32 v51, v55, v49
	v_sub_f32_e32 v49, v59, v54
	v_add_f32_e32 v49, v52, v49
	v_add_f32_e32 v52, v57, v51
	v_sub_f32_e32 v58, v54, v52
	v_sub_f32_e32 v54, v54, v58
	;; [unrolled: 1-line block ×4, first 2 shown]
	v_add_f32_e32 v49, v49, v52
	v_sub_f32_e32 v51, v57, v51
	v_add_f32_e32 v49, v51, v49
	v_add_f32_e32 v51, v53, v55
	;; [unrolled: 1-line block ×3, first 2 shown]
	v_sub_f32_e32 v52, v51, v53
	v_mul_f32_e32 v49, v56, v49
	v_sub_f32_e32 v52, v55, v52
	v_add_f32_e32 v49, v52, v49
	v_cvt_f32_i32_e32 v48, v48
	v_add_f32_e32 v52, v51, v49
	v_mul_f32_e32 v53, v52, v52
	v_mov_b32_e32 v54, 0x3ecc95a3
	v_fmac_f32_e32 v54, 0x3e9b6dac, v53
	v_mov_b32_e32 v55, 0x3f2aaada
	v_fmac_f32_e32 v55, v53, v54
	v_mul_f32_e32 v54, 0x3f317218, v48
	v_fma_f32 v56, v48, s65, -v54
	v_fmac_f32_e32 v56, 0xb102e308, v48
	v_sub_f32_e32 v48, v52, v51
	v_sub_f32_e32 v48, v49, v48
	v_add_f32_e32 v49, v54, v56
	v_sub_f32_e32 v51, v49, v54
	v_ldexp_f32 v54, v52, 1
	v_mul_f32_e32 v52, v52, v53
	v_mul_f32_e32 v52, v52, v55
	v_add_f32_e32 v53, v54, v52
	v_sub_f32_e32 v54, v53, v54
	v_ldexp_f32 v48, v48, 1
	v_sub_f32_e32 v52, v52, v54
	v_add_f32_e32 v48, v48, v52
	v_add_f32_e32 v52, v53, v48
	v_sub_f32_e32 v53, v52, v53
	v_sub_f32_e32 v48, v48, v53
	v_add_f32_e32 v53, v49, v52
	v_sub_f32_e32 v54, v53, v49
	v_sub_f32_e32 v55, v53, v54
	v_sub_f32_e32 v51, v56, v51
	v_sub_f32_e32 v49, v49, v55
	v_sub_f32_e32 v52, v52, v54
	v_add_f32_e32 v49, v52, v49
	v_add_f32_e32 v52, v51, v48
	v_sub_f32_e32 v54, v52, v51
	v_sub_f32_e32 v55, v52, v54
	v_sub_f32_e32 v51, v51, v55
	v_sub_f32_e32 v48, v48, v54
	v_add_f32_e32 v49, v52, v49
	v_add_f32_e32 v48, v48, v51
	;; [unrolled: 1-line block ×3, first 2 shown]
	v_sub_f32_e32 v52, v51, v53
	v_sub_f32_e32 v49, v49, v52
	v_add_f32_e32 v48, v48, v49
	v_add_f32_e32 v48, v51, v48
	v_cmp_neq_f32_e32 vcc, s64, v11
	s_mov_b32 s64, 0x33800000
	v_cndmask_b32_e32 v48, v50, v48, vcc
	v_cmp_lt_f32_e64 vcc, |v11|, s64
	v_cndmask_b32_e32 v11, v48, v11, vcc
	v_add_f32_e32 v48, v6, v11
.LBB157_121:
	s_or_b64 exec, exec, s[4:5]
	v_mov_b32_e32 v6, v48
	v_mov_b32_e32 v11, v48
.LBB157_122:
	s_or_b64 exec, exec, s[60:61]
	v_cmp_gt_u32_e32 vcc, 60, v44
	s_waitcnt lgkmcnt(0)
	v_cndmask_b32_e64 v48, 0, 4, vcc
	v_add_lshl_u32 v48, v48, v5, 2
	ds_bpermute_b32 v50, v48, v6
	v_add_u32_e32 v49, 4, v44
	v_cmp_le_u32_e32 vcc, v49, v10
	s_and_saveexec_b64 s[60:61], vcc
	s_cbranch_execz .LBB157_126
; %bb.123:
	v_max_f32_e32 v6, v11, v11
	s_waitcnt lgkmcnt(0)
	v_max_f32_e32 v52, v50, v50
	v_min_f32_e32 v51, v52, v6
	v_cmp_u_f32_e32 vcc, v50, v50
	v_max_f32_e32 v6, v52, v6
	v_cndmask_b32_e32 v51, v51, v50, vcc
	v_cmp_u_f32_e64 s[4:5], v11, v11
	v_cndmask_b32_e32 v6, v6, v50, vcc
	v_cndmask_b32_e64 v51, v51, v11, s[4:5]
	v_cndmask_b32_e64 v6, v6, v11, s[4:5]
	s_movk_i32 s4, 0x1f8
	v_cmp_neq_f32_e32 vcc, v51, v6
	v_cmp_class_f32_e64 s[4:5], v51, s4
	s_or_b64 s[64:65], vcc, s[4:5]
	s_and_saveexec_b64 s[4:5], s[64:65]
	s_cbranch_execz .LBB157_125
; %bb.124:
	v_sub_f32_e32 v11, v51, v6
	s_mov_b32 s64, 0x3fb8aa3b
	v_mul_f32_e32 v50, 0x3fb8aa3b, v11
	v_fma_f32 v51, v11, s64, -v50
	v_rndne_f32_e32 v52, v50
	v_fmac_f32_e32 v51, 0x32a5705f, v11
	v_sub_f32_e32 v50, v50, v52
	v_add_f32_e32 v50, v50, v51
	v_exp_f32_e32 v50, v50
	v_cvt_i32_f32_e32 v51, v52
	s_mov_b32 s64, 0xc2ce8ed0
	v_cmp_ngt_f32_e32 vcc, s64, v11
	s_mov_b32 s64, 0x42b17218
	v_ldexp_f32 v50, v50, v51
	v_cndmask_b32_e32 v50, 0, v50, vcc
	v_mov_b32_e32 v52, 0x7f800000
	v_cmp_nlt_f32_e32 vcc, s64, v11
	v_cndmask_b32_e32 v11, v52, v50, vcc
	v_add_f32_e32 v53, 1.0, v11
	v_cvt_f64_f32_e32 v[50:51], v53
	v_add_f32_e32 v54, -1.0, v53
	v_sub_f32_e32 v55, v54, v53
	v_sub_f32_e32 v54, v11, v54
	v_frexp_exp_i32_f64_e32 v50, v[50:51]
	v_add_f32_e32 v51, 1.0, v55
	v_add_f32_e32 v51, v54, v51
	v_frexp_mant_f32_e32 v54, v53
	s_mov_b32 s65, 0x3f2aaaab
	v_cmp_gt_f32_e32 vcc, s65, v54
	s_mov_b32 s65, 0x3f317218
	s_mov_b32 s64, 0x7f800000
	v_subbrev_co_u32_e32 v50, vcc, 0, v50, vcc
	v_sub_u32_e32 v54, 0, v50
	v_ldexp_f32 v53, v53, v54
	v_ldexp_f32 v51, v51, v54
	v_add_f32_e32 v54, -1.0, v53
	v_add_f32_e32 v57, 1.0, v53
	v_add_f32_e32 v55, 1.0, v54
	v_add_f32_e32 v58, -1.0, v57
	v_sub_f32_e32 v55, v53, v55
	v_sub_f32_e32 v53, v53, v58
	v_add_f32_e32 v55, v51, v55
	v_add_f32_e32 v51, v51, v53
	;; [unrolled: 1-line block ×3, first 2 shown]
	v_rcp_f32_e32 v58, v53
	v_add_f32_e32 v56, v54, v55
	v_sub_f32_e32 v54, v54, v56
	v_add_f32_e32 v54, v55, v54
	v_sub_f32_e32 v55, v57, v53
	v_add_f32_e32 v51, v51, v55
	v_mul_f32_e32 v55, v56, v58
	v_mul_f32_e32 v57, v53, v55
	v_fma_f32 v59, v55, v53, -v57
	v_fmac_f32_e32 v59, v55, v51
	v_add_f32_e32 v60, v57, v59
	v_sub_f32_e32 v61, v56, v60
	v_sub_f32_e32 v56, v56, v61
	;; [unrolled: 1-line block ×4, first 2 shown]
	v_add_f32_e32 v54, v54, v56
	v_sub_f32_e32 v56, v57, v59
	v_add_f32_e32 v54, v56, v54
	v_add_f32_e32 v56, v61, v54
	v_mul_f32_e32 v57, v58, v56
	v_mul_f32_e32 v59, v53, v57
	v_fma_f32 v53, v57, v53, -v59
	v_fmac_f32_e32 v53, v57, v51
	v_sub_f32_e32 v51, v61, v56
	v_add_f32_e32 v51, v54, v51
	v_add_f32_e32 v54, v59, v53
	v_sub_f32_e32 v60, v56, v54
	v_sub_f32_e32 v56, v56, v60
	;; [unrolled: 1-line block ×4, first 2 shown]
	v_add_f32_e32 v51, v51, v54
	v_sub_f32_e32 v53, v59, v53
	v_add_f32_e32 v51, v53, v51
	v_add_f32_e32 v53, v55, v57
	;; [unrolled: 1-line block ×3, first 2 shown]
	v_sub_f32_e32 v54, v53, v55
	v_mul_f32_e32 v51, v58, v51
	v_sub_f32_e32 v54, v57, v54
	v_add_f32_e32 v51, v54, v51
	v_cvt_f32_i32_e32 v50, v50
	v_add_f32_e32 v54, v53, v51
	v_mul_f32_e32 v55, v54, v54
	v_mov_b32_e32 v56, 0x3ecc95a3
	v_fmac_f32_e32 v56, 0x3e9b6dac, v55
	v_mov_b32_e32 v57, 0x3f2aaada
	v_fmac_f32_e32 v57, v55, v56
	v_mul_f32_e32 v56, 0x3f317218, v50
	v_fma_f32 v58, v50, s65, -v56
	v_fmac_f32_e32 v58, 0xb102e308, v50
	v_sub_f32_e32 v50, v54, v53
	v_sub_f32_e32 v50, v51, v50
	v_add_f32_e32 v51, v56, v58
	v_sub_f32_e32 v53, v51, v56
	v_ldexp_f32 v56, v54, 1
	v_mul_f32_e32 v54, v54, v55
	v_mul_f32_e32 v54, v54, v57
	v_add_f32_e32 v55, v56, v54
	v_sub_f32_e32 v56, v55, v56
	v_ldexp_f32 v50, v50, 1
	v_sub_f32_e32 v54, v54, v56
	v_add_f32_e32 v50, v50, v54
	v_add_f32_e32 v54, v55, v50
	v_sub_f32_e32 v55, v54, v55
	v_sub_f32_e32 v50, v50, v55
	v_add_f32_e32 v55, v51, v54
	v_sub_f32_e32 v56, v55, v51
	v_sub_f32_e32 v57, v55, v56
	;; [unrolled: 1-line block ×5, first 2 shown]
	v_add_f32_e32 v51, v54, v51
	v_add_f32_e32 v54, v53, v50
	v_sub_f32_e32 v56, v54, v53
	v_sub_f32_e32 v57, v54, v56
	;; [unrolled: 1-line block ×4, first 2 shown]
	v_add_f32_e32 v51, v54, v51
	v_add_f32_e32 v50, v50, v53
	;; [unrolled: 1-line block ×3, first 2 shown]
	v_sub_f32_e32 v54, v53, v55
	v_sub_f32_e32 v51, v51, v54
	v_add_f32_e32 v50, v50, v51
	v_add_f32_e32 v50, v53, v50
	v_cmp_neq_f32_e32 vcc, s64, v11
	s_mov_b32 s64, 0x33800000
	v_cndmask_b32_e32 v50, v52, v50, vcc
	v_cmp_lt_f32_e64 vcc, |v11|, s64
	v_cndmask_b32_e32 v11, v50, v11, vcc
	v_add_f32_e32 v50, v6, v11
.LBB157_125:
	s_or_b64 exec, exec, s[4:5]
	v_mov_b32_e32 v6, v50
	v_mov_b32_e32 v11, v50
.LBB157_126:
	s_or_b64 exec, exec, s[60:61]
	v_cmp_gt_u32_e32 vcc, 56, v44
	s_waitcnt lgkmcnt(0)
	v_cndmask_b32_e64 v50, 0, 8, vcc
	v_add_lshl_u32 v50, v50, v5, 2
	ds_bpermute_b32 v52, v50, v6
	v_add_u32_e32 v51, 8, v44
	v_cmp_le_u32_e32 vcc, v51, v10
	s_and_saveexec_b64 s[60:61], vcc
	s_cbranch_execz .LBB157_130
; %bb.127:
	v_max_f32_e32 v6, v11, v11
	s_waitcnt lgkmcnt(0)
	v_max_f32_e32 v54, v52, v52
	v_min_f32_e32 v53, v54, v6
	v_cmp_u_f32_e32 vcc, v52, v52
	v_max_f32_e32 v6, v54, v6
	v_cndmask_b32_e32 v53, v53, v52, vcc
	v_cmp_u_f32_e64 s[4:5], v11, v11
	v_cndmask_b32_e32 v6, v6, v52, vcc
	v_cndmask_b32_e64 v53, v53, v11, s[4:5]
	v_cndmask_b32_e64 v6, v6, v11, s[4:5]
	s_movk_i32 s4, 0x1f8
	v_cmp_neq_f32_e32 vcc, v53, v6
	v_cmp_class_f32_e64 s[4:5], v53, s4
	s_or_b64 s[64:65], vcc, s[4:5]
	s_and_saveexec_b64 s[4:5], s[64:65]
	s_cbranch_execz .LBB157_129
; %bb.128:
	v_sub_f32_e32 v11, v53, v6
	s_mov_b32 s64, 0x3fb8aa3b
	v_mul_f32_e32 v52, 0x3fb8aa3b, v11
	v_fma_f32 v53, v11, s64, -v52
	v_rndne_f32_e32 v54, v52
	v_fmac_f32_e32 v53, 0x32a5705f, v11
	v_sub_f32_e32 v52, v52, v54
	v_add_f32_e32 v52, v52, v53
	v_exp_f32_e32 v52, v52
	v_cvt_i32_f32_e32 v53, v54
	s_mov_b32 s64, 0xc2ce8ed0
	v_cmp_ngt_f32_e32 vcc, s64, v11
	s_mov_b32 s64, 0x42b17218
	v_ldexp_f32 v52, v52, v53
	v_cndmask_b32_e32 v52, 0, v52, vcc
	v_mov_b32_e32 v54, 0x7f800000
	v_cmp_nlt_f32_e32 vcc, s64, v11
	v_cndmask_b32_e32 v11, v54, v52, vcc
	v_add_f32_e32 v55, 1.0, v11
	v_cvt_f64_f32_e32 v[52:53], v55
	v_add_f32_e32 v56, -1.0, v55
	v_sub_f32_e32 v57, v56, v55
	v_sub_f32_e32 v56, v11, v56
	v_frexp_exp_i32_f64_e32 v52, v[52:53]
	v_add_f32_e32 v53, 1.0, v57
	v_add_f32_e32 v53, v56, v53
	v_frexp_mant_f32_e32 v56, v55
	s_mov_b32 s65, 0x3f2aaaab
	v_cmp_gt_f32_e32 vcc, s65, v56
	s_mov_b32 s65, 0x3f317218
	s_mov_b32 s64, 0x7f800000
	v_subbrev_co_u32_e32 v52, vcc, 0, v52, vcc
	v_sub_u32_e32 v56, 0, v52
	v_ldexp_f32 v55, v55, v56
	v_ldexp_f32 v53, v53, v56
	v_add_f32_e32 v56, -1.0, v55
	v_add_f32_e32 v59, 1.0, v55
	v_add_f32_e32 v57, 1.0, v56
	v_add_f32_e32 v60, -1.0, v59
	v_sub_f32_e32 v57, v55, v57
	v_sub_f32_e32 v55, v55, v60
	v_add_f32_e32 v57, v53, v57
	v_add_f32_e32 v53, v53, v55
	;; [unrolled: 1-line block ×3, first 2 shown]
	v_rcp_f32_e32 v60, v55
	v_add_f32_e32 v58, v56, v57
	v_sub_f32_e32 v56, v56, v58
	v_add_f32_e32 v56, v57, v56
	v_sub_f32_e32 v57, v59, v55
	v_add_f32_e32 v53, v53, v57
	v_mul_f32_e32 v57, v58, v60
	v_mul_f32_e32 v59, v55, v57
	v_fma_f32 v61, v57, v55, -v59
	v_fmac_f32_e32 v61, v57, v53
	v_add_f32_e32 v62, v59, v61
	v_sub_f32_e32 v63, v58, v62
	v_sub_f32_e32 v58, v58, v63
	;; [unrolled: 1-line block ×4, first 2 shown]
	v_add_f32_e32 v56, v56, v58
	v_sub_f32_e32 v58, v59, v61
	v_add_f32_e32 v56, v58, v56
	v_add_f32_e32 v58, v63, v56
	v_mul_f32_e32 v59, v60, v58
	v_mul_f32_e32 v61, v55, v59
	v_fma_f32 v55, v59, v55, -v61
	v_fmac_f32_e32 v55, v59, v53
	v_sub_f32_e32 v53, v63, v58
	v_add_f32_e32 v53, v56, v53
	v_add_f32_e32 v56, v61, v55
	v_sub_f32_e32 v62, v58, v56
	v_sub_f32_e32 v58, v58, v62
	;; [unrolled: 1-line block ×4, first 2 shown]
	v_add_f32_e32 v53, v53, v56
	v_sub_f32_e32 v55, v61, v55
	v_add_f32_e32 v53, v55, v53
	v_add_f32_e32 v55, v57, v59
	;; [unrolled: 1-line block ×3, first 2 shown]
	v_sub_f32_e32 v56, v55, v57
	v_mul_f32_e32 v53, v60, v53
	v_sub_f32_e32 v56, v59, v56
	v_add_f32_e32 v53, v56, v53
	v_cvt_f32_i32_e32 v52, v52
	v_add_f32_e32 v56, v55, v53
	v_mul_f32_e32 v57, v56, v56
	v_mov_b32_e32 v58, 0x3ecc95a3
	v_fmac_f32_e32 v58, 0x3e9b6dac, v57
	v_mov_b32_e32 v59, 0x3f2aaada
	v_fmac_f32_e32 v59, v57, v58
	v_mul_f32_e32 v58, 0x3f317218, v52
	v_fma_f32 v60, v52, s65, -v58
	v_fmac_f32_e32 v60, 0xb102e308, v52
	v_sub_f32_e32 v52, v56, v55
	v_sub_f32_e32 v52, v53, v52
	v_add_f32_e32 v53, v58, v60
	v_sub_f32_e32 v55, v53, v58
	v_ldexp_f32 v58, v56, 1
	v_mul_f32_e32 v56, v56, v57
	v_mul_f32_e32 v56, v56, v59
	v_add_f32_e32 v57, v58, v56
	v_sub_f32_e32 v58, v57, v58
	v_ldexp_f32 v52, v52, 1
	v_sub_f32_e32 v56, v56, v58
	v_add_f32_e32 v52, v52, v56
	v_add_f32_e32 v56, v57, v52
	v_sub_f32_e32 v57, v56, v57
	v_sub_f32_e32 v52, v52, v57
	v_add_f32_e32 v57, v53, v56
	v_sub_f32_e32 v58, v57, v53
	v_sub_f32_e32 v59, v57, v58
	;; [unrolled: 1-line block ×5, first 2 shown]
	v_add_f32_e32 v53, v56, v53
	v_add_f32_e32 v56, v55, v52
	v_sub_f32_e32 v58, v56, v55
	v_sub_f32_e32 v59, v56, v58
	v_sub_f32_e32 v55, v55, v59
	v_sub_f32_e32 v52, v52, v58
	v_add_f32_e32 v53, v56, v53
	v_add_f32_e32 v52, v52, v55
	;; [unrolled: 1-line block ×3, first 2 shown]
	v_sub_f32_e32 v56, v55, v57
	v_sub_f32_e32 v53, v53, v56
	v_add_f32_e32 v52, v52, v53
	v_add_f32_e32 v52, v55, v52
	v_cmp_neq_f32_e32 vcc, s64, v11
	s_mov_b32 s64, 0x33800000
	v_cndmask_b32_e32 v52, v54, v52, vcc
	v_cmp_lt_f32_e64 vcc, |v11|, s64
	v_cndmask_b32_e32 v11, v52, v11, vcc
	v_add_f32_e32 v52, v6, v11
.LBB157_129:
	s_or_b64 exec, exec, s[4:5]
	v_mov_b32_e32 v6, v52
	v_mov_b32_e32 v11, v52
.LBB157_130:
	s_or_b64 exec, exec, s[60:61]
	v_cmp_gt_u32_e32 vcc, 48, v44
	s_waitcnt lgkmcnt(0)
	v_cndmask_b32_e64 v52, 0, 16, vcc
	v_add_lshl_u32 v52, v52, v5, 2
	ds_bpermute_b32 v54, v52, v6
	v_add_u32_e32 v53, 16, v44
	v_cmp_le_u32_e32 vcc, v53, v10
	s_and_saveexec_b64 s[60:61], vcc
	s_cbranch_execz .LBB157_134
; %bb.131:
	v_max_f32_e32 v6, v11, v11
	s_waitcnt lgkmcnt(0)
	v_max_f32_e32 v56, v54, v54
	v_min_f32_e32 v55, v56, v6
	v_cmp_u_f32_e32 vcc, v54, v54
	v_max_f32_e32 v6, v56, v6
	v_cndmask_b32_e32 v55, v55, v54, vcc
	v_cmp_u_f32_e64 s[4:5], v11, v11
	v_cndmask_b32_e32 v6, v6, v54, vcc
	v_cndmask_b32_e64 v55, v55, v11, s[4:5]
	v_cndmask_b32_e64 v6, v6, v11, s[4:5]
	s_movk_i32 s4, 0x1f8
	v_cmp_neq_f32_e32 vcc, v55, v6
	v_cmp_class_f32_e64 s[4:5], v55, s4
	s_or_b64 s[64:65], vcc, s[4:5]
	s_and_saveexec_b64 s[4:5], s[64:65]
	s_cbranch_execz .LBB157_133
; %bb.132:
	v_sub_f32_e32 v11, v55, v6
	s_mov_b32 s64, 0x3fb8aa3b
	v_mul_f32_e32 v54, 0x3fb8aa3b, v11
	v_fma_f32 v55, v11, s64, -v54
	v_rndne_f32_e32 v56, v54
	v_fmac_f32_e32 v55, 0x32a5705f, v11
	v_sub_f32_e32 v54, v54, v56
	v_add_f32_e32 v54, v54, v55
	v_exp_f32_e32 v54, v54
	v_cvt_i32_f32_e32 v55, v56
	s_mov_b32 s64, 0xc2ce8ed0
	v_cmp_ngt_f32_e32 vcc, s64, v11
	s_mov_b32 s64, 0x42b17218
	v_ldexp_f32 v54, v54, v55
	v_cndmask_b32_e32 v54, 0, v54, vcc
	v_mov_b32_e32 v56, 0x7f800000
	v_cmp_nlt_f32_e32 vcc, s64, v11
	v_cndmask_b32_e32 v11, v56, v54, vcc
	v_add_f32_e32 v57, 1.0, v11
	v_cvt_f64_f32_e32 v[54:55], v57
	v_add_f32_e32 v58, -1.0, v57
	v_sub_f32_e32 v59, v58, v57
	v_sub_f32_e32 v58, v11, v58
	v_frexp_exp_i32_f64_e32 v54, v[54:55]
	v_add_f32_e32 v55, 1.0, v59
	v_add_f32_e32 v55, v58, v55
	v_frexp_mant_f32_e32 v58, v57
	s_mov_b32 s65, 0x3f2aaaab
	v_cmp_gt_f32_e32 vcc, s65, v58
	s_mov_b32 s65, 0x3f317218
	s_mov_b32 s64, 0x7f800000
	v_subbrev_co_u32_e32 v54, vcc, 0, v54, vcc
	v_sub_u32_e32 v58, 0, v54
	v_ldexp_f32 v57, v57, v58
	v_ldexp_f32 v55, v55, v58
	v_add_f32_e32 v58, -1.0, v57
	v_add_f32_e32 v61, 1.0, v57
	v_add_f32_e32 v59, 1.0, v58
	v_add_f32_e32 v62, -1.0, v61
	v_sub_f32_e32 v59, v57, v59
	v_sub_f32_e32 v57, v57, v62
	v_add_f32_e32 v59, v55, v59
	v_add_f32_e32 v55, v55, v57
	;; [unrolled: 1-line block ×3, first 2 shown]
	v_rcp_f32_e32 v62, v57
	v_add_f32_e32 v60, v58, v59
	v_sub_f32_e32 v58, v58, v60
	v_add_f32_e32 v58, v59, v58
	v_sub_f32_e32 v59, v61, v57
	v_add_f32_e32 v55, v55, v59
	v_mul_f32_e32 v59, v60, v62
	v_mul_f32_e32 v61, v57, v59
	v_fma_f32 v63, v59, v57, -v61
	v_fmac_f32_e32 v63, v59, v55
	v_add_f32_e32 v64, v61, v63
	v_sub_f32_e32 v65, v60, v64
	v_sub_f32_e32 v60, v60, v65
	;; [unrolled: 1-line block ×4, first 2 shown]
	v_add_f32_e32 v58, v58, v60
	v_sub_f32_e32 v60, v61, v63
	v_add_f32_e32 v58, v60, v58
	v_add_f32_e32 v60, v65, v58
	v_mul_f32_e32 v61, v62, v60
	v_mul_f32_e32 v63, v57, v61
	v_fma_f32 v57, v61, v57, -v63
	v_fmac_f32_e32 v57, v61, v55
	v_sub_f32_e32 v55, v65, v60
	v_add_f32_e32 v55, v58, v55
	v_add_f32_e32 v58, v63, v57
	v_sub_f32_e32 v64, v60, v58
	v_sub_f32_e32 v60, v60, v64
	;; [unrolled: 1-line block ×4, first 2 shown]
	v_add_f32_e32 v55, v55, v58
	v_sub_f32_e32 v57, v63, v57
	v_add_f32_e32 v55, v57, v55
	v_add_f32_e32 v57, v59, v61
	;; [unrolled: 1-line block ×3, first 2 shown]
	v_sub_f32_e32 v58, v57, v59
	v_mul_f32_e32 v55, v62, v55
	v_sub_f32_e32 v58, v61, v58
	v_add_f32_e32 v55, v58, v55
	v_cvt_f32_i32_e32 v54, v54
	v_add_f32_e32 v58, v57, v55
	v_mul_f32_e32 v59, v58, v58
	v_mov_b32_e32 v60, 0x3ecc95a3
	v_fmac_f32_e32 v60, 0x3e9b6dac, v59
	v_mov_b32_e32 v61, 0x3f2aaada
	v_fmac_f32_e32 v61, v59, v60
	v_mul_f32_e32 v60, 0x3f317218, v54
	v_fma_f32 v62, v54, s65, -v60
	v_fmac_f32_e32 v62, 0xb102e308, v54
	v_sub_f32_e32 v54, v58, v57
	v_sub_f32_e32 v54, v55, v54
	v_add_f32_e32 v55, v60, v62
	v_sub_f32_e32 v57, v55, v60
	v_ldexp_f32 v60, v58, 1
	v_mul_f32_e32 v58, v58, v59
	v_mul_f32_e32 v58, v58, v61
	v_add_f32_e32 v59, v60, v58
	v_sub_f32_e32 v60, v59, v60
	v_ldexp_f32 v54, v54, 1
	v_sub_f32_e32 v58, v58, v60
	v_add_f32_e32 v54, v54, v58
	v_add_f32_e32 v58, v59, v54
	v_sub_f32_e32 v59, v58, v59
	v_sub_f32_e32 v54, v54, v59
	v_add_f32_e32 v59, v55, v58
	v_sub_f32_e32 v60, v59, v55
	v_sub_f32_e32 v61, v59, v60
	;; [unrolled: 1-line block ×5, first 2 shown]
	v_add_f32_e32 v55, v58, v55
	v_add_f32_e32 v58, v57, v54
	v_sub_f32_e32 v60, v58, v57
	v_sub_f32_e32 v61, v58, v60
	;; [unrolled: 1-line block ×4, first 2 shown]
	v_add_f32_e32 v55, v58, v55
	v_add_f32_e32 v54, v54, v57
	;; [unrolled: 1-line block ×3, first 2 shown]
	v_sub_f32_e32 v58, v57, v59
	v_sub_f32_e32 v55, v55, v58
	v_add_f32_e32 v54, v54, v55
	v_add_f32_e32 v54, v57, v54
	v_cmp_neq_f32_e32 vcc, s64, v11
	s_mov_b32 s64, 0x33800000
	v_cndmask_b32_e32 v54, v56, v54, vcc
	v_cmp_lt_f32_e64 vcc, |v11|, s64
	v_cndmask_b32_e32 v11, v54, v11, vcc
	v_add_f32_e32 v54, v6, v11
.LBB157_133:
	s_or_b64 exec, exec, s[4:5]
	v_mov_b32_e32 v6, v54
	v_mov_b32_e32 v11, v54
.LBB157_134:
	s_or_b64 exec, exec, s[60:61]
	s_waitcnt lgkmcnt(0)
	v_mov_b32_e32 v54, 0x80
	v_lshl_or_b32 v55, v5, 2, v54
	ds_bpermute_b32 v6, v55, v6
	v_add_u32_e32 v56, 32, v44
	v_cmp_le_u32_e32 vcc, v56, v10
	s_and_saveexec_b64 s[60:61], vcc
	s_cbranch_execz .LBB157_138
; %bb.135:
	v_max_f32_e32 v5, v11, v11
	s_waitcnt lgkmcnt(0)
	v_max_f32_e32 v54, v6, v6
	v_min_f32_e32 v10, v54, v5
	v_cmp_u_f32_e32 vcc, v6, v6
	v_max_f32_e32 v5, v54, v5
	v_cndmask_b32_e32 v10, v10, v6, vcc
	v_cmp_u_f32_e64 s[4:5], v11, v11
	v_cndmask_b32_e32 v5, v5, v6, vcc
	v_cndmask_b32_e64 v10, v10, v11, s[4:5]
	v_cndmask_b32_e64 v5, v5, v11, s[4:5]
	s_movk_i32 s4, 0x1f8
	v_cmp_neq_f32_e32 vcc, v10, v5
	v_cmp_class_f32_e64 s[4:5], v10, s4
	s_or_b64 s[64:65], vcc, s[4:5]
	s_and_saveexec_b64 s[4:5], s[64:65]
	s_cbranch_execz .LBB157_137
; %bb.136:
	v_sub_f32_e32 v6, v10, v5
	s_mov_b32 s64, 0x3fb8aa3b
	v_mul_f32_e32 v10, 0x3fb8aa3b, v6
	v_fma_f32 v11, v6, s64, -v10
	v_rndne_f32_e32 v54, v10
	v_fmac_f32_e32 v11, 0x32a5705f, v6
	v_sub_f32_e32 v10, v10, v54
	v_add_f32_e32 v10, v10, v11
	v_exp_f32_e32 v10, v10
	v_cvt_i32_f32_e32 v11, v54
	s_mov_b32 s64, 0xc2ce8ed0
	v_cmp_ngt_f32_e32 vcc, s64, v6
	s_mov_b32 s64, 0x42b17218
	v_ldexp_f32 v10, v10, v11
	v_cndmask_b32_e32 v10, 0, v10, vcc
	v_mov_b32_e32 v54, 0x7f800000
	v_cmp_nlt_f32_e32 vcc, s64, v6
	v_cndmask_b32_e32 v6, v54, v10, vcc
	v_add_f32_e32 v57, 1.0, v6
	v_cvt_f64_f32_e32 v[10:11], v57
	v_add_f32_e32 v58, -1.0, v57
	v_sub_f32_e32 v59, v58, v57
	v_sub_f32_e32 v58, v6, v58
	v_frexp_exp_i32_f64_e32 v10, v[10:11]
	v_add_f32_e32 v11, 1.0, v59
	v_add_f32_e32 v11, v58, v11
	v_frexp_mant_f32_e32 v58, v57
	s_mov_b32 s65, 0x3f2aaaab
	v_cmp_gt_f32_e32 vcc, s65, v58
	s_mov_b32 s65, 0x3f317218
	s_mov_b32 s64, 0x7f800000
	v_subbrev_co_u32_e32 v10, vcc, 0, v10, vcc
	v_sub_u32_e32 v58, 0, v10
	v_ldexp_f32 v57, v57, v58
	v_ldexp_f32 v11, v11, v58
	v_add_f32_e32 v58, -1.0, v57
	v_add_f32_e32 v61, 1.0, v57
	v_add_f32_e32 v59, 1.0, v58
	v_add_f32_e32 v62, -1.0, v61
	v_sub_f32_e32 v59, v57, v59
	v_sub_f32_e32 v57, v57, v62
	v_add_f32_e32 v59, v11, v59
	v_add_f32_e32 v11, v11, v57
	;; [unrolled: 1-line block ×3, first 2 shown]
	v_rcp_f32_e32 v62, v57
	v_add_f32_e32 v60, v58, v59
	v_sub_f32_e32 v58, v58, v60
	v_add_f32_e32 v58, v59, v58
	v_sub_f32_e32 v59, v61, v57
	v_add_f32_e32 v11, v11, v59
	v_mul_f32_e32 v59, v60, v62
	v_mul_f32_e32 v61, v57, v59
	v_fma_f32 v63, v59, v57, -v61
	v_fmac_f32_e32 v63, v59, v11
	v_add_f32_e32 v64, v61, v63
	v_sub_f32_e32 v65, v60, v64
	v_sub_f32_e32 v60, v60, v65
	;; [unrolled: 1-line block ×4, first 2 shown]
	v_add_f32_e32 v58, v58, v60
	v_sub_f32_e32 v60, v61, v63
	v_add_f32_e32 v58, v60, v58
	v_add_f32_e32 v60, v65, v58
	v_mul_f32_e32 v61, v62, v60
	v_mul_f32_e32 v63, v57, v61
	v_fma_f32 v57, v61, v57, -v63
	v_fmac_f32_e32 v57, v61, v11
	v_sub_f32_e32 v11, v65, v60
	v_add_f32_e32 v11, v58, v11
	v_add_f32_e32 v58, v63, v57
	v_sub_f32_e32 v64, v60, v58
	v_sub_f32_e32 v60, v60, v64
	;; [unrolled: 1-line block ×4, first 2 shown]
	v_add_f32_e32 v11, v11, v58
	v_sub_f32_e32 v57, v63, v57
	v_add_f32_e32 v11, v57, v11
	v_add_f32_e32 v57, v59, v61
	;; [unrolled: 1-line block ×3, first 2 shown]
	v_sub_f32_e32 v58, v57, v59
	v_mul_f32_e32 v11, v62, v11
	v_sub_f32_e32 v58, v61, v58
	v_add_f32_e32 v11, v58, v11
	v_cvt_f32_i32_e32 v10, v10
	v_add_f32_e32 v58, v57, v11
	v_mul_f32_e32 v59, v58, v58
	v_mov_b32_e32 v60, 0x3ecc95a3
	v_fmac_f32_e32 v60, 0x3e9b6dac, v59
	v_mov_b32_e32 v61, 0x3f2aaada
	v_fmac_f32_e32 v61, v59, v60
	v_mul_f32_e32 v60, 0x3f317218, v10
	v_fma_f32 v62, v10, s65, -v60
	v_fmac_f32_e32 v62, 0xb102e308, v10
	v_sub_f32_e32 v10, v58, v57
	v_sub_f32_e32 v10, v11, v10
	v_add_f32_e32 v11, v60, v62
	v_sub_f32_e32 v57, v11, v60
	v_ldexp_f32 v60, v58, 1
	v_mul_f32_e32 v58, v58, v59
	v_mul_f32_e32 v58, v58, v61
	v_add_f32_e32 v59, v60, v58
	v_sub_f32_e32 v60, v59, v60
	v_ldexp_f32 v10, v10, 1
	v_sub_f32_e32 v58, v58, v60
	v_add_f32_e32 v10, v10, v58
	v_add_f32_e32 v58, v59, v10
	v_sub_f32_e32 v59, v58, v59
	v_sub_f32_e32 v10, v10, v59
	v_add_f32_e32 v59, v11, v58
	v_sub_f32_e32 v60, v59, v11
	v_sub_f32_e32 v61, v59, v60
	;; [unrolled: 1-line block ×5, first 2 shown]
	v_add_f32_e32 v11, v58, v11
	v_add_f32_e32 v58, v57, v10
	v_sub_f32_e32 v60, v58, v57
	v_sub_f32_e32 v61, v58, v60
	;; [unrolled: 1-line block ×4, first 2 shown]
	v_add_f32_e32 v11, v58, v11
	v_add_f32_e32 v10, v10, v57
	;; [unrolled: 1-line block ×3, first 2 shown]
	v_sub_f32_e32 v58, v57, v59
	v_sub_f32_e32 v11, v11, v58
	v_add_f32_e32 v10, v10, v11
	v_add_f32_e32 v10, v57, v10
	v_cmp_neq_f32_e32 vcc, s64, v6
	s_mov_b32 s64, 0x33800000
	v_cndmask_b32_e32 v10, v54, v10, vcc
	v_cmp_lt_f32_e64 vcc, |v6|, s64
	v_cndmask_b32_e32 v6, v10, v6, vcc
	v_add_f32_e32 v6, v5, v6
.LBB157_137:
	s_or_b64 exec, exec, s[4:5]
	v_mov_b32_e32 v11, v6
.LBB157_138:
	s_or_b64 exec, exec, s[60:61]
	v_mov_b32_e32 v5, 0
	s_movk_i32 s64, 0x1f8
	s_mov_b32 s65, 0x3fb8aa3b
	s_mov_b32 s66, 0xc2ce8ed0
	;; [unrolled: 1-line block ×5, first 2 shown]
	v_mov_b32_e32 v57, 0x3f2aaada
	s_mov_b32 s70, 0x3f317218
	s_mov_b32 s71, 0x33800000
	v_mov_b32_e32 v58, 2
	v_mov_b32_e32 v59, 0x7f800000
	s_branch .LBB157_141
.LBB157_139:                            ;   in Loop: Header=BB157_141 Depth=1
	s_or_b64 exec, exec, s[4:5]
	v_subrev_u32_e32 v4, 64, v4
	s_mov_b64 s[4:5], 0
.LBB157_140:                            ;   in Loop: Header=BB157_141 Depth=1
	s_and_b64 vcc, exec, s[4:5]
	s_cbranch_vccnz .LBB157_173
.LBB157_141:                            ; =>This Loop Header: Depth=1
                                        ;     Child Loop BB157_144 Depth 2
	v_cmp_ne_u16_sdwa s[4:5], v7, v58 src0_sel:BYTE_0 src1_sel:DWORD
	v_mov_b32_e32 v54, v11
	s_cmp_lg_u64 s[4:5], exec
	s_mov_b64 s[4:5], -1
                                        ; implicit-def: $vgpr11
                                        ; implicit-def: $vgpr7
	s_cbranch_scc1 .LBB157_140
; %bb.142:                              ;   in Loop: Header=BB157_141 Depth=1
	s_waitcnt lgkmcnt(0)
	v_lshlrev_b64 v[6:7], 3, v[4:5]
	v_mov_b32_e32 v11, s43
	v_add_co_u32_e32 v10, vcc, s42, v6
	v_addc_co_u32_e32 v11, vcc, v11, v7, vcc
	global_load_dwordx2 v[6:7], v[10:11], off glc
	s_waitcnt vmcnt(0)
	v_cmp_eq_u16_sdwa s[60:61], v7, v5 src0_sel:BYTE_0 src1_sel:DWORD
	s_and_saveexec_b64 s[4:5], s[60:61]
	s_cbranch_execz .LBB157_146
; %bb.143:                              ;   in Loop: Header=BB157_141 Depth=1
	s_mov_b64 s[60:61], 0
.LBB157_144:                            ;   Parent Loop BB157_141 Depth=1
                                        ; =>  This Inner Loop Header: Depth=2
	global_load_dwordx2 v[6:7], v[10:11], off glc
	s_waitcnt vmcnt(0)
	v_cmp_ne_u16_sdwa s[72:73], v7, v5 src0_sel:BYTE_0 src1_sel:DWORD
	s_or_b64 s[60:61], s[72:73], s[60:61]
	s_andn2_b64 exec, exec, s[60:61]
	s_cbranch_execnz .LBB157_144
; %bb.145:                              ;   in Loop: Header=BB157_141 Depth=1
	s_or_b64 exec, exec, s[60:61]
.LBB157_146:                            ;   in Loop: Header=BB157_141 Depth=1
	s_or_b64 exec, exec, s[4:5]
	v_cmp_eq_u16_sdwa s[4:5], v7, v58 src0_sel:BYTE_0 src1_sel:DWORD
	v_and_b32_e32 v10, s5, v9
	v_or_b32_e32 v10, 0x80000000, v10
	ds_bpermute_b32 v60, v45, v6
	v_and_b32_e32 v11, s4, v8
	v_ffbl_b32_e32 v10, v10
	v_add_u32_e32 v10, 32, v10
	v_ffbl_b32_e32 v11, v11
	v_min_u32_e32 v10, v11, v10
	v_cmp_lt_u32_e32 vcc, v44, v10
	v_mov_b32_e32 v11, v6
	s_and_saveexec_b64 s[60:61], vcc
	s_cbranch_execz .LBB157_150
; %bb.147:                              ;   in Loop: Header=BB157_141 Depth=1
	v_max_f32_e32 v61, v6, v6
	s_waitcnt lgkmcnt(0)
	v_max_f32_e32 v62, v60, v60
	v_min_f32_e32 v11, v62, v61
	v_cmp_u_f32_e32 vcc, v60, v60
	v_max_f32_e32 v61, v62, v61
	v_cndmask_b32_e32 v11, v11, v60, vcc
	v_cmp_u_f32_e64 s[4:5], v6, v6
	v_cndmask_b32_e32 v61, v61, v60, vcc
	v_cndmask_b32_e64 v11, v11, v6, s[4:5]
	v_cndmask_b32_e64 v6, v61, v6, s[4:5]
	v_cmp_neq_f32_e32 vcc, v11, v6
	v_cmp_class_f32_e64 s[4:5], v11, s64
	s_or_b64 s[72:73], vcc, s[4:5]
	s_and_saveexec_b64 s[4:5], s[72:73]
	s_cbranch_execz .LBB157_149
; %bb.148:                              ;   in Loop: Header=BB157_141 Depth=1
	v_sub_f32_e32 v11, v11, v6
	v_mul_f32_e32 v60, 0x3fb8aa3b, v11
	v_fma_f32 v61, v11, s65, -v60
	v_rndne_f32_e32 v62, v60
	v_fmac_f32_e32 v61, 0x32a5705f, v11
	v_sub_f32_e32 v60, v60, v62
	v_add_f32_e32 v60, v60, v61
	v_cvt_i32_f32_e32 v61, v62
	v_exp_f32_e32 v60, v60
	v_cmp_ngt_f32_e32 vcc, s66, v11
	v_ldexp_f32 v60, v60, v61
	v_cndmask_b32_e32 v60, 0, v60, vcc
	v_cmp_nlt_f32_e32 vcc, s67, v11
	v_cndmask_b32_e32 v11, v59, v60, vcc
	v_add_f32_e32 v62, 1.0, v11
	v_cvt_f64_f32_e32 v[60:61], v62
	v_add_f32_e32 v63, -1.0, v62
	v_sub_f32_e32 v64, v63, v62
	v_sub_f32_e32 v63, v11, v63
	v_frexp_exp_i32_f64_e32 v60, v[60:61]
	v_frexp_mant_f32_e32 v61, v62
	v_cmp_gt_f32_e32 vcc, s69, v61
	v_add_f32_e32 v64, 1.0, v64
	v_add_f32_e32 v63, v63, v64
	v_subbrev_co_u32_e32 v60, vcc, 0, v60, vcc
	v_sub_u32_e32 v61, 0, v60
	v_ldexp_f32 v62, v62, v61
	v_ldexp_f32 v61, v63, v61
	v_add_f32_e32 v63, -1.0, v62
	v_add_f32_e32 v66, 1.0, v62
	v_add_f32_e32 v64, 1.0, v63
	v_add_f32_e32 v67, -1.0, v66
	v_sub_f32_e32 v64, v62, v64
	v_sub_f32_e32 v62, v62, v67
	v_add_f32_e32 v64, v61, v64
	v_add_f32_e32 v61, v61, v62
	;; [unrolled: 1-line block ×3, first 2 shown]
	v_rcp_f32_e32 v67, v62
	v_add_f32_e32 v65, v63, v64
	v_sub_f32_e32 v63, v63, v65
	v_add_f32_e32 v63, v64, v63
	v_sub_f32_e32 v64, v66, v62
	v_add_f32_e32 v61, v61, v64
	v_mul_f32_e32 v64, v65, v67
	v_mul_f32_e32 v66, v62, v64
	v_fma_f32 v68, v64, v62, -v66
	v_fmac_f32_e32 v68, v64, v61
	v_add_f32_e32 v69, v66, v68
	v_sub_f32_e32 v70, v65, v69
	v_sub_f32_e32 v65, v65, v70
	;; [unrolled: 1-line block ×4, first 2 shown]
	v_add_f32_e32 v63, v63, v65
	v_sub_f32_e32 v65, v66, v68
	v_add_f32_e32 v63, v65, v63
	v_add_f32_e32 v65, v70, v63
	v_mul_f32_e32 v66, v67, v65
	v_mul_f32_e32 v68, v62, v66
	v_fma_f32 v62, v66, v62, -v68
	v_fmac_f32_e32 v62, v66, v61
	v_sub_f32_e32 v61, v70, v65
	v_add_f32_e32 v61, v63, v61
	v_add_f32_e32 v63, v68, v62
	v_sub_f32_e32 v69, v65, v63
	v_sub_f32_e32 v65, v65, v69
	v_sub_f32_e32 v68, v63, v68
	v_sub_f32_e32 v63, v65, v63
	v_add_f32_e32 v61, v61, v63
	v_sub_f32_e32 v62, v68, v62
	v_cvt_f32_i32_e32 v60, v60
	v_add_f32_e32 v61, v62, v61
	v_add_f32_e32 v62, v64, v66
	;; [unrolled: 1-line block ×3, first 2 shown]
	v_sub_f32_e32 v63, v62, v64
	v_mul_f32_e32 v61, v67, v61
	v_sub_f32_e32 v63, v66, v63
	v_add_f32_e32 v61, v63, v61
	v_mul_f32_e32 v66, 0x3f317218, v60
	v_add_f32_e32 v63, v62, v61
	v_fma_f32 v67, v60, s70, -v66
	v_mul_f32_e32 v64, v63, v63
	v_mov_b32_e32 v65, 0x3ecc95a3
	v_fmac_f32_e32 v67, 0xb102e308, v60
	v_sub_f32_e32 v60, v63, v62
	v_fmac_f32_e32 v65, 0x3e9b6dac, v64
	v_sub_f32_e32 v60, v61, v60
	v_add_f32_e32 v61, v66, v67
	v_fma_f32 v65, v64, v65, v57
	v_sub_f32_e32 v62, v61, v66
	v_ldexp_f32 v66, v63, 1
	v_mul_f32_e32 v63, v63, v64
	v_mul_f32_e32 v63, v63, v65
	v_add_f32_e32 v64, v66, v63
	v_sub_f32_e32 v65, v64, v66
	v_ldexp_f32 v60, v60, 1
	v_sub_f32_e32 v63, v63, v65
	v_add_f32_e32 v60, v60, v63
	v_add_f32_e32 v63, v64, v60
	v_sub_f32_e32 v64, v63, v64
	v_sub_f32_e32 v60, v60, v64
	v_add_f32_e32 v64, v61, v63
	v_sub_f32_e32 v65, v64, v61
	v_sub_f32_e32 v66, v64, v65
	;; [unrolled: 1-line block ×5, first 2 shown]
	v_add_f32_e32 v61, v63, v61
	v_add_f32_e32 v63, v62, v60
	v_sub_f32_e32 v65, v63, v62
	v_sub_f32_e32 v66, v63, v65
	;; [unrolled: 1-line block ×4, first 2 shown]
	v_add_f32_e32 v61, v63, v61
	v_add_f32_e32 v60, v60, v62
	;; [unrolled: 1-line block ×3, first 2 shown]
	v_sub_f32_e32 v63, v62, v64
	v_sub_f32_e32 v61, v61, v63
	v_add_f32_e32 v60, v60, v61
	v_add_f32_e32 v60, v62, v60
	v_cmp_neq_f32_e32 vcc, s68, v11
	v_cndmask_b32_e32 v60, v59, v60, vcc
	v_cmp_lt_f32_e64 vcc, |v11|, s71
	v_cndmask_b32_e32 v11, v60, v11, vcc
	v_add_f32_e32 v60, v6, v11
.LBB157_149:                            ;   in Loop: Header=BB157_141 Depth=1
	s_or_b64 exec, exec, s[4:5]
	v_mov_b32_e32 v6, v60
	v_mov_b32_e32 v11, v60
.LBB157_150:                            ;   in Loop: Header=BB157_141 Depth=1
	s_or_b64 exec, exec, s[60:61]
	s_waitcnt lgkmcnt(0)
	ds_bpermute_b32 v60, v46, v6
	v_cmp_le_u32_e32 vcc, v47, v10
	s_and_saveexec_b64 s[60:61], vcc
	s_cbranch_execz .LBB157_154
; %bb.151:                              ;   in Loop: Header=BB157_141 Depth=1
	v_max_f32_e32 v6, v11, v11
	s_waitcnt lgkmcnt(0)
	v_max_f32_e32 v62, v60, v60
	v_min_f32_e32 v61, v62, v6
	v_cmp_u_f32_e32 vcc, v60, v60
	v_max_f32_e32 v6, v62, v6
	v_cndmask_b32_e32 v61, v61, v60, vcc
	v_cmp_u_f32_e64 s[4:5], v11, v11
	v_cndmask_b32_e32 v6, v6, v60, vcc
	v_cndmask_b32_e64 v61, v61, v11, s[4:5]
	v_cndmask_b32_e64 v6, v6, v11, s[4:5]
	v_cmp_neq_f32_e32 vcc, v61, v6
	v_cmp_class_f32_e64 s[4:5], v61, s64
	s_or_b64 s[72:73], vcc, s[4:5]
	s_and_saveexec_b64 s[4:5], s[72:73]
	s_cbranch_execz .LBB157_153
; %bb.152:                              ;   in Loop: Header=BB157_141 Depth=1
	v_sub_f32_e32 v11, v61, v6
	v_mul_f32_e32 v60, 0x3fb8aa3b, v11
	v_fma_f32 v61, v11, s65, -v60
	v_rndne_f32_e32 v62, v60
	v_fmac_f32_e32 v61, 0x32a5705f, v11
	v_sub_f32_e32 v60, v60, v62
	v_add_f32_e32 v60, v60, v61
	v_cvt_i32_f32_e32 v61, v62
	v_exp_f32_e32 v60, v60
	v_cmp_ngt_f32_e32 vcc, s66, v11
	v_ldexp_f32 v60, v60, v61
	v_cndmask_b32_e32 v60, 0, v60, vcc
	v_cmp_nlt_f32_e32 vcc, s67, v11
	v_cndmask_b32_e32 v11, v59, v60, vcc
	v_add_f32_e32 v62, 1.0, v11
	v_cvt_f64_f32_e32 v[60:61], v62
	v_add_f32_e32 v63, -1.0, v62
	v_sub_f32_e32 v64, v63, v62
	v_sub_f32_e32 v63, v11, v63
	v_frexp_exp_i32_f64_e32 v60, v[60:61]
	v_frexp_mant_f32_e32 v61, v62
	v_cmp_gt_f32_e32 vcc, s69, v61
	v_add_f32_e32 v64, 1.0, v64
	v_add_f32_e32 v63, v63, v64
	v_subbrev_co_u32_e32 v60, vcc, 0, v60, vcc
	v_sub_u32_e32 v61, 0, v60
	v_ldexp_f32 v62, v62, v61
	v_ldexp_f32 v61, v63, v61
	v_add_f32_e32 v63, -1.0, v62
	v_add_f32_e32 v66, 1.0, v62
	v_add_f32_e32 v64, 1.0, v63
	v_add_f32_e32 v67, -1.0, v66
	v_sub_f32_e32 v64, v62, v64
	v_sub_f32_e32 v62, v62, v67
	v_add_f32_e32 v64, v61, v64
	v_add_f32_e32 v61, v61, v62
	;; [unrolled: 1-line block ×3, first 2 shown]
	v_rcp_f32_e32 v67, v62
	v_add_f32_e32 v65, v63, v64
	v_sub_f32_e32 v63, v63, v65
	v_add_f32_e32 v63, v64, v63
	v_sub_f32_e32 v64, v66, v62
	v_add_f32_e32 v61, v61, v64
	v_mul_f32_e32 v64, v65, v67
	v_mul_f32_e32 v66, v62, v64
	v_fma_f32 v68, v64, v62, -v66
	v_fmac_f32_e32 v68, v64, v61
	v_add_f32_e32 v69, v66, v68
	v_sub_f32_e32 v70, v65, v69
	v_sub_f32_e32 v65, v65, v70
	;; [unrolled: 1-line block ×4, first 2 shown]
	v_add_f32_e32 v63, v63, v65
	v_sub_f32_e32 v65, v66, v68
	v_add_f32_e32 v63, v65, v63
	v_add_f32_e32 v65, v70, v63
	v_mul_f32_e32 v66, v67, v65
	v_mul_f32_e32 v68, v62, v66
	v_fma_f32 v62, v66, v62, -v68
	v_fmac_f32_e32 v62, v66, v61
	v_sub_f32_e32 v61, v70, v65
	v_add_f32_e32 v61, v63, v61
	v_add_f32_e32 v63, v68, v62
	v_sub_f32_e32 v69, v65, v63
	v_sub_f32_e32 v65, v65, v69
	;; [unrolled: 1-line block ×4, first 2 shown]
	v_add_f32_e32 v61, v61, v63
	v_sub_f32_e32 v62, v68, v62
	v_cvt_f32_i32_e32 v60, v60
	v_add_f32_e32 v61, v62, v61
	v_add_f32_e32 v62, v64, v66
	;; [unrolled: 1-line block ×3, first 2 shown]
	v_sub_f32_e32 v63, v62, v64
	v_mul_f32_e32 v61, v67, v61
	v_sub_f32_e32 v63, v66, v63
	v_add_f32_e32 v61, v63, v61
	v_mul_f32_e32 v66, 0x3f317218, v60
	v_add_f32_e32 v63, v62, v61
	v_fma_f32 v67, v60, s70, -v66
	v_mul_f32_e32 v64, v63, v63
	v_mov_b32_e32 v65, 0x3ecc95a3
	v_fmac_f32_e32 v67, 0xb102e308, v60
	v_sub_f32_e32 v60, v63, v62
	v_fmac_f32_e32 v65, 0x3e9b6dac, v64
	v_sub_f32_e32 v60, v61, v60
	v_add_f32_e32 v61, v66, v67
	v_fma_f32 v65, v64, v65, v57
	v_sub_f32_e32 v62, v61, v66
	v_ldexp_f32 v66, v63, 1
	v_mul_f32_e32 v63, v63, v64
	v_mul_f32_e32 v63, v63, v65
	v_add_f32_e32 v64, v66, v63
	v_sub_f32_e32 v65, v64, v66
	v_ldexp_f32 v60, v60, 1
	v_sub_f32_e32 v63, v63, v65
	v_add_f32_e32 v60, v60, v63
	v_add_f32_e32 v63, v64, v60
	v_sub_f32_e32 v64, v63, v64
	v_sub_f32_e32 v60, v60, v64
	v_add_f32_e32 v64, v61, v63
	v_sub_f32_e32 v65, v64, v61
	v_sub_f32_e32 v66, v64, v65
	v_sub_f32_e32 v62, v67, v62
	v_sub_f32_e32 v61, v61, v66
	v_sub_f32_e32 v63, v63, v65
	v_add_f32_e32 v61, v63, v61
	v_add_f32_e32 v63, v62, v60
	v_sub_f32_e32 v65, v63, v62
	v_sub_f32_e32 v66, v63, v65
	;; [unrolled: 1-line block ×4, first 2 shown]
	v_add_f32_e32 v61, v63, v61
	v_add_f32_e32 v60, v60, v62
	;; [unrolled: 1-line block ×3, first 2 shown]
	v_sub_f32_e32 v63, v62, v64
	v_sub_f32_e32 v61, v61, v63
	v_add_f32_e32 v60, v60, v61
	v_add_f32_e32 v60, v62, v60
	v_cmp_neq_f32_e32 vcc, s68, v11
	v_cndmask_b32_e32 v60, v59, v60, vcc
	v_cmp_lt_f32_e64 vcc, |v11|, s71
	v_cndmask_b32_e32 v11, v60, v11, vcc
	v_add_f32_e32 v60, v6, v11
.LBB157_153:                            ;   in Loop: Header=BB157_141 Depth=1
	s_or_b64 exec, exec, s[4:5]
	v_mov_b32_e32 v6, v60
	v_mov_b32_e32 v11, v60
.LBB157_154:                            ;   in Loop: Header=BB157_141 Depth=1
	s_or_b64 exec, exec, s[60:61]
	s_waitcnt lgkmcnt(0)
	ds_bpermute_b32 v60, v48, v6
	v_cmp_le_u32_e32 vcc, v49, v10
	s_and_saveexec_b64 s[60:61], vcc
	s_cbranch_execz .LBB157_158
; %bb.155:                              ;   in Loop: Header=BB157_141 Depth=1
	v_max_f32_e32 v6, v11, v11
	s_waitcnt lgkmcnt(0)
	v_max_f32_e32 v62, v60, v60
	v_min_f32_e32 v61, v62, v6
	v_cmp_u_f32_e32 vcc, v60, v60
	v_max_f32_e32 v6, v62, v6
	v_cndmask_b32_e32 v61, v61, v60, vcc
	v_cmp_u_f32_e64 s[4:5], v11, v11
	v_cndmask_b32_e32 v6, v6, v60, vcc
	v_cndmask_b32_e64 v61, v61, v11, s[4:5]
	v_cndmask_b32_e64 v6, v6, v11, s[4:5]
	v_cmp_neq_f32_e32 vcc, v61, v6
	v_cmp_class_f32_e64 s[4:5], v61, s64
	s_or_b64 s[72:73], vcc, s[4:5]
	s_and_saveexec_b64 s[4:5], s[72:73]
	s_cbranch_execz .LBB157_157
; %bb.156:                              ;   in Loop: Header=BB157_141 Depth=1
	v_sub_f32_e32 v11, v61, v6
	v_mul_f32_e32 v60, 0x3fb8aa3b, v11
	v_fma_f32 v61, v11, s65, -v60
	v_rndne_f32_e32 v62, v60
	v_fmac_f32_e32 v61, 0x32a5705f, v11
	v_sub_f32_e32 v60, v60, v62
	v_add_f32_e32 v60, v60, v61
	v_cvt_i32_f32_e32 v61, v62
	v_exp_f32_e32 v60, v60
	v_cmp_ngt_f32_e32 vcc, s66, v11
	v_ldexp_f32 v60, v60, v61
	v_cndmask_b32_e32 v60, 0, v60, vcc
	v_cmp_nlt_f32_e32 vcc, s67, v11
	v_cndmask_b32_e32 v11, v59, v60, vcc
	v_add_f32_e32 v62, 1.0, v11
	v_cvt_f64_f32_e32 v[60:61], v62
	v_add_f32_e32 v63, -1.0, v62
	v_sub_f32_e32 v64, v63, v62
	v_sub_f32_e32 v63, v11, v63
	v_frexp_exp_i32_f64_e32 v60, v[60:61]
	v_frexp_mant_f32_e32 v61, v62
	v_cmp_gt_f32_e32 vcc, s69, v61
	v_add_f32_e32 v64, 1.0, v64
	v_add_f32_e32 v63, v63, v64
	v_subbrev_co_u32_e32 v60, vcc, 0, v60, vcc
	v_sub_u32_e32 v61, 0, v60
	v_ldexp_f32 v62, v62, v61
	v_ldexp_f32 v61, v63, v61
	v_add_f32_e32 v63, -1.0, v62
	v_add_f32_e32 v66, 1.0, v62
	v_add_f32_e32 v64, 1.0, v63
	v_add_f32_e32 v67, -1.0, v66
	v_sub_f32_e32 v64, v62, v64
	v_sub_f32_e32 v62, v62, v67
	v_add_f32_e32 v64, v61, v64
	v_add_f32_e32 v61, v61, v62
	;; [unrolled: 1-line block ×3, first 2 shown]
	v_rcp_f32_e32 v67, v62
	v_add_f32_e32 v65, v63, v64
	v_sub_f32_e32 v63, v63, v65
	v_add_f32_e32 v63, v64, v63
	v_sub_f32_e32 v64, v66, v62
	v_add_f32_e32 v61, v61, v64
	v_mul_f32_e32 v64, v65, v67
	v_mul_f32_e32 v66, v62, v64
	v_fma_f32 v68, v64, v62, -v66
	v_fmac_f32_e32 v68, v64, v61
	v_add_f32_e32 v69, v66, v68
	v_sub_f32_e32 v70, v65, v69
	v_sub_f32_e32 v65, v65, v70
	;; [unrolled: 1-line block ×4, first 2 shown]
	v_add_f32_e32 v63, v63, v65
	v_sub_f32_e32 v65, v66, v68
	v_add_f32_e32 v63, v65, v63
	v_add_f32_e32 v65, v70, v63
	v_mul_f32_e32 v66, v67, v65
	v_mul_f32_e32 v68, v62, v66
	v_fma_f32 v62, v66, v62, -v68
	v_fmac_f32_e32 v62, v66, v61
	v_sub_f32_e32 v61, v70, v65
	v_add_f32_e32 v61, v63, v61
	v_add_f32_e32 v63, v68, v62
	v_sub_f32_e32 v69, v65, v63
	v_sub_f32_e32 v65, v65, v69
	v_sub_f32_e32 v68, v63, v68
	v_sub_f32_e32 v63, v65, v63
	v_add_f32_e32 v61, v61, v63
	v_sub_f32_e32 v62, v68, v62
	v_cvt_f32_i32_e32 v60, v60
	v_add_f32_e32 v61, v62, v61
	v_add_f32_e32 v62, v64, v66
	v_add_f32_e32 v61, v69, v61
	v_sub_f32_e32 v63, v62, v64
	v_mul_f32_e32 v61, v67, v61
	v_sub_f32_e32 v63, v66, v63
	v_add_f32_e32 v61, v63, v61
	v_mul_f32_e32 v66, 0x3f317218, v60
	v_add_f32_e32 v63, v62, v61
	v_fma_f32 v67, v60, s70, -v66
	v_mul_f32_e32 v64, v63, v63
	v_mov_b32_e32 v65, 0x3ecc95a3
	v_fmac_f32_e32 v67, 0xb102e308, v60
	v_sub_f32_e32 v60, v63, v62
	v_fmac_f32_e32 v65, 0x3e9b6dac, v64
	v_sub_f32_e32 v60, v61, v60
	v_add_f32_e32 v61, v66, v67
	v_fma_f32 v65, v64, v65, v57
	v_sub_f32_e32 v62, v61, v66
	v_ldexp_f32 v66, v63, 1
	v_mul_f32_e32 v63, v63, v64
	v_mul_f32_e32 v63, v63, v65
	v_add_f32_e32 v64, v66, v63
	v_sub_f32_e32 v65, v64, v66
	v_ldexp_f32 v60, v60, 1
	v_sub_f32_e32 v63, v63, v65
	v_add_f32_e32 v60, v60, v63
	v_add_f32_e32 v63, v64, v60
	v_sub_f32_e32 v64, v63, v64
	v_sub_f32_e32 v60, v60, v64
	v_add_f32_e32 v64, v61, v63
	v_sub_f32_e32 v65, v64, v61
	v_sub_f32_e32 v66, v64, v65
	;; [unrolled: 1-line block ×5, first 2 shown]
	v_add_f32_e32 v61, v63, v61
	v_add_f32_e32 v63, v62, v60
	v_sub_f32_e32 v65, v63, v62
	v_sub_f32_e32 v66, v63, v65
	;; [unrolled: 1-line block ×4, first 2 shown]
	v_add_f32_e32 v61, v63, v61
	v_add_f32_e32 v60, v60, v62
	;; [unrolled: 1-line block ×3, first 2 shown]
	v_sub_f32_e32 v63, v62, v64
	v_sub_f32_e32 v61, v61, v63
	v_add_f32_e32 v60, v60, v61
	v_add_f32_e32 v60, v62, v60
	v_cmp_neq_f32_e32 vcc, s68, v11
	v_cndmask_b32_e32 v60, v59, v60, vcc
	v_cmp_lt_f32_e64 vcc, |v11|, s71
	v_cndmask_b32_e32 v11, v60, v11, vcc
	v_add_f32_e32 v60, v6, v11
.LBB157_157:                            ;   in Loop: Header=BB157_141 Depth=1
	s_or_b64 exec, exec, s[4:5]
	v_mov_b32_e32 v6, v60
	v_mov_b32_e32 v11, v60
.LBB157_158:                            ;   in Loop: Header=BB157_141 Depth=1
	s_or_b64 exec, exec, s[60:61]
	s_waitcnt lgkmcnt(0)
	ds_bpermute_b32 v60, v50, v6
	v_cmp_le_u32_e32 vcc, v51, v10
	s_and_saveexec_b64 s[60:61], vcc
	s_cbranch_execz .LBB157_162
; %bb.159:                              ;   in Loop: Header=BB157_141 Depth=1
	v_max_f32_e32 v6, v11, v11
	s_waitcnt lgkmcnt(0)
	v_max_f32_e32 v62, v60, v60
	v_min_f32_e32 v61, v62, v6
	v_cmp_u_f32_e32 vcc, v60, v60
	v_max_f32_e32 v6, v62, v6
	v_cndmask_b32_e32 v61, v61, v60, vcc
	v_cmp_u_f32_e64 s[4:5], v11, v11
	v_cndmask_b32_e32 v6, v6, v60, vcc
	v_cndmask_b32_e64 v61, v61, v11, s[4:5]
	v_cndmask_b32_e64 v6, v6, v11, s[4:5]
	v_cmp_neq_f32_e32 vcc, v61, v6
	v_cmp_class_f32_e64 s[4:5], v61, s64
	s_or_b64 s[72:73], vcc, s[4:5]
	s_and_saveexec_b64 s[4:5], s[72:73]
	s_cbranch_execz .LBB157_161
; %bb.160:                              ;   in Loop: Header=BB157_141 Depth=1
	v_sub_f32_e32 v11, v61, v6
	v_mul_f32_e32 v60, 0x3fb8aa3b, v11
	v_fma_f32 v61, v11, s65, -v60
	v_rndne_f32_e32 v62, v60
	v_fmac_f32_e32 v61, 0x32a5705f, v11
	v_sub_f32_e32 v60, v60, v62
	v_add_f32_e32 v60, v60, v61
	v_cvt_i32_f32_e32 v61, v62
	v_exp_f32_e32 v60, v60
	v_cmp_ngt_f32_e32 vcc, s66, v11
	v_ldexp_f32 v60, v60, v61
	v_cndmask_b32_e32 v60, 0, v60, vcc
	v_cmp_nlt_f32_e32 vcc, s67, v11
	v_cndmask_b32_e32 v11, v59, v60, vcc
	v_add_f32_e32 v62, 1.0, v11
	v_cvt_f64_f32_e32 v[60:61], v62
	v_add_f32_e32 v63, -1.0, v62
	v_sub_f32_e32 v64, v63, v62
	v_sub_f32_e32 v63, v11, v63
	v_frexp_exp_i32_f64_e32 v60, v[60:61]
	v_frexp_mant_f32_e32 v61, v62
	v_cmp_gt_f32_e32 vcc, s69, v61
	v_add_f32_e32 v64, 1.0, v64
	v_add_f32_e32 v63, v63, v64
	v_subbrev_co_u32_e32 v60, vcc, 0, v60, vcc
	v_sub_u32_e32 v61, 0, v60
	v_ldexp_f32 v62, v62, v61
	v_ldexp_f32 v61, v63, v61
	v_add_f32_e32 v63, -1.0, v62
	v_add_f32_e32 v66, 1.0, v62
	v_add_f32_e32 v64, 1.0, v63
	v_add_f32_e32 v67, -1.0, v66
	v_sub_f32_e32 v64, v62, v64
	v_sub_f32_e32 v62, v62, v67
	v_add_f32_e32 v64, v61, v64
	v_add_f32_e32 v61, v61, v62
	;; [unrolled: 1-line block ×3, first 2 shown]
	v_rcp_f32_e32 v67, v62
	v_add_f32_e32 v65, v63, v64
	v_sub_f32_e32 v63, v63, v65
	v_add_f32_e32 v63, v64, v63
	v_sub_f32_e32 v64, v66, v62
	v_add_f32_e32 v61, v61, v64
	v_mul_f32_e32 v64, v65, v67
	v_mul_f32_e32 v66, v62, v64
	v_fma_f32 v68, v64, v62, -v66
	v_fmac_f32_e32 v68, v64, v61
	v_add_f32_e32 v69, v66, v68
	v_sub_f32_e32 v70, v65, v69
	v_sub_f32_e32 v65, v65, v70
	;; [unrolled: 1-line block ×4, first 2 shown]
	v_add_f32_e32 v63, v63, v65
	v_sub_f32_e32 v65, v66, v68
	v_add_f32_e32 v63, v65, v63
	v_add_f32_e32 v65, v70, v63
	v_mul_f32_e32 v66, v67, v65
	v_mul_f32_e32 v68, v62, v66
	v_fma_f32 v62, v66, v62, -v68
	v_fmac_f32_e32 v62, v66, v61
	v_sub_f32_e32 v61, v70, v65
	v_add_f32_e32 v61, v63, v61
	v_add_f32_e32 v63, v68, v62
	v_sub_f32_e32 v69, v65, v63
	v_sub_f32_e32 v65, v65, v69
	;; [unrolled: 1-line block ×4, first 2 shown]
	v_add_f32_e32 v61, v61, v63
	v_sub_f32_e32 v62, v68, v62
	v_cvt_f32_i32_e32 v60, v60
	v_add_f32_e32 v61, v62, v61
	v_add_f32_e32 v62, v64, v66
	;; [unrolled: 1-line block ×3, first 2 shown]
	v_sub_f32_e32 v63, v62, v64
	v_mul_f32_e32 v61, v67, v61
	v_sub_f32_e32 v63, v66, v63
	v_add_f32_e32 v61, v63, v61
	v_mul_f32_e32 v66, 0x3f317218, v60
	v_add_f32_e32 v63, v62, v61
	v_fma_f32 v67, v60, s70, -v66
	v_mul_f32_e32 v64, v63, v63
	v_mov_b32_e32 v65, 0x3ecc95a3
	v_fmac_f32_e32 v67, 0xb102e308, v60
	v_sub_f32_e32 v60, v63, v62
	v_fmac_f32_e32 v65, 0x3e9b6dac, v64
	v_sub_f32_e32 v60, v61, v60
	v_add_f32_e32 v61, v66, v67
	v_fma_f32 v65, v64, v65, v57
	v_sub_f32_e32 v62, v61, v66
	v_ldexp_f32 v66, v63, 1
	v_mul_f32_e32 v63, v63, v64
	v_mul_f32_e32 v63, v63, v65
	v_add_f32_e32 v64, v66, v63
	v_sub_f32_e32 v65, v64, v66
	v_ldexp_f32 v60, v60, 1
	v_sub_f32_e32 v63, v63, v65
	v_add_f32_e32 v60, v60, v63
	v_add_f32_e32 v63, v64, v60
	v_sub_f32_e32 v64, v63, v64
	v_sub_f32_e32 v60, v60, v64
	v_add_f32_e32 v64, v61, v63
	v_sub_f32_e32 v65, v64, v61
	v_sub_f32_e32 v66, v64, v65
	v_sub_f32_e32 v62, v67, v62
	v_sub_f32_e32 v61, v61, v66
	v_sub_f32_e32 v63, v63, v65
	v_add_f32_e32 v61, v63, v61
	v_add_f32_e32 v63, v62, v60
	v_sub_f32_e32 v65, v63, v62
	v_sub_f32_e32 v66, v63, v65
	v_sub_f32_e32 v62, v62, v66
	v_sub_f32_e32 v60, v60, v65
	v_add_f32_e32 v61, v63, v61
	v_add_f32_e32 v60, v60, v62
	;; [unrolled: 1-line block ×3, first 2 shown]
	v_sub_f32_e32 v63, v62, v64
	v_sub_f32_e32 v61, v61, v63
	v_add_f32_e32 v60, v60, v61
	v_add_f32_e32 v60, v62, v60
	v_cmp_neq_f32_e32 vcc, s68, v11
	v_cndmask_b32_e32 v60, v59, v60, vcc
	v_cmp_lt_f32_e64 vcc, |v11|, s71
	v_cndmask_b32_e32 v11, v60, v11, vcc
	v_add_f32_e32 v60, v6, v11
.LBB157_161:                            ;   in Loop: Header=BB157_141 Depth=1
	s_or_b64 exec, exec, s[4:5]
	v_mov_b32_e32 v6, v60
	v_mov_b32_e32 v11, v60
.LBB157_162:                            ;   in Loop: Header=BB157_141 Depth=1
	s_or_b64 exec, exec, s[60:61]
	s_waitcnt lgkmcnt(0)
	ds_bpermute_b32 v60, v52, v6
	v_cmp_le_u32_e32 vcc, v53, v10
	s_and_saveexec_b64 s[60:61], vcc
	s_cbranch_execz .LBB157_166
; %bb.163:                              ;   in Loop: Header=BB157_141 Depth=1
	v_max_f32_e32 v6, v11, v11
	s_waitcnt lgkmcnt(0)
	v_max_f32_e32 v62, v60, v60
	v_min_f32_e32 v61, v62, v6
	v_cmp_u_f32_e32 vcc, v60, v60
	v_max_f32_e32 v6, v62, v6
	v_cndmask_b32_e32 v61, v61, v60, vcc
	v_cmp_u_f32_e64 s[4:5], v11, v11
	v_cndmask_b32_e32 v6, v6, v60, vcc
	v_cndmask_b32_e64 v61, v61, v11, s[4:5]
	v_cndmask_b32_e64 v6, v6, v11, s[4:5]
	v_cmp_neq_f32_e32 vcc, v61, v6
	v_cmp_class_f32_e64 s[4:5], v61, s64
	s_or_b64 s[72:73], vcc, s[4:5]
	s_and_saveexec_b64 s[4:5], s[72:73]
	s_cbranch_execz .LBB157_165
; %bb.164:                              ;   in Loop: Header=BB157_141 Depth=1
	v_sub_f32_e32 v11, v61, v6
	v_mul_f32_e32 v60, 0x3fb8aa3b, v11
	v_fma_f32 v61, v11, s65, -v60
	v_rndne_f32_e32 v62, v60
	v_fmac_f32_e32 v61, 0x32a5705f, v11
	v_sub_f32_e32 v60, v60, v62
	v_add_f32_e32 v60, v60, v61
	v_cvt_i32_f32_e32 v61, v62
	v_exp_f32_e32 v60, v60
	v_cmp_ngt_f32_e32 vcc, s66, v11
	v_ldexp_f32 v60, v60, v61
	v_cndmask_b32_e32 v60, 0, v60, vcc
	v_cmp_nlt_f32_e32 vcc, s67, v11
	v_cndmask_b32_e32 v11, v59, v60, vcc
	v_add_f32_e32 v62, 1.0, v11
	v_cvt_f64_f32_e32 v[60:61], v62
	v_add_f32_e32 v63, -1.0, v62
	v_sub_f32_e32 v64, v63, v62
	v_sub_f32_e32 v63, v11, v63
	v_frexp_exp_i32_f64_e32 v60, v[60:61]
	v_frexp_mant_f32_e32 v61, v62
	v_cmp_gt_f32_e32 vcc, s69, v61
	v_add_f32_e32 v64, 1.0, v64
	v_add_f32_e32 v63, v63, v64
	v_subbrev_co_u32_e32 v60, vcc, 0, v60, vcc
	v_sub_u32_e32 v61, 0, v60
	v_ldexp_f32 v62, v62, v61
	v_ldexp_f32 v61, v63, v61
	v_add_f32_e32 v63, -1.0, v62
	v_add_f32_e32 v66, 1.0, v62
	v_add_f32_e32 v64, 1.0, v63
	v_add_f32_e32 v67, -1.0, v66
	v_sub_f32_e32 v64, v62, v64
	v_sub_f32_e32 v62, v62, v67
	v_add_f32_e32 v64, v61, v64
	v_add_f32_e32 v61, v61, v62
	;; [unrolled: 1-line block ×3, first 2 shown]
	v_rcp_f32_e32 v67, v62
	v_add_f32_e32 v65, v63, v64
	v_sub_f32_e32 v63, v63, v65
	v_add_f32_e32 v63, v64, v63
	v_sub_f32_e32 v64, v66, v62
	v_add_f32_e32 v61, v61, v64
	v_mul_f32_e32 v64, v65, v67
	v_mul_f32_e32 v66, v62, v64
	v_fma_f32 v68, v64, v62, -v66
	v_fmac_f32_e32 v68, v64, v61
	v_add_f32_e32 v69, v66, v68
	v_sub_f32_e32 v70, v65, v69
	v_sub_f32_e32 v65, v65, v70
	;; [unrolled: 1-line block ×4, first 2 shown]
	v_add_f32_e32 v63, v63, v65
	v_sub_f32_e32 v65, v66, v68
	v_add_f32_e32 v63, v65, v63
	v_add_f32_e32 v65, v70, v63
	v_mul_f32_e32 v66, v67, v65
	v_mul_f32_e32 v68, v62, v66
	v_fma_f32 v62, v66, v62, -v68
	v_fmac_f32_e32 v62, v66, v61
	v_sub_f32_e32 v61, v70, v65
	v_add_f32_e32 v61, v63, v61
	v_add_f32_e32 v63, v68, v62
	v_sub_f32_e32 v69, v65, v63
	v_sub_f32_e32 v65, v65, v69
	;; [unrolled: 1-line block ×4, first 2 shown]
	v_add_f32_e32 v61, v61, v63
	v_sub_f32_e32 v62, v68, v62
	v_cvt_f32_i32_e32 v60, v60
	v_add_f32_e32 v61, v62, v61
	v_add_f32_e32 v62, v64, v66
	;; [unrolled: 1-line block ×3, first 2 shown]
	v_sub_f32_e32 v63, v62, v64
	v_mul_f32_e32 v61, v67, v61
	v_sub_f32_e32 v63, v66, v63
	v_add_f32_e32 v61, v63, v61
	v_mul_f32_e32 v66, 0x3f317218, v60
	v_add_f32_e32 v63, v62, v61
	v_fma_f32 v67, v60, s70, -v66
	v_mul_f32_e32 v64, v63, v63
	v_mov_b32_e32 v65, 0x3ecc95a3
	v_fmac_f32_e32 v67, 0xb102e308, v60
	v_sub_f32_e32 v60, v63, v62
	v_fmac_f32_e32 v65, 0x3e9b6dac, v64
	v_sub_f32_e32 v60, v61, v60
	v_add_f32_e32 v61, v66, v67
	v_fma_f32 v65, v64, v65, v57
	v_sub_f32_e32 v62, v61, v66
	v_ldexp_f32 v66, v63, 1
	v_mul_f32_e32 v63, v63, v64
	v_mul_f32_e32 v63, v63, v65
	v_add_f32_e32 v64, v66, v63
	v_sub_f32_e32 v65, v64, v66
	v_ldexp_f32 v60, v60, 1
	v_sub_f32_e32 v63, v63, v65
	v_add_f32_e32 v60, v60, v63
	v_add_f32_e32 v63, v64, v60
	v_sub_f32_e32 v64, v63, v64
	v_sub_f32_e32 v60, v60, v64
	v_add_f32_e32 v64, v61, v63
	v_sub_f32_e32 v65, v64, v61
	v_sub_f32_e32 v66, v64, v65
	;; [unrolled: 1-line block ×5, first 2 shown]
	v_add_f32_e32 v61, v63, v61
	v_add_f32_e32 v63, v62, v60
	v_sub_f32_e32 v65, v63, v62
	v_sub_f32_e32 v66, v63, v65
	;; [unrolled: 1-line block ×4, first 2 shown]
	v_add_f32_e32 v61, v63, v61
	v_add_f32_e32 v60, v60, v62
	v_add_f32_e32 v62, v64, v61
	v_sub_f32_e32 v63, v62, v64
	v_sub_f32_e32 v61, v61, v63
	v_add_f32_e32 v60, v60, v61
	v_add_f32_e32 v60, v62, v60
	v_cmp_neq_f32_e32 vcc, s68, v11
	v_cndmask_b32_e32 v60, v59, v60, vcc
	v_cmp_lt_f32_e64 vcc, |v11|, s71
	v_cndmask_b32_e32 v11, v60, v11, vcc
	v_add_f32_e32 v60, v6, v11
.LBB157_165:                            ;   in Loop: Header=BB157_141 Depth=1
	s_or_b64 exec, exec, s[4:5]
	v_mov_b32_e32 v6, v60
	v_mov_b32_e32 v11, v60
.LBB157_166:                            ;   in Loop: Header=BB157_141 Depth=1
	s_or_b64 exec, exec, s[60:61]
	s_waitcnt lgkmcnt(0)
	ds_bpermute_b32 v60, v55, v6
	v_cmp_le_u32_e32 vcc, v56, v10
	s_and_saveexec_b64 s[60:61], vcc
	s_cbranch_execz .LBB157_170
; %bb.167:                              ;   in Loop: Header=BB157_141 Depth=1
	v_max_f32_e32 v6, v11, v11
	s_waitcnt lgkmcnt(0)
	v_max_f32_e32 v61, v60, v60
	v_min_f32_e32 v10, v61, v6
	v_cmp_u_f32_e32 vcc, v60, v60
	v_max_f32_e32 v6, v61, v6
	v_cndmask_b32_e32 v10, v10, v60, vcc
	v_cmp_u_f32_e64 s[4:5], v11, v11
	v_cndmask_b32_e32 v6, v6, v60, vcc
	v_cndmask_b32_e64 v10, v10, v11, s[4:5]
	v_cndmask_b32_e64 v6, v6, v11, s[4:5]
	v_cmp_neq_f32_e32 vcc, v10, v6
	v_cmp_class_f32_e64 s[4:5], v10, s64
	s_or_b64 s[72:73], vcc, s[4:5]
	s_and_saveexec_b64 s[4:5], s[72:73]
	s_cbranch_execz .LBB157_169
; %bb.168:                              ;   in Loop: Header=BB157_141 Depth=1
	v_sub_f32_e32 v10, v10, v6
	v_mul_f32_e32 v11, 0x3fb8aa3b, v10
	v_fma_f32 v60, v10, s65, -v11
	v_rndne_f32_e32 v61, v11
	v_fmac_f32_e32 v60, 0x32a5705f, v10
	v_sub_f32_e32 v11, v11, v61
	v_add_f32_e32 v11, v11, v60
	v_cvt_i32_f32_e32 v60, v61
	v_exp_f32_e32 v11, v11
	v_cmp_ngt_f32_e32 vcc, s66, v10
	v_ldexp_f32 v11, v11, v60
	v_cndmask_b32_e32 v11, 0, v11, vcc
	v_cmp_nlt_f32_e32 vcc, s67, v10
	v_cndmask_b32_e32 v60, v59, v11, vcc
	v_add_f32_e32 v61, 1.0, v60
	v_cvt_f64_f32_e32 v[10:11], v61
	v_add_f32_e32 v62, -1.0, v61
	v_sub_f32_e32 v63, v62, v61
	v_sub_f32_e32 v62, v60, v62
	v_frexp_exp_i32_f64_e32 v10, v[10:11]
	v_frexp_mant_f32_e32 v11, v61
	v_cmp_gt_f32_e32 vcc, s69, v11
	v_add_f32_e32 v63, 1.0, v63
	v_add_f32_e32 v62, v62, v63
	v_subbrev_co_u32_e32 v10, vcc, 0, v10, vcc
	v_sub_u32_e32 v11, 0, v10
	v_ldexp_f32 v61, v61, v11
	v_ldexp_f32 v11, v62, v11
	v_add_f32_e32 v62, -1.0, v61
	v_add_f32_e32 v65, 1.0, v61
	v_add_f32_e32 v63, 1.0, v62
	v_add_f32_e32 v66, -1.0, v65
	v_sub_f32_e32 v63, v61, v63
	v_sub_f32_e32 v61, v61, v66
	v_add_f32_e32 v63, v11, v63
	v_add_f32_e32 v11, v11, v61
	;; [unrolled: 1-line block ×3, first 2 shown]
	v_rcp_f32_e32 v66, v61
	v_add_f32_e32 v64, v62, v63
	v_sub_f32_e32 v62, v62, v64
	v_add_f32_e32 v62, v63, v62
	v_sub_f32_e32 v63, v65, v61
	v_add_f32_e32 v11, v11, v63
	v_mul_f32_e32 v63, v64, v66
	v_mul_f32_e32 v65, v61, v63
	v_fma_f32 v67, v63, v61, -v65
	v_fmac_f32_e32 v67, v63, v11
	v_add_f32_e32 v68, v65, v67
	v_sub_f32_e32 v69, v64, v68
	v_sub_f32_e32 v64, v64, v69
	;; [unrolled: 1-line block ×4, first 2 shown]
	v_add_f32_e32 v62, v62, v64
	v_sub_f32_e32 v64, v65, v67
	v_add_f32_e32 v62, v64, v62
	v_add_f32_e32 v64, v69, v62
	v_mul_f32_e32 v65, v66, v64
	v_mul_f32_e32 v67, v61, v65
	v_fma_f32 v61, v65, v61, -v67
	v_fmac_f32_e32 v61, v65, v11
	v_sub_f32_e32 v11, v69, v64
	v_add_f32_e32 v11, v62, v11
	v_add_f32_e32 v62, v67, v61
	v_sub_f32_e32 v68, v64, v62
	v_sub_f32_e32 v64, v64, v68
	;; [unrolled: 1-line block ×4, first 2 shown]
	v_add_f32_e32 v11, v11, v62
	v_sub_f32_e32 v61, v67, v61
	v_cvt_f32_i32_e32 v10, v10
	v_add_f32_e32 v11, v61, v11
	v_add_f32_e32 v61, v63, v65
	;; [unrolled: 1-line block ×3, first 2 shown]
	v_sub_f32_e32 v62, v61, v63
	v_mul_f32_e32 v11, v66, v11
	v_sub_f32_e32 v62, v65, v62
	v_add_f32_e32 v11, v62, v11
	v_mul_f32_e32 v65, 0x3f317218, v10
	v_add_f32_e32 v62, v61, v11
	v_fma_f32 v66, v10, s70, -v65
	v_mul_f32_e32 v63, v62, v62
	v_mov_b32_e32 v64, 0x3ecc95a3
	v_fmac_f32_e32 v66, 0xb102e308, v10
	v_sub_f32_e32 v10, v62, v61
	v_fmac_f32_e32 v64, 0x3e9b6dac, v63
	v_sub_f32_e32 v10, v11, v10
	v_add_f32_e32 v11, v65, v66
	v_fma_f32 v64, v63, v64, v57
	v_sub_f32_e32 v61, v11, v65
	v_ldexp_f32 v65, v62, 1
	v_mul_f32_e32 v62, v62, v63
	v_mul_f32_e32 v62, v62, v64
	v_add_f32_e32 v63, v65, v62
	v_sub_f32_e32 v64, v63, v65
	v_ldexp_f32 v10, v10, 1
	v_sub_f32_e32 v62, v62, v64
	v_add_f32_e32 v10, v10, v62
	v_add_f32_e32 v62, v63, v10
	v_sub_f32_e32 v63, v62, v63
	v_sub_f32_e32 v10, v10, v63
	v_add_f32_e32 v63, v11, v62
	v_sub_f32_e32 v64, v63, v11
	v_sub_f32_e32 v65, v63, v64
	v_sub_f32_e32 v61, v66, v61
	v_sub_f32_e32 v11, v11, v65
	v_sub_f32_e32 v62, v62, v64
	v_add_f32_e32 v11, v62, v11
	v_add_f32_e32 v62, v61, v10
	v_sub_f32_e32 v64, v62, v61
	v_sub_f32_e32 v65, v62, v64
	;; [unrolled: 1-line block ×4, first 2 shown]
	v_add_f32_e32 v11, v62, v11
	v_add_f32_e32 v10, v10, v61
	;; [unrolled: 1-line block ×3, first 2 shown]
	v_sub_f32_e32 v62, v61, v63
	v_sub_f32_e32 v11, v11, v62
	v_add_f32_e32 v10, v10, v11
	v_add_f32_e32 v10, v61, v10
	v_cmp_neq_f32_e32 vcc, s68, v60
	v_cndmask_b32_e32 v10, v59, v10, vcc
	v_cmp_lt_f32_e64 vcc, |v60|, s71
	v_cndmask_b32_e32 v10, v10, v60, vcc
	v_add_f32_e32 v60, v6, v10
.LBB157_169:                            ;   in Loop: Header=BB157_141 Depth=1
	s_or_b64 exec, exec, s[4:5]
	v_mov_b32_e32 v11, v60
.LBB157_170:                            ;   in Loop: Header=BB157_141 Depth=1
	s_or_b64 exec, exec, s[60:61]
	v_max_f32_e32 v6, v54, v54
	s_waitcnt lgkmcnt(0)
	v_max_f32_e32 v60, v11, v11
	v_min_f32_e32 v10, v60, v6
	v_cmp_u_f32_e32 vcc, v11, v11
	v_max_f32_e32 v6, v60, v6
	v_cndmask_b32_e32 v10, v10, v11, vcc
	v_cmp_u_f32_e64 s[4:5], v54, v54
	v_cndmask_b32_e32 v6, v6, v11, vcc
	v_cndmask_b32_e64 v10, v10, v54, s[4:5]
	v_cndmask_b32_e64 v6, v6, v54, s[4:5]
	v_cmp_neq_f32_e32 vcc, v10, v6
	v_cmp_class_f32_e64 s[4:5], v10, s64
	s_or_b64 s[4:5], vcc, s[4:5]
	s_and_saveexec_b64 s[60:61], s[4:5]
	s_xor_b64 s[4:5], exec, s[60:61]
	s_cbranch_execz .LBB157_139
; %bb.171:                              ;   in Loop: Header=BB157_141 Depth=1
	v_sub_f32_e32 v10, v10, v6
	v_mul_f32_e32 v11, 0x3fb8aa3b, v10
	v_fma_f32 v60, v10, s65, -v11
	v_rndne_f32_e32 v61, v11
	v_fmac_f32_e32 v60, 0x32a5705f, v10
	v_sub_f32_e32 v11, v11, v61
	v_add_f32_e32 v11, v11, v60
	v_cvt_i32_f32_e32 v60, v61
	v_exp_f32_e32 v11, v11
	v_cmp_ngt_f32_e32 vcc, s66, v10
	v_ldexp_f32 v11, v11, v60
	v_cndmask_b32_e32 v11, 0, v11, vcc
	v_cmp_nlt_f32_e32 vcc, s67, v10
	v_cndmask_b32_e32 v60, v59, v11, vcc
	v_add_f32_e32 v61, 1.0, v60
	v_cvt_f64_f32_e32 v[10:11], v61
	v_add_f32_e32 v62, -1.0, v61
	v_sub_f32_e32 v63, v62, v61
	v_sub_f32_e32 v62, v60, v62
	v_frexp_exp_i32_f64_e32 v10, v[10:11]
	v_frexp_mant_f32_e32 v11, v61
	v_cmp_gt_f32_e32 vcc, s69, v11
	v_add_f32_e32 v63, 1.0, v63
	v_add_f32_e32 v62, v62, v63
	v_subbrev_co_u32_e32 v10, vcc, 0, v10, vcc
	v_sub_u32_e32 v11, 0, v10
	v_ldexp_f32 v61, v61, v11
	v_ldexp_f32 v11, v62, v11
	v_add_f32_e32 v62, -1.0, v61
	v_add_f32_e32 v65, 1.0, v61
	v_add_f32_e32 v63, 1.0, v62
	v_add_f32_e32 v66, -1.0, v65
	v_sub_f32_e32 v63, v61, v63
	v_sub_f32_e32 v61, v61, v66
	v_add_f32_e32 v63, v11, v63
	v_add_f32_e32 v11, v11, v61
	;; [unrolled: 1-line block ×3, first 2 shown]
	v_rcp_f32_e32 v66, v61
	v_add_f32_e32 v64, v62, v63
	v_sub_f32_e32 v62, v62, v64
	v_add_f32_e32 v62, v63, v62
	v_sub_f32_e32 v63, v65, v61
	v_add_f32_e32 v11, v11, v63
	v_mul_f32_e32 v63, v64, v66
	v_mul_f32_e32 v65, v61, v63
	v_fma_f32 v67, v63, v61, -v65
	v_fmac_f32_e32 v67, v63, v11
	v_add_f32_e32 v68, v65, v67
	v_sub_f32_e32 v69, v64, v68
	v_sub_f32_e32 v64, v64, v69
	;; [unrolled: 1-line block ×4, first 2 shown]
	v_add_f32_e32 v62, v62, v64
	v_sub_f32_e32 v64, v65, v67
	v_add_f32_e32 v62, v64, v62
	v_add_f32_e32 v64, v69, v62
	v_mul_f32_e32 v65, v66, v64
	v_mul_f32_e32 v67, v61, v65
	v_fma_f32 v61, v65, v61, -v67
	v_fmac_f32_e32 v61, v65, v11
	v_sub_f32_e32 v11, v69, v64
	v_add_f32_e32 v11, v62, v11
	v_add_f32_e32 v62, v67, v61
	v_sub_f32_e32 v68, v64, v62
	v_sub_f32_e32 v64, v64, v68
	;; [unrolled: 1-line block ×4, first 2 shown]
	v_add_f32_e32 v11, v11, v62
	v_sub_f32_e32 v61, v67, v61
	v_cvt_f32_i32_e32 v10, v10
	v_add_f32_e32 v11, v61, v11
	v_add_f32_e32 v61, v63, v65
	;; [unrolled: 1-line block ×3, first 2 shown]
	v_sub_f32_e32 v62, v61, v63
	v_mul_f32_e32 v11, v66, v11
	v_sub_f32_e32 v62, v65, v62
	v_add_f32_e32 v11, v62, v11
	v_mul_f32_e32 v65, 0x3f317218, v10
	v_add_f32_e32 v62, v61, v11
	v_fma_f32 v66, v10, s70, -v65
	v_mul_f32_e32 v63, v62, v62
	v_mov_b32_e32 v64, 0x3ecc95a3
	v_fmac_f32_e32 v66, 0xb102e308, v10
	v_sub_f32_e32 v10, v62, v61
	v_fmac_f32_e32 v64, 0x3e9b6dac, v63
	v_sub_f32_e32 v10, v11, v10
	v_add_f32_e32 v11, v65, v66
	v_fma_f32 v64, v63, v64, v57
	v_sub_f32_e32 v61, v11, v65
	v_ldexp_f32 v65, v62, 1
	v_mul_f32_e32 v62, v62, v63
	v_mul_f32_e32 v62, v62, v64
	v_add_f32_e32 v63, v65, v62
	v_sub_f32_e32 v64, v63, v65
	v_ldexp_f32 v10, v10, 1
	v_sub_f32_e32 v62, v62, v64
	v_add_f32_e32 v10, v10, v62
	v_add_f32_e32 v62, v63, v10
	v_sub_f32_e32 v63, v62, v63
	v_sub_f32_e32 v10, v10, v63
	v_add_f32_e32 v63, v11, v62
	v_sub_f32_e32 v64, v63, v11
	v_sub_f32_e32 v65, v63, v64
	;; [unrolled: 1-line block ×5, first 2 shown]
	v_add_f32_e32 v11, v62, v11
	v_add_f32_e32 v62, v61, v10
	v_sub_f32_e32 v64, v62, v61
	v_sub_f32_e32 v65, v62, v64
	;; [unrolled: 1-line block ×4, first 2 shown]
	v_add_f32_e32 v11, v62, v11
	v_add_f32_e32 v10, v10, v61
	;; [unrolled: 1-line block ×3, first 2 shown]
	v_sub_f32_e32 v62, v61, v63
	v_sub_f32_e32 v11, v11, v62
	v_add_f32_e32 v10, v10, v11
	v_add_f32_e32 v10, v61, v10
	v_cmp_neq_f32_e32 vcc, s68, v60
	v_cndmask_b32_e32 v10, v59, v10, vcc
	v_cmp_lt_f32_e64 vcc, |v60|, s71
	v_cndmask_b32_e32 v10, v10, v60, vcc
	v_add_f32_e32 v11, v6, v10
	s_branch .LBB157_139
.LBB157_172:
                                        ; implicit-def: $vgpr3_vgpr4_vgpr5_vgpr6_vgpr7_vgpr8_vgpr9_vgpr10_vgpr11_vgpr12_vgpr13_vgpr14_vgpr15_vgpr16_vgpr17_vgpr18
	s_cbranch_execnz .LBB157_214
	s_branch .LBB157_321
.LBB157_173:
	s_and_saveexec_b64 s[60:61], s[38:39]
	s_cbranch_execz .LBB157_177
; %bb.174:
	v_max_f32_e32 v4, v3, v3
	s_waitcnt lgkmcnt(0)
	v_max_f32_e32 v6, v54, v54
	v_min_f32_e32 v5, v6, v4
	v_cmp_u_f32_e32 vcc, v54, v54
	v_max_f32_e32 v4, v6, v4
	v_cndmask_b32_e32 v5, v5, v54, vcc
	v_cmp_u_f32_e64 s[4:5], v3, v3
	v_cndmask_b32_e32 v4, v4, v54, vcc
	v_cndmask_b32_e64 v5, v5, v3, s[4:5]
	v_cndmask_b32_e64 v4, v4, v3, s[4:5]
	s_movk_i32 s4, 0x1f8
	v_cmp_neq_f32_e32 vcc, v5, v4
	v_cmp_class_f32_e64 s[4:5], v5, s4
	s_or_b64 s[64:65], vcc, s[4:5]
	v_mov_b32_e32 v3, v54
	s_and_saveexec_b64 s[4:5], s[64:65]
	s_cbranch_execz .LBB157_176
; %bb.175:
	v_sub_f32_e32 v3, v5, v4
	s_mov_b32 s64, 0x3fb8aa3b
	v_mul_f32_e32 v5, 0x3fb8aa3b, v3
	v_fma_f32 v6, v3, s64, -v5
	v_rndne_f32_e32 v7, v5
	v_fmac_f32_e32 v6, 0x32a5705f, v3
	v_sub_f32_e32 v5, v5, v7
	v_add_f32_e32 v5, v5, v6
	v_exp_f32_e32 v5, v5
	v_cvt_i32_f32_e32 v6, v7
	s_mov_b32 s64, 0xc2ce8ed0
	v_cmp_ngt_f32_e32 vcc, s64, v3
	s_mov_b32 s64, 0x42b17218
	v_ldexp_f32 v5, v5, v6
	v_cndmask_b32_e32 v5, 0, v5, vcc
	v_mov_b32_e32 v7, 0x7f800000
	v_cmp_nlt_f32_e32 vcc, s64, v3
	v_cndmask_b32_e32 v3, v7, v5, vcc
	v_add_f32_e32 v8, 1.0, v3
	v_cvt_f64_f32_e32 v[5:6], v8
	v_add_f32_e32 v9, -1.0, v8
	v_sub_f32_e32 v10, v9, v8
	v_sub_f32_e32 v9, v3, v9
	v_frexp_exp_i32_f64_e32 v5, v[5:6]
	v_add_f32_e32 v6, 1.0, v10
	v_add_f32_e32 v6, v9, v6
	v_frexp_mant_f32_e32 v9, v8
	s_mov_b32 s65, 0x3f2aaaab
	v_cmp_gt_f32_e32 vcc, s65, v9
	s_mov_b32 s65, 0x3f317218
	s_mov_b32 s64, 0x7f800000
	v_subbrev_co_u32_e32 v5, vcc, 0, v5, vcc
	v_sub_u32_e32 v9, 0, v5
	v_ldexp_f32 v8, v8, v9
	v_ldexp_f32 v6, v6, v9
	v_add_f32_e32 v9, -1.0, v8
	v_add_f32_e32 v44, 1.0, v8
	v_add_f32_e32 v10, 1.0, v9
	v_add_f32_e32 v45, -1.0, v44
	v_sub_f32_e32 v10, v8, v10
	v_sub_f32_e32 v8, v8, v45
	v_add_f32_e32 v10, v6, v10
	v_add_f32_e32 v6, v6, v8
	;; [unrolled: 1-line block ×3, first 2 shown]
	v_rcp_f32_e32 v45, v8
	v_add_f32_e32 v11, v9, v10
	v_sub_f32_e32 v9, v9, v11
	v_add_f32_e32 v9, v10, v9
	v_sub_f32_e32 v10, v44, v8
	v_add_f32_e32 v6, v6, v10
	v_mul_f32_e32 v10, v11, v45
	v_mul_f32_e32 v44, v8, v10
	v_fma_f32 v46, v10, v8, -v44
	v_fmac_f32_e32 v46, v10, v6
	v_add_f32_e32 v47, v44, v46
	v_sub_f32_e32 v48, v11, v47
	v_sub_f32_e32 v11, v11, v48
	;; [unrolled: 1-line block ×4, first 2 shown]
	v_add_f32_e32 v9, v9, v11
	v_sub_f32_e32 v11, v44, v46
	v_add_f32_e32 v9, v11, v9
	v_add_f32_e32 v11, v48, v9
	v_mul_f32_e32 v44, v45, v11
	v_mul_f32_e32 v46, v8, v44
	v_fma_f32 v8, v44, v8, -v46
	v_fmac_f32_e32 v8, v44, v6
	v_sub_f32_e32 v6, v48, v11
	v_add_f32_e32 v6, v9, v6
	v_add_f32_e32 v9, v46, v8
	v_sub_f32_e32 v47, v11, v9
	v_sub_f32_e32 v11, v11, v47
	;; [unrolled: 1-line block ×4, first 2 shown]
	v_add_f32_e32 v6, v6, v9
	v_sub_f32_e32 v8, v46, v8
	v_add_f32_e32 v6, v8, v6
	v_add_f32_e32 v8, v10, v44
	;; [unrolled: 1-line block ×3, first 2 shown]
	v_sub_f32_e32 v9, v8, v10
	v_mul_f32_e32 v6, v45, v6
	v_sub_f32_e32 v9, v44, v9
	v_add_f32_e32 v6, v9, v6
	v_cvt_f32_i32_e32 v5, v5
	v_add_f32_e32 v9, v8, v6
	v_mul_f32_e32 v10, v9, v9
	v_mov_b32_e32 v11, 0x3ecc95a3
	v_fmac_f32_e32 v11, 0x3e9b6dac, v10
	v_mov_b32_e32 v44, 0x3f2aaada
	v_fmac_f32_e32 v44, v10, v11
	v_mul_f32_e32 v11, 0x3f317218, v5
	v_fma_f32 v45, v5, s65, -v11
	v_fmac_f32_e32 v45, 0xb102e308, v5
	v_sub_f32_e32 v5, v9, v8
	v_sub_f32_e32 v5, v6, v5
	v_add_f32_e32 v6, v11, v45
	v_sub_f32_e32 v8, v6, v11
	v_ldexp_f32 v11, v9, 1
	v_mul_f32_e32 v9, v9, v10
	v_mul_f32_e32 v9, v9, v44
	v_add_f32_e32 v10, v11, v9
	v_sub_f32_e32 v11, v10, v11
	v_ldexp_f32 v5, v5, 1
	v_sub_f32_e32 v9, v9, v11
	v_add_f32_e32 v5, v5, v9
	v_add_f32_e32 v9, v10, v5
	v_sub_f32_e32 v10, v9, v10
	v_sub_f32_e32 v5, v5, v10
	v_add_f32_e32 v10, v6, v9
	v_sub_f32_e32 v11, v10, v6
	v_sub_f32_e32 v44, v10, v11
	;; [unrolled: 1-line block ×5, first 2 shown]
	v_add_f32_e32 v6, v9, v6
	v_add_f32_e32 v9, v8, v5
	v_sub_f32_e32 v11, v9, v8
	v_sub_f32_e32 v44, v9, v11
	;; [unrolled: 1-line block ×4, first 2 shown]
	v_add_f32_e32 v6, v9, v6
	v_add_f32_e32 v5, v5, v8
	;; [unrolled: 1-line block ×3, first 2 shown]
	v_sub_f32_e32 v9, v8, v10
	v_sub_f32_e32 v6, v6, v9
	v_add_f32_e32 v5, v5, v6
	v_add_f32_e32 v5, v8, v5
	v_cmp_neq_f32_e32 vcc, s64, v3
	s_mov_b32 s64, 0x33800000
	v_cndmask_b32_e32 v5, v7, v5, vcc
	v_cmp_lt_f32_e64 vcc, |v3|, s64
	v_cndmask_b32_e32 v3, v5, v3, vcc
	v_add_f32_e32 v3, v4, v3
.LBB157_176:
	s_or_b64 exec, exec, s[4:5]
	s_add_i32 s4, s63, 64
	s_mov_b32 s5, 0
	s_lshl_b64 s[4:5], s[4:5], 3
	s_add_u32 s4, s42, s4
	s_addc_u32 s5, s43, s5
	v_mov_b32_e32 v5, 0
	v_mov_b32_e32 v4, 2
	global_store_dwordx2 v5, v[3:4], s[4:5]
.LBB157_177:
	s_or_b64 exec, exec, s[60:61]
	s_and_b64 exec, exec, s[40:41]
; %bb.178:
	v_mov_b32_e32 v3, 0
	ds_write_b32 v3, v54 offset:12
.LBB157_179:
	s_or_b64 exec, exec, s[58:59]
	v_mov_b32_e32 v3, 0
	s_waitcnt vmcnt(0) lgkmcnt(0)
	s_barrier
	ds_read_b32 v3, v3 offset:12
	v_mov_b32_e32 v5, v1
	s_and_saveexec_b64 s[4:5], s[2:3]
	s_cbranch_execz .LBB157_183
; %bb.180:
	v_cndmask_b32_e64 v5, v43, v42, s[38:39]
	v_max_f32_e32 v4, v5, v5
	v_min_f32_e32 v6, v4, v41
	v_cmp_u_f32_e32 vcc, v5, v5
	v_max_f32_e32 v4, v4, v41
	v_cndmask_b32_e32 v6, v6, v5, vcc
	v_cndmask_b32_e32 v4, v4, v5, vcc
	v_cndmask_b32_e64 v6, v6, v1, s[36:37]
	v_cndmask_b32_e64 v4, v4, v1, s[36:37]
	s_movk_i32 s36, 0x1f8
	v_cmp_neq_f32_e32 vcc, v6, v4
	v_cmp_class_f32_e64 s[36:37], v6, s36
	s_or_b64 s[38:39], vcc, s[36:37]
	s_and_saveexec_b64 s[36:37], s[38:39]
	s_cbranch_execz .LBB157_182
; %bb.181:
	v_sub_f32_e32 v5, v6, v4
	s_mov_b32 s38, 0x3fb8aa3b
	v_mul_f32_e32 v6, 0x3fb8aa3b, v5
	v_fma_f32 v7, v5, s38, -v6
	v_rndne_f32_e32 v8, v6
	v_fmac_f32_e32 v7, 0x32a5705f, v5
	v_sub_f32_e32 v6, v6, v8
	v_add_f32_e32 v6, v6, v7
	v_exp_f32_e32 v6, v6
	v_cvt_i32_f32_e32 v7, v8
	s_mov_b32 s38, 0xc2ce8ed0
	v_cmp_ngt_f32_e32 vcc, s38, v5
	s_mov_b32 s38, 0x42b17218
	v_ldexp_f32 v6, v6, v7
	v_cndmask_b32_e32 v6, 0, v6, vcc
	v_mov_b32_e32 v7, 0x7f800000
	v_cmp_nlt_f32_e32 vcc, s38, v5
	v_cndmask_b32_e32 v8, v7, v6, vcc
	v_add_f32_e32 v9, 1.0, v8
	v_cvt_f64_f32_e32 v[5:6], v9
	v_add_f32_e32 v10, -1.0, v9
	v_sub_f32_e32 v11, v10, v9
	v_sub_f32_e32 v10, v8, v10
	v_frexp_exp_i32_f64_e32 v5, v[5:6]
	v_add_f32_e32 v6, 1.0, v11
	v_add_f32_e32 v6, v10, v6
	v_frexp_mant_f32_e32 v10, v9
	s_mov_b32 s39, 0x3f2aaaab
	v_cmp_gt_f32_e32 vcc, s39, v10
	s_mov_b32 s39, 0x3f317218
	s_mov_b32 s38, 0x7f800000
	v_subbrev_co_u32_e32 v5, vcc, 0, v5, vcc
	v_sub_u32_e32 v10, 0, v5
	v_ldexp_f32 v9, v9, v10
	v_ldexp_f32 v6, v6, v10
	v_add_f32_e32 v10, -1.0, v9
	v_add_f32_e32 v42, 1.0, v9
	v_add_f32_e32 v11, 1.0, v10
	v_add_f32_e32 v43, -1.0, v42
	v_sub_f32_e32 v11, v9, v11
	v_sub_f32_e32 v9, v9, v43
	v_add_f32_e32 v11, v6, v11
	v_add_f32_e32 v6, v6, v9
	;; [unrolled: 1-line block ×3, first 2 shown]
	v_rcp_f32_e32 v43, v9
	v_add_f32_e32 v41, v10, v11
	v_sub_f32_e32 v10, v10, v41
	v_add_f32_e32 v10, v11, v10
	v_sub_f32_e32 v11, v42, v9
	v_add_f32_e32 v6, v6, v11
	v_mul_f32_e32 v11, v41, v43
	v_mul_f32_e32 v42, v9, v11
	v_fma_f32 v44, v11, v9, -v42
	v_fmac_f32_e32 v44, v11, v6
	v_add_f32_e32 v45, v42, v44
	v_sub_f32_e32 v46, v41, v45
	v_sub_f32_e32 v41, v41, v46
	;; [unrolled: 1-line block ×4, first 2 shown]
	v_add_f32_e32 v10, v10, v41
	v_sub_f32_e32 v41, v42, v44
	v_add_f32_e32 v10, v41, v10
	v_add_f32_e32 v41, v46, v10
	v_mul_f32_e32 v42, v43, v41
	v_mul_f32_e32 v44, v9, v42
	v_fma_f32 v9, v42, v9, -v44
	v_fmac_f32_e32 v9, v42, v6
	v_sub_f32_e32 v6, v46, v41
	v_add_f32_e32 v6, v10, v6
	v_add_f32_e32 v10, v44, v9
	v_sub_f32_e32 v45, v41, v10
	v_sub_f32_e32 v41, v41, v45
	;; [unrolled: 1-line block ×4, first 2 shown]
	v_add_f32_e32 v6, v6, v10
	v_sub_f32_e32 v9, v44, v9
	v_add_f32_e32 v6, v9, v6
	v_add_f32_e32 v9, v11, v42
	;; [unrolled: 1-line block ×3, first 2 shown]
	v_sub_f32_e32 v10, v9, v11
	v_mul_f32_e32 v6, v43, v6
	v_sub_f32_e32 v10, v42, v10
	v_add_f32_e32 v6, v10, v6
	v_cvt_f32_i32_e32 v5, v5
	v_add_f32_e32 v10, v9, v6
	v_mul_f32_e32 v11, v10, v10
	v_mov_b32_e32 v41, 0x3ecc95a3
	v_fmac_f32_e32 v41, 0x3e9b6dac, v11
	v_mov_b32_e32 v42, 0x3f2aaada
	v_fmac_f32_e32 v42, v11, v41
	v_mul_f32_e32 v41, 0x3f317218, v5
	v_fma_f32 v43, v5, s39, -v41
	v_fmac_f32_e32 v43, 0xb102e308, v5
	v_sub_f32_e32 v5, v10, v9
	v_sub_f32_e32 v5, v6, v5
	v_add_f32_e32 v6, v41, v43
	v_sub_f32_e32 v9, v6, v41
	v_ldexp_f32 v41, v10, 1
	v_mul_f32_e32 v10, v10, v11
	v_mul_f32_e32 v10, v10, v42
	v_add_f32_e32 v11, v41, v10
	v_sub_f32_e32 v41, v11, v41
	v_ldexp_f32 v5, v5, 1
	v_sub_f32_e32 v10, v10, v41
	v_add_f32_e32 v5, v5, v10
	v_add_f32_e32 v10, v11, v5
	v_sub_f32_e32 v11, v10, v11
	v_sub_f32_e32 v5, v5, v11
	v_add_f32_e32 v11, v6, v10
	v_sub_f32_e32 v41, v11, v6
	v_sub_f32_e32 v42, v11, v41
	;; [unrolled: 1-line block ×5, first 2 shown]
	v_add_f32_e32 v6, v10, v6
	v_add_f32_e32 v10, v9, v5
	v_sub_f32_e32 v41, v10, v9
	v_sub_f32_e32 v42, v10, v41
	;; [unrolled: 1-line block ×4, first 2 shown]
	v_add_f32_e32 v6, v10, v6
	v_add_f32_e32 v5, v5, v9
	;; [unrolled: 1-line block ×3, first 2 shown]
	v_sub_f32_e32 v10, v9, v11
	v_sub_f32_e32 v6, v6, v10
	v_add_f32_e32 v5, v5, v6
	v_add_f32_e32 v5, v9, v5
	v_cmp_neq_f32_e32 vcc, s38, v8
	s_mov_b32 s38, 0x33800000
	v_cndmask_b32_e32 v5, v7, v5, vcc
	v_cmp_lt_f32_e64 vcc, |v8|, s38
	v_cndmask_b32_e32 v5, v5, v8, vcc
	v_add_f32_e32 v5, v4, v5
.LBB157_182:
	s_or_b64 exec, exec, s[36:37]
.LBB157_183:
	s_or_b64 exec, exec, s[4:5]
	v_max_f32_e32 v4, v5, v5
	s_waitcnt lgkmcnt(0)
	v_max_f32_e32 v7, v3, v3
	v_min_f32_e32 v6, v7, v4
	v_cmp_u_f32_e32 vcc, v3, v3
	v_max_f32_e32 v4, v7, v4
	v_cndmask_b32_e32 v6, v6, v3, vcc
	v_cmp_u_f32_e64 s[4:5], v5, v5
	v_cndmask_b32_e32 v4, v4, v3, vcc
	v_cndmask_b32_e64 v6, v6, v5, s[4:5]
	v_cndmask_b32_e64 v4, v4, v5, s[4:5]
	s_movk_i32 s36, 0x1f8
	v_cmp_neq_f32_e32 vcc, v6, v4
	v_cmp_class_f32_e64 s[4:5], v6, s36
	s_or_b64 s[38:39], vcc, s[4:5]
	s_and_saveexec_b64 s[4:5], s[38:39]
	s_cbranch_execz .LBB157_185
; %bb.184:
	v_sub_f32_e32 v3, v6, v4
	s_mov_b32 s37, 0x3fb8aa3b
	v_mul_f32_e32 v5, 0x3fb8aa3b, v3
	v_fma_f32 v6, v3, s37, -v5
	v_rndne_f32_e32 v7, v5
	v_fmac_f32_e32 v6, 0x32a5705f, v3
	v_sub_f32_e32 v5, v5, v7
	v_add_f32_e32 v5, v5, v6
	v_exp_f32_e32 v5, v5
	v_cvt_i32_f32_e32 v6, v7
	s_mov_b32 s37, 0xc2ce8ed0
	v_cmp_ngt_f32_e32 vcc, s37, v3
	s_mov_b32 s37, 0x42b17218
	v_ldexp_f32 v5, v5, v6
	v_cndmask_b32_e32 v5, 0, v5, vcc
	v_mov_b32_e32 v7, 0x7f800000
	v_cmp_nlt_f32_e32 vcc, s37, v3
	v_cndmask_b32_e32 v3, v7, v5, vcc
	v_add_f32_e32 v8, 1.0, v3
	v_cvt_f64_f32_e32 v[5:6], v8
	v_add_f32_e32 v9, -1.0, v8
	v_sub_f32_e32 v10, v9, v8
	v_sub_f32_e32 v9, v3, v9
	v_frexp_exp_i32_f64_e32 v5, v[5:6]
	v_add_f32_e32 v6, 1.0, v10
	v_add_f32_e32 v6, v9, v6
	v_frexp_mant_f32_e32 v9, v8
	s_mov_b32 s38, 0x3f2aaaab
	v_cmp_gt_f32_e32 vcc, s38, v9
	s_mov_b32 s38, 0x3f317218
	s_mov_b32 s37, 0x7f800000
	v_subbrev_co_u32_e32 v5, vcc, 0, v5, vcc
	v_sub_u32_e32 v9, 0, v5
	v_ldexp_f32 v8, v8, v9
	v_ldexp_f32 v6, v6, v9
	v_add_f32_e32 v9, -1.0, v8
	v_add_f32_e32 v41, 1.0, v8
	v_add_f32_e32 v10, 1.0, v9
	v_add_f32_e32 v42, -1.0, v41
	v_sub_f32_e32 v10, v8, v10
	v_sub_f32_e32 v8, v8, v42
	v_add_f32_e32 v10, v6, v10
	v_add_f32_e32 v6, v6, v8
	;; [unrolled: 1-line block ×3, first 2 shown]
	v_rcp_f32_e32 v42, v8
	v_add_f32_e32 v11, v9, v10
	v_sub_f32_e32 v9, v9, v11
	v_add_f32_e32 v9, v10, v9
	v_sub_f32_e32 v10, v41, v8
	v_add_f32_e32 v6, v6, v10
	v_mul_f32_e32 v10, v11, v42
	v_mul_f32_e32 v41, v8, v10
	v_fma_f32 v43, v10, v8, -v41
	v_fmac_f32_e32 v43, v10, v6
	v_add_f32_e32 v44, v41, v43
	v_sub_f32_e32 v45, v11, v44
	v_sub_f32_e32 v11, v11, v45
	;; [unrolled: 1-line block ×4, first 2 shown]
	v_add_f32_e32 v9, v9, v11
	v_sub_f32_e32 v11, v41, v43
	v_add_f32_e32 v9, v11, v9
	v_add_f32_e32 v11, v45, v9
	v_mul_f32_e32 v41, v42, v11
	v_mul_f32_e32 v43, v8, v41
	v_fma_f32 v8, v41, v8, -v43
	v_fmac_f32_e32 v8, v41, v6
	v_sub_f32_e32 v6, v45, v11
	v_add_f32_e32 v6, v9, v6
	v_add_f32_e32 v9, v43, v8
	v_sub_f32_e32 v44, v11, v9
	v_sub_f32_e32 v11, v11, v44
	;; [unrolled: 1-line block ×4, first 2 shown]
	v_add_f32_e32 v6, v6, v9
	v_sub_f32_e32 v8, v43, v8
	v_add_f32_e32 v6, v8, v6
	v_add_f32_e32 v8, v10, v41
	;; [unrolled: 1-line block ×3, first 2 shown]
	v_sub_f32_e32 v9, v8, v10
	v_mul_f32_e32 v6, v42, v6
	v_sub_f32_e32 v9, v41, v9
	v_add_f32_e32 v6, v9, v6
	v_cvt_f32_i32_e32 v5, v5
	v_add_f32_e32 v9, v8, v6
	v_mul_f32_e32 v10, v9, v9
	v_mov_b32_e32 v11, 0x3ecc95a3
	v_fmac_f32_e32 v11, 0x3e9b6dac, v10
	v_mov_b32_e32 v41, 0x3f2aaada
	v_fmac_f32_e32 v41, v10, v11
	v_mul_f32_e32 v11, 0x3f317218, v5
	v_fma_f32 v42, v5, s38, -v11
	v_fmac_f32_e32 v42, 0xb102e308, v5
	v_sub_f32_e32 v5, v9, v8
	v_sub_f32_e32 v5, v6, v5
	v_add_f32_e32 v6, v11, v42
	v_sub_f32_e32 v8, v6, v11
	v_ldexp_f32 v11, v9, 1
	v_mul_f32_e32 v9, v9, v10
	v_mul_f32_e32 v9, v9, v41
	v_add_f32_e32 v10, v11, v9
	v_sub_f32_e32 v11, v10, v11
	v_ldexp_f32 v5, v5, 1
	v_sub_f32_e32 v9, v9, v11
	v_add_f32_e32 v5, v5, v9
	v_add_f32_e32 v9, v10, v5
	v_sub_f32_e32 v10, v9, v10
	v_sub_f32_e32 v5, v5, v10
	v_add_f32_e32 v10, v6, v9
	v_sub_f32_e32 v11, v10, v6
	v_sub_f32_e32 v41, v10, v11
	;; [unrolled: 1-line block ×5, first 2 shown]
	v_add_f32_e32 v6, v9, v6
	v_add_f32_e32 v9, v8, v5
	v_sub_f32_e32 v11, v9, v8
	v_sub_f32_e32 v41, v9, v11
	;; [unrolled: 1-line block ×4, first 2 shown]
	v_add_f32_e32 v6, v9, v6
	v_add_f32_e32 v5, v5, v8
	v_add_f32_e32 v8, v10, v6
	v_sub_f32_e32 v9, v8, v10
	v_sub_f32_e32 v6, v6, v9
	v_add_f32_e32 v5, v5, v6
	v_add_f32_e32 v5, v8, v5
	v_cmp_neq_f32_e32 vcc, s37, v3
	s_mov_b32 s37, 0x33800000
	v_cndmask_b32_e32 v5, v7, v5, vcc
	v_cmp_lt_f32_e64 vcc, |v3|, s37
	v_cndmask_b32_e32 v3, v5, v3, vcc
	v_add_f32_e32 v3, v4, v3
.LBB157_185:
	s_or_b64 exec, exec, s[4:5]
	v_max_f32_e32 v4, v3, v3
	v_min_f32_e32 v5, v4, v34
	v_cmp_u_f32_e32 vcc, v3, v3
	v_max_f32_e32 v4, v4, v34
	v_cndmask_b32_e32 v5, v5, v3, vcc
	v_cndmask_b32_e32 v4, v4, v3, vcc
	v_cndmask_b32_e64 v6, v5, v2, s[6:7]
	v_cndmask_b32_e64 v5, v4, v2, s[6:7]
	v_cmp_neq_f32_e32 vcc, v6, v5
	v_cmp_class_f32_e64 s[4:5], v6, s36
	s_or_b64 s[6:7], vcc, s[4:5]
	v_mov_b32_e32 v4, v3
	s_and_saveexec_b64 s[4:5], s[6:7]
	s_cbranch_execz .LBB157_187
; %bb.186:
	v_sub_f32_e32 v4, v6, v5
	s_mov_b32 s6, 0x3fb8aa3b
	v_mul_f32_e32 v6, 0x3fb8aa3b, v4
	v_fma_f32 v7, v4, s6, -v6
	v_rndne_f32_e32 v8, v6
	v_fmac_f32_e32 v7, 0x32a5705f, v4
	v_sub_f32_e32 v6, v6, v8
	v_add_f32_e32 v6, v6, v7
	v_exp_f32_e32 v6, v6
	v_cvt_i32_f32_e32 v7, v8
	s_mov_b32 s6, 0xc2ce8ed0
	v_cmp_ngt_f32_e32 vcc, s6, v4
	s_mov_b32 s6, 0x42b17218
	v_ldexp_f32 v6, v6, v7
	v_cndmask_b32_e32 v6, 0, v6, vcc
	v_mov_b32_e32 v8, 0x7f800000
	v_cmp_nlt_f32_e32 vcc, s6, v4
	v_cndmask_b32_e32 v4, v8, v6, vcc
	v_add_f32_e32 v9, 1.0, v4
	v_cvt_f64_f32_e32 v[6:7], v9
	v_add_f32_e32 v10, -1.0, v9
	v_sub_f32_e32 v11, v10, v9
	v_sub_f32_e32 v10, v4, v10
	v_frexp_exp_i32_f64_e32 v6, v[6:7]
	v_add_f32_e32 v7, 1.0, v11
	v_add_f32_e32 v7, v10, v7
	v_frexp_mant_f32_e32 v10, v9
	s_mov_b32 s7, 0x3f2aaaab
	v_cmp_gt_f32_e32 vcc, s7, v10
	s_mov_b32 s7, 0x3f317218
	s_mov_b32 s6, 0x7f800000
	v_subbrev_co_u32_e32 v6, vcc, 0, v6, vcc
	v_sub_u32_e32 v10, 0, v6
	v_ldexp_f32 v9, v9, v10
	v_ldexp_f32 v7, v7, v10
	v_add_f32_e32 v10, -1.0, v9
	v_add_f32_e32 v42, 1.0, v9
	v_add_f32_e32 v11, 1.0, v10
	v_add_f32_e32 v43, -1.0, v42
	v_sub_f32_e32 v11, v9, v11
	v_sub_f32_e32 v9, v9, v43
	v_add_f32_e32 v11, v7, v11
	v_add_f32_e32 v7, v7, v9
	;; [unrolled: 1-line block ×3, first 2 shown]
	v_rcp_f32_e32 v43, v9
	v_add_f32_e32 v41, v10, v11
	v_sub_f32_e32 v10, v10, v41
	v_add_f32_e32 v10, v11, v10
	v_sub_f32_e32 v11, v42, v9
	v_add_f32_e32 v7, v7, v11
	v_mul_f32_e32 v11, v41, v43
	v_mul_f32_e32 v42, v9, v11
	v_fma_f32 v44, v11, v9, -v42
	v_fmac_f32_e32 v44, v11, v7
	v_add_f32_e32 v45, v42, v44
	v_sub_f32_e32 v46, v41, v45
	v_sub_f32_e32 v41, v41, v46
	;; [unrolled: 1-line block ×4, first 2 shown]
	v_add_f32_e32 v10, v10, v41
	v_sub_f32_e32 v41, v42, v44
	v_add_f32_e32 v10, v41, v10
	v_add_f32_e32 v41, v46, v10
	v_mul_f32_e32 v42, v43, v41
	v_mul_f32_e32 v44, v9, v42
	v_fma_f32 v9, v42, v9, -v44
	v_fmac_f32_e32 v9, v42, v7
	v_sub_f32_e32 v7, v46, v41
	v_add_f32_e32 v7, v10, v7
	v_add_f32_e32 v10, v44, v9
	v_sub_f32_e32 v45, v41, v10
	v_sub_f32_e32 v41, v41, v45
	v_sub_f32_e32 v44, v10, v44
	v_sub_f32_e32 v10, v41, v10
	v_add_f32_e32 v7, v7, v10
	v_sub_f32_e32 v9, v44, v9
	v_add_f32_e32 v7, v9, v7
	v_add_f32_e32 v9, v11, v42
	;; [unrolled: 1-line block ×3, first 2 shown]
	v_sub_f32_e32 v10, v9, v11
	v_mul_f32_e32 v7, v43, v7
	v_sub_f32_e32 v10, v42, v10
	v_add_f32_e32 v7, v10, v7
	v_cvt_f32_i32_e32 v6, v6
	v_add_f32_e32 v10, v9, v7
	v_mul_f32_e32 v11, v10, v10
	v_mov_b32_e32 v41, 0x3ecc95a3
	v_fmac_f32_e32 v41, 0x3e9b6dac, v11
	v_mov_b32_e32 v42, 0x3f2aaada
	v_fmac_f32_e32 v42, v11, v41
	v_mul_f32_e32 v41, 0x3f317218, v6
	v_fma_f32 v43, v6, s7, -v41
	v_fmac_f32_e32 v43, 0xb102e308, v6
	v_sub_f32_e32 v6, v10, v9
	v_sub_f32_e32 v6, v7, v6
	v_add_f32_e32 v7, v41, v43
	v_sub_f32_e32 v9, v7, v41
	v_ldexp_f32 v41, v10, 1
	v_mul_f32_e32 v10, v10, v11
	v_mul_f32_e32 v10, v10, v42
	v_add_f32_e32 v11, v41, v10
	v_sub_f32_e32 v41, v11, v41
	v_ldexp_f32 v6, v6, 1
	v_sub_f32_e32 v10, v10, v41
	v_add_f32_e32 v6, v6, v10
	v_add_f32_e32 v10, v11, v6
	v_sub_f32_e32 v11, v10, v11
	v_sub_f32_e32 v6, v6, v11
	v_add_f32_e32 v11, v7, v10
	v_sub_f32_e32 v41, v11, v7
	v_sub_f32_e32 v42, v11, v41
	;; [unrolled: 1-line block ×5, first 2 shown]
	v_add_f32_e32 v7, v10, v7
	v_add_f32_e32 v10, v9, v6
	v_sub_f32_e32 v41, v10, v9
	v_sub_f32_e32 v42, v10, v41
	;; [unrolled: 1-line block ×4, first 2 shown]
	v_add_f32_e32 v7, v10, v7
	v_add_f32_e32 v6, v6, v9
	;; [unrolled: 1-line block ×3, first 2 shown]
	v_sub_f32_e32 v10, v9, v11
	v_sub_f32_e32 v7, v7, v10
	v_add_f32_e32 v6, v6, v7
	v_add_f32_e32 v6, v9, v6
	v_cmp_neq_f32_e32 vcc, s6, v4
	s_mov_b32 s6, 0x33800000
	v_cndmask_b32_e32 v6, v8, v6, vcc
	v_cmp_lt_f32_e64 vcc, |v4|, s6
	v_cndmask_b32_e32 v4, v6, v4, vcc
	v_add_f32_e32 v4, v5, v4
.LBB157_187:
	s_or_b64 exec, exec, s[4:5]
	v_max_f32_e32 v5, v4, v4
	v_min_f32_e32 v6, v5, v12
	v_cmp_u_f32_e32 vcc, v4, v4
	v_max_f32_e32 v5, v5, v12
	v_cndmask_b32_e32 v6, v6, v4, vcc
	v_cndmask_b32_e32 v5, v5, v4, vcc
	v_cndmask_b32_e64 v7, v6, v29, s[8:9]
	v_cndmask_b32_e64 v6, v5, v29, s[8:9]
	s_movk_i32 s6, 0x1f8
	v_cmp_neq_f32_e32 vcc, v7, v6
	v_cmp_class_f32_e64 s[4:5], v7, s6
	s_or_b64 s[8:9], vcc, s[4:5]
	v_mov_b32_e32 v5, v4
	s_and_saveexec_b64 s[4:5], s[8:9]
	s_cbranch_execz .LBB157_189
; %bb.188:
	v_sub_f32_e32 v5, v7, v6
	s_mov_b32 s7, 0x3fb8aa3b
	v_mul_f32_e32 v7, 0x3fb8aa3b, v5
	v_fma_f32 v8, v5, s7, -v7
	v_rndne_f32_e32 v9, v7
	v_fmac_f32_e32 v8, 0x32a5705f, v5
	v_sub_f32_e32 v7, v7, v9
	v_add_f32_e32 v7, v7, v8
	v_exp_f32_e32 v7, v7
	v_cvt_i32_f32_e32 v8, v9
	s_mov_b32 s7, 0xc2ce8ed0
	v_cmp_ngt_f32_e32 vcc, s7, v5
	s_mov_b32 s7, 0x42b17218
	v_ldexp_f32 v7, v7, v8
	v_cndmask_b32_e32 v7, 0, v7, vcc
	v_mov_b32_e32 v9, 0x7f800000
	v_cmp_nlt_f32_e32 vcc, s7, v5
	v_cndmask_b32_e32 v5, v9, v7, vcc
	v_add_f32_e32 v10, 1.0, v5
	v_cvt_f64_f32_e32 v[7:8], v10
	v_add_f32_e32 v11, -1.0, v10
	v_sub_f32_e32 v12, v11, v10
	v_sub_f32_e32 v11, v5, v11
	v_frexp_exp_i32_f64_e32 v7, v[7:8]
	v_add_f32_e32 v8, 1.0, v12
	v_add_f32_e32 v8, v11, v8
	v_frexp_mant_f32_e32 v11, v10
	s_mov_b32 s8, 0x3f2aaaab
	v_cmp_gt_f32_e32 vcc, s8, v11
	s_mov_b32 s8, 0x3f317218
	s_mov_b32 s7, 0x7f800000
	v_subbrev_co_u32_e32 v7, vcc, 0, v7, vcc
	v_sub_u32_e32 v11, 0, v7
	v_ldexp_f32 v10, v10, v11
	v_ldexp_f32 v8, v8, v11
	v_add_f32_e32 v11, -1.0, v10
	v_add_f32_e32 v42, 1.0, v10
	v_add_f32_e32 v12, 1.0, v11
	v_add_f32_e32 v43, -1.0, v42
	v_sub_f32_e32 v12, v10, v12
	v_sub_f32_e32 v10, v10, v43
	v_add_f32_e32 v12, v8, v12
	v_add_f32_e32 v8, v8, v10
	;; [unrolled: 1-line block ×3, first 2 shown]
	v_rcp_f32_e32 v43, v10
	v_add_f32_e32 v41, v11, v12
	v_sub_f32_e32 v11, v11, v41
	v_add_f32_e32 v11, v12, v11
	v_sub_f32_e32 v12, v42, v10
	v_add_f32_e32 v8, v8, v12
	v_mul_f32_e32 v12, v41, v43
	v_mul_f32_e32 v42, v10, v12
	v_fma_f32 v44, v12, v10, -v42
	v_fmac_f32_e32 v44, v12, v8
	v_add_f32_e32 v45, v42, v44
	v_sub_f32_e32 v46, v41, v45
	v_sub_f32_e32 v41, v41, v46
	;; [unrolled: 1-line block ×4, first 2 shown]
	v_add_f32_e32 v11, v11, v41
	v_sub_f32_e32 v41, v42, v44
	v_add_f32_e32 v11, v41, v11
	v_add_f32_e32 v41, v46, v11
	v_mul_f32_e32 v42, v43, v41
	v_mul_f32_e32 v44, v10, v42
	v_fma_f32 v10, v42, v10, -v44
	v_fmac_f32_e32 v10, v42, v8
	v_sub_f32_e32 v8, v46, v41
	v_add_f32_e32 v8, v11, v8
	v_add_f32_e32 v11, v44, v10
	v_sub_f32_e32 v45, v41, v11
	v_sub_f32_e32 v41, v41, v45
	;; [unrolled: 1-line block ×4, first 2 shown]
	v_add_f32_e32 v8, v8, v11
	v_sub_f32_e32 v10, v44, v10
	v_add_f32_e32 v8, v10, v8
	v_add_f32_e32 v10, v12, v42
	;; [unrolled: 1-line block ×3, first 2 shown]
	v_sub_f32_e32 v11, v10, v12
	v_mul_f32_e32 v8, v43, v8
	v_sub_f32_e32 v11, v42, v11
	v_add_f32_e32 v8, v11, v8
	v_cvt_f32_i32_e32 v7, v7
	v_add_f32_e32 v11, v10, v8
	v_mul_f32_e32 v12, v11, v11
	v_mov_b32_e32 v41, 0x3ecc95a3
	v_fmac_f32_e32 v41, 0x3e9b6dac, v12
	v_mov_b32_e32 v42, 0x3f2aaada
	v_fmac_f32_e32 v42, v12, v41
	v_mul_f32_e32 v41, 0x3f317218, v7
	v_fma_f32 v43, v7, s8, -v41
	v_fmac_f32_e32 v43, 0xb102e308, v7
	v_sub_f32_e32 v7, v11, v10
	v_sub_f32_e32 v7, v8, v7
	v_add_f32_e32 v8, v41, v43
	v_sub_f32_e32 v10, v8, v41
	v_ldexp_f32 v41, v11, 1
	v_mul_f32_e32 v11, v11, v12
	v_mul_f32_e32 v11, v11, v42
	v_add_f32_e32 v12, v41, v11
	v_sub_f32_e32 v41, v12, v41
	v_ldexp_f32 v7, v7, 1
	v_sub_f32_e32 v11, v11, v41
	v_add_f32_e32 v7, v7, v11
	v_add_f32_e32 v11, v12, v7
	v_sub_f32_e32 v12, v11, v12
	v_sub_f32_e32 v7, v7, v12
	v_add_f32_e32 v12, v8, v11
	v_sub_f32_e32 v41, v12, v8
	v_sub_f32_e32 v42, v12, v41
	;; [unrolled: 1-line block ×5, first 2 shown]
	v_add_f32_e32 v8, v11, v8
	v_add_f32_e32 v11, v10, v7
	v_sub_f32_e32 v41, v11, v10
	v_sub_f32_e32 v42, v11, v41
	;; [unrolled: 1-line block ×4, first 2 shown]
	v_add_f32_e32 v8, v11, v8
	v_add_f32_e32 v7, v7, v10
	;; [unrolled: 1-line block ×3, first 2 shown]
	v_sub_f32_e32 v11, v10, v12
	v_sub_f32_e32 v8, v8, v11
	v_add_f32_e32 v7, v7, v8
	v_add_f32_e32 v7, v10, v7
	v_cmp_neq_f32_e32 vcc, s7, v5
	s_mov_b32 s7, 0x33800000
	v_cndmask_b32_e32 v7, v9, v7, vcc
	v_cmp_lt_f32_e64 vcc, |v5|, s7
	v_cndmask_b32_e32 v5, v7, v5, vcc
	v_add_f32_e32 v5, v6, v5
.LBB157_189:
	s_or_b64 exec, exec, s[4:5]
	v_max_f32_e32 v6, v5, v5
	v_min_f32_e32 v7, v6, v13
	v_cmp_u_f32_e32 vcc, v5, v5
	v_max_f32_e32 v6, v6, v13
	v_cndmask_b32_e32 v7, v7, v5, vcc
	v_cndmask_b32_e32 v6, v6, v5, vcc
	v_cndmask_b32_e64 v8, v7, v30, s[10:11]
	v_cndmask_b32_e64 v7, v6, v30, s[10:11]
	v_cmp_neq_f32_e32 vcc, v8, v7
	v_cmp_class_f32_e64 s[4:5], v8, s6
	s_or_b64 s[6:7], vcc, s[4:5]
	v_mov_b32_e32 v6, v5
	s_and_saveexec_b64 s[4:5], s[6:7]
	s_cbranch_execz .LBB157_191
; %bb.190:
	v_sub_f32_e32 v6, v8, v7
	s_mov_b32 s6, 0x3fb8aa3b
	v_mul_f32_e32 v8, 0x3fb8aa3b, v6
	v_fma_f32 v9, v6, s6, -v8
	v_rndne_f32_e32 v10, v8
	v_fmac_f32_e32 v9, 0x32a5705f, v6
	v_sub_f32_e32 v8, v8, v10
	v_add_f32_e32 v8, v8, v9
	v_exp_f32_e32 v8, v8
	v_cvt_i32_f32_e32 v9, v10
	s_mov_b32 s6, 0xc2ce8ed0
	v_cmp_ngt_f32_e32 vcc, s6, v6
	s_mov_b32 s6, 0x42b17218
	v_ldexp_f32 v8, v8, v9
	v_cndmask_b32_e32 v8, 0, v8, vcc
	v_mov_b32_e32 v10, 0x7f800000
	v_cmp_nlt_f32_e32 vcc, s6, v6
	v_cndmask_b32_e32 v6, v10, v8, vcc
	v_add_f32_e32 v11, 1.0, v6
	v_cvt_f64_f32_e32 v[8:9], v11
	v_add_f32_e32 v12, -1.0, v11
	v_sub_f32_e32 v13, v12, v11
	v_sub_f32_e32 v12, v6, v12
	v_frexp_exp_i32_f64_e32 v8, v[8:9]
	v_add_f32_e32 v9, 1.0, v13
	v_add_f32_e32 v9, v12, v9
	v_frexp_mant_f32_e32 v12, v11
	s_mov_b32 s7, 0x3f2aaaab
	v_cmp_gt_f32_e32 vcc, s7, v12
	s_mov_b32 s7, 0x3f317218
	s_mov_b32 s6, 0x7f800000
	v_subbrev_co_u32_e32 v8, vcc, 0, v8, vcc
	v_sub_u32_e32 v12, 0, v8
	v_ldexp_f32 v11, v11, v12
	v_ldexp_f32 v9, v9, v12
	v_add_f32_e32 v12, -1.0, v11
	v_add_f32_e32 v42, 1.0, v11
	v_add_f32_e32 v13, 1.0, v12
	v_add_f32_e32 v43, -1.0, v42
	v_sub_f32_e32 v13, v11, v13
	v_sub_f32_e32 v11, v11, v43
	v_add_f32_e32 v13, v9, v13
	v_add_f32_e32 v9, v9, v11
	;; [unrolled: 1-line block ×3, first 2 shown]
	v_rcp_f32_e32 v43, v11
	v_add_f32_e32 v41, v12, v13
	v_sub_f32_e32 v12, v12, v41
	v_add_f32_e32 v12, v13, v12
	v_sub_f32_e32 v13, v42, v11
	v_add_f32_e32 v9, v9, v13
	v_mul_f32_e32 v13, v41, v43
	v_mul_f32_e32 v42, v11, v13
	v_fma_f32 v44, v13, v11, -v42
	v_fmac_f32_e32 v44, v13, v9
	v_add_f32_e32 v45, v42, v44
	v_sub_f32_e32 v46, v41, v45
	v_sub_f32_e32 v41, v41, v46
	;; [unrolled: 1-line block ×4, first 2 shown]
	v_add_f32_e32 v12, v12, v41
	v_sub_f32_e32 v41, v42, v44
	v_add_f32_e32 v12, v41, v12
	v_add_f32_e32 v41, v46, v12
	v_mul_f32_e32 v42, v43, v41
	v_mul_f32_e32 v44, v11, v42
	v_fma_f32 v11, v42, v11, -v44
	v_fmac_f32_e32 v11, v42, v9
	v_sub_f32_e32 v9, v46, v41
	v_add_f32_e32 v9, v12, v9
	v_add_f32_e32 v12, v44, v11
	v_sub_f32_e32 v45, v41, v12
	v_sub_f32_e32 v41, v41, v45
	;; [unrolled: 1-line block ×4, first 2 shown]
	v_add_f32_e32 v9, v9, v12
	v_sub_f32_e32 v11, v44, v11
	v_add_f32_e32 v9, v11, v9
	v_add_f32_e32 v11, v13, v42
	;; [unrolled: 1-line block ×3, first 2 shown]
	v_sub_f32_e32 v12, v11, v13
	v_mul_f32_e32 v9, v43, v9
	v_sub_f32_e32 v12, v42, v12
	v_add_f32_e32 v9, v12, v9
	v_cvt_f32_i32_e32 v8, v8
	v_add_f32_e32 v12, v11, v9
	v_mul_f32_e32 v13, v12, v12
	v_mov_b32_e32 v41, 0x3ecc95a3
	v_fmac_f32_e32 v41, 0x3e9b6dac, v13
	v_mov_b32_e32 v42, 0x3f2aaada
	v_fmac_f32_e32 v42, v13, v41
	v_mul_f32_e32 v41, 0x3f317218, v8
	v_fma_f32 v43, v8, s7, -v41
	v_fmac_f32_e32 v43, 0xb102e308, v8
	v_sub_f32_e32 v8, v12, v11
	v_sub_f32_e32 v8, v9, v8
	v_add_f32_e32 v9, v41, v43
	v_sub_f32_e32 v11, v9, v41
	v_ldexp_f32 v41, v12, 1
	v_mul_f32_e32 v12, v12, v13
	v_mul_f32_e32 v12, v12, v42
	v_add_f32_e32 v13, v41, v12
	v_sub_f32_e32 v41, v13, v41
	v_ldexp_f32 v8, v8, 1
	v_sub_f32_e32 v12, v12, v41
	v_add_f32_e32 v8, v8, v12
	v_add_f32_e32 v12, v13, v8
	v_sub_f32_e32 v13, v12, v13
	v_sub_f32_e32 v8, v8, v13
	v_add_f32_e32 v13, v9, v12
	v_sub_f32_e32 v41, v13, v9
	v_sub_f32_e32 v42, v13, v41
	;; [unrolled: 1-line block ×5, first 2 shown]
	v_add_f32_e32 v9, v12, v9
	v_add_f32_e32 v12, v11, v8
	v_sub_f32_e32 v41, v12, v11
	v_sub_f32_e32 v42, v12, v41
	v_sub_f32_e32 v11, v11, v42
	v_sub_f32_e32 v8, v8, v41
	v_add_f32_e32 v9, v12, v9
	v_add_f32_e32 v8, v8, v11
	;; [unrolled: 1-line block ×3, first 2 shown]
	v_sub_f32_e32 v12, v11, v13
	v_sub_f32_e32 v9, v9, v12
	v_add_f32_e32 v8, v8, v9
	v_add_f32_e32 v8, v11, v8
	v_cmp_neq_f32_e32 vcc, s6, v6
	s_mov_b32 s6, 0x33800000
	v_cndmask_b32_e32 v8, v10, v8, vcc
	v_cmp_lt_f32_e64 vcc, |v6|, s6
	v_cndmask_b32_e32 v6, v8, v6, vcc
	v_add_f32_e32 v6, v7, v6
.LBB157_191:
	s_or_b64 exec, exec, s[4:5]
	v_max_f32_e32 v7, v6, v6
	v_min_f32_e32 v8, v7, v14
	v_cmp_u_f32_e32 vcc, v6, v6
	v_max_f32_e32 v7, v7, v14
	v_cndmask_b32_e32 v8, v8, v6, vcc
	v_cndmask_b32_e32 v7, v7, v6, vcc
	v_cndmask_b32_e64 v9, v8, v27, s[12:13]
	v_cndmask_b32_e64 v8, v7, v27, s[12:13]
	s_movk_i32 s6, 0x1f8
	v_cmp_neq_f32_e32 vcc, v9, v8
	v_cmp_class_f32_e64 s[4:5], v9, s6
	s_or_b64 s[8:9], vcc, s[4:5]
	v_mov_b32_e32 v7, v6
	s_and_saveexec_b64 s[4:5], s[8:9]
	s_cbranch_execz .LBB157_193
; %bb.192:
	v_sub_f32_e32 v7, v9, v8
	s_mov_b32 s7, 0x3fb8aa3b
	v_mul_f32_e32 v9, 0x3fb8aa3b, v7
	v_fma_f32 v10, v7, s7, -v9
	v_rndne_f32_e32 v11, v9
	v_fmac_f32_e32 v10, 0x32a5705f, v7
	v_sub_f32_e32 v9, v9, v11
	v_add_f32_e32 v9, v9, v10
	v_exp_f32_e32 v9, v9
	v_cvt_i32_f32_e32 v10, v11
	s_mov_b32 s7, 0xc2ce8ed0
	v_cmp_ngt_f32_e32 vcc, s7, v7
	s_mov_b32 s7, 0x42b17218
	v_ldexp_f32 v9, v9, v10
	v_cndmask_b32_e32 v9, 0, v9, vcc
	v_mov_b32_e32 v11, 0x7f800000
	v_cmp_nlt_f32_e32 vcc, s7, v7
	v_cndmask_b32_e32 v7, v11, v9, vcc
	v_add_f32_e32 v12, 1.0, v7
	v_cvt_f64_f32_e32 v[9:10], v12
	v_add_f32_e32 v13, -1.0, v12
	v_sub_f32_e32 v14, v13, v12
	v_sub_f32_e32 v13, v7, v13
	v_frexp_exp_i32_f64_e32 v9, v[9:10]
	v_add_f32_e32 v10, 1.0, v14
	v_add_f32_e32 v10, v13, v10
	v_frexp_mant_f32_e32 v13, v12
	s_mov_b32 s8, 0x3f2aaaab
	v_cmp_gt_f32_e32 vcc, s8, v13
	s_mov_b32 s8, 0x3f317218
	s_mov_b32 s7, 0x7f800000
	v_subbrev_co_u32_e32 v9, vcc, 0, v9, vcc
	v_sub_u32_e32 v13, 0, v9
	v_ldexp_f32 v12, v12, v13
	v_ldexp_f32 v10, v10, v13
	v_add_f32_e32 v13, -1.0, v12
	v_add_f32_e32 v42, 1.0, v12
	v_add_f32_e32 v14, 1.0, v13
	v_add_f32_e32 v43, -1.0, v42
	v_sub_f32_e32 v14, v12, v14
	v_sub_f32_e32 v12, v12, v43
	v_add_f32_e32 v14, v10, v14
	v_add_f32_e32 v10, v10, v12
	;; [unrolled: 1-line block ×3, first 2 shown]
	v_rcp_f32_e32 v43, v12
	v_add_f32_e32 v41, v13, v14
	v_sub_f32_e32 v13, v13, v41
	v_add_f32_e32 v13, v14, v13
	v_sub_f32_e32 v14, v42, v12
	v_add_f32_e32 v10, v10, v14
	v_mul_f32_e32 v14, v41, v43
	v_mul_f32_e32 v42, v12, v14
	v_fma_f32 v44, v14, v12, -v42
	v_fmac_f32_e32 v44, v14, v10
	v_add_f32_e32 v45, v42, v44
	v_sub_f32_e32 v46, v41, v45
	v_sub_f32_e32 v41, v41, v46
	;; [unrolled: 1-line block ×4, first 2 shown]
	v_add_f32_e32 v13, v13, v41
	v_sub_f32_e32 v41, v42, v44
	v_add_f32_e32 v13, v41, v13
	v_add_f32_e32 v41, v46, v13
	v_mul_f32_e32 v42, v43, v41
	v_mul_f32_e32 v44, v12, v42
	v_fma_f32 v12, v42, v12, -v44
	v_fmac_f32_e32 v12, v42, v10
	v_sub_f32_e32 v10, v46, v41
	v_add_f32_e32 v10, v13, v10
	v_add_f32_e32 v13, v44, v12
	v_sub_f32_e32 v45, v41, v13
	v_sub_f32_e32 v41, v41, v45
	;; [unrolled: 1-line block ×4, first 2 shown]
	v_add_f32_e32 v10, v10, v13
	v_sub_f32_e32 v12, v44, v12
	v_add_f32_e32 v10, v12, v10
	v_add_f32_e32 v12, v14, v42
	;; [unrolled: 1-line block ×3, first 2 shown]
	v_sub_f32_e32 v13, v12, v14
	v_mul_f32_e32 v10, v43, v10
	v_sub_f32_e32 v13, v42, v13
	v_add_f32_e32 v10, v13, v10
	v_cvt_f32_i32_e32 v9, v9
	v_add_f32_e32 v13, v12, v10
	v_mul_f32_e32 v14, v13, v13
	v_mov_b32_e32 v41, 0x3ecc95a3
	v_fmac_f32_e32 v41, 0x3e9b6dac, v14
	v_mov_b32_e32 v42, 0x3f2aaada
	v_fmac_f32_e32 v42, v14, v41
	v_mul_f32_e32 v41, 0x3f317218, v9
	v_fma_f32 v43, v9, s8, -v41
	v_fmac_f32_e32 v43, 0xb102e308, v9
	v_sub_f32_e32 v9, v13, v12
	v_sub_f32_e32 v9, v10, v9
	v_add_f32_e32 v10, v41, v43
	v_sub_f32_e32 v12, v10, v41
	v_ldexp_f32 v41, v13, 1
	v_mul_f32_e32 v13, v13, v14
	v_mul_f32_e32 v13, v13, v42
	v_add_f32_e32 v14, v41, v13
	v_sub_f32_e32 v41, v14, v41
	v_ldexp_f32 v9, v9, 1
	v_sub_f32_e32 v13, v13, v41
	v_add_f32_e32 v9, v9, v13
	v_add_f32_e32 v13, v14, v9
	v_sub_f32_e32 v14, v13, v14
	v_sub_f32_e32 v9, v9, v14
	v_add_f32_e32 v14, v10, v13
	v_sub_f32_e32 v41, v14, v10
	v_sub_f32_e32 v42, v14, v41
	;; [unrolled: 1-line block ×5, first 2 shown]
	v_add_f32_e32 v10, v13, v10
	v_add_f32_e32 v13, v12, v9
	v_sub_f32_e32 v41, v13, v12
	v_sub_f32_e32 v42, v13, v41
	;; [unrolled: 1-line block ×4, first 2 shown]
	v_add_f32_e32 v10, v13, v10
	v_add_f32_e32 v9, v9, v12
	;; [unrolled: 1-line block ×3, first 2 shown]
	v_sub_f32_e32 v13, v12, v14
	v_sub_f32_e32 v10, v10, v13
	v_add_f32_e32 v9, v9, v10
	v_add_f32_e32 v9, v12, v9
	v_cmp_neq_f32_e32 vcc, s7, v7
	s_mov_b32 s7, 0x33800000
	v_cndmask_b32_e32 v9, v11, v9, vcc
	v_cmp_lt_f32_e64 vcc, |v7|, s7
	v_cndmask_b32_e32 v7, v9, v7, vcc
	v_add_f32_e32 v7, v8, v7
.LBB157_193:
	s_or_b64 exec, exec, s[4:5]
	v_max_f32_e32 v8, v7, v7
	v_min_f32_e32 v9, v8, v15
	v_cmp_u_f32_e32 vcc, v7, v7
	v_max_f32_e32 v8, v8, v15
	v_cndmask_b32_e32 v9, v9, v7, vcc
	v_cndmask_b32_e32 v8, v8, v7, vcc
	v_cndmask_b32_e64 v10, v9, v28, s[14:15]
	v_cndmask_b32_e64 v9, v8, v28, s[14:15]
	v_cmp_neq_f32_e32 vcc, v10, v9
	v_cmp_class_f32_e64 s[4:5], v10, s6
	s_or_b64 s[6:7], vcc, s[4:5]
	v_mov_b32_e32 v8, v7
	s_and_saveexec_b64 s[4:5], s[6:7]
	s_cbranch_execz .LBB157_195
; %bb.194:
	v_sub_f32_e32 v8, v10, v9
	s_mov_b32 s6, 0x3fb8aa3b
	v_mul_f32_e32 v10, 0x3fb8aa3b, v8
	v_fma_f32 v11, v8, s6, -v10
	v_rndne_f32_e32 v12, v10
	v_fmac_f32_e32 v11, 0x32a5705f, v8
	v_sub_f32_e32 v10, v10, v12
	v_add_f32_e32 v10, v10, v11
	v_exp_f32_e32 v10, v10
	v_cvt_i32_f32_e32 v11, v12
	s_mov_b32 s6, 0xc2ce8ed0
	v_cmp_ngt_f32_e32 vcc, s6, v8
	s_mov_b32 s6, 0x42b17218
	v_ldexp_f32 v10, v10, v11
	v_cndmask_b32_e32 v10, 0, v10, vcc
	v_mov_b32_e32 v12, 0x7f800000
	v_cmp_nlt_f32_e32 vcc, s6, v8
	v_cndmask_b32_e32 v8, v12, v10, vcc
	v_add_f32_e32 v13, 1.0, v8
	v_cvt_f64_f32_e32 v[10:11], v13
	v_add_f32_e32 v14, -1.0, v13
	v_sub_f32_e32 v15, v14, v13
	v_sub_f32_e32 v14, v8, v14
	v_frexp_exp_i32_f64_e32 v10, v[10:11]
	v_add_f32_e32 v11, 1.0, v15
	v_add_f32_e32 v11, v14, v11
	v_frexp_mant_f32_e32 v14, v13
	s_mov_b32 s7, 0x3f2aaaab
	v_cmp_gt_f32_e32 vcc, s7, v14
	s_mov_b32 s7, 0x3f317218
	s_mov_b32 s6, 0x7f800000
	v_subbrev_co_u32_e32 v10, vcc, 0, v10, vcc
	v_sub_u32_e32 v14, 0, v10
	v_ldexp_f32 v13, v13, v14
	v_ldexp_f32 v11, v11, v14
	v_add_f32_e32 v14, -1.0, v13
	v_add_f32_e32 v42, 1.0, v13
	v_add_f32_e32 v15, 1.0, v14
	v_add_f32_e32 v43, -1.0, v42
	v_sub_f32_e32 v15, v13, v15
	v_sub_f32_e32 v13, v13, v43
	v_add_f32_e32 v15, v11, v15
	v_add_f32_e32 v11, v11, v13
	;; [unrolled: 1-line block ×3, first 2 shown]
	v_rcp_f32_e32 v43, v13
	v_add_f32_e32 v41, v14, v15
	v_sub_f32_e32 v14, v14, v41
	v_add_f32_e32 v14, v15, v14
	v_sub_f32_e32 v15, v42, v13
	v_add_f32_e32 v11, v11, v15
	v_mul_f32_e32 v15, v41, v43
	v_mul_f32_e32 v42, v13, v15
	v_fma_f32 v44, v15, v13, -v42
	v_fmac_f32_e32 v44, v15, v11
	v_add_f32_e32 v45, v42, v44
	v_sub_f32_e32 v46, v41, v45
	v_sub_f32_e32 v41, v41, v46
	;; [unrolled: 1-line block ×4, first 2 shown]
	v_add_f32_e32 v14, v14, v41
	v_sub_f32_e32 v41, v42, v44
	v_add_f32_e32 v14, v41, v14
	v_add_f32_e32 v41, v46, v14
	v_mul_f32_e32 v42, v43, v41
	v_mul_f32_e32 v44, v13, v42
	v_fma_f32 v13, v42, v13, -v44
	v_fmac_f32_e32 v13, v42, v11
	v_sub_f32_e32 v11, v46, v41
	v_add_f32_e32 v11, v14, v11
	v_add_f32_e32 v14, v44, v13
	v_sub_f32_e32 v45, v41, v14
	v_sub_f32_e32 v41, v41, v45
	;; [unrolled: 1-line block ×4, first 2 shown]
	v_add_f32_e32 v11, v11, v14
	v_sub_f32_e32 v13, v44, v13
	v_add_f32_e32 v11, v13, v11
	v_add_f32_e32 v13, v15, v42
	;; [unrolled: 1-line block ×3, first 2 shown]
	v_sub_f32_e32 v14, v13, v15
	v_mul_f32_e32 v11, v43, v11
	v_sub_f32_e32 v14, v42, v14
	v_add_f32_e32 v11, v14, v11
	v_cvt_f32_i32_e32 v10, v10
	v_add_f32_e32 v14, v13, v11
	v_mul_f32_e32 v15, v14, v14
	v_mov_b32_e32 v41, 0x3ecc95a3
	v_fmac_f32_e32 v41, 0x3e9b6dac, v15
	v_mov_b32_e32 v42, 0x3f2aaada
	v_fmac_f32_e32 v42, v15, v41
	v_mul_f32_e32 v41, 0x3f317218, v10
	v_fma_f32 v43, v10, s7, -v41
	v_fmac_f32_e32 v43, 0xb102e308, v10
	v_sub_f32_e32 v10, v14, v13
	v_sub_f32_e32 v10, v11, v10
	v_add_f32_e32 v11, v41, v43
	v_sub_f32_e32 v13, v11, v41
	v_ldexp_f32 v41, v14, 1
	v_mul_f32_e32 v14, v14, v15
	v_mul_f32_e32 v14, v14, v42
	v_add_f32_e32 v15, v41, v14
	v_sub_f32_e32 v41, v15, v41
	v_ldexp_f32 v10, v10, 1
	v_sub_f32_e32 v14, v14, v41
	v_add_f32_e32 v10, v10, v14
	v_add_f32_e32 v14, v15, v10
	v_sub_f32_e32 v15, v14, v15
	v_sub_f32_e32 v10, v10, v15
	v_add_f32_e32 v15, v11, v14
	v_sub_f32_e32 v41, v15, v11
	v_sub_f32_e32 v42, v15, v41
	;; [unrolled: 1-line block ×5, first 2 shown]
	v_add_f32_e32 v11, v14, v11
	v_add_f32_e32 v14, v13, v10
	v_sub_f32_e32 v41, v14, v13
	v_sub_f32_e32 v42, v14, v41
	;; [unrolled: 1-line block ×4, first 2 shown]
	v_add_f32_e32 v11, v14, v11
	v_add_f32_e32 v10, v10, v13
	;; [unrolled: 1-line block ×3, first 2 shown]
	v_sub_f32_e32 v14, v13, v15
	v_sub_f32_e32 v11, v11, v14
	v_add_f32_e32 v10, v10, v11
	v_add_f32_e32 v10, v13, v10
	v_cmp_neq_f32_e32 vcc, s6, v8
	s_mov_b32 s6, 0x33800000
	v_cndmask_b32_e32 v10, v12, v10, vcc
	v_cmp_lt_f32_e64 vcc, |v8|, s6
	v_cndmask_b32_e32 v8, v10, v8, vcc
	v_add_f32_e32 v8, v9, v8
.LBB157_195:
	s_or_b64 exec, exec, s[4:5]
	v_max_f32_e32 v9, v8, v8
	v_min_f32_e32 v10, v9, v16
	v_cmp_u_f32_e32 vcc, v8, v8
	v_max_f32_e32 v9, v9, v16
	v_cndmask_b32_e32 v10, v10, v8, vcc
	v_cndmask_b32_e32 v9, v9, v8, vcc
	v_cndmask_b32_e64 v11, v10, v25, s[16:17]
	v_cndmask_b32_e64 v10, v9, v25, s[16:17]
	s_movk_i32 s6, 0x1f8
	v_cmp_neq_f32_e32 vcc, v11, v10
	v_cmp_class_f32_e64 s[4:5], v11, s6
	s_or_b64 s[8:9], vcc, s[4:5]
	v_mov_b32_e32 v9, v8
	s_and_saveexec_b64 s[4:5], s[8:9]
	s_cbranch_execz .LBB157_197
; %bb.196:
	v_sub_f32_e32 v9, v11, v10
	s_mov_b32 s7, 0x3fb8aa3b
	v_mul_f32_e32 v11, 0x3fb8aa3b, v9
	v_fma_f32 v12, v9, s7, -v11
	v_rndne_f32_e32 v13, v11
	v_fmac_f32_e32 v12, 0x32a5705f, v9
	v_sub_f32_e32 v11, v11, v13
	v_add_f32_e32 v11, v11, v12
	v_exp_f32_e32 v11, v11
	v_cvt_i32_f32_e32 v12, v13
	s_mov_b32 s7, 0xc2ce8ed0
	v_cmp_ngt_f32_e32 vcc, s7, v9
	s_mov_b32 s7, 0x42b17218
	v_ldexp_f32 v11, v11, v12
	v_cndmask_b32_e32 v11, 0, v11, vcc
	v_mov_b32_e32 v13, 0x7f800000
	v_cmp_nlt_f32_e32 vcc, s7, v9
	v_cndmask_b32_e32 v9, v13, v11, vcc
	v_add_f32_e32 v14, 1.0, v9
	v_cvt_f64_f32_e32 v[11:12], v14
	v_add_f32_e32 v15, -1.0, v14
	v_sub_f32_e32 v16, v15, v14
	v_sub_f32_e32 v15, v9, v15
	v_frexp_exp_i32_f64_e32 v11, v[11:12]
	v_add_f32_e32 v12, 1.0, v16
	v_add_f32_e32 v12, v15, v12
	v_frexp_mant_f32_e32 v15, v14
	s_mov_b32 s8, 0x3f2aaaab
	v_cmp_gt_f32_e32 vcc, s8, v15
	s_mov_b32 s8, 0x3f317218
	s_mov_b32 s7, 0x7f800000
	v_subbrev_co_u32_e32 v11, vcc, 0, v11, vcc
	v_sub_u32_e32 v15, 0, v11
	v_ldexp_f32 v14, v14, v15
	v_ldexp_f32 v12, v12, v15
	v_add_f32_e32 v15, -1.0, v14
	v_add_f32_e32 v42, 1.0, v14
	v_add_f32_e32 v16, 1.0, v15
	v_add_f32_e32 v43, -1.0, v42
	v_sub_f32_e32 v16, v14, v16
	v_sub_f32_e32 v14, v14, v43
	v_add_f32_e32 v16, v12, v16
	v_add_f32_e32 v12, v12, v14
	;; [unrolled: 1-line block ×3, first 2 shown]
	v_rcp_f32_e32 v43, v14
	v_add_f32_e32 v41, v15, v16
	v_sub_f32_e32 v15, v15, v41
	v_add_f32_e32 v15, v16, v15
	v_sub_f32_e32 v16, v42, v14
	v_add_f32_e32 v12, v12, v16
	v_mul_f32_e32 v16, v41, v43
	v_mul_f32_e32 v42, v14, v16
	v_fma_f32 v44, v16, v14, -v42
	v_fmac_f32_e32 v44, v16, v12
	v_add_f32_e32 v45, v42, v44
	v_sub_f32_e32 v46, v41, v45
	v_sub_f32_e32 v41, v41, v46
	;; [unrolled: 1-line block ×4, first 2 shown]
	v_add_f32_e32 v15, v15, v41
	v_sub_f32_e32 v41, v42, v44
	v_add_f32_e32 v15, v41, v15
	v_add_f32_e32 v41, v46, v15
	v_mul_f32_e32 v42, v43, v41
	v_mul_f32_e32 v44, v14, v42
	v_fma_f32 v14, v42, v14, -v44
	v_fmac_f32_e32 v14, v42, v12
	v_sub_f32_e32 v12, v46, v41
	v_add_f32_e32 v12, v15, v12
	v_add_f32_e32 v15, v44, v14
	v_sub_f32_e32 v45, v41, v15
	v_sub_f32_e32 v41, v41, v45
	v_sub_f32_e32 v44, v15, v44
	v_sub_f32_e32 v15, v41, v15
	v_add_f32_e32 v12, v12, v15
	v_sub_f32_e32 v14, v44, v14
	v_add_f32_e32 v12, v14, v12
	v_add_f32_e32 v14, v16, v42
	;; [unrolled: 1-line block ×3, first 2 shown]
	v_sub_f32_e32 v15, v14, v16
	v_mul_f32_e32 v12, v43, v12
	v_sub_f32_e32 v15, v42, v15
	v_add_f32_e32 v12, v15, v12
	v_cvt_f32_i32_e32 v11, v11
	v_add_f32_e32 v15, v14, v12
	v_mul_f32_e32 v16, v15, v15
	v_mov_b32_e32 v41, 0x3ecc95a3
	v_fmac_f32_e32 v41, 0x3e9b6dac, v16
	v_mov_b32_e32 v42, 0x3f2aaada
	v_fmac_f32_e32 v42, v16, v41
	v_mul_f32_e32 v41, 0x3f317218, v11
	v_fma_f32 v43, v11, s8, -v41
	v_fmac_f32_e32 v43, 0xb102e308, v11
	v_sub_f32_e32 v11, v15, v14
	v_sub_f32_e32 v11, v12, v11
	v_add_f32_e32 v12, v41, v43
	v_sub_f32_e32 v14, v12, v41
	v_ldexp_f32 v41, v15, 1
	v_mul_f32_e32 v15, v15, v16
	v_mul_f32_e32 v15, v15, v42
	v_add_f32_e32 v16, v41, v15
	v_sub_f32_e32 v41, v16, v41
	v_ldexp_f32 v11, v11, 1
	v_sub_f32_e32 v15, v15, v41
	v_add_f32_e32 v11, v11, v15
	v_add_f32_e32 v15, v16, v11
	v_sub_f32_e32 v16, v15, v16
	v_sub_f32_e32 v11, v11, v16
	v_add_f32_e32 v16, v12, v15
	v_sub_f32_e32 v41, v16, v12
	v_sub_f32_e32 v42, v16, v41
	v_sub_f32_e32 v14, v43, v14
	v_sub_f32_e32 v12, v12, v42
	v_sub_f32_e32 v15, v15, v41
	v_add_f32_e32 v12, v15, v12
	v_add_f32_e32 v15, v14, v11
	v_sub_f32_e32 v41, v15, v14
	v_sub_f32_e32 v42, v15, v41
	;; [unrolled: 1-line block ×4, first 2 shown]
	v_add_f32_e32 v12, v15, v12
	v_add_f32_e32 v11, v11, v14
	;; [unrolled: 1-line block ×3, first 2 shown]
	v_sub_f32_e32 v15, v14, v16
	v_sub_f32_e32 v12, v12, v15
	v_add_f32_e32 v11, v11, v12
	v_add_f32_e32 v11, v14, v11
	v_cmp_neq_f32_e32 vcc, s7, v9
	s_mov_b32 s7, 0x33800000
	v_cndmask_b32_e32 v11, v13, v11, vcc
	v_cmp_lt_f32_e64 vcc, |v9|, s7
	v_cndmask_b32_e32 v9, v11, v9, vcc
	v_add_f32_e32 v9, v10, v9
.LBB157_197:
	s_or_b64 exec, exec, s[4:5]
	v_max_f32_e32 v10, v9, v9
	v_min_f32_e32 v11, v10, v17
	v_cmp_u_f32_e32 vcc, v9, v9
	v_max_f32_e32 v10, v10, v17
	v_cndmask_b32_e32 v11, v11, v9, vcc
	v_cndmask_b32_e32 v10, v10, v9, vcc
	v_cndmask_b32_e64 v12, v11, v26, s[18:19]
	v_cndmask_b32_e64 v11, v10, v26, s[18:19]
	v_cmp_neq_f32_e32 vcc, v12, v11
	v_cmp_class_f32_e64 s[4:5], v12, s6
	s_or_b64 s[6:7], vcc, s[4:5]
	v_mov_b32_e32 v10, v9
	s_and_saveexec_b64 s[4:5], s[6:7]
	s_cbranch_execz .LBB157_199
; %bb.198:
	v_sub_f32_e32 v10, v12, v11
	s_mov_b32 s6, 0x3fb8aa3b
	v_mul_f32_e32 v12, 0x3fb8aa3b, v10
	v_fma_f32 v13, v10, s6, -v12
	v_rndne_f32_e32 v14, v12
	v_fmac_f32_e32 v13, 0x32a5705f, v10
	v_sub_f32_e32 v12, v12, v14
	v_add_f32_e32 v12, v12, v13
	v_exp_f32_e32 v12, v12
	v_cvt_i32_f32_e32 v13, v14
	s_mov_b32 s6, 0xc2ce8ed0
	v_cmp_ngt_f32_e32 vcc, s6, v10
	s_mov_b32 s6, 0x42b17218
	v_ldexp_f32 v12, v12, v13
	v_cndmask_b32_e32 v12, 0, v12, vcc
	v_mov_b32_e32 v14, 0x7f800000
	v_cmp_nlt_f32_e32 vcc, s6, v10
	v_cndmask_b32_e32 v10, v14, v12, vcc
	v_add_f32_e32 v15, 1.0, v10
	v_cvt_f64_f32_e32 v[12:13], v15
	v_add_f32_e32 v16, -1.0, v15
	v_sub_f32_e32 v17, v16, v15
	v_sub_f32_e32 v16, v10, v16
	v_frexp_exp_i32_f64_e32 v12, v[12:13]
	v_add_f32_e32 v13, 1.0, v17
	v_add_f32_e32 v13, v16, v13
	v_frexp_mant_f32_e32 v16, v15
	s_mov_b32 s7, 0x3f2aaaab
	v_cmp_gt_f32_e32 vcc, s7, v16
	s_mov_b32 s7, 0x3f317218
	s_mov_b32 s6, 0x7f800000
	v_subbrev_co_u32_e32 v12, vcc, 0, v12, vcc
	v_sub_u32_e32 v16, 0, v12
	v_ldexp_f32 v15, v15, v16
	v_ldexp_f32 v13, v13, v16
	v_add_f32_e32 v16, -1.0, v15
	v_add_f32_e32 v42, 1.0, v15
	v_add_f32_e32 v17, 1.0, v16
	v_add_f32_e32 v43, -1.0, v42
	v_sub_f32_e32 v17, v15, v17
	v_sub_f32_e32 v15, v15, v43
	v_add_f32_e32 v17, v13, v17
	v_add_f32_e32 v13, v13, v15
	v_add_f32_e32 v15, v42, v13
	v_rcp_f32_e32 v43, v15
	v_add_f32_e32 v41, v16, v17
	v_sub_f32_e32 v16, v16, v41
	v_add_f32_e32 v16, v17, v16
	v_sub_f32_e32 v17, v42, v15
	v_add_f32_e32 v13, v13, v17
	v_mul_f32_e32 v17, v41, v43
	v_mul_f32_e32 v42, v15, v17
	v_fma_f32 v44, v17, v15, -v42
	v_fmac_f32_e32 v44, v17, v13
	v_add_f32_e32 v45, v42, v44
	v_sub_f32_e32 v46, v41, v45
	v_sub_f32_e32 v41, v41, v46
	;; [unrolled: 1-line block ×4, first 2 shown]
	v_add_f32_e32 v16, v16, v41
	v_sub_f32_e32 v41, v42, v44
	v_add_f32_e32 v16, v41, v16
	v_add_f32_e32 v41, v46, v16
	v_mul_f32_e32 v42, v43, v41
	v_mul_f32_e32 v44, v15, v42
	v_fma_f32 v15, v42, v15, -v44
	v_fmac_f32_e32 v15, v42, v13
	v_sub_f32_e32 v13, v46, v41
	v_add_f32_e32 v13, v16, v13
	v_add_f32_e32 v16, v44, v15
	v_sub_f32_e32 v45, v41, v16
	v_sub_f32_e32 v41, v41, v45
	;; [unrolled: 1-line block ×4, first 2 shown]
	v_add_f32_e32 v13, v13, v16
	v_sub_f32_e32 v15, v44, v15
	v_add_f32_e32 v13, v15, v13
	v_add_f32_e32 v15, v17, v42
	;; [unrolled: 1-line block ×3, first 2 shown]
	v_sub_f32_e32 v16, v15, v17
	v_mul_f32_e32 v13, v43, v13
	v_sub_f32_e32 v16, v42, v16
	v_add_f32_e32 v13, v16, v13
	v_cvt_f32_i32_e32 v12, v12
	v_add_f32_e32 v16, v15, v13
	v_mul_f32_e32 v17, v16, v16
	v_mov_b32_e32 v41, 0x3ecc95a3
	v_fmac_f32_e32 v41, 0x3e9b6dac, v17
	v_mov_b32_e32 v42, 0x3f2aaada
	v_fmac_f32_e32 v42, v17, v41
	v_mul_f32_e32 v41, 0x3f317218, v12
	v_fma_f32 v43, v12, s7, -v41
	v_fmac_f32_e32 v43, 0xb102e308, v12
	v_sub_f32_e32 v12, v16, v15
	v_sub_f32_e32 v12, v13, v12
	v_add_f32_e32 v13, v41, v43
	v_sub_f32_e32 v15, v13, v41
	v_ldexp_f32 v41, v16, 1
	v_mul_f32_e32 v16, v16, v17
	v_mul_f32_e32 v16, v16, v42
	v_add_f32_e32 v17, v41, v16
	v_sub_f32_e32 v41, v17, v41
	v_ldexp_f32 v12, v12, 1
	v_sub_f32_e32 v16, v16, v41
	v_add_f32_e32 v12, v12, v16
	v_add_f32_e32 v16, v17, v12
	v_sub_f32_e32 v17, v16, v17
	v_sub_f32_e32 v12, v12, v17
	v_add_f32_e32 v17, v13, v16
	v_sub_f32_e32 v41, v17, v13
	v_sub_f32_e32 v42, v17, v41
	;; [unrolled: 1-line block ×5, first 2 shown]
	v_add_f32_e32 v13, v16, v13
	v_add_f32_e32 v16, v15, v12
	v_sub_f32_e32 v41, v16, v15
	v_sub_f32_e32 v42, v16, v41
	;; [unrolled: 1-line block ×4, first 2 shown]
	v_add_f32_e32 v13, v16, v13
	v_add_f32_e32 v12, v12, v15
	;; [unrolled: 1-line block ×3, first 2 shown]
	v_sub_f32_e32 v16, v15, v17
	v_sub_f32_e32 v13, v13, v16
	v_add_f32_e32 v12, v12, v13
	v_add_f32_e32 v12, v15, v12
	v_cmp_neq_f32_e32 vcc, s6, v10
	s_mov_b32 s6, 0x33800000
	v_cndmask_b32_e32 v12, v14, v12, vcc
	v_cmp_lt_f32_e64 vcc, |v10|, s6
	v_cndmask_b32_e32 v10, v12, v10, vcc
	v_add_f32_e32 v10, v11, v10
.LBB157_199:
	s_or_b64 exec, exec, s[4:5]
	v_max_f32_e32 v11, v10, v10
	v_min_f32_e32 v12, v11, v18
	v_cmp_u_f32_e32 vcc, v10, v10
	v_max_f32_e32 v11, v11, v18
	v_cndmask_b32_e32 v12, v12, v10, vcc
	v_cndmask_b32_e32 v11, v11, v10, vcc
	v_cndmask_b32_e64 v13, v12, v23, s[20:21]
	v_cndmask_b32_e64 v12, v11, v23, s[20:21]
	s_movk_i32 s6, 0x1f8
	v_cmp_neq_f32_e32 vcc, v13, v12
	v_cmp_class_f32_e64 s[4:5], v13, s6
	s_or_b64 s[8:9], vcc, s[4:5]
	v_mov_b32_e32 v11, v10
	s_and_saveexec_b64 s[4:5], s[8:9]
	s_cbranch_execz .LBB157_201
; %bb.200:
	v_sub_f32_e32 v11, v13, v12
	s_mov_b32 s7, 0x3fb8aa3b
	v_mul_f32_e32 v13, 0x3fb8aa3b, v11
	v_fma_f32 v14, v11, s7, -v13
	v_rndne_f32_e32 v15, v13
	v_fmac_f32_e32 v14, 0x32a5705f, v11
	v_sub_f32_e32 v13, v13, v15
	v_add_f32_e32 v13, v13, v14
	v_exp_f32_e32 v13, v13
	v_cvt_i32_f32_e32 v14, v15
	s_mov_b32 s7, 0xc2ce8ed0
	v_cmp_ngt_f32_e32 vcc, s7, v11
	s_mov_b32 s7, 0x42b17218
	v_ldexp_f32 v13, v13, v14
	v_cndmask_b32_e32 v13, 0, v13, vcc
	v_mov_b32_e32 v15, 0x7f800000
	v_cmp_nlt_f32_e32 vcc, s7, v11
	v_cndmask_b32_e32 v11, v15, v13, vcc
	v_add_f32_e32 v16, 1.0, v11
	v_cvt_f64_f32_e32 v[13:14], v16
	v_add_f32_e32 v17, -1.0, v16
	v_sub_f32_e32 v18, v17, v16
	v_sub_f32_e32 v17, v11, v17
	v_frexp_exp_i32_f64_e32 v13, v[13:14]
	v_add_f32_e32 v14, 1.0, v18
	v_add_f32_e32 v14, v17, v14
	v_frexp_mant_f32_e32 v17, v16
	s_mov_b32 s8, 0x3f2aaaab
	v_cmp_gt_f32_e32 vcc, s8, v17
	s_mov_b32 s8, 0x3f317218
	s_mov_b32 s7, 0x7f800000
	v_subbrev_co_u32_e32 v13, vcc, 0, v13, vcc
	v_sub_u32_e32 v17, 0, v13
	v_ldexp_f32 v16, v16, v17
	v_ldexp_f32 v14, v14, v17
	v_add_f32_e32 v17, -1.0, v16
	v_add_f32_e32 v42, 1.0, v16
	v_add_f32_e32 v18, 1.0, v17
	v_add_f32_e32 v43, -1.0, v42
	v_sub_f32_e32 v18, v16, v18
	v_sub_f32_e32 v16, v16, v43
	v_add_f32_e32 v18, v14, v18
	v_add_f32_e32 v14, v14, v16
	;; [unrolled: 1-line block ×3, first 2 shown]
	v_rcp_f32_e32 v43, v16
	v_add_f32_e32 v41, v17, v18
	v_sub_f32_e32 v17, v17, v41
	v_add_f32_e32 v17, v18, v17
	v_sub_f32_e32 v18, v42, v16
	v_add_f32_e32 v14, v14, v18
	v_mul_f32_e32 v18, v41, v43
	v_mul_f32_e32 v42, v16, v18
	v_fma_f32 v44, v18, v16, -v42
	v_fmac_f32_e32 v44, v18, v14
	v_add_f32_e32 v45, v42, v44
	v_sub_f32_e32 v46, v41, v45
	v_sub_f32_e32 v41, v41, v46
	;; [unrolled: 1-line block ×4, first 2 shown]
	v_add_f32_e32 v17, v17, v41
	v_sub_f32_e32 v41, v42, v44
	v_add_f32_e32 v17, v41, v17
	v_add_f32_e32 v41, v46, v17
	v_mul_f32_e32 v42, v43, v41
	v_mul_f32_e32 v44, v16, v42
	v_fma_f32 v16, v42, v16, -v44
	v_fmac_f32_e32 v16, v42, v14
	v_sub_f32_e32 v14, v46, v41
	v_add_f32_e32 v14, v17, v14
	v_add_f32_e32 v17, v44, v16
	v_sub_f32_e32 v45, v41, v17
	v_sub_f32_e32 v41, v41, v45
	;; [unrolled: 1-line block ×4, first 2 shown]
	v_add_f32_e32 v14, v14, v17
	v_sub_f32_e32 v16, v44, v16
	v_add_f32_e32 v14, v16, v14
	v_add_f32_e32 v16, v18, v42
	;; [unrolled: 1-line block ×3, first 2 shown]
	v_sub_f32_e32 v17, v16, v18
	v_mul_f32_e32 v14, v43, v14
	v_sub_f32_e32 v17, v42, v17
	v_add_f32_e32 v14, v17, v14
	v_cvt_f32_i32_e32 v13, v13
	v_add_f32_e32 v17, v16, v14
	v_mul_f32_e32 v18, v17, v17
	v_mov_b32_e32 v41, 0x3ecc95a3
	v_fmac_f32_e32 v41, 0x3e9b6dac, v18
	v_mov_b32_e32 v42, 0x3f2aaada
	v_fmac_f32_e32 v42, v18, v41
	v_mul_f32_e32 v41, 0x3f317218, v13
	v_fma_f32 v43, v13, s8, -v41
	v_fmac_f32_e32 v43, 0xb102e308, v13
	v_sub_f32_e32 v13, v17, v16
	v_sub_f32_e32 v13, v14, v13
	v_add_f32_e32 v14, v41, v43
	v_sub_f32_e32 v16, v14, v41
	v_ldexp_f32 v41, v17, 1
	v_mul_f32_e32 v17, v17, v18
	v_mul_f32_e32 v17, v17, v42
	v_add_f32_e32 v18, v41, v17
	v_sub_f32_e32 v41, v18, v41
	v_ldexp_f32 v13, v13, 1
	v_sub_f32_e32 v17, v17, v41
	v_add_f32_e32 v13, v13, v17
	v_add_f32_e32 v17, v18, v13
	v_sub_f32_e32 v18, v17, v18
	v_sub_f32_e32 v13, v13, v18
	v_add_f32_e32 v18, v14, v17
	v_sub_f32_e32 v41, v18, v14
	v_sub_f32_e32 v42, v18, v41
	;; [unrolled: 1-line block ×5, first 2 shown]
	v_add_f32_e32 v14, v17, v14
	v_add_f32_e32 v17, v16, v13
	v_sub_f32_e32 v41, v17, v16
	v_sub_f32_e32 v42, v17, v41
	;; [unrolled: 1-line block ×4, first 2 shown]
	v_add_f32_e32 v14, v17, v14
	v_add_f32_e32 v13, v13, v16
	;; [unrolled: 1-line block ×3, first 2 shown]
	v_sub_f32_e32 v17, v16, v18
	v_sub_f32_e32 v14, v14, v17
	v_add_f32_e32 v13, v13, v14
	v_add_f32_e32 v13, v16, v13
	v_cmp_neq_f32_e32 vcc, s7, v11
	s_mov_b32 s7, 0x33800000
	v_cndmask_b32_e32 v13, v15, v13, vcc
	v_cmp_lt_f32_e64 vcc, |v11|, s7
	v_cndmask_b32_e32 v11, v13, v11, vcc
	v_add_f32_e32 v11, v12, v11
.LBB157_201:
	s_or_b64 exec, exec, s[4:5]
	v_max_f32_e32 v12, v11, v11
	v_min_f32_e32 v13, v12, v35
	v_cmp_u_f32_e32 vcc, v11, v11
	v_max_f32_e32 v12, v12, v35
	v_cndmask_b32_e32 v13, v13, v11, vcc
	v_cndmask_b32_e32 v12, v12, v11, vcc
	v_cndmask_b32_e64 v14, v13, v24, s[22:23]
	v_cndmask_b32_e64 v13, v12, v24, s[22:23]
	v_cmp_neq_f32_e32 vcc, v14, v13
	v_cmp_class_f32_e64 s[4:5], v14, s6
	s_or_b64 s[6:7], vcc, s[4:5]
	v_mov_b32_e32 v12, v11
	s_and_saveexec_b64 s[4:5], s[6:7]
	s_cbranch_execz .LBB157_203
; %bb.202:
	v_sub_f32_e32 v12, v14, v13
	s_mov_b32 s6, 0x3fb8aa3b
	v_mul_f32_e32 v14, 0x3fb8aa3b, v12
	v_fma_f32 v15, v12, s6, -v14
	v_rndne_f32_e32 v16, v14
	v_fmac_f32_e32 v15, 0x32a5705f, v12
	v_sub_f32_e32 v14, v14, v16
	v_add_f32_e32 v14, v14, v15
	v_exp_f32_e32 v14, v14
	v_cvt_i32_f32_e32 v15, v16
	s_mov_b32 s6, 0xc2ce8ed0
	v_cmp_ngt_f32_e32 vcc, s6, v12
	s_mov_b32 s6, 0x42b17218
	v_ldexp_f32 v14, v14, v15
	v_cndmask_b32_e32 v14, 0, v14, vcc
	v_mov_b32_e32 v16, 0x7f800000
	v_cmp_nlt_f32_e32 vcc, s6, v12
	v_cndmask_b32_e32 v12, v16, v14, vcc
	v_add_f32_e32 v17, 1.0, v12
	v_cvt_f64_f32_e32 v[14:15], v17
	v_add_f32_e32 v18, -1.0, v17
	v_sub_f32_e32 v35, v18, v17
	v_sub_f32_e32 v18, v12, v18
	v_frexp_exp_i32_f64_e32 v14, v[14:15]
	v_add_f32_e32 v15, 1.0, v35
	v_add_f32_e32 v15, v18, v15
	v_frexp_mant_f32_e32 v18, v17
	s_mov_b32 s7, 0x3f2aaaab
	v_cmp_gt_f32_e32 vcc, s7, v18
	s_mov_b32 s7, 0x3f317218
	s_mov_b32 s6, 0x7f800000
	v_subbrev_co_u32_e32 v14, vcc, 0, v14, vcc
	v_sub_u32_e32 v18, 0, v14
	v_ldexp_f32 v17, v17, v18
	v_ldexp_f32 v15, v15, v18
	v_add_f32_e32 v18, -1.0, v17
	v_add_f32_e32 v42, 1.0, v17
	v_add_f32_e32 v35, 1.0, v18
	v_add_f32_e32 v43, -1.0, v42
	v_sub_f32_e32 v35, v17, v35
	v_sub_f32_e32 v17, v17, v43
	v_add_f32_e32 v35, v15, v35
	v_add_f32_e32 v15, v15, v17
	;; [unrolled: 1-line block ×3, first 2 shown]
	v_rcp_f32_e32 v43, v17
	v_add_f32_e32 v41, v18, v35
	v_sub_f32_e32 v18, v18, v41
	v_add_f32_e32 v18, v35, v18
	v_sub_f32_e32 v35, v42, v17
	v_add_f32_e32 v15, v15, v35
	v_mul_f32_e32 v35, v41, v43
	v_mul_f32_e32 v42, v17, v35
	v_fma_f32 v44, v35, v17, -v42
	v_fmac_f32_e32 v44, v35, v15
	v_add_f32_e32 v45, v42, v44
	v_sub_f32_e32 v46, v41, v45
	v_sub_f32_e32 v41, v41, v46
	;; [unrolled: 1-line block ×4, first 2 shown]
	v_add_f32_e32 v18, v18, v41
	v_sub_f32_e32 v41, v42, v44
	v_add_f32_e32 v18, v41, v18
	v_add_f32_e32 v41, v46, v18
	v_mul_f32_e32 v42, v43, v41
	v_mul_f32_e32 v44, v17, v42
	v_fma_f32 v17, v42, v17, -v44
	v_fmac_f32_e32 v17, v42, v15
	v_sub_f32_e32 v15, v46, v41
	v_add_f32_e32 v15, v18, v15
	v_add_f32_e32 v18, v44, v17
	v_sub_f32_e32 v45, v41, v18
	v_sub_f32_e32 v41, v41, v45
	;; [unrolled: 1-line block ×4, first 2 shown]
	v_add_f32_e32 v15, v15, v18
	v_sub_f32_e32 v17, v44, v17
	v_add_f32_e32 v15, v17, v15
	v_add_f32_e32 v17, v35, v42
	;; [unrolled: 1-line block ×3, first 2 shown]
	v_sub_f32_e32 v18, v17, v35
	v_mul_f32_e32 v15, v43, v15
	v_sub_f32_e32 v18, v42, v18
	v_add_f32_e32 v15, v18, v15
	v_cvt_f32_i32_e32 v14, v14
	v_add_f32_e32 v18, v17, v15
	v_mul_f32_e32 v35, v18, v18
	v_mov_b32_e32 v41, 0x3ecc95a3
	v_fmac_f32_e32 v41, 0x3e9b6dac, v35
	v_mov_b32_e32 v42, 0x3f2aaada
	v_fmac_f32_e32 v42, v35, v41
	v_mul_f32_e32 v41, 0x3f317218, v14
	v_fma_f32 v43, v14, s7, -v41
	v_fmac_f32_e32 v43, 0xb102e308, v14
	v_sub_f32_e32 v14, v18, v17
	v_sub_f32_e32 v14, v15, v14
	v_add_f32_e32 v15, v41, v43
	v_sub_f32_e32 v17, v15, v41
	v_ldexp_f32 v41, v18, 1
	v_mul_f32_e32 v18, v18, v35
	v_mul_f32_e32 v18, v18, v42
	v_add_f32_e32 v35, v41, v18
	v_sub_f32_e32 v41, v35, v41
	v_ldexp_f32 v14, v14, 1
	v_sub_f32_e32 v18, v18, v41
	v_add_f32_e32 v14, v14, v18
	v_add_f32_e32 v18, v35, v14
	v_sub_f32_e32 v35, v18, v35
	v_sub_f32_e32 v14, v14, v35
	v_add_f32_e32 v35, v15, v18
	v_sub_f32_e32 v41, v35, v15
	v_sub_f32_e32 v42, v35, v41
	;; [unrolled: 1-line block ×5, first 2 shown]
	v_add_f32_e32 v15, v18, v15
	v_add_f32_e32 v18, v17, v14
	v_sub_f32_e32 v41, v18, v17
	v_sub_f32_e32 v42, v18, v41
	v_sub_f32_e32 v17, v17, v42
	v_sub_f32_e32 v14, v14, v41
	v_add_f32_e32 v15, v18, v15
	v_add_f32_e32 v14, v14, v17
	;; [unrolled: 1-line block ×3, first 2 shown]
	v_sub_f32_e32 v18, v17, v35
	v_sub_f32_e32 v15, v15, v18
	v_add_f32_e32 v14, v14, v15
	v_add_f32_e32 v14, v17, v14
	v_cmp_neq_f32_e32 vcc, s6, v12
	s_mov_b32 s6, 0x33800000
	v_cndmask_b32_e32 v14, v16, v14, vcc
	v_cmp_lt_f32_e64 vcc, |v12|, s6
	v_cndmask_b32_e32 v12, v14, v12, vcc
	v_add_f32_e32 v12, v13, v12
.LBB157_203:
	s_or_b64 exec, exec, s[4:5]
	v_max_f32_e32 v13, v12, v12
	v_min_f32_e32 v14, v13, v36
	v_cmp_u_f32_e32 vcc, v12, v12
	v_max_f32_e32 v13, v13, v36
	v_cndmask_b32_e32 v14, v14, v12, vcc
	v_cndmask_b32_e32 v13, v13, v12, vcc
	v_cndmask_b32_e64 v15, v14, v21, s[24:25]
	v_cndmask_b32_e64 v14, v13, v21, s[24:25]
	s_movk_i32 s6, 0x1f8
	v_cmp_neq_f32_e32 vcc, v15, v14
	v_cmp_class_f32_e64 s[4:5], v15, s6
	s_or_b64 s[8:9], vcc, s[4:5]
	v_mov_b32_e32 v13, v12
	s_and_saveexec_b64 s[4:5], s[8:9]
	s_cbranch_execz .LBB157_205
; %bb.204:
	v_sub_f32_e32 v13, v15, v14
	s_mov_b32 s7, 0x3fb8aa3b
	v_mul_f32_e32 v15, 0x3fb8aa3b, v13
	v_fma_f32 v16, v13, s7, -v15
	v_rndne_f32_e32 v17, v15
	v_fmac_f32_e32 v16, 0x32a5705f, v13
	v_sub_f32_e32 v15, v15, v17
	v_add_f32_e32 v15, v15, v16
	v_exp_f32_e32 v15, v15
	v_cvt_i32_f32_e32 v16, v17
	s_mov_b32 s7, 0xc2ce8ed0
	v_cmp_ngt_f32_e32 vcc, s7, v13
	s_mov_b32 s7, 0x42b17218
	v_ldexp_f32 v15, v15, v16
	v_cndmask_b32_e32 v15, 0, v15, vcc
	v_mov_b32_e32 v17, 0x7f800000
	v_cmp_nlt_f32_e32 vcc, s7, v13
	v_cndmask_b32_e32 v13, v17, v15, vcc
	v_add_f32_e32 v18, 1.0, v13
	v_cvt_f64_f32_e32 v[15:16], v18
	v_add_f32_e32 v35, -1.0, v18
	v_sub_f32_e32 v36, v35, v18
	v_sub_f32_e32 v35, v13, v35
	v_frexp_exp_i32_f64_e32 v15, v[15:16]
	v_add_f32_e32 v16, 1.0, v36
	v_add_f32_e32 v16, v35, v16
	v_frexp_mant_f32_e32 v35, v18
	s_mov_b32 s8, 0x3f2aaaab
	v_cmp_gt_f32_e32 vcc, s8, v35
	s_mov_b32 s8, 0x3f317218
	s_mov_b32 s7, 0x7f800000
	v_subbrev_co_u32_e32 v15, vcc, 0, v15, vcc
	v_sub_u32_e32 v35, 0, v15
	v_ldexp_f32 v18, v18, v35
	v_ldexp_f32 v16, v16, v35
	v_add_f32_e32 v35, -1.0, v18
	v_add_f32_e32 v42, 1.0, v18
	v_add_f32_e32 v36, 1.0, v35
	v_add_f32_e32 v43, -1.0, v42
	v_sub_f32_e32 v36, v18, v36
	v_sub_f32_e32 v18, v18, v43
	v_add_f32_e32 v36, v16, v36
	v_add_f32_e32 v16, v16, v18
	;; [unrolled: 1-line block ×3, first 2 shown]
	v_rcp_f32_e32 v43, v18
	v_add_f32_e32 v41, v35, v36
	v_sub_f32_e32 v35, v35, v41
	v_add_f32_e32 v35, v36, v35
	v_sub_f32_e32 v36, v42, v18
	v_add_f32_e32 v16, v16, v36
	v_mul_f32_e32 v36, v41, v43
	v_mul_f32_e32 v42, v18, v36
	v_fma_f32 v44, v36, v18, -v42
	v_fmac_f32_e32 v44, v36, v16
	v_add_f32_e32 v45, v42, v44
	v_sub_f32_e32 v46, v41, v45
	v_sub_f32_e32 v41, v41, v46
	;; [unrolled: 1-line block ×4, first 2 shown]
	v_add_f32_e32 v35, v35, v41
	v_sub_f32_e32 v41, v42, v44
	v_add_f32_e32 v35, v41, v35
	v_add_f32_e32 v41, v46, v35
	v_mul_f32_e32 v42, v43, v41
	v_mul_f32_e32 v44, v18, v42
	v_fma_f32 v18, v42, v18, -v44
	v_fmac_f32_e32 v18, v42, v16
	v_sub_f32_e32 v16, v46, v41
	v_add_f32_e32 v16, v35, v16
	v_add_f32_e32 v35, v44, v18
	v_sub_f32_e32 v45, v41, v35
	v_sub_f32_e32 v41, v41, v45
	;; [unrolled: 1-line block ×4, first 2 shown]
	v_add_f32_e32 v16, v16, v35
	v_sub_f32_e32 v18, v44, v18
	v_add_f32_e32 v16, v18, v16
	v_add_f32_e32 v18, v36, v42
	;; [unrolled: 1-line block ×3, first 2 shown]
	v_sub_f32_e32 v35, v18, v36
	v_mul_f32_e32 v16, v43, v16
	v_sub_f32_e32 v35, v42, v35
	v_add_f32_e32 v16, v35, v16
	v_cvt_f32_i32_e32 v15, v15
	v_add_f32_e32 v35, v18, v16
	v_mul_f32_e32 v36, v35, v35
	v_mov_b32_e32 v41, 0x3ecc95a3
	v_fmac_f32_e32 v41, 0x3e9b6dac, v36
	v_mov_b32_e32 v42, 0x3f2aaada
	v_fmac_f32_e32 v42, v36, v41
	v_mul_f32_e32 v41, 0x3f317218, v15
	v_fma_f32 v43, v15, s8, -v41
	v_fmac_f32_e32 v43, 0xb102e308, v15
	v_sub_f32_e32 v15, v35, v18
	v_sub_f32_e32 v15, v16, v15
	v_add_f32_e32 v16, v41, v43
	v_sub_f32_e32 v18, v16, v41
	v_ldexp_f32 v41, v35, 1
	v_mul_f32_e32 v35, v35, v36
	v_mul_f32_e32 v35, v35, v42
	v_add_f32_e32 v36, v41, v35
	v_sub_f32_e32 v41, v36, v41
	v_ldexp_f32 v15, v15, 1
	v_sub_f32_e32 v35, v35, v41
	v_add_f32_e32 v15, v15, v35
	v_add_f32_e32 v35, v36, v15
	v_sub_f32_e32 v36, v35, v36
	v_sub_f32_e32 v15, v15, v36
	v_add_f32_e32 v36, v16, v35
	v_sub_f32_e32 v41, v36, v16
	v_sub_f32_e32 v42, v36, v41
	;; [unrolled: 1-line block ×5, first 2 shown]
	v_add_f32_e32 v16, v35, v16
	v_add_f32_e32 v35, v18, v15
	v_sub_f32_e32 v41, v35, v18
	v_sub_f32_e32 v42, v35, v41
	;; [unrolled: 1-line block ×4, first 2 shown]
	v_add_f32_e32 v16, v35, v16
	v_add_f32_e32 v15, v15, v18
	;; [unrolled: 1-line block ×3, first 2 shown]
	v_sub_f32_e32 v35, v18, v36
	v_sub_f32_e32 v16, v16, v35
	v_add_f32_e32 v15, v15, v16
	v_add_f32_e32 v15, v18, v15
	v_cmp_neq_f32_e32 vcc, s7, v13
	s_mov_b32 s7, 0x33800000
	v_cndmask_b32_e32 v15, v17, v15, vcc
	v_cmp_lt_f32_e64 vcc, |v13|, s7
	v_cndmask_b32_e32 v13, v15, v13, vcc
	v_add_f32_e32 v13, v14, v13
.LBB157_205:
	s_or_b64 exec, exec, s[4:5]
	v_max_f32_e32 v14, v13, v13
	v_min_f32_e32 v15, v14, v37
	v_cmp_u_f32_e32 vcc, v13, v13
	v_max_f32_e32 v14, v14, v37
	v_cndmask_b32_e32 v15, v15, v13, vcc
	v_cndmask_b32_e32 v14, v14, v13, vcc
	v_cndmask_b32_e64 v16, v15, v22, s[26:27]
	v_cndmask_b32_e64 v15, v14, v22, s[26:27]
	v_cmp_neq_f32_e32 vcc, v16, v15
	v_cmp_class_f32_e64 s[4:5], v16, s6
	s_or_b64 s[6:7], vcc, s[4:5]
	v_mov_b32_e32 v14, v13
	s_and_saveexec_b64 s[4:5], s[6:7]
	s_cbranch_execz .LBB157_207
; %bb.206:
	v_sub_f32_e32 v14, v16, v15
	s_mov_b32 s6, 0x3fb8aa3b
	v_mul_f32_e32 v16, 0x3fb8aa3b, v14
	v_fma_f32 v17, v14, s6, -v16
	v_rndne_f32_e32 v18, v16
	v_fmac_f32_e32 v17, 0x32a5705f, v14
	v_sub_f32_e32 v16, v16, v18
	v_add_f32_e32 v16, v16, v17
	v_exp_f32_e32 v16, v16
	v_cvt_i32_f32_e32 v17, v18
	s_mov_b32 s6, 0xc2ce8ed0
	v_cmp_ngt_f32_e32 vcc, s6, v14
	s_mov_b32 s6, 0x42b17218
	v_ldexp_f32 v16, v16, v17
	v_cndmask_b32_e32 v16, 0, v16, vcc
	v_mov_b32_e32 v18, 0x7f800000
	v_cmp_nlt_f32_e32 vcc, s6, v14
	v_cndmask_b32_e32 v14, v18, v16, vcc
	v_add_f32_e32 v35, 1.0, v14
	v_cvt_f64_f32_e32 v[16:17], v35
	v_add_f32_e32 v36, -1.0, v35
	v_sub_f32_e32 v37, v36, v35
	v_sub_f32_e32 v36, v14, v36
	v_frexp_exp_i32_f64_e32 v16, v[16:17]
	v_add_f32_e32 v17, 1.0, v37
	v_add_f32_e32 v17, v36, v17
	v_frexp_mant_f32_e32 v36, v35
	s_mov_b32 s7, 0x3f2aaaab
	v_cmp_gt_f32_e32 vcc, s7, v36
	s_mov_b32 s7, 0x3f317218
	s_mov_b32 s6, 0x7f800000
	v_subbrev_co_u32_e32 v16, vcc, 0, v16, vcc
	v_sub_u32_e32 v36, 0, v16
	v_ldexp_f32 v35, v35, v36
	v_ldexp_f32 v17, v17, v36
	v_add_f32_e32 v36, -1.0, v35
	v_add_f32_e32 v42, 1.0, v35
	v_add_f32_e32 v37, 1.0, v36
	v_add_f32_e32 v43, -1.0, v42
	v_sub_f32_e32 v37, v35, v37
	v_sub_f32_e32 v35, v35, v43
	v_add_f32_e32 v37, v17, v37
	v_add_f32_e32 v17, v17, v35
	;; [unrolled: 1-line block ×3, first 2 shown]
	v_rcp_f32_e32 v43, v35
	v_add_f32_e32 v41, v36, v37
	v_sub_f32_e32 v36, v36, v41
	v_add_f32_e32 v36, v37, v36
	v_sub_f32_e32 v37, v42, v35
	v_add_f32_e32 v17, v17, v37
	v_mul_f32_e32 v37, v41, v43
	v_mul_f32_e32 v42, v35, v37
	v_fma_f32 v44, v37, v35, -v42
	v_fmac_f32_e32 v44, v37, v17
	v_add_f32_e32 v45, v42, v44
	v_sub_f32_e32 v46, v41, v45
	v_sub_f32_e32 v41, v41, v46
	v_sub_f32_e32 v42, v45, v42
	v_sub_f32_e32 v41, v41, v45
	v_add_f32_e32 v36, v36, v41
	v_sub_f32_e32 v41, v42, v44
	v_add_f32_e32 v36, v41, v36
	v_add_f32_e32 v41, v46, v36
	v_mul_f32_e32 v42, v43, v41
	v_mul_f32_e32 v44, v35, v42
	v_fma_f32 v35, v42, v35, -v44
	v_fmac_f32_e32 v35, v42, v17
	v_sub_f32_e32 v17, v46, v41
	v_add_f32_e32 v17, v36, v17
	v_add_f32_e32 v36, v44, v35
	v_sub_f32_e32 v45, v41, v36
	v_sub_f32_e32 v41, v41, v45
	;; [unrolled: 1-line block ×4, first 2 shown]
	v_add_f32_e32 v17, v17, v36
	v_sub_f32_e32 v35, v44, v35
	v_add_f32_e32 v17, v35, v17
	v_add_f32_e32 v35, v37, v42
	;; [unrolled: 1-line block ×3, first 2 shown]
	v_sub_f32_e32 v36, v35, v37
	v_mul_f32_e32 v17, v43, v17
	v_sub_f32_e32 v36, v42, v36
	v_add_f32_e32 v17, v36, v17
	v_cvt_f32_i32_e32 v16, v16
	v_add_f32_e32 v36, v35, v17
	v_mul_f32_e32 v37, v36, v36
	v_mov_b32_e32 v41, 0x3ecc95a3
	v_fmac_f32_e32 v41, 0x3e9b6dac, v37
	v_mov_b32_e32 v42, 0x3f2aaada
	v_fmac_f32_e32 v42, v37, v41
	v_mul_f32_e32 v41, 0x3f317218, v16
	v_fma_f32 v43, v16, s7, -v41
	v_fmac_f32_e32 v43, 0xb102e308, v16
	v_sub_f32_e32 v16, v36, v35
	v_sub_f32_e32 v16, v17, v16
	v_add_f32_e32 v17, v41, v43
	v_sub_f32_e32 v35, v17, v41
	v_ldexp_f32 v41, v36, 1
	v_mul_f32_e32 v36, v36, v37
	v_mul_f32_e32 v36, v36, v42
	v_add_f32_e32 v37, v41, v36
	v_sub_f32_e32 v41, v37, v41
	v_ldexp_f32 v16, v16, 1
	v_sub_f32_e32 v36, v36, v41
	v_add_f32_e32 v16, v16, v36
	v_add_f32_e32 v36, v37, v16
	v_sub_f32_e32 v37, v36, v37
	v_sub_f32_e32 v16, v16, v37
	v_add_f32_e32 v37, v17, v36
	v_sub_f32_e32 v41, v37, v17
	v_sub_f32_e32 v42, v37, v41
	;; [unrolled: 1-line block ×5, first 2 shown]
	v_add_f32_e32 v17, v36, v17
	v_add_f32_e32 v36, v35, v16
	v_sub_f32_e32 v41, v36, v35
	v_sub_f32_e32 v42, v36, v41
	;; [unrolled: 1-line block ×4, first 2 shown]
	v_add_f32_e32 v17, v36, v17
	v_add_f32_e32 v16, v16, v35
	;; [unrolled: 1-line block ×3, first 2 shown]
	v_sub_f32_e32 v36, v35, v37
	v_sub_f32_e32 v17, v17, v36
	v_add_f32_e32 v16, v16, v17
	v_add_f32_e32 v16, v35, v16
	v_cmp_neq_f32_e32 vcc, s6, v14
	s_mov_b32 s6, 0x33800000
	v_cndmask_b32_e32 v16, v18, v16, vcc
	v_cmp_lt_f32_e64 vcc, |v14|, s6
	v_cndmask_b32_e32 v14, v16, v14, vcc
	v_add_f32_e32 v14, v15, v14
.LBB157_207:
	s_or_b64 exec, exec, s[4:5]
	v_max_f32_e32 v15, v14, v14
	v_min_f32_e32 v16, v15, v38
	v_cmp_u_f32_e32 vcc, v14, v14
	v_max_f32_e32 v15, v15, v38
	v_cndmask_b32_e32 v16, v16, v14, vcc
	v_cndmask_b32_e32 v15, v15, v14, vcc
	v_cndmask_b32_e64 v17, v16, v19, s[28:29]
	v_cndmask_b32_e64 v16, v15, v19, s[28:29]
	s_movk_i32 s6, 0x1f8
	v_cmp_neq_f32_e32 vcc, v17, v16
	v_cmp_class_f32_e64 s[4:5], v17, s6
	s_or_b64 s[8:9], vcc, s[4:5]
	v_mov_b32_e32 v15, v14
	s_and_saveexec_b64 s[4:5], s[8:9]
	s_cbranch_execz .LBB157_209
; %bb.208:
	v_sub_f32_e32 v15, v17, v16
	s_mov_b32 s7, 0x3fb8aa3b
	v_mul_f32_e32 v17, 0x3fb8aa3b, v15
	v_fma_f32 v18, v15, s7, -v17
	v_rndne_f32_e32 v35, v17
	v_fmac_f32_e32 v18, 0x32a5705f, v15
	v_sub_f32_e32 v17, v17, v35
	v_add_f32_e32 v17, v17, v18
	v_exp_f32_e32 v17, v17
	v_cvt_i32_f32_e32 v18, v35
	s_mov_b32 s7, 0xc2ce8ed0
	v_cmp_ngt_f32_e32 vcc, s7, v15
	s_mov_b32 s7, 0x42b17218
	v_ldexp_f32 v17, v17, v18
	v_cndmask_b32_e32 v17, 0, v17, vcc
	v_mov_b32_e32 v35, 0x7f800000
	v_cmp_nlt_f32_e32 vcc, s7, v15
	v_cndmask_b32_e32 v15, v35, v17, vcc
	v_add_f32_e32 v36, 1.0, v15
	v_cvt_f64_f32_e32 v[17:18], v36
	v_add_f32_e32 v37, -1.0, v36
	v_sub_f32_e32 v38, v37, v36
	v_sub_f32_e32 v37, v15, v37
	v_frexp_exp_i32_f64_e32 v17, v[17:18]
	v_add_f32_e32 v18, 1.0, v38
	v_add_f32_e32 v18, v37, v18
	v_frexp_mant_f32_e32 v37, v36
	s_mov_b32 s8, 0x3f2aaaab
	v_cmp_gt_f32_e32 vcc, s8, v37
	s_mov_b32 s8, 0x3f317218
	s_mov_b32 s7, 0x7f800000
	v_subbrev_co_u32_e32 v17, vcc, 0, v17, vcc
	v_sub_u32_e32 v37, 0, v17
	v_ldexp_f32 v36, v36, v37
	v_ldexp_f32 v18, v18, v37
	v_add_f32_e32 v37, -1.0, v36
	v_add_f32_e32 v42, 1.0, v36
	v_add_f32_e32 v38, 1.0, v37
	v_add_f32_e32 v43, -1.0, v42
	v_sub_f32_e32 v38, v36, v38
	v_sub_f32_e32 v36, v36, v43
	v_add_f32_e32 v38, v18, v38
	v_add_f32_e32 v18, v18, v36
	;; [unrolled: 1-line block ×3, first 2 shown]
	v_rcp_f32_e32 v43, v36
	v_add_f32_e32 v41, v37, v38
	v_sub_f32_e32 v37, v37, v41
	v_add_f32_e32 v37, v38, v37
	v_sub_f32_e32 v38, v42, v36
	v_add_f32_e32 v18, v18, v38
	v_mul_f32_e32 v38, v41, v43
	v_mul_f32_e32 v42, v36, v38
	v_fma_f32 v44, v38, v36, -v42
	v_fmac_f32_e32 v44, v38, v18
	v_add_f32_e32 v45, v42, v44
	v_sub_f32_e32 v46, v41, v45
	v_sub_f32_e32 v41, v41, v46
	;; [unrolled: 1-line block ×4, first 2 shown]
	v_add_f32_e32 v37, v37, v41
	v_sub_f32_e32 v41, v42, v44
	v_add_f32_e32 v37, v41, v37
	v_add_f32_e32 v41, v46, v37
	v_mul_f32_e32 v42, v43, v41
	v_mul_f32_e32 v44, v36, v42
	v_fma_f32 v36, v42, v36, -v44
	v_fmac_f32_e32 v36, v42, v18
	v_sub_f32_e32 v18, v46, v41
	v_add_f32_e32 v18, v37, v18
	v_add_f32_e32 v37, v44, v36
	v_sub_f32_e32 v45, v41, v37
	v_sub_f32_e32 v41, v41, v45
	;; [unrolled: 1-line block ×4, first 2 shown]
	v_add_f32_e32 v18, v18, v37
	v_sub_f32_e32 v36, v44, v36
	v_add_f32_e32 v18, v36, v18
	v_add_f32_e32 v36, v38, v42
	;; [unrolled: 1-line block ×3, first 2 shown]
	v_sub_f32_e32 v37, v36, v38
	v_mul_f32_e32 v18, v43, v18
	v_sub_f32_e32 v37, v42, v37
	v_add_f32_e32 v18, v37, v18
	v_cvt_f32_i32_e32 v17, v17
	v_add_f32_e32 v37, v36, v18
	v_mul_f32_e32 v38, v37, v37
	v_mov_b32_e32 v41, 0x3ecc95a3
	v_fmac_f32_e32 v41, 0x3e9b6dac, v38
	v_mov_b32_e32 v42, 0x3f2aaada
	v_fmac_f32_e32 v42, v38, v41
	v_mul_f32_e32 v41, 0x3f317218, v17
	v_fma_f32 v43, v17, s8, -v41
	v_fmac_f32_e32 v43, 0xb102e308, v17
	v_sub_f32_e32 v17, v37, v36
	v_sub_f32_e32 v17, v18, v17
	v_add_f32_e32 v18, v41, v43
	v_sub_f32_e32 v36, v18, v41
	v_ldexp_f32 v41, v37, 1
	v_mul_f32_e32 v37, v37, v38
	v_mul_f32_e32 v37, v37, v42
	v_add_f32_e32 v38, v41, v37
	v_sub_f32_e32 v41, v38, v41
	v_ldexp_f32 v17, v17, 1
	v_sub_f32_e32 v37, v37, v41
	v_add_f32_e32 v17, v17, v37
	v_add_f32_e32 v37, v38, v17
	v_sub_f32_e32 v38, v37, v38
	v_sub_f32_e32 v17, v17, v38
	v_add_f32_e32 v38, v18, v37
	v_sub_f32_e32 v41, v38, v18
	v_sub_f32_e32 v42, v38, v41
	;; [unrolled: 1-line block ×5, first 2 shown]
	v_add_f32_e32 v18, v37, v18
	v_add_f32_e32 v37, v36, v17
	v_sub_f32_e32 v41, v37, v36
	v_sub_f32_e32 v42, v37, v41
	;; [unrolled: 1-line block ×4, first 2 shown]
	v_add_f32_e32 v18, v37, v18
	v_add_f32_e32 v17, v17, v36
	;; [unrolled: 1-line block ×3, first 2 shown]
	v_sub_f32_e32 v37, v36, v38
	v_sub_f32_e32 v18, v18, v37
	v_add_f32_e32 v17, v17, v18
	v_add_f32_e32 v17, v36, v17
	v_cmp_neq_f32_e32 vcc, s7, v15
	s_mov_b32 s7, 0x33800000
	v_cndmask_b32_e32 v17, v35, v17, vcc
	v_cmp_lt_f32_e64 vcc, |v15|, s7
	v_cndmask_b32_e32 v15, v17, v15, vcc
	v_add_f32_e32 v15, v16, v15
.LBB157_209:
	s_or_b64 exec, exec, s[4:5]
	v_max_f32_e32 v16, v15, v15
	v_min_f32_e32 v17, v16, v39
	v_cmp_u_f32_e32 vcc, v15, v15
	v_max_f32_e32 v16, v16, v39
	v_cndmask_b32_e32 v17, v17, v15, vcc
	v_cndmask_b32_e32 v16, v16, v15, vcc
	v_cndmask_b32_e64 v18, v17, v20, s[30:31]
	v_cndmask_b32_e64 v17, v16, v20, s[30:31]
	v_cmp_neq_f32_e32 vcc, v18, v17
	v_cmp_class_f32_e64 s[4:5], v18, s6
	s_or_b64 s[6:7], vcc, s[4:5]
	v_mov_b32_e32 v16, v15
	s_and_saveexec_b64 s[4:5], s[6:7]
	s_cbranch_execz .LBB157_211
; %bb.210:
	v_sub_f32_e32 v16, v18, v17
	s_mov_b32 s6, 0x3fb8aa3b
	v_mul_f32_e32 v18, 0x3fb8aa3b, v16
	v_fma_f32 v35, v16, s6, -v18
	v_rndne_f32_e32 v36, v18
	v_fmac_f32_e32 v35, 0x32a5705f, v16
	v_sub_f32_e32 v18, v18, v36
	v_add_f32_e32 v18, v18, v35
	v_exp_f32_e32 v18, v18
	v_cvt_i32_f32_e32 v35, v36
	s_mov_b32 s6, 0xc2ce8ed0
	v_cmp_ngt_f32_e32 vcc, s6, v16
	s_mov_b32 s6, 0x42b17218
	v_ldexp_f32 v18, v18, v35
	v_cndmask_b32_e32 v18, 0, v18, vcc
	v_mov_b32_e32 v37, 0x7f800000
	v_cmp_nlt_f32_e32 vcc, s6, v16
	v_cndmask_b32_e32 v16, v37, v18, vcc
	v_add_f32_e32 v18, 1.0, v16
	v_cvt_f64_f32_e32 v[35:36], v18
	v_add_f32_e32 v38, -1.0, v18
	v_sub_f32_e32 v39, v38, v18
	v_sub_f32_e32 v38, v16, v38
	v_frexp_exp_i32_f64_e32 v35, v[35:36]
	v_add_f32_e32 v36, 1.0, v39
	v_add_f32_e32 v36, v38, v36
	v_frexp_mant_f32_e32 v38, v18
	s_mov_b32 s7, 0x3f2aaaab
	v_cmp_gt_f32_e32 vcc, s7, v38
	s_mov_b32 s7, 0x3f317218
	s_mov_b32 s6, 0x7f800000
	v_subbrev_co_u32_e32 v35, vcc, 0, v35, vcc
	v_sub_u32_e32 v38, 0, v35
	v_ldexp_f32 v18, v18, v38
	v_ldexp_f32 v36, v36, v38
	v_add_f32_e32 v38, -1.0, v18
	v_add_f32_e32 v42, 1.0, v18
	v_add_f32_e32 v39, 1.0, v38
	v_add_f32_e32 v43, -1.0, v42
	v_sub_f32_e32 v39, v18, v39
	v_sub_f32_e32 v18, v18, v43
	v_add_f32_e32 v18, v36, v18
	v_add_f32_e32 v39, v36, v39
	;; [unrolled: 1-line block ×3, first 2 shown]
	v_rcp_f32_e32 v43, v36
	v_add_f32_e32 v41, v38, v39
	v_sub_f32_e32 v38, v38, v41
	v_add_f32_e32 v38, v39, v38
	v_sub_f32_e32 v39, v42, v36
	v_add_f32_e32 v18, v18, v39
	v_mul_f32_e32 v39, v41, v43
	v_mul_f32_e32 v42, v36, v39
	v_fma_f32 v44, v39, v36, -v42
	v_fmac_f32_e32 v44, v39, v18
	v_add_f32_e32 v45, v42, v44
	v_sub_f32_e32 v46, v41, v45
	v_sub_f32_e32 v41, v41, v46
	;; [unrolled: 1-line block ×4, first 2 shown]
	v_add_f32_e32 v38, v38, v41
	v_sub_f32_e32 v41, v42, v44
	v_add_f32_e32 v38, v41, v38
	v_add_f32_e32 v41, v46, v38
	v_mul_f32_e32 v42, v43, v41
	v_mul_f32_e32 v44, v36, v42
	v_fma_f32 v36, v42, v36, -v44
	v_fmac_f32_e32 v36, v42, v18
	v_sub_f32_e32 v18, v46, v41
	v_add_f32_e32 v18, v38, v18
	v_add_f32_e32 v38, v44, v36
	v_sub_f32_e32 v45, v41, v38
	v_sub_f32_e32 v41, v41, v45
	;; [unrolled: 1-line block ×4, first 2 shown]
	v_add_f32_e32 v18, v18, v38
	v_sub_f32_e32 v36, v44, v36
	v_add_f32_e32 v18, v36, v18
	v_add_f32_e32 v36, v39, v42
	;; [unrolled: 1-line block ×3, first 2 shown]
	v_sub_f32_e32 v38, v36, v39
	v_mul_f32_e32 v18, v43, v18
	v_sub_f32_e32 v38, v42, v38
	v_add_f32_e32 v18, v38, v18
	v_cvt_f32_i32_e32 v35, v35
	v_add_f32_e32 v38, v36, v18
	v_mul_f32_e32 v39, v38, v38
	v_mov_b32_e32 v41, 0x3ecc95a3
	v_fmac_f32_e32 v41, 0x3e9b6dac, v39
	v_mov_b32_e32 v42, 0x3f2aaada
	v_fmac_f32_e32 v42, v39, v41
	v_mul_f32_e32 v41, 0x3f317218, v35
	v_fma_f32 v43, v35, s7, -v41
	v_fmac_f32_e32 v43, 0xb102e308, v35
	v_sub_f32_e32 v35, v38, v36
	v_sub_f32_e32 v18, v18, v35
	v_add_f32_e32 v35, v41, v43
	v_sub_f32_e32 v36, v35, v41
	v_ldexp_f32 v41, v38, 1
	v_mul_f32_e32 v38, v38, v39
	v_mul_f32_e32 v38, v38, v42
	v_add_f32_e32 v39, v41, v38
	v_sub_f32_e32 v41, v39, v41
	v_ldexp_f32 v18, v18, 1
	v_sub_f32_e32 v38, v38, v41
	v_add_f32_e32 v18, v18, v38
	v_add_f32_e32 v38, v39, v18
	v_sub_f32_e32 v39, v38, v39
	v_sub_f32_e32 v18, v18, v39
	v_add_f32_e32 v39, v35, v38
	v_sub_f32_e32 v41, v39, v35
	v_sub_f32_e32 v42, v39, v41
	;; [unrolled: 1-line block ×5, first 2 shown]
	v_add_f32_e32 v35, v38, v35
	v_add_f32_e32 v38, v36, v18
	v_sub_f32_e32 v41, v38, v36
	v_sub_f32_e32 v42, v38, v41
	;; [unrolled: 1-line block ×4, first 2 shown]
	v_add_f32_e32 v35, v38, v35
	v_add_f32_e32 v18, v18, v36
	;; [unrolled: 1-line block ×3, first 2 shown]
	v_sub_f32_e32 v38, v36, v39
	v_sub_f32_e32 v35, v35, v38
	v_add_f32_e32 v18, v18, v35
	v_add_f32_e32 v18, v36, v18
	v_cmp_neq_f32_e32 vcc, s6, v16
	s_mov_b32 s6, 0x33800000
	v_cndmask_b32_e32 v18, v37, v18, vcc
	v_cmp_lt_f32_e64 vcc, |v16|, s6
	v_cndmask_b32_e32 v16, v18, v16, vcc
	v_add_f32_e32 v16, v17, v16
.LBB157_211:
	s_or_b64 exec, exec, s[4:5]
	v_max_f32_e32 v17, v16, v16
	v_min_f32_e32 v18, v17, v40
	v_cmp_u_f32_e32 vcc, v16, v16
	v_max_f32_e32 v17, v17, v40
	v_cndmask_b32_e32 v18, v18, v16, vcc
	v_cndmask_b32_e32 v17, v17, v16, vcc
	v_cndmask_b32_e64 v35, v18, v33, s[34:35]
	v_cndmask_b32_e64 v18, v17, v33, s[34:35]
	s_movk_i32 s4, 0x1f8
	v_cmp_neq_f32_e32 vcc, v35, v18
	v_cmp_class_f32_e64 s[4:5], v35, s4
	s_or_b64 s[6:7], vcc, s[4:5]
	v_mov_b32_e32 v17, v16
	s_and_saveexec_b64 s[4:5], s[6:7]
	s_cbranch_execz .LBB157_213
; %bb.212:
	v_sub_f32_e32 v17, v35, v18
	s_mov_b32 s6, 0x3fb8aa3b
	v_mul_f32_e32 v35, 0x3fb8aa3b, v17
	v_fma_f32 v36, v17, s6, -v35
	v_rndne_f32_e32 v37, v35
	v_fmac_f32_e32 v36, 0x32a5705f, v17
	v_sub_f32_e32 v35, v35, v37
	v_add_f32_e32 v35, v35, v36
	v_exp_f32_e32 v35, v35
	v_cvt_i32_f32_e32 v36, v37
	s_mov_b32 s6, 0xc2ce8ed0
	v_cmp_ngt_f32_e32 vcc, s6, v17
	s_mov_b32 s6, 0x42b17218
	v_ldexp_f32 v35, v35, v36
	v_cndmask_b32_e32 v35, 0, v35, vcc
	v_mov_b32_e32 v37, 0x7f800000
	v_cmp_nlt_f32_e32 vcc, s6, v17
	v_cndmask_b32_e32 v17, v37, v35, vcc
	v_add_f32_e32 v38, 1.0, v17
	v_cvt_f64_f32_e32 v[35:36], v38
	v_add_f32_e32 v39, -1.0, v38
	v_sub_f32_e32 v40, v39, v38
	v_sub_f32_e32 v39, v17, v39
	v_frexp_exp_i32_f64_e32 v35, v[35:36]
	v_add_f32_e32 v36, 1.0, v40
	v_add_f32_e32 v36, v39, v36
	v_frexp_mant_f32_e32 v39, v38
	s_mov_b32 s7, 0x3f2aaaab
	v_cmp_gt_f32_e32 vcc, s7, v39
	s_mov_b32 s7, 0x3f317218
	s_mov_b32 s6, 0x7f800000
	v_subbrev_co_u32_e32 v35, vcc, 0, v35, vcc
	v_sub_u32_e32 v39, 0, v35
	v_ldexp_f32 v38, v38, v39
	v_ldexp_f32 v36, v36, v39
	v_add_f32_e32 v39, -1.0, v38
	v_add_f32_e32 v42, 1.0, v38
	v_add_f32_e32 v40, 1.0, v39
	v_add_f32_e32 v43, -1.0, v42
	v_sub_f32_e32 v40, v38, v40
	v_sub_f32_e32 v38, v38, v43
	v_add_f32_e32 v40, v36, v40
	v_add_f32_e32 v36, v36, v38
	;; [unrolled: 1-line block ×3, first 2 shown]
	v_rcp_f32_e32 v43, v38
	v_add_f32_e32 v41, v39, v40
	v_sub_f32_e32 v39, v39, v41
	v_add_f32_e32 v39, v40, v39
	v_sub_f32_e32 v40, v42, v38
	v_add_f32_e32 v36, v36, v40
	v_mul_f32_e32 v40, v41, v43
	v_mul_f32_e32 v42, v38, v40
	v_fma_f32 v44, v40, v38, -v42
	v_fmac_f32_e32 v44, v40, v36
	v_add_f32_e32 v45, v42, v44
	v_sub_f32_e32 v46, v41, v45
	v_sub_f32_e32 v41, v41, v46
	;; [unrolled: 1-line block ×4, first 2 shown]
	v_add_f32_e32 v39, v39, v41
	v_sub_f32_e32 v41, v42, v44
	v_add_f32_e32 v39, v41, v39
	v_add_f32_e32 v41, v46, v39
	v_mul_f32_e32 v42, v43, v41
	v_mul_f32_e32 v44, v38, v42
	v_fma_f32 v38, v42, v38, -v44
	v_fmac_f32_e32 v38, v42, v36
	v_sub_f32_e32 v36, v46, v41
	v_add_f32_e32 v36, v39, v36
	v_add_f32_e32 v39, v44, v38
	v_sub_f32_e32 v45, v41, v39
	v_sub_f32_e32 v41, v41, v45
	;; [unrolled: 1-line block ×4, first 2 shown]
	v_add_f32_e32 v36, v36, v39
	v_sub_f32_e32 v38, v44, v38
	v_add_f32_e32 v36, v38, v36
	v_add_f32_e32 v38, v40, v42
	;; [unrolled: 1-line block ×3, first 2 shown]
	v_sub_f32_e32 v39, v38, v40
	v_mul_f32_e32 v36, v43, v36
	v_sub_f32_e32 v39, v42, v39
	v_add_f32_e32 v36, v39, v36
	v_cvt_f32_i32_e32 v35, v35
	v_add_f32_e32 v39, v38, v36
	v_mul_f32_e32 v40, v39, v39
	v_mov_b32_e32 v41, 0x3ecc95a3
	v_fmac_f32_e32 v41, 0x3e9b6dac, v40
	v_mov_b32_e32 v42, 0x3f2aaada
	v_fmac_f32_e32 v42, v40, v41
	v_mul_f32_e32 v41, 0x3f317218, v35
	v_fma_f32 v43, v35, s7, -v41
	v_fmac_f32_e32 v43, 0xb102e308, v35
	v_sub_f32_e32 v35, v39, v38
	v_sub_f32_e32 v35, v36, v35
	v_add_f32_e32 v36, v41, v43
	v_sub_f32_e32 v38, v36, v41
	v_ldexp_f32 v41, v39, 1
	v_mul_f32_e32 v39, v39, v40
	v_mul_f32_e32 v39, v39, v42
	v_add_f32_e32 v40, v41, v39
	v_sub_f32_e32 v41, v40, v41
	v_ldexp_f32 v35, v35, 1
	v_sub_f32_e32 v39, v39, v41
	v_add_f32_e32 v35, v35, v39
	v_add_f32_e32 v39, v40, v35
	v_sub_f32_e32 v40, v39, v40
	v_sub_f32_e32 v35, v35, v40
	v_add_f32_e32 v40, v36, v39
	v_sub_f32_e32 v41, v40, v36
	v_sub_f32_e32 v42, v40, v41
	;; [unrolled: 1-line block ×5, first 2 shown]
	v_add_f32_e32 v36, v39, v36
	v_add_f32_e32 v39, v38, v35
	v_sub_f32_e32 v41, v39, v38
	v_sub_f32_e32 v42, v39, v41
	;; [unrolled: 1-line block ×4, first 2 shown]
	v_add_f32_e32 v36, v39, v36
	v_add_f32_e32 v35, v35, v38
	;; [unrolled: 1-line block ×3, first 2 shown]
	v_sub_f32_e32 v39, v38, v40
	v_sub_f32_e32 v36, v36, v39
	v_add_f32_e32 v35, v35, v36
	v_add_f32_e32 v35, v38, v35
	v_cmp_neq_f32_e32 vcc, s6, v17
	s_mov_b32 s6, 0x33800000
	v_cndmask_b32_e32 v35, v37, v35, vcc
	v_cmp_lt_f32_e64 vcc, |v17|, s6
	v_cndmask_b32_e32 v17, v35, v17, vcc
	v_add_f32_e32 v17, v18, v17
.LBB157_213:
	s_or_b64 exec, exec, s[4:5]
	s_branch .LBB157_321
.LBB157_214:
	s_cmp_lg_u64 s[48:49], 0
	s_cselect_b64 s[4:5], -1, 0
	s_and_b64 s[6:7], s[40:41], s[4:5]
	s_and_saveexec_b64 s[4:5], s[6:7]
	s_cbranch_execz .LBB157_218
; %bb.215:
	v_mov_b32_e32 v3, 0
	global_load_dword v3, v3, s[44:45]
	v_max_f32_e32 v4, v1, v1
	s_movk_i32 s6, 0x1f8
	s_waitcnt vmcnt(0)
	v_max_f32_e32 v5, v3, v3
	v_min_f32_e32 v6, v5, v4
	v_max_f32_e32 v4, v5, v4
	v_cmp_u_f32_e32 vcc, v3, v3
	v_cndmask_b32_e32 v5, v6, v3, vcc
	v_cndmask_b32_e32 v6, v4, v3, vcc
	v_cmp_u_f32_e32 vcc, v1, v1
	v_cndmask_b32_e32 v4, v5, v1, vcc
	v_cndmask_b32_e32 v1, v6, v1, vcc
	v_cmp_neq_f32_e32 vcc, v4, v1
	v_cmp_class_f32_e64 s[6:7], v4, s6
	s_or_b64 s[8:9], vcc, s[6:7]
	s_and_saveexec_b64 s[6:7], s[8:9]
	s_cbranch_execz .LBB157_217
; %bb.216:
	v_sub_f32_e32 v3, v4, v1
	s_mov_b32 s8, 0x3fb8aa3b
	v_mul_f32_e32 v4, 0x3fb8aa3b, v3
	v_fma_f32 v5, v3, s8, -v4
	v_rndne_f32_e32 v6, v4
	v_fmac_f32_e32 v5, 0x32a5705f, v3
	v_sub_f32_e32 v4, v4, v6
	v_add_f32_e32 v4, v4, v5
	v_exp_f32_e32 v4, v4
	v_cvt_i32_f32_e32 v5, v6
	s_mov_b32 s8, 0xc2ce8ed0
	v_cmp_ngt_f32_e32 vcc, s8, v3
	s_mov_b32 s8, 0x42b17218
	v_ldexp_f32 v4, v4, v5
	v_cndmask_b32_e32 v4, 0, v4, vcc
	v_mov_b32_e32 v5, 0x7f800000
	v_cmp_nlt_f32_e32 vcc, s8, v3
	v_cndmask_b32_e32 v6, v5, v4, vcc
	v_add_f32_e32 v7, 1.0, v6
	v_cvt_f64_f32_e32 v[3:4], v7
	v_add_f32_e32 v8, -1.0, v7
	v_sub_f32_e32 v9, v8, v7
	v_sub_f32_e32 v8, v6, v8
	v_frexp_exp_i32_f64_e32 v3, v[3:4]
	v_add_f32_e32 v4, 1.0, v9
	v_add_f32_e32 v4, v8, v4
	v_frexp_mant_f32_e32 v8, v7
	s_mov_b32 s9, 0x3f2aaaab
	v_cmp_gt_f32_e32 vcc, s9, v8
	s_mov_b32 s9, 0x3f317218
	s_mov_b32 s8, 0x7f800000
	v_subbrev_co_u32_e32 v3, vcc, 0, v3, vcc
	v_sub_u32_e32 v8, 0, v3
	v_ldexp_f32 v7, v7, v8
	v_ldexp_f32 v4, v4, v8
	v_add_f32_e32 v8, -1.0, v7
	v_add_f32_e32 v11, 1.0, v7
	v_add_f32_e32 v9, 1.0, v8
	v_add_f32_e32 v12, -1.0, v11
	v_sub_f32_e32 v9, v7, v9
	v_sub_f32_e32 v7, v7, v12
	v_add_f32_e32 v9, v4, v9
	v_add_f32_e32 v4, v4, v7
	;; [unrolled: 1-line block ×3, first 2 shown]
	v_rcp_f32_e32 v12, v7
	v_add_f32_e32 v10, v8, v9
	v_sub_f32_e32 v8, v8, v10
	v_add_f32_e32 v8, v9, v8
	v_sub_f32_e32 v9, v11, v7
	v_add_f32_e32 v4, v4, v9
	v_mul_f32_e32 v9, v10, v12
	v_mul_f32_e32 v11, v7, v9
	v_fma_f32 v13, v9, v7, -v11
	v_fmac_f32_e32 v13, v9, v4
	v_add_f32_e32 v14, v11, v13
	v_sub_f32_e32 v15, v10, v14
	v_sub_f32_e32 v10, v10, v15
	;; [unrolled: 1-line block ×4, first 2 shown]
	v_add_f32_e32 v8, v8, v10
	v_sub_f32_e32 v10, v11, v13
	v_add_f32_e32 v8, v10, v8
	v_add_f32_e32 v10, v15, v8
	v_mul_f32_e32 v11, v12, v10
	v_mul_f32_e32 v13, v7, v11
	v_fma_f32 v7, v11, v7, -v13
	v_fmac_f32_e32 v7, v11, v4
	v_sub_f32_e32 v4, v15, v10
	v_add_f32_e32 v4, v8, v4
	v_add_f32_e32 v8, v13, v7
	v_sub_f32_e32 v14, v10, v8
	v_sub_f32_e32 v10, v10, v14
	;; [unrolled: 1-line block ×4, first 2 shown]
	v_add_f32_e32 v4, v4, v8
	v_sub_f32_e32 v7, v13, v7
	v_add_f32_e32 v4, v7, v4
	v_add_f32_e32 v7, v9, v11
	;; [unrolled: 1-line block ×3, first 2 shown]
	v_sub_f32_e32 v8, v7, v9
	v_mul_f32_e32 v4, v12, v4
	v_sub_f32_e32 v8, v11, v8
	v_add_f32_e32 v4, v8, v4
	v_cvt_f32_i32_e32 v3, v3
	v_add_f32_e32 v8, v7, v4
	v_mul_f32_e32 v9, v8, v8
	v_mov_b32_e32 v10, 0x3ecc95a3
	v_fmac_f32_e32 v10, 0x3e9b6dac, v9
	v_mov_b32_e32 v11, 0x3f2aaada
	v_fmac_f32_e32 v11, v9, v10
	v_mul_f32_e32 v10, 0x3f317218, v3
	v_fma_f32 v12, v3, s9, -v10
	v_fmac_f32_e32 v12, 0xb102e308, v3
	v_sub_f32_e32 v3, v8, v7
	v_sub_f32_e32 v3, v4, v3
	v_add_f32_e32 v4, v10, v12
	v_sub_f32_e32 v7, v4, v10
	v_ldexp_f32 v10, v8, 1
	v_mul_f32_e32 v8, v8, v9
	v_mul_f32_e32 v8, v8, v11
	v_add_f32_e32 v9, v10, v8
	v_sub_f32_e32 v10, v9, v10
	v_ldexp_f32 v3, v3, 1
	v_sub_f32_e32 v8, v8, v10
	v_add_f32_e32 v3, v3, v8
	v_add_f32_e32 v8, v9, v3
	v_sub_f32_e32 v9, v8, v9
	v_sub_f32_e32 v3, v3, v9
	v_add_f32_e32 v9, v4, v8
	v_sub_f32_e32 v10, v9, v4
	v_sub_f32_e32 v11, v9, v10
	;; [unrolled: 1-line block ×5, first 2 shown]
	v_add_f32_e32 v4, v8, v4
	v_add_f32_e32 v8, v7, v3
	v_sub_f32_e32 v10, v8, v7
	v_sub_f32_e32 v11, v8, v10
	;; [unrolled: 1-line block ×4, first 2 shown]
	v_add_f32_e32 v4, v8, v4
	v_add_f32_e32 v3, v3, v7
	;; [unrolled: 1-line block ×3, first 2 shown]
	v_sub_f32_e32 v8, v7, v9
	v_sub_f32_e32 v4, v4, v8
	v_add_f32_e32 v3, v3, v4
	v_add_f32_e32 v3, v7, v3
	v_cmp_neq_f32_e32 vcc, s8, v6
	s_mov_b32 s8, 0x33800000
	v_cndmask_b32_e32 v3, v5, v3, vcc
	v_cmp_lt_f32_e64 vcc, |v6|, s8
	v_cndmask_b32_e32 v3, v3, v6, vcc
	v_add_f32_e32 v3, v1, v3
.LBB157_217:
	s_or_b64 exec, exec, s[6:7]
	v_mov_b32_e32 v1, v3
.LBB157_218:
	s_or_b64 exec, exec, s[4:5]
	v_max_f32_e32 v16, v1, v1
	v_min_f32_e32 v17, v16, v34
	v_cmp_u_f32_e64 s[30:31], v1, v1
	v_cndmask_b32_e64 v3, v17, v1, s[30:31]
	v_cmp_u_f32_e32 vcc, v2, v2
	v_max_f32_e32 v18, v16, v34
	v_cndmask_b32_e32 v4, v3, v2, vcc
	v_cndmask_b32_e64 v3, v18, v1, s[30:31]
	v_cndmask_b32_e32 v3, v3, v2, vcc
	s_movk_i32 s8, 0x1f8
	v_cmp_neq_f32_e64 s[4:5], v4, v3
	v_cmp_class_f32_e64 s[6:7], v4, s8
	s_or_b64 s[4:5], s[4:5], s[6:7]
	v_mov_b32_e32 v36, v1
	s_and_saveexec_b64 s[6:7], s[4:5]
	s_cbranch_execz .LBB157_220
; %bb.219:
	v_sub_f32_e32 v4, v4, v3
	s_mov_b32 s4, 0x3fb8aa3b
	v_mul_f32_e32 v5, 0x3fb8aa3b, v4
	v_fma_f32 v6, v4, s4, -v5
	v_rndne_f32_e32 v7, v5
	v_fmac_f32_e32 v6, 0x32a5705f, v4
	v_sub_f32_e32 v5, v5, v7
	v_add_f32_e32 v5, v5, v6
	v_exp_f32_e32 v5, v5
	v_cvt_i32_f32_e32 v6, v7
	s_mov_b32 s4, 0xc2ce8ed0
	v_cmp_ngt_f32_e64 s[4:5], s4, v4
	s_mov_b32 s9, 0x7f800000
	v_ldexp_f32 v5, v5, v6
	v_cndmask_b32_e64 v5, 0, v5, s[4:5]
	s_mov_b32 s4, 0x42b17218
	v_mov_b32_e32 v6, 0x7f800000
	v_cmp_nlt_f32_e64 s[4:5], s4, v4
	v_cndmask_b32_e64 v7, v6, v5, s[4:5]
	v_add_f32_e32 v8, 1.0, v7
	v_cvt_f64_f32_e32 v[4:5], v8
	v_add_f32_e32 v9, -1.0, v8
	v_sub_f32_e32 v10, v9, v8
	v_sub_f32_e32 v9, v7, v9
	v_frexp_exp_i32_f64_e32 v4, v[4:5]
	v_add_f32_e32 v5, 1.0, v10
	v_add_f32_e32 v5, v9, v5
	v_frexp_mant_f32_e32 v9, v8
	s_mov_b32 s4, 0x3f2aaaab
	v_cmp_gt_f32_e64 s[4:5], s4, v9
	v_subbrev_co_u32_e64 v4, s[4:5], 0, v4, s[4:5]
	v_sub_u32_e32 v9, 0, v4
	v_ldexp_f32 v8, v8, v9
	v_ldexp_f32 v5, v5, v9
	v_add_f32_e32 v9, -1.0, v8
	v_add_f32_e32 v12, 1.0, v8
	v_add_f32_e32 v10, 1.0, v9
	v_add_f32_e32 v13, -1.0, v12
	v_sub_f32_e32 v10, v8, v10
	v_sub_f32_e32 v8, v8, v13
	v_add_f32_e32 v10, v5, v10
	v_add_f32_e32 v5, v5, v8
	;; [unrolled: 1-line block ×3, first 2 shown]
	v_rcp_f32_e32 v13, v8
	v_add_f32_e32 v11, v9, v10
	v_sub_f32_e32 v9, v9, v11
	v_add_f32_e32 v9, v10, v9
	v_sub_f32_e32 v10, v12, v8
	v_add_f32_e32 v5, v5, v10
	v_mul_f32_e32 v10, v11, v13
	v_mul_f32_e32 v12, v8, v10
	v_fma_f32 v14, v10, v8, -v12
	v_fmac_f32_e32 v14, v10, v5
	v_add_f32_e32 v15, v12, v14
	v_sub_f32_e32 v35, v11, v15
	v_sub_f32_e32 v11, v11, v35
	;; [unrolled: 1-line block ×4, first 2 shown]
	v_add_f32_e32 v9, v9, v11
	v_sub_f32_e32 v11, v12, v14
	v_add_f32_e32 v9, v11, v9
	v_add_f32_e32 v11, v35, v9
	v_mul_f32_e32 v12, v13, v11
	v_mul_f32_e32 v14, v8, v12
	v_fma_f32 v8, v12, v8, -v14
	v_fmac_f32_e32 v8, v12, v5
	v_sub_f32_e32 v5, v35, v11
	v_add_f32_e32 v5, v9, v5
	v_add_f32_e32 v9, v14, v8
	v_sub_f32_e32 v15, v11, v9
	v_sub_f32_e32 v11, v11, v15
	;; [unrolled: 1-line block ×4, first 2 shown]
	v_add_f32_e32 v5, v5, v9
	v_sub_f32_e32 v8, v14, v8
	v_add_f32_e32 v5, v8, v5
	v_add_f32_e32 v8, v10, v12
	v_add_f32_e32 v5, v15, v5
	v_sub_f32_e32 v9, v8, v10
	v_mul_f32_e32 v5, v13, v5
	v_sub_f32_e32 v9, v12, v9
	v_add_f32_e32 v5, v9, v5
	v_cvt_f32_i32_e32 v4, v4
	v_add_f32_e32 v9, v8, v5
	v_mul_f32_e32 v10, v9, v9
	v_mov_b32_e32 v11, 0x3ecc95a3
	v_fmac_f32_e32 v11, 0x3e9b6dac, v10
	v_mov_b32_e32 v12, 0x3f2aaada
	v_fmac_f32_e32 v12, v10, v11
	s_mov_b32 s4, 0x3f317218
	v_mul_f32_e32 v11, 0x3f317218, v4
	v_fma_f32 v13, v4, s4, -v11
	v_fmac_f32_e32 v13, 0xb102e308, v4
	v_sub_f32_e32 v4, v9, v8
	v_sub_f32_e32 v4, v5, v4
	v_add_f32_e32 v5, v11, v13
	v_sub_f32_e32 v8, v5, v11
	v_ldexp_f32 v11, v9, 1
	v_mul_f32_e32 v9, v9, v10
	v_mul_f32_e32 v9, v9, v12
	v_add_f32_e32 v10, v11, v9
	v_sub_f32_e32 v11, v10, v11
	v_ldexp_f32 v4, v4, 1
	v_sub_f32_e32 v9, v9, v11
	v_add_f32_e32 v4, v4, v9
	v_add_f32_e32 v9, v10, v4
	v_sub_f32_e32 v10, v9, v10
	v_sub_f32_e32 v4, v4, v10
	v_add_f32_e32 v10, v5, v9
	v_sub_f32_e32 v11, v10, v5
	v_sub_f32_e32 v12, v10, v11
	;; [unrolled: 1-line block ×5, first 2 shown]
	v_add_f32_e32 v5, v9, v5
	v_add_f32_e32 v9, v8, v4
	v_sub_f32_e32 v11, v9, v8
	v_sub_f32_e32 v12, v9, v11
	;; [unrolled: 1-line block ×4, first 2 shown]
	v_add_f32_e32 v5, v9, v5
	v_add_f32_e32 v4, v4, v8
	;; [unrolled: 1-line block ×3, first 2 shown]
	v_sub_f32_e32 v9, v8, v10
	v_sub_f32_e32 v5, v5, v9
	v_add_f32_e32 v4, v4, v5
	v_add_f32_e32 v4, v8, v4
	v_cmp_neq_f32_e64 s[4:5], s9, v7
	v_cndmask_b32_e64 v4, v6, v4, s[4:5]
	s_mov_b32 s4, 0x33800000
	v_cmp_lt_f32_e64 s[4:5], |v7|, s4
	v_cndmask_b32_e64 v4, v4, v7, s[4:5]
	v_add_f32_e32 v36, v3, v4
.LBB157_220:
	s_or_b64 exec, exec, s[6:7]
	v_max_f32_e32 v3, v29, v29
	v_max_f32_e32 v4, v36, v36
	v_min_f32_e32 v5, v4, v3
	v_cmp_u_f32_e64 s[6:7], v36, v36
	v_max_f32_e32 v4, v4, v3
	v_cndmask_b32_e64 v5, v5, v36, s[6:7]
	v_cmp_u_f32_e64 s[4:5], v29, v29
	v_cndmask_b32_e64 v4, v4, v36, s[6:7]
	v_cndmask_b32_e64 v5, v5, v29, s[4:5]
	;; [unrolled: 1-line block ×3, first 2 shown]
	v_cmp_neq_f32_e64 s[6:7], v5, v4
	v_cmp_class_f32_e64 s[8:9], v5, s8
	s_or_b64 s[6:7], s[6:7], s[8:9]
	s_and_saveexec_b64 s[8:9], s[6:7]
	s_cbranch_execz .LBB157_222
; %bb.221:
	v_sub_f32_e32 v5, v5, v4
	s_mov_b32 s6, 0x3fb8aa3b
	v_mul_f32_e32 v6, 0x3fb8aa3b, v5
	v_fma_f32 v7, v5, s6, -v6
	v_rndne_f32_e32 v8, v6
	v_fmac_f32_e32 v7, 0x32a5705f, v5
	v_sub_f32_e32 v6, v6, v8
	v_add_f32_e32 v6, v6, v7
	v_exp_f32_e32 v6, v6
	v_cvt_i32_f32_e32 v7, v8
	s_mov_b32 s6, 0xc2ce8ed0
	v_cmp_ngt_f32_e64 s[6:7], s6, v5
	s_mov_b32 s10, 0x7f800000
	v_ldexp_f32 v6, v6, v7
	v_cndmask_b32_e64 v6, 0, v6, s[6:7]
	s_mov_b32 s6, 0x42b17218
	v_mov_b32_e32 v7, 0x7f800000
	v_cmp_nlt_f32_e64 s[6:7], s6, v5
	v_cndmask_b32_e64 v8, v7, v6, s[6:7]
	v_add_f32_e32 v9, 1.0, v8
	v_cvt_f64_f32_e32 v[5:6], v9
	v_add_f32_e32 v10, -1.0, v9
	v_sub_f32_e32 v11, v10, v9
	v_sub_f32_e32 v10, v8, v10
	v_frexp_exp_i32_f64_e32 v5, v[5:6]
	v_add_f32_e32 v6, 1.0, v11
	v_add_f32_e32 v6, v10, v6
	v_frexp_mant_f32_e32 v10, v9
	s_mov_b32 s6, 0x3f2aaaab
	v_cmp_gt_f32_e64 s[6:7], s6, v10
	v_subbrev_co_u32_e64 v5, s[6:7], 0, v5, s[6:7]
	v_sub_u32_e32 v10, 0, v5
	v_ldexp_f32 v9, v9, v10
	v_ldexp_f32 v6, v6, v10
	v_add_f32_e32 v10, -1.0, v9
	v_add_f32_e32 v13, 1.0, v9
	v_add_f32_e32 v11, 1.0, v10
	v_add_f32_e32 v14, -1.0, v13
	v_sub_f32_e32 v11, v9, v11
	v_sub_f32_e32 v9, v9, v14
	v_add_f32_e32 v11, v6, v11
	v_add_f32_e32 v6, v6, v9
	;; [unrolled: 1-line block ×3, first 2 shown]
	v_rcp_f32_e32 v14, v9
	v_add_f32_e32 v12, v10, v11
	v_sub_f32_e32 v10, v10, v12
	v_add_f32_e32 v10, v11, v10
	v_sub_f32_e32 v11, v13, v9
	v_add_f32_e32 v6, v6, v11
	v_mul_f32_e32 v11, v12, v14
	v_mul_f32_e32 v13, v9, v11
	v_fma_f32 v15, v11, v9, -v13
	v_fmac_f32_e32 v15, v11, v6
	v_add_f32_e32 v35, v13, v15
	v_sub_f32_e32 v36, v12, v35
	v_sub_f32_e32 v12, v12, v36
	v_sub_f32_e32 v13, v35, v13
	v_sub_f32_e32 v12, v12, v35
	v_add_f32_e32 v10, v10, v12
	v_sub_f32_e32 v12, v13, v15
	v_add_f32_e32 v10, v12, v10
	v_add_f32_e32 v12, v36, v10
	v_mul_f32_e32 v13, v14, v12
	v_mul_f32_e32 v15, v9, v13
	v_fma_f32 v9, v13, v9, -v15
	v_fmac_f32_e32 v9, v13, v6
	v_sub_f32_e32 v6, v36, v12
	v_add_f32_e32 v6, v10, v6
	v_add_f32_e32 v10, v15, v9
	v_sub_f32_e32 v35, v12, v10
	v_sub_f32_e32 v12, v12, v35
	;; [unrolled: 1-line block ×4, first 2 shown]
	v_add_f32_e32 v6, v6, v10
	v_sub_f32_e32 v9, v15, v9
	v_add_f32_e32 v6, v9, v6
	v_add_f32_e32 v9, v11, v13
	;; [unrolled: 1-line block ×3, first 2 shown]
	v_sub_f32_e32 v10, v9, v11
	v_mul_f32_e32 v6, v14, v6
	v_sub_f32_e32 v10, v13, v10
	v_add_f32_e32 v6, v10, v6
	v_cvt_f32_i32_e32 v5, v5
	v_add_f32_e32 v10, v9, v6
	v_mul_f32_e32 v11, v10, v10
	v_mov_b32_e32 v12, 0x3ecc95a3
	v_fmac_f32_e32 v12, 0x3e9b6dac, v11
	v_mov_b32_e32 v13, 0x3f2aaada
	v_fmac_f32_e32 v13, v11, v12
	s_mov_b32 s6, 0x3f317218
	v_mul_f32_e32 v12, 0x3f317218, v5
	v_fma_f32 v14, v5, s6, -v12
	v_fmac_f32_e32 v14, 0xb102e308, v5
	v_sub_f32_e32 v5, v10, v9
	v_sub_f32_e32 v5, v6, v5
	v_add_f32_e32 v6, v12, v14
	v_sub_f32_e32 v9, v6, v12
	v_ldexp_f32 v12, v10, 1
	v_mul_f32_e32 v10, v10, v11
	v_mul_f32_e32 v10, v10, v13
	v_add_f32_e32 v11, v12, v10
	v_sub_f32_e32 v12, v11, v12
	v_ldexp_f32 v5, v5, 1
	v_sub_f32_e32 v10, v10, v12
	v_add_f32_e32 v5, v5, v10
	v_add_f32_e32 v10, v11, v5
	v_sub_f32_e32 v11, v10, v11
	v_sub_f32_e32 v5, v5, v11
	v_add_f32_e32 v11, v6, v10
	v_sub_f32_e32 v12, v11, v6
	v_sub_f32_e32 v13, v11, v12
	;; [unrolled: 1-line block ×5, first 2 shown]
	v_add_f32_e32 v6, v10, v6
	v_add_f32_e32 v10, v9, v5
	v_sub_f32_e32 v12, v10, v9
	v_sub_f32_e32 v13, v10, v12
	;; [unrolled: 1-line block ×4, first 2 shown]
	v_add_f32_e32 v6, v10, v6
	v_add_f32_e32 v5, v5, v9
	;; [unrolled: 1-line block ×3, first 2 shown]
	v_sub_f32_e32 v10, v9, v11
	v_sub_f32_e32 v6, v6, v10
	v_add_f32_e32 v5, v5, v6
	v_add_f32_e32 v5, v9, v5
	v_cmp_neq_f32_e64 s[6:7], s10, v8
	v_cndmask_b32_e64 v5, v7, v5, s[6:7]
	s_mov_b32 s6, 0x33800000
	v_cmp_lt_f32_e64 s[6:7], |v8|, s6
	v_cndmask_b32_e64 v5, v5, v8, s[6:7]
	v_add_f32_e32 v36, v4, v5
.LBB157_222:
	s_or_b64 exec, exec, s[8:9]
	v_max_f32_e32 v4, v30, v30
	v_max_f32_e32 v5, v36, v36
	v_min_f32_e32 v6, v5, v4
	v_cmp_u_f32_e64 s[8:9], v36, v36
	v_max_f32_e32 v5, v5, v4
	v_cndmask_b32_e64 v6, v6, v36, s[8:9]
	v_cmp_u_f32_e64 s[6:7], v30, v30
	v_cndmask_b32_e64 v5, v5, v36, s[8:9]
	v_cndmask_b32_e64 v6, v6, v30, s[6:7]
	;; [unrolled: 1-line block ×3, first 2 shown]
	s_movk_i32 s12, 0x1f8
	v_cmp_neq_f32_e64 s[8:9], v6, v5
	v_cmp_class_f32_e64 s[10:11], v6, s12
	s_or_b64 s[8:9], s[8:9], s[10:11]
	s_and_saveexec_b64 s[10:11], s[8:9]
	s_cbranch_execz .LBB157_224
; %bb.223:
	v_sub_f32_e32 v6, v6, v5
	s_mov_b32 s8, 0x3fb8aa3b
	v_mul_f32_e32 v7, 0x3fb8aa3b, v6
	v_fma_f32 v8, v6, s8, -v7
	v_rndne_f32_e32 v9, v7
	v_fmac_f32_e32 v8, 0x32a5705f, v6
	v_sub_f32_e32 v7, v7, v9
	v_add_f32_e32 v7, v7, v8
	v_exp_f32_e32 v7, v7
	v_cvt_i32_f32_e32 v8, v9
	s_mov_b32 s8, 0xc2ce8ed0
	v_cmp_ngt_f32_e64 s[8:9], s8, v6
	s_mov_b32 s13, 0x7f800000
	v_ldexp_f32 v7, v7, v8
	v_cndmask_b32_e64 v7, 0, v7, s[8:9]
	s_mov_b32 s8, 0x42b17218
	v_mov_b32_e32 v8, 0x7f800000
	v_cmp_nlt_f32_e64 s[8:9], s8, v6
	v_cndmask_b32_e64 v9, v8, v7, s[8:9]
	v_add_f32_e32 v10, 1.0, v9
	v_cvt_f64_f32_e32 v[6:7], v10
	v_add_f32_e32 v11, -1.0, v10
	v_sub_f32_e32 v12, v11, v10
	v_sub_f32_e32 v11, v9, v11
	v_frexp_exp_i32_f64_e32 v6, v[6:7]
	v_add_f32_e32 v7, 1.0, v12
	v_add_f32_e32 v7, v11, v7
	v_frexp_mant_f32_e32 v11, v10
	s_mov_b32 s8, 0x3f2aaaab
	v_cmp_gt_f32_e64 s[8:9], s8, v11
	v_subbrev_co_u32_e64 v6, s[8:9], 0, v6, s[8:9]
	v_sub_u32_e32 v11, 0, v6
	v_ldexp_f32 v10, v10, v11
	v_ldexp_f32 v7, v7, v11
	v_add_f32_e32 v11, -1.0, v10
	v_add_f32_e32 v14, 1.0, v10
	v_add_f32_e32 v12, 1.0, v11
	v_add_f32_e32 v15, -1.0, v14
	v_sub_f32_e32 v12, v10, v12
	v_sub_f32_e32 v10, v10, v15
	v_add_f32_e32 v12, v7, v12
	v_add_f32_e32 v7, v7, v10
	v_add_f32_e32 v10, v14, v7
	v_rcp_f32_e32 v15, v10
	v_add_f32_e32 v13, v11, v12
	v_sub_f32_e32 v11, v11, v13
	v_add_f32_e32 v11, v12, v11
	v_sub_f32_e32 v12, v14, v10
	v_add_f32_e32 v7, v7, v12
	v_mul_f32_e32 v12, v13, v15
	v_mul_f32_e32 v14, v10, v12
	v_fma_f32 v35, v12, v10, -v14
	v_fmac_f32_e32 v35, v12, v7
	v_add_f32_e32 v36, v14, v35
	v_sub_f32_e32 v37, v13, v36
	v_sub_f32_e32 v13, v13, v37
	;; [unrolled: 1-line block ×4, first 2 shown]
	v_add_f32_e32 v11, v11, v13
	v_sub_f32_e32 v13, v14, v35
	v_add_f32_e32 v11, v13, v11
	v_add_f32_e32 v13, v37, v11
	v_mul_f32_e32 v14, v15, v13
	v_mul_f32_e32 v35, v10, v14
	v_fma_f32 v10, v14, v10, -v35
	v_fmac_f32_e32 v10, v14, v7
	v_sub_f32_e32 v7, v37, v13
	v_add_f32_e32 v7, v11, v7
	v_add_f32_e32 v11, v35, v10
	v_sub_f32_e32 v36, v13, v11
	v_sub_f32_e32 v13, v13, v36
	;; [unrolled: 1-line block ×4, first 2 shown]
	v_add_f32_e32 v7, v7, v11
	v_sub_f32_e32 v10, v35, v10
	v_add_f32_e32 v7, v10, v7
	v_add_f32_e32 v10, v12, v14
	;; [unrolled: 1-line block ×3, first 2 shown]
	v_sub_f32_e32 v11, v10, v12
	v_mul_f32_e32 v7, v15, v7
	v_sub_f32_e32 v11, v14, v11
	v_add_f32_e32 v7, v11, v7
	v_cvt_f32_i32_e32 v6, v6
	v_add_f32_e32 v11, v10, v7
	v_mul_f32_e32 v12, v11, v11
	v_mov_b32_e32 v13, 0x3ecc95a3
	v_fmac_f32_e32 v13, 0x3e9b6dac, v12
	v_mov_b32_e32 v14, 0x3f2aaada
	v_fmac_f32_e32 v14, v12, v13
	s_mov_b32 s8, 0x3f317218
	v_mul_f32_e32 v13, 0x3f317218, v6
	v_fma_f32 v15, v6, s8, -v13
	v_fmac_f32_e32 v15, 0xb102e308, v6
	v_sub_f32_e32 v6, v11, v10
	v_sub_f32_e32 v6, v7, v6
	v_add_f32_e32 v7, v13, v15
	v_sub_f32_e32 v10, v7, v13
	v_ldexp_f32 v13, v11, 1
	v_mul_f32_e32 v11, v11, v12
	v_mul_f32_e32 v11, v11, v14
	v_add_f32_e32 v12, v13, v11
	v_sub_f32_e32 v13, v12, v13
	v_ldexp_f32 v6, v6, 1
	v_sub_f32_e32 v11, v11, v13
	v_add_f32_e32 v6, v6, v11
	v_add_f32_e32 v11, v12, v6
	v_sub_f32_e32 v12, v11, v12
	v_sub_f32_e32 v6, v6, v12
	v_add_f32_e32 v12, v7, v11
	v_sub_f32_e32 v13, v12, v7
	v_sub_f32_e32 v14, v12, v13
	v_sub_f32_e32 v10, v15, v10
	v_sub_f32_e32 v7, v7, v14
	v_sub_f32_e32 v11, v11, v13
	v_add_f32_e32 v7, v11, v7
	v_add_f32_e32 v11, v10, v6
	v_sub_f32_e32 v13, v11, v10
	v_sub_f32_e32 v14, v11, v13
	;; [unrolled: 1-line block ×4, first 2 shown]
	v_add_f32_e32 v7, v11, v7
	v_add_f32_e32 v6, v6, v10
	;; [unrolled: 1-line block ×3, first 2 shown]
	v_sub_f32_e32 v11, v10, v12
	v_sub_f32_e32 v7, v7, v11
	v_add_f32_e32 v6, v6, v7
	v_add_f32_e32 v6, v10, v6
	v_cmp_neq_f32_e64 s[8:9], s13, v9
	v_cndmask_b32_e64 v6, v8, v6, s[8:9]
	s_mov_b32 s8, 0x33800000
	v_cmp_lt_f32_e64 s[8:9], |v9|, s8
	v_cndmask_b32_e64 v6, v6, v9, s[8:9]
	v_add_f32_e32 v36, v5, v6
.LBB157_224:
	s_or_b64 exec, exec, s[10:11]
	v_max_f32_e32 v5, v27, v27
	v_max_f32_e32 v6, v36, v36
	v_min_f32_e32 v7, v6, v5
	v_cmp_u_f32_e64 s[10:11], v36, v36
	v_max_f32_e32 v6, v6, v5
	v_cndmask_b32_e64 v7, v7, v36, s[10:11]
	v_cmp_u_f32_e64 s[8:9], v27, v27
	v_cndmask_b32_e64 v6, v6, v36, s[10:11]
	v_cndmask_b32_e64 v7, v7, v27, s[8:9]
	;; [unrolled: 1-line block ×3, first 2 shown]
	v_cmp_neq_f32_e64 s[10:11], v7, v6
	v_cmp_class_f32_e64 s[12:13], v7, s12
	s_or_b64 s[10:11], s[10:11], s[12:13]
	s_and_saveexec_b64 s[12:13], s[10:11]
	s_cbranch_execz .LBB157_226
; %bb.225:
	v_sub_f32_e32 v7, v7, v6
	s_mov_b32 s10, 0x3fb8aa3b
	v_mul_f32_e32 v8, 0x3fb8aa3b, v7
	v_fma_f32 v9, v7, s10, -v8
	v_rndne_f32_e32 v10, v8
	v_fmac_f32_e32 v9, 0x32a5705f, v7
	v_sub_f32_e32 v8, v8, v10
	v_add_f32_e32 v8, v8, v9
	v_exp_f32_e32 v8, v8
	v_cvt_i32_f32_e32 v9, v10
	s_mov_b32 s10, 0xc2ce8ed0
	v_cmp_ngt_f32_e64 s[10:11], s10, v7
	s_mov_b32 s14, 0x7f800000
	v_ldexp_f32 v8, v8, v9
	v_cndmask_b32_e64 v8, 0, v8, s[10:11]
	s_mov_b32 s10, 0x42b17218
	v_mov_b32_e32 v9, 0x7f800000
	v_cmp_nlt_f32_e64 s[10:11], s10, v7
	v_cndmask_b32_e64 v10, v9, v8, s[10:11]
	v_add_f32_e32 v11, 1.0, v10
	v_cvt_f64_f32_e32 v[7:8], v11
	v_add_f32_e32 v12, -1.0, v11
	v_sub_f32_e32 v13, v12, v11
	v_sub_f32_e32 v12, v10, v12
	v_frexp_exp_i32_f64_e32 v7, v[7:8]
	v_add_f32_e32 v8, 1.0, v13
	v_add_f32_e32 v8, v12, v8
	v_frexp_mant_f32_e32 v12, v11
	s_mov_b32 s10, 0x3f2aaaab
	v_cmp_gt_f32_e64 s[10:11], s10, v12
	v_subbrev_co_u32_e64 v7, s[10:11], 0, v7, s[10:11]
	v_sub_u32_e32 v12, 0, v7
	v_ldexp_f32 v11, v11, v12
	v_ldexp_f32 v8, v8, v12
	v_add_f32_e32 v12, -1.0, v11
	v_add_f32_e32 v15, 1.0, v11
	v_add_f32_e32 v13, 1.0, v12
	v_add_f32_e32 v35, -1.0, v15
	v_sub_f32_e32 v13, v11, v13
	v_sub_f32_e32 v11, v11, v35
	v_add_f32_e32 v13, v8, v13
	v_add_f32_e32 v8, v8, v11
	;; [unrolled: 1-line block ×3, first 2 shown]
	v_rcp_f32_e32 v35, v11
	v_add_f32_e32 v14, v12, v13
	v_sub_f32_e32 v12, v12, v14
	v_add_f32_e32 v12, v13, v12
	v_sub_f32_e32 v13, v15, v11
	v_add_f32_e32 v8, v8, v13
	v_mul_f32_e32 v13, v14, v35
	v_mul_f32_e32 v15, v11, v13
	v_fma_f32 v36, v13, v11, -v15
	v_fmac_f32_e32 v36, v13, v8
	v_add_f32_e32 v37, v15, v36
	v_sub_f32_e32 v38, v14, v37
	v_sub_f32_e32 v14, v14, v38
	v_sub_f32_e32 v15, v37, v15
	v_sub_f32_e32 v14, v14, v37
	v_add_f32_e32 v12, v12, v14
	v_sub_f32_e32 v14, v15, v36
	v_add_f32_e32 v12, v14, v12
	v_add_f32_e32 v14, v38, v12
	v_mul_f32_e32 v15, v35, v14
	v_mul_f32_e32 v36, v11, v15
	v_fma_f32 v11, v15, v11, -v36
	v_fmac_f32_e32 v11, v15, v8
	v_sub_f32_e32 v8, v38, v14
	v_add_f32_e32 v8, v12, v8
	v_add_f32_e32 v12, v36, v11
	v_sub_f32_e32 v37, v14, v12
	v_sub_f32_e32 v14, v14, v37
	;; [unrolled: 1-line block ×4, first 2 shown]
	v_add_f32_e32 v8, v8, v12
	v_sub_f32_e32 v11, v36, v11
	v_add_f32_e32 v8, v11, v8
	v_add_f32_e32 v11, v13, v15
	;; [unrolled: 1-line block ×3, first 2 shown]
	v_sub_f32_e32 v12, v11, v13
	v_mul_f32_e32 v8, v35, v8
	v_sub_f32_e32 v12, v15, v12
	v_add_f32_e32 v8, v12, v8
	v_cvt_f32_i32_e32 v7, v7
	v_add_f32_e32 v12, v11, v8
	v_mul_f32_e32 v13, v12, v12
	v_mov_b32_e32 v14, 0x3ecc95a3
	v_fmac_f32_e32 v14, 0x3e9b6dac, v13
	v_mov_b32_e32 v15, 0x3f2aaada
	v_fmac_f32_e32 v15, v13, v14
	s_mov_b32 s10, 0x3f317218
	v_mul_f32_e32 v14, 0x3f317218, v7
	v_fma_f32 v35, v7, s10, -v14
	v_fmac_f32_e32 v35, 0xb102e308, v7
	v_sub_f32_e32 v7, v12, v11
	v_sub_f32_e32 v7, v8, v7
	v_add_f32_e32 v8, v14, v35
	v_sub_f32_e32 v11, v8, v14
	v_ldexp_f32 v14, v12, 1
	v_mul_f32_e32 v12, v12, v13
	v_mul_f32_e32 v12, v12, v15
	v_add_f32_e32 v13, v14, v12
	v_sub_f32_e32 v14, v13, v14
	v_ldexp_f32 v7, v7, 1
	v_sub_f32_e32 v12, v12, v14
	v_add_f32_e32 v7, v7, v12
	v_add_f32_e32 v12, v13, v7
	v_sub_f32_e32 v13, v12, v13
	v_sub_f32_e32 v7, v7, v13
	v_add_f32_e32 v13, v8, v12
	v_sub_f32_e32 v14, v13, v8
	v_sub_f32_e32 v15, v13, v14
	;; [unrolled: 1-line block ×5, first 2 shown]
	v_add_f32_e32 v8, v12, v8
	v_add_f32_e32 v12, v11, v7
	v_sub_f32_e32 v14, v12, v11
	v_sub_f32_e32 v15, v12, v14
	;; [unrolled: 1-line block ×4, first 2 shown]
	v_add_f32_e32 v8, v12, v8
	v_add_f32_e32 v7, v7, v11
	;; [unrolled: 1-line block ×3, first 2 shown]
	v_sub_f32_e32 v12, v11, v13
	v_sub_f32_e32 v8, v8, v12
	v_add_f32_e32 v7, v7, v8
	v_add_f32_e32 v7, v11, v7
	v_cmp_neq_f32_e64 s[10:11], s14, v10
	v_cndmask_b32_e64 v7, v9, v7, s[10:11]
	s_mov_b32 s10, 0x33800000
	v_cmp_lt_f32_e64 s[10:11], |v10|, s10
	v_cndmask_b32_e64 v7, v7, v10, s[10:11]
	v_add_f32_e32 v36, v6, v7
.LBB157_226:
	s_or_b64 exec, exec, s[12:13]
	v_max_f32_e32 v6, v28, v28
	v_max_f32_e32 v7, v36, v36
	v_min_f32_e32 v8, v7, v6
	v_cmp_u_f32_e64 s[12:13], v36, v36
	v_max_f32_e32 v7, v7, v6
	v_cndmask_b32_e64 v8, v8, v36, s[12:13]
	v_cmp_u_f32_e64 s[10:11], v28, v28
	v_cndmask_b32_e64 v7, v7, v36, s[12:13]
	v_cndmask_b32_e64 v8, v8, v28, s[10:11]
	;; [unrolled: 1-line block ×3, first 2 shown]
	s_movk_i32 s16, 0x1f8
	v_cmp_neq_f32_e64 s[12:13], v8, v7
	v_cmp_class_f32_e64 s[14:15], v8, s16
	s_or_b64 s[12:13], s[12:13], s[14:15]
	s_and_saveexec_b64 s[14:15], s[12:13]
	s_cbranch_execz .LBB157_228
; %bb.227:
	v_sub_f32_e32 v8, v8, v7
	s_mov_b32 s12, 0x3fb8aa3b
	v_mul_f32_e32 v9, 0x3fb8aa3b, v8
	v_fma_f32 v10, v8, s12, -v9
	v_rndne_f32_e32 v11, v9
	v_fmac_f32_e32 v10, 0x32a5705f, v8
	v_sub_f32_e32 v9, v9, v11
	v_add_f32_e32 v9, v9, v10
	v_exp_f32_e32 v9, v9
	v_cvt_i32_f32_e32 v10, v11
	s_mov_b32 s12, 0xc2ce8ed0
	v_cmp_ngt_f32_e64 s[12:13], s12, v8
	s_mov_b32 s17, 0x7f800000
	v_ldexp_f32 v9, v9, v10
	v_cndmask_b32_e64 v9, 0, v9, s[12:13]
	s_mov_b32 s12, 0x42b17218
	v_mov_b32_e32 v10, 0x7f800000
	v_cmp_nlt_f32_e64 s[12:13], s12, v8
	v_cndmask_b32_e64 v11, v10, v9, s[12:13]
	v_add_f32_e32 v12, 1.0, v11
	v_cvt_f64_f32_e32 v[8:9], v12
	v_add_f32_e32 v13, -1.0, v12
	v_sub_f32_e32 v14, v13, v12
	v_sub_f32_e32 v13, v11, v13
	v_frexp_exp_i32_f64_e32 v8, v[8:9]
	v_add_f32_e32 v9, 1.0, v14
	v_add_f32_e32 v9, v13, v9
	v_frexp_mant_f32_e32 v13, v12
	s_mov_b32 s12, 0x3f2aaaab
	v_cmp_gt_f32_e64 s[12:13], s12, v13
	v_subbrev_co_u32_e64 v8, s[12:13], 0, v8, s[12:13]
	v_sub_u32_e32 v13, 0, v8
	v_ldexp_f32 v12, v12, v13
	v_ldexp_f32 v9, v9, v13
	v_add_f32_e32 v13, -1.0, v12
	v_add_f32_e32 v35, 1.0, v12
	v_add_f32_e32 v14, 1.0, v13
	v_add_f32_e32 v36, -1.0, v35
	v_sub_f32_e32 v14, v12, v14
	v_sub_f32_e32 v12, v12, v36
	v_add_f32_e32 v14, v9, v14
	v_add_f32_e32 v9, v9, v12
	;; [unrolled: 1-line block ×3, first 2 shown]
	v_rcp_f32_e32 v36, v12
	v_add_f32_e32 v15, v13, v14
	v_sub_f32_e32 v13, v13, v15
	v_add_f32_e32 v13, v14, v13
	v_sub_f32_e32 v14, v35, v12
	v_add_f32_e32 v9, v9, v14
	v_mul_f32_e32 v14, v15, v36
	v_mul_f32_e32 v35, v12, v14
	v_fma_f32 v37, v14, v12, -v35
	v_fmac_f32_e32 v37, v14, v9
	v_add_f32_e32 v38, v35, v37
	v_sub_f32_e32 v39, v15, v38
	v_sub_f32_e32 v15, v15, v39
	;; [unrolled: 1-line block ×4, first 2 shown]
	v_add_f32_e32 v13, v13, v15
	v_sub_f32_e32 v15, v35, v37
	v_add_f32_e32 v13, v15, v13
	v_add_f32_e32 v15, v39, v13
	v_mul_f32_e32 v35, v36, v15
	v_mul_f32_e32 v37, v12, v35
	v_fma_f32 v12, v35, v12, -v37
	v_fmac_f32_e32 v12, v35, v9
	v_sub_f32_e32 v9, v39, v15
	v_add_f32_e32 v9, v13, v9
	v_add_f32_e32 v13, v37, v12
	v_sub_f32_e32 v38, v15, v13
	v_sub_f32_e32 v15, v15, v38
	;; [unrolled: 1-line block ×4, first 2 shown]
	v_add_f32_e32 v9, v9, v13
	v_sub_f32_e32 v12, v37, v12
	v_add_f32_e32 v9, v12, v9
	v_add_f32_e32 v12, v14, v35
	;; [unrolled: 1-line block ×3, first 2 shown]
	v_sub_f32_e32 v13, v12, v14
	v_mul_f32_e32 v9, v36, v9
	v_sub_f32_e32 v13, v35, v13
	v_add_f32_e32 v9, v13, v9
	v_cvt_f32_i32_e32 v8, v8
	v_add_f32_e32 v13, v12, v9
	v_mul_f32_e32 v14, v13, v13
	v_mov_b32_e32 v15, 0x3ecc95a3
	v_fmac_f32_e32 v15, 0x3e9b6dac, v14
	v_mov_b32_e32 v35, 0x3f2aaada
	v_fmac_f32_e32 v35, v14, v15
	s_mov_b32 s12, 0x3f317218
	v_mul_f32_e32 v15, 0x3f317218, v8
	v_fma_f32 v36, v8, s12, -v15
	v_fmac_f32_e32 v36, 0xb102e308, v8
	v_sub_f32_e32 v8, v13, v12
	v_sub_f32_e32 v8, v9, v8
	v_add_f32_e32 v9, v15, v36
	v_sub_f32_e32 v12, v9, v15
	v_ldexp_f32 v15, v13, 1
	v_mul_f32_e32 v13, v13, v14
	v_mul_f32_e32 v13, v13, v35
	v_add_f32_e32 v14, v15, v13
	v_sub_f32_e32 v15, v14, v15
	v_ldexp_f32 v8, v8, 1
	v_sub_f32_e32 v13, v13, v15
	v_add_f32_e32 v8, v8, v13
	v_add_f32_e32 v13, v14, v8
	v_sub_f32_e32 v14, v13, v14
	v_sub_f32_e32 v8, v8, v14
	v_add_f32_e32 v14, v9, v13
	v_sub_f32_e32 v15, v14, v9
	v_sub_f32_e32 v35, v14, v15
	;; [unrolled: 1-line block ×5, first 2 shown]
	v_add_f32_e32 v9, v13, v9
	v_add_f32_e32 v13, v12, v8
	v_sub_f32_e32 v15, v13, v12
	v_sub_f32_e32 v35, v13, v15
	;; [unrolled: 1-line block ×4, first 2 shown]
	v_add_f32_e32 v9, v13, v9
	v_add_f32_e32 v8, v8, v12
	;; [unrolled: 1-line block ×3, first 2 shown]
	v_sub_f32_e32 v13, v12, v14
	v_sub_f32_e32 v9, v9, v13
	v_add_f32_e32 v8, v8, v9
	v_add_f32_e32 v8, v12, v8
	v_cmp_neq_f32_e64 s[12:13], s17, v11
	v_cndmask_b32_e64 v8, v10, v8, s[12:13]
	s_mov_b32 s12, 0x33800000
	v_cmp_lt_f32_e64 s[12:13], |v11|, s12
	v_cndmask_b32_e64 v8, v8, v11, s[12:13]
	v_add_f32_e32 v36, v7, v8
.LBB157_228:
	s_or_b64 exec, exec, s[14:15]
	v_max_f32_e32 v7, v25, v25
	v_max_f32_e32 v8, v36, v36
	v_min_f32_e32 v9, v8, v7
	v_cmp_u_f32_e64 s[14:15], v36, v36
	v_max_f32_e32 v8, v8, v7
	v_cndmask_b32_e64 v9, v9, v36, s[14:15]
	v_cmp_u_f32_e64 s[12:13], v25, v25
	v_cndmask_b32_e64 v8, v8, v36, s[14:15]
	v_cndmask_b32_e64 v9, v9, v25, s[12:13]
	;; [unrolled: 1-line block ×3, first 2 shown]
	v_cmp_neq_f32_e64 s[14:15], v9, v8
	v_cmp_class_f32_e64 s[16:17], v9, s16
	s_or_b64 s[14:15], s[14:15], s[16:17]
	s_and_saveexec_b64 s[16:17], s[14:15]
	s_cbranch_execz .LBB157_230
; %bb.229:
	v_sub_f32_e32 v9, v9, v8
	s_mov_b32 s14, 0x3fb8aa3b
	v_mul_f32_e32 v10, 0x3fb8aa3b, v9
	v_fma_f32 v11, v9, s14, -v10
	v_rndne_f32_e32 v12, v10
	v_fmac_f32_e32 v11, 0x32a5705f, v9
	v_sub_f32_e32 v10, v10, v12
	v_add_f32_e32 v10, v10, v11
	v_exp_f32_e32 v10, v10
	v_cvt_i32_f32_e32 v11, v12
	s_mov_b32 s14, 0xc2ce8ed0
	v_cmp_ngt_f32_e64 s[14:15], s14, v9
	s_mov_b32 s18, 0x7f800000
	v_ldexp_f32 v10, v10, v11
	v_cndmask_b32_e64 v10, 0, v10, s[14:15]
	s_mov_b32 s14, 0x42b17218
	v_mov_b32_e32 v11, 0x7f800000
	v_cmp_nlt_f32_e64 s[14:15], s14, v9
	v_cndmask_b32_e64 v12, v11, v10, s[14:15]
	v_add_f32_e32 v13, 1.0, v12
	v_cvt_f64_f32_e32 v[9:10], v13
	v_add_f32_e32 v14, -1.0, v13
	v_sub_f32_e32 v15, v14, v13
	v_sub_f32_e32 v14, v12, v14
	v_frexp_exp_i32_f64_e32 v9, v[9:10]
	v_add_f32_e32 v10, 1.0, v15
	v_add_f32_e32 v10, v14, v10
	v_frexp_mant_f32_e32 v14, v13
	s_mov_b32 s14, 0x3f2aaaab
	v_cmp_gt_f32_e64 s[14:15], s14, v14
	v_subbrev_co_u32_e64 v9, s[14:15], 0, v9, s[14:15]
	v_sub_u32_e32 v14, 0, v9
	v_ldexp_f32 v13, v13, v14
	v_ldexp_f32 v10, v10, v14
	v_add_f32_e32 v14, -1.0, v13
	v_add_f32_e32 v36, 1.0, v13
	v_add_f32_e32 v15, 1.0, v14
	v_add_f32_e32 v37, -1.0, v36
	v_sub_f32_e32 v15, v13, v15
	v_sub_f32_e32 v13, v13, v37
	v_add_f32_e32 v15, v10, v15
	v_add_f32_e32 v10, v10, v13
	;; [unrolled: 1-line block ×3, first 2 shown]
	v_rcp_f32_e32 v37, v13
	v_add_f32_e32 v35, v14, v15
	v_sub_f32_e32 v14, v14, v35
	v_add_f32_e32 v14, v15, v14
	v_sub_f32_e32 v15, v36, v13
	v_add_f32_e32 v10, v10, v15
	v_mul_f32_e32 v15, v35, v37
	v_mul_f32_e32 v36, v13, v15
	v_fma_f32 v38, v15, v13, -v36
	v_fmac_f32_e32 v38, v15, v10
	v_add_f32_e32 v39, v36, v38
	v_sub_f32_e32 v40, v35, v39
	v_sub_f32_e32 v35, v35, v40
	;; [unrolled: 1-line block ×4, first 2 shown]
	v_add_f32_e32 v14, v14, v35
	v_sub_f32_e32 v35, v36, v38
	v_add_f32_e32 v14, v35, v14
	v_add_f32_e32 v35, v40, v14
	v_mul_f32_e32 v36, v37, v35
	v_mul_f32_e32 v38, v13, v36
	v_fma_f32 v13, v36, v13, -v38
	v_fmac_f32_e32 v13, v36, v10
	v_sub_f32_e32 v10, v40, v35
	v_add_f32_e32 v10, v14, v10
	v_add_f32_e32 v14, v38, v13
	v_sub_f32_e32 v39, v35, v14
	v_sub_f32_e32 v35, v35, v39
	;; [unrolled: 1-line block ×4, first 2 shown]
	v_add_f32_e32 v10, v10, v14
	v_sub_f32_e32 v13, v38, v13
	v_add_f32_e32 v10, v13, v10
	v_add_f32_e32 v13, v15, v36
	;; [unrolled: 1-line block ×3, first 2 shown]
	v_sub_f32_e32 v14, v13, v15
	v_mul_f32_e32 v10, v37, v10
	v_sub_f32_e32 v14, v36, v14
	v_add_f32_e32 v10, v14, v10
	v_cvt_f32_i32_e32 v9, v9
	v_add_f32_e32 v14, v13, v10
	v_mul_f32_e32 v15, v14, v14
	v_mov_b32_e32 v35, 0x3ecc95a3
	v_fmac_f32_e32 v35, 0x3e9b6dac, v15
	v_mov_b32_e32 v36, 0x3f2aaada
	v_fmac_f32_e32 v36, v15, v35
	s_mov_b32 s14, 0x3f317218
	v_mul_f32_e32 v35, 0x3f317218, v9
	v_fma_f32 v37, v9, s14, -v35
	v_fmac_f32_e32 v37, 0xb102e308, v9
	v_sub_f32_e32 v9, v14, v13
	v_sub_f32_e32 v9, v10, v9
	v_add_f32_e32 v10, v35, v37
	v_sub_f32_e32 v13, v10, v35
	v_ldexp_f32 v35, v14, 1
	v_mul_f32_e32 v14, v14, v15
	v_mul_f32_e32 v14, v14, v36
	v_add_f32_e32 v15, v35, v14
	v_sub_f32_e32 v35, v15, v35
	v_ldexp_f32 v9, v9, 1
	v_sub_f32_e32 v14, v14, v35
	v_add_f32_e32 v9, v9, v14
	v_add_f32_e32 v14, v15, v9
	v_sub_f32_e32 v15, v14, v15
	v_sub_f32_e32 v9, v9, v15
	v_add_f32_e32 v15, v10, v14
	v_sub_f32_e32 v35, v15, v10
	v_sub_f32_e32 v36, v15, v35
	;; [unrolled: 1-line block ×5, first 2 shown]
	v_add_f32_e32 v10, v14, v10
	v_add_f32_e32 v14, v13, v9
	v_sub_f32_e32 v35, v14, v13
	v_sub_f32_e32 v36, v14, v35
	;; [unrolled: 1-line block ×4, first 2 shown]
	v_add_f32_e32 v10, v14, v10
	v_add_f32_e32 v9, v9, v13
	;; [unrolled: 1-line block ×3, first 2 shown]
	v_sub_f32_e32 v14, v13, v15
	v_sub_f32_e32 v10, v10, v14
	v_add_f32_e32 v9, v9, v10
	v_add_f32_e32 v9, v13, v9
	v_cmp_neq_f32_e64 s[14:15], s18, v12
	v_cndmask_b32_e64 v9, v11, v9, s[14:15]
	s_mov_b32 s14, 0x33800000
	v_cmp_lt_f32_e64 s[14:15], |v12|, s14
	v_cndmask_b32_e64 v9, v9, v12, s[14:15]
	v_add_f32_e32 v36, v8, v9
.LBB157_230:
	s_or_b64 exec, exec, s[16:17]
	v_max_f32_e32 v8, v26, v26
	v_max_f32_e32 v9, v36, v36
	v_min_f32_e32 v10, v9, v8
	v_cmp_u_f32_e64 s[16:17], v36, v36
	v_max_f32_e32 v9, v9, v8
	v_cndmask_b32_e64 v10, v10, v36, s[16:17]
	v_cmp_u_f32_e64 s[14:15], v26, v26
	v_cndmask_b32_e64 v9, v9, v36, s[16:17]
	v_cndmask_b32_e64 v10, v10, v26, s[14:15]
	;; [unrolled: 1-line block ×3, first 2 shown]
	s_movk_i32 s20, 0x1f8
	v_cmp_neq_f32_e64 s[16:17], v10, v9
	v_cmp_class_f32_e64 s[18:19], v10, s20
	s_or_b64 s[16:17], s[16:17], s[18:19]
	s_and_saveexec_b64 s[18:19], s[16:17]
	s_cbranch_execz .LBB157_232
; %bb.231:
	v_sub_f32_e32 v10, v10, v9
	s_mov_b32 s16, 0x3fb8aa3b
	v_mul_f32_e32 v11, 0x3fb8aa3b, v10
	v_fma_f32 v12, v10, s16, -v11
	v_rndne_f32_e32 v13, v11
	v_fmac_f32_e32 v12, 0x32a5705f, v10
	v_sub_f32_e32 v11, v11, v13
	v_add_f32_e32 v11, v11, v12
	v_exp_f32_e32 v11, v11
	v_cvt_i32_f32_e32 v12, v13
	s_mov_b32 s16, 0xc2ce8ed0
	v_cmp_ngt_f32_e64 s[16:17], s16, v10
	s_mov_b32 s21, 0x7f800000
	v_ldexp_f32 v11, v11, v12
	v_cndmask_b32_e64 v11, 0, v11, s[16:17]
	s_mov_b32 s16, 0x42b17218
	v_mov_b32_e32 v12, 0x7f800000
	v_cmp_nlt_f32_e64 s[16:17], s16, v10
	v_cndmask_b32_e64 v13, v12, v11, s[16:17]
	v_add_f32_e32 v14, 1.0, v13
	v_cvt_f64_f32_e32 v[10:11], v14
	v_add_f32_e32 v15, -1.0, v14
	v_sub_f32_e32 v35, v15, v14
	v_sub_f32_e32 v15, v13, v15
	v_frexp_exp_i32_f64_e32 v10, v[10:11]
	v_add_f32_e32 v11, 1.0, v35
	v_add_f32_e32 v11, v15, v11
	v_frexp_mant_f32_e32 v15, v14
	s_mov_b32 s16, 0x3f2aaaab
	v_cmp_gt_f32_e64 s[16:17], s16, v15
	v_subbrev_co_u32_e64 v10, s[16:17], 0, v10, s[16:17]
	v_sub_u32_e32 v15, 0, v10
	v_ldexp_f32 v14, v14, v15
	v_ldexp_f32 v11, v11, v15
	v_add_f32_e32 v15, -1.0, v14
	v_add_f32_e32 v37, 1.0, v14
	v_add_f32_e32 v35, 1.0, v15
	v_add_f32_e32 v38, -1.0, v37
	v_sub_f32_e32 v35, v14, v35
	v_sub_f32_e32 v14, v14, v38
	v_add_f32_e32 v35, v11, v35
	v_add_f32_e32 v11, v11, v14
	;; [unrolled: 1-line block ×3, first 2 shown]
	v_rcp_f32_e32 v38, v14
	v_add_f32_e32 v36, v15, v35
	v_sub_f32_e32 v15, v15, v36
	v_add_f32_e32 v15, v35, v15
	v_sub_f32_e32 v35, v37, v14
	v_add_f32_e32 v11, v11, v35
	v_mul_f32_e32 v35, v36, v38
	v_mul_f32_e32 v37, v14, v35
	v_fma_f32 v39, v35, v14, -v37
	v_fmac_f32_e32 v39, v35, v11
	v_add_f32_e32 v40, v37, v39
	v_sub_f32_e32 v41, v36, v40
	v_sub_f32_e32 v36, v36, v41
	;; [unrolled: 1-line block ×4, first 2 shown]
	v_add_f32_e32 v15, v15, v36
	v_sub_f32_e32 v36, v37, v39
	v_add_f32_e32 v15, v36, v15
	v_add_f32_e32 v36, v41, v15
	v_mul_f32_e32 v37, v38, v36
	v_mul_f32_e32 v39, v14, v37
	v_fma_f32 v14, v37, v14, -v39
	v_fmac_f32_e32 v14, v37, v11
	v_sub_f32_e32 v11, v41, v36
	v_add_f32_e32 v11, v15, v11
	v_add_f32_e32 v15, v39, v14
	v_sub_f32_e32 v40, v36, v15
	v_sub_f32_e32 v36, v36, v40
	;; [unrolled: 1-line block ×4, first 2 shown]
	v_add_f32_e32 v11, v11, v15
	v_sub_f32_e32 v14, v39, v14
	v_add_f32_e32 v11, v14, v11
	v_add_f32_e32 v14, v35, v37
	;; [unrolled: 1-line block ×3, first 2 shown]
	v_sub_f32_e32 v15, v14, v35
	v_mul_f32_e32 v11, v38, v11
	v_sub_f32_e32 v15, v37, v15
	v_add_f32_e32 v11, v15, v11
	v_cvt_f32_i32_e32 v10, v10
	v_add_f32_e32 v15, v14, v11
	v_mul_f32_e32 v35, v15, v15
	v_mov_b32_e32 v36, 0x3ecc95a3
	v_fmac_f32_e32 v36, 0x3e9b6dac, v35
	v_mov_b32_e32 v37, 0x3f2aaada
	v_fmac_f32_e32 v37, v35, v36
	s_mov_b32 s16, 0x3f317218
	v_mul_f32_e32 v36, 0x3f317218, v10
	v_fma_f32 v38, v10, s16, -v36
	v_fmac_f32_e32 v38, 0xb102e308, v10
	v_sub_f32_e32 v10, v15, v14
	v_sub_f32_e32 v10, v11, v10
	v_add_f32_e32 v11, v36, v38
	v_sub_f32_e32 v14, v11, v36
	v_ldexp_f32 v36, v15, 1
	v_mul_f32_e32 v15, v15, v35
	v_mul_f32_e32 v15, v15, v37
	v_add_f32_e32 v35, v36, v15
	v_sub_f32_e32 v36, v35, v36
	v_ldexp_f32 v10, v10, 1
	v_sub_f32_e32 v15, v15, v36
	v_add_f32_e32 v10, v10, v15
	v_add_f32_e32 v15, v35, v10
	v_sub_f32_e32 v35, v15, v35
	v_sub_f32_e32 v10, v10, v35
	v_add_f32_e32 v35, v11, v15
	v_sub_f32_e32 v36, v35, v11
	v_sub_f32_e32 v37, v35, v36
	;; [unrolled: 1-line block ×5, first 2 shown]
	v_add_f32_e32 v11, v15, v11
	v_add_f32_e32 v15, v14, v10
	v_sub_f32_e32 v36, v15, v14
	v_sub_f32_e32 v37, v15, v36
	;; [unrolled: 1-line block ×4, first 2 shown]
	v_add_f32_e32 v11, v15, v11
	v_add_f32_e32 v10, v10, v14
	;; [unrolled: 1-line block ×3, first 2 shown]
	v_sub_f32_e32 v15, v14, v35
	v_sub_f32_e32 v11, v11, v15
	v_add_f32_e32 v10, v10, v11
	v_add_f32_e32 v10, v14, v10
	v_cmp_neq_f32_e64 s[16:17], s21, v13
	v_cndmask_b32_e64 v10, v12, v10, s[16:17]
	s_mov_b32 s16, 0x33800000
	v_cmp_lt_f32_e64 s[16:17], |v13|, s16
	v_cndmask_b32_e64 v10, v10, v13, s[16:17]
	v_add_f32_e32 v36, v9, v10
.LBB157_232:
	s_or_b64 exec, exec, s[18:19]
	v_max_f32_e32 v9, v23, v23
	v_max_f32_e32 v10, v36, v36
	v_min_f32_e32 v11, v10, v9
	v_cmp_u_f32_e64 s[18:19], v36, v36
	v_max_f32_e32 v10, v10, v9
	v_cndmask_b32_e64 v11, v11, v36, s[18:19]
	v_cmp_u_f32_e64 s[16:17], v23, v23
	v_cndmask_b32_e64 v10, v10, v36, s[18:19]
	v_cndmask_b32_e64 v11, v11, v23, s[16:17]
	;; [unrolled: 1-line block ×3, first 2 shown]
	v_cmp_neq_f32_e64 s[18:19], v11, v10
	v_cmp_class_f32_e64 s[20:21], v11, s20
	s_or_b64 s[18:19], s[18:19], s[20:21]
	s_and_saveexec_b64 s[20:21], s[18:19]
	s_cbranch_execz .LBB157_234
; %bb.233:
	v_sub_f32_e32 v11, v11, v10
	s_mov_b32 s18, 0x3fb8aa3b
	v_mul_f32_e32 v12, 0x3fb8aa3b, v11
	v_fma_f32 v13, v11, s18, -v12
	v_rndne_f32_e32 v14, v12
	v_fmac_f32_e32 v13, 0x32a5705f, v11
	v_sub_f32_e32 v12, v12, v14
	v_add_f32_e32 v12, v12, v13
	v_exp_f32_e32 v12, v12
	v_cvt_i32_f32_e32 v13, v14
	s_mov_b32 s18, 0xc2ce8ed0
	v_cmp_ngt_f32_e64 s[18:19], s18, v11
	s_mov_b32 s22, 0x7f800000
	v_ldexp_f32 v12, v12, v13
	v_cndmask_b32_e64 v12, 0, v12, s[18:19]
	s_mov_b32 s18, 0x42b17218
	v_mov_b32_e32 v13, 0x7f800000
	v_cmp_nlt_f32_e64 s[18:19], s18, v11
	v_cndmask_b32_e64 v14, v13, v12, s[18:19]
	v_add_f32_e32 v15, 1.0, v14
	v_cvt_f64_f32_e32 v[11:12], v15
	v_add_f32_e32 v35, -1.0, v15
	v_sub_f32_e32 v36, v35, v15
	v_sub_f32_e32 v35, v14, v35
	v_frexp_exp_i32_f64_e32 v11, v[11:12]
	v_add_f32_e32 v12, 1.0, v36
	v_add_f32_e32 v12, v35, v12
	v_frexp_mant_f32_e32 v35, v15
	s_mov_b32 s18, 0x3f2aaaab
	v_cmp_gt_f32_e64 s[18:19], s18, v35
	v_subbrev_co_u32_e64 v11, s[18:19], 0, v11, s[18:19]
	v_sub_u32_e32 v35, 0, v11
	v_ldexp_f32 v15, v15, v35
	v_ldexp_f32 v12, v12, v35
	v_add_f32_e32 v35, -1.0, v15
	v_add_f32_e32 v38, 1.0, v15
	v_add_f32_e32 v36, 1.0, v35
	v_add_f32_e32 v39, -1.0, v38
	v_sub_f32_e32 v36, v15, v36
	v_sub_f32_e32 v15, v15, v39
	v_add_f32_e32 v36, v12, v36
	v_add_f32_e32 v12, v12, v15
	;; [unrolled: 1-line block ×3, first 2 shown]
	v_rcp_f32_e32 v39, v15
	v_add_f32_e32 v37, v35, v36
	v_sub_f32_e32 v35, v35, v37
	v_add_f32_e32 v35, v36, v35
	v_sub_f32_e32 v36, v38, v15
	v_add_f32_e32 v12, v12, v36
	v_mul_f32_e32 v36, v37, v39
	v_mul_f32_e32 v38, v15, v36
	v_fma_f32 v40, v36, v15, -v38
	v_fmac_f32_e32 v40, v36, v12
	v_add_f32_e32 v41, v38, v40
	v_sub_f32_e32 v42, v37, v41
	v_sub_f32_e32 v37, v37, v42
	;; [unrolled: 1-line block ×4, first 2 shown]
	v_add_f32_e32 v35, v35, v37
	v_sub_f32_e32 v37, v38, v40
	v_add_f32_e32 v35, v37, v35
	v_add_f32_e32 v37, v42, v35
	v_mul_f32_e32 v38, v39, v37
	v_mul_f32_e32 v40, v15, v38
	v_fma_f32 v15, v38, v15, -v40
	v_fmac_f32_e32 v15, v38, v12
	v_sub_f32_e32 v12, v42, v37
	v_add_f32_e32 v12, v35, v12
	v_add_f32_e32 v35, v40, v15
	v_sub_f32_e32 v41, v37, v35
	v_sub_f32_e32 v37, v37, v41
	;; [unrolled: 1-line block ×4, first 2 shown]
	v_add_f32_e32 v12, v12, v35
	v_sub_f32_e32 v15, v40, v15
	v_add_f32_e32 v12, v15, v12
	v_add_f32_e32 v15, v36, v38
	;; [unrolled: 1-line block ×3, first 2 shown]
	v_sub_f32_e32 v35, v15, v36
	v_mul_f32_e32 v12, v39, v12
	v_sub_f32_e32 v35, v38, v35
	v_add_f32_e32 v12, v35, v12
	v_cvt_f32_i32_e32 v11, v11
	v_add_f32_e32 v35, v15, v12
	v_mul_f32_e32 v36, v35, v35
	v_mov_b32_e32 v37, 0x3ecc95a3
	v_fmac_f32_e32 v37, 0x3e9b6dac, v36
	v_mov_b32_e32 v38, 0x3f2aaada
	v_fmac_f32_e32 v38, v36, v37
	s_mov_b32 s18, 0x3f317218
	v_mul_f32_e32 v37, 0x3f317218, v11
	v_fma_f32 v39, v11, s18, -v37
	v_fmac_f32_e32 v39, 0xb102e308, v11
	v_sub_f32_e32 v11, v35, v15
	v_sub_f32_e32 v11, v12, v11
	v_add_f32_e32 v12, v37, v39
	v_sub_f32_e32 v15, v12, v37
	v_ldexp_f32 v37, v35, 1
	v_mul_f32_e32 v35, v35, v36
	v_mul_f32_e32 v35, v35, v38
	v_add_f32_e32 v36, v37, v35
	v_sub_f32_e32 v37, v36, v37
	v_ldexp_f32 v11, v11, 1
	v_sub_f32_e32 v35, v35, v37
	v_add_f32_e32 v11, v11, v35
	v_add_f32_e32 v35, v36, v11
	v_sub_f32_e32 v36, v35, v36
	v_sub_f32_e32 v11, v11, v36
	v_add_f32_e32 v36, v12, v35
	v_sub_f32_e32 v37, v36, v12
	v_sub_f32_e32 v38, v36, v37
	;; [unrolled: 1-line block ×5, first 2 shown]
	v_add_f32_e32 v12, v35, v12
	v_add_f32_e32 v35, v15, v11
	v_sub_f32_e32 v37, v35, v15
	v_sub_f32_e32 v38, v35, v37
	v_sub_f32_e32 v15, v15, v38
	v_sub_f32_e32 v11, v11, v37
	v_add_f32_e32 v12, v35, v12
	v_add_f32_e32 v11, v11, v15
	;; [unrolled: 1-line block ×3, first 2 shown]
	v_sub_f32_e32 v35, v15, v36
	v_sub_f32_e32 v12, v12, v35
	v_add_f32_e32 v11, v11, v12
	v_add_f32_e32 v11, v15, v11
	v_cmp_neq_f32_e64 s[18:19], s22, v14
	v_cndmask_b32_e64 v11, v13, v11, s[18:19]
	s_mov_b32 s18, 0x33800000
	v_cmp_lt_f32_e64 s[18:19], |v14|, s18
	v_cndmask_b32_e64 v11, v11, v14, s[18:19]
	v_add_f32_e32 v36, v10, v11
.LBB157_234:
	s_or_b64 exec, exec, s[20:21]
	v_max_f32_e32 v10, v24, v24
	v_max_f32_e32 v11, v36, v36
	v_min_f32_e32 v12, v11, v10
	v_cmp_u_f32_e64 s[20:21], v36, v36
	v_max_f32_e32 v11, v11, v10
	v_cndmask_b32_e64 v12, v12, v36, s[20:21]
	v_cmp_u_f32_e64 s[18:19], v24, v24
	v_cndmask_b32_e64 v11, v11, v36, s[20:21]
	v_cndmask_b32_e64 v12, v12, v24, s[18:19]
	v_cndmask_b32_e64 v11, v11, v24, s[18:19]
	s_movk_i32 s24, 0x1f8
	v_cmp_neq_f32_e64 s[20:21], v12, v11
	v_cmp_class_f32_e64 s[22:23], v12, s24
	s_or_b64 s[20:21], s[20:21], s[22:23]
	s_and_saveexec_b64 s[22:23], s[20:21]
	s_cbranch_execz .LBB157_236
; %bb.235:
	v_sub_f32_e32 v12, v12, v11
	s_mov_b32 s20, 0x3fb8aa3b
	v_mul_f32_e32 v13, 0x3fb8aa3b, v12
	v_fma_f32 v14, v12, s20, -v13
	v_rndne_f32_e32 v15, v13
	v_fmac_f32_e32 v14, 0x32a5705f, v12
	v_sub_f32_e32 v13, v13, v15
	v_add_f32_e32 v13, v13, v14
	v_exp_f32_e32 v13, v13
	v_cvt_i32_f32_e32 v14, v15
	s_mov_b32 s20, 0xc2ce8ed0
	v_cmp_ngt_f32_e64 s[20:21], s20, v12
	s_mov_b32 s25, 0x7f800000
	v_ldexp_f32 v13, v13, v14
	v_cndmask_b32_e64 v13, 0, v13, s[20:21]
	s_mov_b32 s20, 0x42b17218
	v_mov_b32_e32 v14, 0x7f800000
	v_cmp_nlt_f32_e64 s[20:21], s20, v12
	v_cndmask_b32_e64 v15, v14, v13, s[20:21]
	v_add_f32_e32 v35, 1.0, v15
	v_cvt_f64_f32_e32 v[12:13], v35
	v_add_f32_e32 v36, -1.0, v35
	v_sub_f32_e32 v37, v36, v35
	v_sub_f32_e32 v36, v15, v36
	v_frexp_exp_i32_f64_e32 v12, v[12:13]
	v_add_f32_e32 v13, 1.0, v37
	v_add_f32_e32 v13, v36, v13
	v_frexp_mant_f32_e32 v36, v35
	s_mov_b32 s20, 0x3f2aaaab
	v_cmp_gt_f32_e64 s[20:21], s20, v36
	v_subbrev_co_u32_e64 v12, s[20:21], 0, v12, s[20:21]
	v_sub_u32_e32 v36, 0, v12
	v_ldexp_f32 v35, v35, v36
	v_ldexp_f32 v13, v13, v36
	v_add_f32_e32 v36, -1.0, v35
	v_add_f32_e32 v39, 1.0, v35
	v_add_f32_e32 v37, 1.0, v36
	v_add_f32_e32 v40, -1.0, v39
	v_sub_f32_e32 v37, v35, v37
	v_sub_f32_e32 v35, v35, v40
	v_add_f32_e32 v37, v13, v37
	v_add_f32_e32 v13, v13, v35
	v_add_f32_e32 v35, v39, v13
	v_rcp_f32_e32 v40, v35
	v_add_f32_e32 v38, v36, v37
	v_sub_f32_e32 v36, v36, v38
	v_add_f32_e32 v36, v37, v36
	v_sub_f32_e32 v37, v39, v35
	v_add_f32_e32 v13, v13, v37
	v_mul_f32_e32 v37, v38, v40
	v_mul_f32_e32 v39, v35, v37
	v_fma_f32 v41, v37, v35, -v39
	v_fmac_f32_e32 v41, v37, v13
	v_add_f32_e32 v42, v39, v41
	v_sub_f32_e32 v43, v38, v42
	v_sub_f32_e32 v38, v38, v43
	;; [unrolled: 1-line block ×4, first 2 shown]
	v_add_f32_e32 v36, v36, v38
	v_sub_f32_e32 v38, v39, v41
	v_add_f32_e32 v36, v38, v36
	v_add_f32_e32 v38, v43, v36
	v_mul_f32_e32 v39, v40, v38
	v_mul_f32_e32 v41, v35, v39
	v_fma_f32 v35, v39, v35, -v41
	v_fmac_f32_e32 v35, v39, v13
	v_sub_f32_e32 v13, v43, v38
	v_add_f32_e32 v13, v36, v13
	v_add_f32_e32 v36, v41, v35
	v_sub_f32_e32 v42, v38, v36
	v_sub_f32_e32 v38, v38, v42
	;; [unrolled: 1-line block ×4, first 2 shown]
	v_add_f32_e32 v13, v13, v36
	v_sub_f32_e32 v35, v41, v35
	v_add_f32_e32 v13, v35, v13
	v_add_f32_e32 v35, v37, v39
	;; [unrolled: 1-line block ×3, first 2 shown]
	v_sub_f32_e32 v36, v35, v37
	v_mul_f32_e32 v13, v40, v13
	v_sub_f32_e32 v36, v39, v36
	v_add_f32_e32 v13, v36, v13
	v_cvt_f32_i32_e32 v12, v12
	v_add_f32_e32 v36, v35, v13
	v_mul_f32_e32 v37, v36, v36
	v_mov_b32_e32 v38, 0x3ecc95a3
	v_fmac_f32_e32 v38, 0x3e9b6dac, v37
	v_mov_b32_e32 v39, 0x3f2aaada
	v_fmac_f32_e32 v39, v37, v38
	s_mov_b32 s20, 0x3f317218
	v_mul_f32_e32 v38, 0x3f317218, v12
	v_fma_f32 v40, v12, s20, -v38
	v_fmac_f32_e32 v40, 0xb102e308, v12
	v_sub_f32_e32 v12, v36, v35
	v_sub_f32_e32 v12, v13, v12
	v_add_f32_e32 v13, v38, v40
	v_sub_f32_e32 v35, v13, v38
	v_ldexp_f32 v38, v36, 1
	v_mul_f32_e32 v36, v36, v37
	v_mul_f32_e32 v36, v36, v39
	v_add_f32_e32 v37, v38, v36
	v_sub_f32_e32 v38, v37, v38
	v_ldexp_f32 v12, v12, 1
	v_sub_f32_e32 v36, v36, v38
	v_add_f32_e32 v12, v12, v36
	v_add_f32_e32 v36, v37, v12
	v_sub_f32_e32 v37, v36, v37
	v_sub_f32_e32 v12, v12, v37
	v_add_f32_e32 v37, v13, v36
	v_sub_f32_e32 v38, v37, v13
	v_sub_f32_e32 v39, v37, v38
	;; [unrolled: 1-line block ×5, first 2 shown]
	v_add_f32_e32 v13, v36, v13
	v_add_f32_e32 v36, v35, v12
	v_sub_f32_e32 v38, v36, v35
	v_sub_f32_e32 v39, v36, v38
	;; [unrolled: 1-line block ×4, first 2 shown]
	v_add_f32_e32 v13, v36, v13
	v_add_f32_e32 v12, v12, v35
	;; [unrolled: 1-line block ×3, first 2 shown]
	v_sub_f32_e32 v36, v35, v37
	v_sub_f32_e32 v13, v13, v36
	v_add_f32_e32 v12, v12, v13
	v_add_f32_e32 v12, v35, v12
	v_cmp_neq_f32_e64 s[20:21], s25, v15
	v_cndmask_b32_e64 v12, v14, v12, s[20:21]
	s_mov_b32 s20, 0x33800000
	v_cmp_lt_f32_e64 s[20:21], |v15|, s20
	v_cndmask_b32_e64 v12, v12, v15, s[20:21]
	v_add_f32_e32 v36, v11, v12
.LBB157_236:
	s_or_b64 exec, exec, s[22:23]
	v_max_f32_e32 v11, v21, v21
	v_max_f32_e32 v12, v36, v36
	v_min_f32_e32 v13, v12, v11
	v_cmp_u_f32_e64 s[22:23], v36, v36
	v_max_f32_e32 v12, v12, v11
	v_cndmask_b32_e64 v13, v13, v36, s[22:23]
	v_cmp_u_f32_e64 s[20:21], v21, v21
	v_cndmask_b32_e64 v12, v12, v36, s[22:23]
	v_cndmask_b32_e64 v13, v13, v21, s[20:21]
	;; [unrolled: 1-line block ×3, first 2 shown]
	v_cmp_neq_f32_e64 s[22:23], v13, v12
	v_cmp_class_f32_e64 s[24:25], v13, s24
	s_or_b64 s[22:23], s[22:23], s[24:25]
	s_and_saveexec_b64 s[24:25], s[22:23]
	s_cbranch_execz .LBB157_238
; %bb.237:
	v_sub_f32_e32 v13, v13, v12
	s_mov_b32 s22, 0x3fb8aa3b
	v_mul_f32_e32 v14, 0x3fb8aa3b, v13
	v_fma_f32 v15, v13, s22, -v14
	v_rndne_f32_e32 v35, v14
	v_fmac_f32_e32 v15, 0x32a5705f, v13
	v_sub_f32_e32 v14, v14, v35
	v_add_f32_e32 v14, v14, v15
	v_exp_f32_e32 v14, v14
	v_cvt_i32_f32_e32 v15, v35
	s_mov_b32 s22, 0xc2ce8ed0
	v_cmp_ngt_f32_e64 s[22:23], s22, v13
	s_mov_b32 s26, 0x7f800000
	v_ldexp_f32 v14, v14, v15
	v_cndmask_b32_e64 v14, 0, v14, s[22:23]
	s_mov_b32 s22, 0x42b17218
	v_mov_b32_e32 v15, 0x7f800000
	v_cmp_nlt_f32_e64 s[22:23], s22, v13
	v_cndmask_b32_e64 v35, v15, v14, s[22:23]
	v_add_f32_e32 v36, 1.0, v35
	v_cvt_f64_f32_e32 v[13:14], v36
	v_add_f32_e32 v37, -1.0, v36
	v_sub_f32_e32 v38, v37, v36
	v_sub_f32_e32 v37, v35, v37
	v_frexp_exp_i32_f64_e32 v13, v[13:14]
	v_add_f32_e32 v14, 1.0, v38
	v_add_f32_e32 v14, v37, v14
	v_frexp_mant_f32_e32 v37, v36
	s_mov_b32 s22, 0x3f2aaaab
	v_cmp_gt_f32_e64 s[22:23], s22, v37
	v_subbrev_co_u32_e64 v13, s[22:23], 0, v13, s[22:23]
	v_sub_u32_e32 v37, 0, v13
	v_ldexp_f32 v36, v36, v37
	v_ldexp_f32 v14, v14, v37
	v_add_f32_e32 v37, -1.0, v36
	v_add_f32_e32 v40, 1.0, v36
	v_add_f32_e32 v38, 1.0, v37
	v_add_f32_e32 v41, -1.0, v40
	v_sub_f32_e32 v38, v36, v38
	v_sub_f32_e32 v36, v36, v41
	v_add_f32_e32 v38, v14, v38
	v_add_f32_e32 v14, v14, v36
	v_add_f32_e32 v36, v40, v14
	v_rcp_f32_e32 v41, v36
	v_add_f32_e32 v39, v37, v38
	v_sub_f32_e32 v37, v37, v39
	v_add_f32_e32 v37, v38, v37
	v_sub_f32_e32 v38, v40, v36
	v_add_f32_e32 v14, v14, v38
	v_mul_f32_e32 v38, v39, v41
	v_mul_f32_e32 v40, v36, v38
	v_fma_f32 v42, v38, v36, -v40
	v_fmac_f32_e32 v42, v38, v14
	v_add_f32_e32 v43, v40, v42
	v_sub_f32_e32 v44, v39, v43
	v_sub_f32_e32 v39, v39, v44
	;; [unrolled: 1-line block ×4, first 2 shown]
	v_add_f32_e32 v37, v37, v39
	v_sub_f32_e32 v39, v40, v42
	v_add_f32_e32 v37, v39, v37
	v_add_f32_e32 v39, v44, v37
	v_mul_f32_e32 v40, v41, v39
	v_mul_f32_e32 v42, v36, v40
	v_fma_f32 v36, v40, v36, -v42
	v_fmac_f32_e32 v36, v40, v14
	v_sub_f32_e32 v14, v44, v39
	v_add_f32_e32 v14, v37, v14
	v_add_f32_e32 v37, v42, v36
	v_sub_f32_e32 v43, v39, v37
	v_sub_f32_e32 v39, v39, v43
	;; [unrolled: 1-line block ×4, first 2 shown]
	v_add_f32_e32 v14, v14, v37
	v_sub_f32_e32 v36, v42, v36
	v_add_f32_e32 v14, v36, v14
	v_add_f32_e32 v36, v38, v40
	;; [unrolled: 1-line block ×3, first 2 shown]
	v_sub_f32_e32 v37, v36, v38
	v_mul_f32_e32 v14, v41, v14
	v_sub_f32_e32 v37, v40, v37
	v_add_f32_e32 v14, v37, v14
	v_cvt_f32_i32_e32 v13, v13
	v_add_f32_e32 v37, v36, v14
	v_mul_f32_e32 v38, v37, v37
	v_mov_b32_e32 v39, 0x3ecc95a3
	v_fmac_f32_e32 v39, 0x3e9b6dac, v38
	v_mov_b32_e32 v40, 0x3f2aaada
	v_fmac_f32_e32 v40, v38, v39
	s_mov_b32 s22, 0x3f317218
	v_mul_f32_e32 v39, 0x3f317218, v13
	v_fma_f32 v41, v13, s22, -v39
	v_fmac_f32_e32 v41, 0xb102e308, v13
	v_sub_f32_e32 v13, v37, v36
	v_sub_f32_e32 v13, v14, v13
	v_add_f32_e32 v14, v39, v41
	v_sub_f32_e32 v36, v14, v39
	v_ldexp_f32 v39, v37, 1
	v_mul_f32_e32 v37, v37, v38
	v_mul_f32_e32 v37, v37, v40
	v_add_f32_e32 v38, v39, v37
	v_sub_f32_e32 v39, v38, v39
	v_ldexp_f32 v13, v13, 1
	v_sub_f32_e32 v37, v37, v39
	v_add_f32_e32 v13, v13, v37
	v_add_f32_e32 v37, v38, v13
	v_sub_f32_e32 v38, v37, v38
	v_sub_f32_e32 v13, v13, v38
	v_add_f32_e32 v38, v14, v37
	v_sub_f32_e32 v39, v38, v14
	v_sub_f32_e32 v40, v38, v39
	;; [unrolled: 1-line block ×5, first 2 shown]
	v_add_f32_e32 v14, v37, v14
	v_add_f32_e32 v37, v36, v13
	v_sub_f32_e32 v39, v37, v36
	v_sub_f32_e32 v40, v37, v39
	;; [unrolled: 1-line block ×4, first 2 shown]
	v_add_f32_e32 v14, v37, v14
	v_add_f32_e32 v13, v13, v36
	;; [unrolled: 1-line block ×3, first 2 shown]
	v_sub_f32_e32 v37, v36, v38
	v_sub_f32_e32 v14, v14, v37
	v_add_f32_e32 v13, v13, v14
	v_add_f32_e32 v13, v36, v13
	v_cmp_neq_f32_e64 s[22:23], s26, v35
	v_cndmask_b32_e64 v13, v15, v13, s[22:23]
	s_mov_b32 s22, 0x33800000
	v_cmp_lt_f32_e64 s[22:23], |v35|, s22
	v_cndmask_b32_e64 v13, v13, v35, s[22:23]
	v_add_f32_e32 v36, v12, v13
.LBB157_238:
	s_or_b64 exec, exec, s[24:25]
	v_max_f32_e32 v12, v22, v22
	v_max_f32_e32 v13, v36, v36
	v_min_f32_e32 v14, v13, v12
	v_cmp_u_f32_e64 s[24:25], v36, v36
	v_max_f32_e32 v13, v13, v12
	v_cndmask_b32_e64 v14, v14, v36, s[24:25]
	v_cmp_u_f32_e64 s[22:23], v22, v22
	v_cndmask_b32_e64 v13, v13, v36, s[24:25]
	v_cndmask_b32_e64 v14, v14, v22, s[22:23]
	;; [unrolled: 1-line block ×3, first 2 shown]
	s_movk_i32 s28, 0x1f8
	v_cmp_neq_f32_e64 s[24:25], v14, v13
	v_cmp_class_f32_e64 s[26:27], v14, s28
	s_or_b64 s[24:25], s[24:25], s[26:27]
	s_and_saveexec_b64 s[26:27], s[24:25]
	s_cbranch_execz .LBB157_240
; %bb.239:
	v_sub_f32_e32 v14, v14, v13
	s_mov_b32 s24, 0x3fb8aa3b
	v_mul_f32_e32 v15, 0x3fb8aa3b, v14
	v_fma_f32 v35, v14, s24, -v15
	v_rndne_f32_e32 v36, v15
	v_fmac_f32_e32 v35, 0x32a5705f, v14
	v_sub_f32_e32 v15, v15, v36
	v_add_f32_e32 v15, v15, v35
	v_exp_f32_e32 v15, v15
	v_cvt_i32_f32_e32 v35, v36
	s_mov_b32 s24, 0xc2ce8ed0
	v_cmp_ngt_f32_e64 s[24:25], s24, v14
	s_mov_b32 s29, 0x7f800000
	v_ldexp_f32 v15, v15, v35
	v_cndmask_b32_e64 v15, 0, v15, s[24:25]
	s_mov_b32 s24, 0x42b17218
	v_mov_b32_e32 v35, 0x7f800000
	v_cmp_nlt_f32_e64 s[24:25], s24, v14
	v_cndmask_b32_e64 v36, v35, v15, s[24:25]
	v_add_f32_e32 v37, 1.0, v36
	v_cvt_f64_f32_e32 v[14:15], v37
	v_add_f32_e32 v38, -1.0, v37
	v_sub_f32_e32 v39, v38, v37
	v_sub_f32_e32 v38, v36, v38
	v_frexp_exp_i32_f64_e32 v14, v[14:15]
	v_add_f32_e32 v15, 1.0, v39
	v_add_f32_e32 v15, v38, v15
	v_frexp_mant_f32_e32 v38, v37
	s_mov_b32 s24, 0x3f2aaaab
	v_cmp_gt_f32_e64 s[24:25], s24, v38
	v_subbrev_co_u32_e64 v14, s[24:25], 0, v14, s[24:25]
	v_sub_u32_e32 v38, 0, v14
	v_ldexp_f32 v37, v37, v38
	v_ldexp_f32 v15, v15, v38
	v_add_f32_e32 v38, -1.0, v37
	v_add_f32_e32 v41, 1.0, v37
	v_add_f32_e32 v39, 1.0, v38
	v_add_f32_e32 v42, -1.0, v41
	v_sub_f32_e32 v39, v37, v39
	v_sub_f32_e32 v37, v37, v42
	v_add_f32_e32 v39, v15, v39
	v_add_f32_e32 v15, v15, v37
	;; [unrolled: 1-line block ×3, first 2 shown]
	v_rcp_f32_e32 v42, v37
	v_add_f32_e32 v40, v38, v39
	v_sub_f32_e32 v38, v38, v40
	v_add_f32_e32 v38, v39, v38
	v_sub_f32_e32 v39, v41, v37
	v_add_f32_e32 v15, v15, v39
	v_mul_f32_e32 v39, v40, v42
	v_mul_f32_e32 v41, v37, v39
	v_fma_f32 v43, v39, v37, -v41
	v_fmac_f32_e32 v43, v39, v15
	v_add_f32_e32 v44, v41, v43
	v_sub_f32_e32 v45, v40, v44
	v_sub_f32_e32 v40, v40, v45
	;; [unrolled: 1-line block ×4, first 2 shown]
	v_add_f32_e32 v38, v38, v40
	v_sub_f32_e32 v40, v41, v43
	v_add_f32_e32 v38, v40, v38
	v_add_f32_e32 v40, v45, v38
	v_mul_f32_e32 v41, v42, v40
	v_mul_f32_e32 v43, v37, v41
	v_fma_f32 v37, v41, v37, -v43
	v_fmac_f32_e32 v37, v41, v15
	v_sub_f32_e32 v15, v45, v40
	v_add_f32_e32 v15, v38, v15
	v_add_f32_e32 v38, v43, v37
	v_sub_f32_e32 v44, v40, v38
	v_sub_f32_e32 v40, v40, v44
	;; [unrolled: 1-line block ×4, first 2 shown]
	v_add_f32_e32 v15, v15, v38
	v_sub_f32_e32 v37, v43, v37
	v_add_f32_e32 v15, v37, v15
	v_add_f32_e32 v37, v39, v41
	;; [unrolled: 1-line block ×3, first 2 shown]
	v_sub_f32_e32 v38, v37, v39
	v_mul_f32_e32 v15, v42, v15
	v_sub_f32_e32 v38, v41, v38
	v_add_f32_e32 v15, v38, v15
	v_cvt_f32_i32_e32 v14, v14
	v_add_f32_e32 v38, v37, v15
	v_mul_f32_e32 v39, v38, v38
	v_mov_b32_e32 v40, 0x3ecc95a3
	v_fmac_f32_e32 v40, 0x3e9b6dac, v39
	v_mov_b32_e32 v41, 0x3f2aaada
	v_fmac_f32_e32 v41, v39, v40
	s_mov_b32 s24, 0x3f317218
	v_mul_f32_e32 v40, 0x3f317218, v14
	v_fma_f32 v42, v14, s24, -v40
	v_fmac_f32_e32 v42, 0xb102e308, v14
	v_sub_f32_e32 v14, v38, v37
	v_sub_f32_e32 v14, v15, v14
	v_add_f32_e32 v15, v40, v42
	v_sub_f32_e32 v37, v15, v40
	v_ldexp_f32 v40, v38, 1
	v_mul_f32_e32 v38, v38, v39
	v_mul_f32_e32 v38, v38, v41
	v_add_f32_e32 v39, v40, v38
	v_sub_f32_e32 v40, v39, v40
	v_ldexp_f32 v14, v14, 1
	v_sub_f32_e32 v38, v38, v40
	v_add_f32_e32 v14, v14, v38
	v_add_f32_e32 v38, v39, v14
	v_sub_f32_e32 v39, v38, v39
	v_sub_f32_e32 v14, v14, v39
	v_add_f32_e32 v39, v15, v38
	v_sub_f32_e32 v40, v39, v15
	v_sub_f32_e32 v41, v39, v40
	;; [unrolled: 1-line block ×5, first 2 shown]
	v_add_f32_e32 v15, v38, v15
	v_add_f32_e32 v38, v37, v14
	v_sub_f32_e32 v40, v38, v37
	v_sub_f32_e32 v41, v38, v40
	;; [unrolled: 1-line block ×4, first 2 shown]
	v_add_f32_e32 v15, v38, v15
	v_add_f32_e32 v14, v14, v37
	;; [unrolled: 1-line block ×3, first 2 shown]
	v_sub_f32_e32 v38, v37, v39
	v_sub_f32_e32 v15, v15, v38
	v_add_f32_e32 v14, v14, v15
	v_add_f32_e32 v14, v37, v14
	v_cmp_neq_f32_e64 s[24:25], s29, v36
	v_cndmask_b32_e64 v14, v35, v14, s[24:25]
	s_mov_b32 s24, 0x33800000
	v_cmp_lt_f32_e64 s[24:25], |v36|, s24
	v_cndmask_b32_e64 v14, v14, v36, s[24:25]
	v_add_f32_e32 v36, v13, v14
.LBB157_240:
	s_or_b64 exec, exec, s[26:27]
	v_max_f32_e32 v13, v19, v19
	v_max_f32_e32 v14, v36, v36
	v_min_f32_e32 v15, v14, v13
	v_cmp_u_f32_e64 s[26:27], v36, v36
	v_max_f32_e32 v14, v14, v13
	v_cndmask_b32_e64 v15, v15, v36, s[26:27]
	v_cmp_u_f32_e64 s[24:25], v19, v19
	v_cndmask_b32_e64 v14, v14, v36, s[26:27]
	v_cndmask_b32_e64 v15, v15, v19, s[24:25]
	;; [unrolled: 1-line block ×3, first 2 shown]
	v_cmp_neq_f32_e64 s[26:27], v15, v14
	v_cmp_class_f32_e64 s[28:29], v15, s28
	s_or_b64 s[26:27], s[26:27], s[28:29]
	s_and_saveexec_b64 s[28:29], s[26:27]
	s_cbranch_execz .LBB157_242
; %bb.241:
	v_sub_f32_e32 v15, v15, v14
	s_mov_b32 s26, 0x3fb8aa3b
	v_mul_f32_e32 v35, 0x3fb8aa3b, v15
	v_fma_f32 v36, v15, s26, -v35
	v_rndne_f32_e32 v37, v35
	v_fmac_f32_e32 v36, 0x32a5705f, v15
	v_sub_f32_e32 v35, v35, v37
	v_add_f32_e32 v35, v35, v36
	v_exp_f32_e32 v35, v35
	v_cvt_i32_f32_e32 v36, v37
	s_mov_b32 s26, 0xc2ce8ed0
	v_cmp_ngt_f32_e64 s[26:27], s26, v15
	v_mov_b32_e32 v37, 0x7f800000
	v_ldexp_f32 v35, v35, v36
	v_cndmask_b32_e64 v35, 0, v35, s[26:27]
	s_mov_b32 s26, 0x42b17218
	v_cmp_nlt_f32_e64 s[26:27], s26, v15
	v_cndmask_b32_e64 v15, v37, v35, s[26:27]
	v_add_f32_e32 v38, 1.0, v15
	v_cvt_f64_f32_e32 v[35:36], v38
	v_add_f32_e32 v39, -1.0, v38
	v_sub_f32_e32 v40, v39, v38
	v_sub_f32_e32 v39, v15, v39
	v_frexp_exp_i32_f64_e32 v35, v[35:36]
	v_add_f32_e32 v36, 1.0, v40
	v_add_f32_e32 v36, v39, v36
	v_frexp_mant_f32_e32 v39, v38
	s_mov_b32 s26, 0x3f2aaaab
	v_cmp_gt_f32_e64 s[26:27], s26, v39
	s_mov_b32 s34, 0x7f800000
	v_subbrev_co_u32_e64 v35, s[26:27], 0, v35, s[26:27]
	v_sub_u32_e32 v39, 0, v35
	v_ldexp_f32 v38, v38, v39
	v_ldexp_f32 v36, v36, v39
	v_add_f32_e32 v39, -1.0, v38
	v_add_f32_e32 v42, 1.0, v38
	v_add_f32_e32 v40, 1.0, v39
	v_add_f32_e32 v43, -1.0, v42
	v_sub_f32_e32 v40, v38, v40
	v_sub_f32_e32 v38, v38, v43
	v_add_f32_e32 v40, v36, v40
	v_add_f32_e32 v36, v36, v38
	;; [unrolled: 1-line block ×3, first 2 shown]
	v_rcp_f32_e32 v43, v38
	v_add_f32_e32 v41, v39, v40
	v_sub_f32_e32 v39, v39, v41
	v_add_f32_e32 v39, v40, v39
	v_sub_f32_e32 v40, v42, v38
	v_add_f32_e32 v36, v36, v40
	v_mul_f32_e32 v40, v41, v43
	v_mul_f32_e32 v42, v38, v40
	v_fma_f32 v44, v40, v38, -v42
	v_fmac_f32_e32 v44, v40, v36
	v_add_f32_e32 v45, v42, v44
	v_sub_f32_e32 v46, v41, v45
	v_sub_f32_e32 v41, v41, v46
	;; [unrolled: 1-line block ×4, first 2 shown]
	v_add_f32_e32 v39, v39, v41
	v_sub_f32_e32 v41, v42, v44
	v_add_f32_e32 v39, v41, v39
	v_add_f32_e32 v41, v46, v39
	v_mul_f32_e32 v42, v43, v41
	v_mul_f32_e32 v44, v38, v42
	v_fma_f32 v38, v42, v38, -v44
	v_fmac_f32_e32 v38, v42, v36
	v_sub_f32_e32 v36, v46, v41
	v_add_f32_e32 v36, v39, v36
	v_add_f32_e32 v39, v44, v38
	v_sub_f32_e32 v45, v41, v39
	v_sub_f32_e32 v41, v41, v45
	;; [unrolled: 1-line block ×4, first 2 shown]
	v_add_f32_e32 v36, v36, v39
	v_sub_f32_e32 v38, v44, v38
	v_add_f32_e32 v36, v38, v36
	v_add_f32_e32 v38, v40, v42
	;; [unrolled: 1-line block ×3, first 2 shown]
	v_sub_f32_e32 v39, v38, v40
	v_mul_f32_e32 v36, v43, v36
	v_sub_f32_e32 v39, v42, v39
	v_add_f32_e32 v36, v39, v36
	v_cvt_f32_i32_e32 v35, v35
	v_add_f32_e32 v39, v38, v36
	v_mul_f32_e32 v40, v39, v39
	v_mov_b32_e32 v41, 0x3ecc95a3
	v_fmac_f32_e32 v41, 0x3e9b6dac, v40
	v_mov_b32_e32 v42, 0x3f2aaada
	v_fmac_f32_e32 v42, v40, v41
	s_mov_b32 s26, 0x3f317218
	v_mul_f32_e32 v41, 0x3f317218, v35
	v_fma_f32 v43, v35, s26, -v41
	v_fmac_f32_e32 v43, 0xb102e308, v35
	v_sub_f32_e32 v35, v39, v38
	v_sub_f32_e32 v35, v36, v35
	v_add_f32_e32 v36, v41, v43
	v_sub_f32_e32 v38, v36, v41
	v_ldexp_f32 v41, v39, 1
	v_mul_f32_e32 v39, v39, v40
	v_mul_f32_e32 v39, v39, v42
	v_add_f32_e32 v40, v41, v39
	v_sub_f32_e32 v41, v40, v41
	v_ldexp_f32 v35, v35, 1
	v_sub_f32_e32 v39, v39, v41
	v_add_f32_e32 v35, v35, v39
	v_add_f32_e32 v39, v40, v35
	v_sub_f32_e32 v40, v39, v40
	v_sub_f32_e32 v35, v35, v40
	v_add_f32_e32 v40, v36, v39
	v_sub_f32_e32 v41, v40, v36
	v_sub_f32_e32 v42, v40, v41
	;; [unrolled: 1-line block ×5, first 2 shown]
	v_add_f32_e32 v36, v39, v36
	v_add_f32_e32 v39, v38, v35
	v_sub_f32_e32 v41, v39, v38
	v_sub_f32_e32 v42, v39, v41
	;; [unrolled: 1-line block ×4, first 2 shown]
	v_add_f32_e32 v36, v39, v36
	v_add_f32_e32 v35, v35, v38
	;; [unrolled: 1-line block ×3, first 2 shown]
	v_sub_f32_e32 v39, v38, v40
	v_sub_f32_e32 v36, v36, v39
	v_add_f32_e32 v35, v35, v36
	v_add_f32_e32 v35, v38, v35
	v_cmp_neq_f32_e64 s[26:27], s34, v15
	v_cndmask_b32_e64 v35, v37, v35, s[26:27]
	s_mov_b32 s26, 0x33800000
	v_cmp_lt_f32_e64 s[26:27], |v15|, s26
	v_cndmask_b32_e64 v15, v35, v15, s[26:27]
	v_add_f32_e32 v36, v14, v15
.LBB157_242:
	s_or_b64 exec, exec, s[28:29]
	v_max_f32_e32 v14, v20, v20
	v_max_f32_e32 v15, v36, v36
	v_min_f32_e32 v35, v15, v14
	v_cmp_u_f32_e64 s[28:29], v36, v36
	v_max_f32_e32 v15, v15, v14
	v_cndmask_b32_e64 v35, v35, v36, s[28:29]
	v_cmp_u_f32_e64 s[26:27], v20, v20
	v_cndmask_b32_e64 v15, v15, v36, s[28:29]
	v_cndmask_b32_e64 v35, v35, v20, s[26:27]
	;; [unrolled: 1-line block ×3, first 2 shown]
	s_movk_i32 s36, 0x1f8
	v_cmp_neq_f32_e64 s[28:29], v35, v15
	v_cmp_class_f32_e64 s[34:35], v35, s36
	s_or_b64 s[28:29], s[28:29], s[34:35]
	s_and_saveexec_b64 s[34:35], s[28:29]
	s_cbranch_execz .LBB157_244
; %bb.243:
	v_sub_f32_e32 v35, v35, v15
	s_mov_b32 s28, 0x3fb8aa3b
	v_mul_f32_e32 v36, 0x3fb8aa3b, v35
	v_fma_f32 v37, v35, s28, -v36
	v_rndne_f32_e32 v38, v36
	v_fmac_f32_e32 v37, 0x32a5705f, v35
	v_sub_f32_e32 v36, v36, v38
	v_add_f32_e32 v36, v36, v37
	v_exp_f32_e32 v36, v36
	v_cvt_i32_f32_e32 v37, v38
	s_mov_b32 s28, 0xc2ce8ed0
	v_cmp_ngt_f32_e64 s[28:29], s28, v35
	s_mov_b32 s37, 0x7f800000
	v_ldexp_f32 v36, v36, v37
	v_cndmask_b32_e64 v36, 0, v36, s[28:29]
	s_mov_b32 s28, 0x42b17218
	v_mov_b32_e32 v37, 0x7f800000
	v_cmp_nlt_f32_e64 s[28:29], s28, v35
	v_cndmask_b32_e64 v38, v37, v36, s[28:29]
	v_add_f32_e32 v39, 1.0, v38
	v_cvt_f64_f32_e32 v[35:36], v39
	v_add_f32_e32 v40, -1.0, v39
	v_sub_f32_e32 v41, v40, v39
	v_sub_f32_e32 v40, v38, v40
	v_frexp_exp_i32_f64_e32 v35, v[35:36]
	v_add_f32_e32 v36, 1.0, v41
	v_add_f32_e32 v36, v40, v36
	v_frexp_mant_f32_e32 v40, v39
	s_mov_b32 s28, 0x3f2aaaab
	v_cmp_gt_f32_e64 s[28:29], s28, v40
	v_subbrev_co_u32_e64 v35, s[28:29], 0, v35, s[28:29]
	v_sub_u32_e32 v40, 0, v35
	v_ldexp_f32 v39, v39, v40
	v_ldexp_f32 v36, v36, v40
	v_add_f32_e32 v40, -1.0, v39
	v_add_f32_e32 v43, 1.0, v39
	v_add_f32_e32 v41, 1.0, v40
	v_add_f32_e32 v44, -1.0, v43
	v_sub_f32_e32 v41, v39, v41
	v_sub_f32_e32 v39, v39, v44
	v_add_f32_e32 v41, v36, v41
	v_add_f32_e32 v36, v36, v39
	;; [unrolled: 1-line block ×3, first 2 shown]
	v_rcp_f32_e32 v44, v39
	v_add_f32_e32 v42, v40, v41
	v_sub_f32_e32 v40, v40, v42
	v_add_f32_e32 v40, v41, v40
	v_sub_f32_e32 v41, v43, v39
	v_add_f32_e32 v36, v36, v41
	v_mul_f32_e32 v41, v42, v44
	v_mul_f32_e32 v43, v39, v41
	v_fma_f32 v45, v41, v39, -v43
	v_fmac_f32_e32 v45, v41, v36
	v_add_f32_e32 v46, v43, v45
	v_sub_f32_e32 v47, v42, v46
	v_sub_f32_e32 v42, v42, v47
	;; [unrolled: 1-line block ×4, first 2 shown]
	v_add_f32_e32 v40, v40, v42
	v_sub_f32_e32 v42, v43, v45
	v_add_f32_e32 v40, v42, v40
	v_add_f32_e32 v42, v47, v40
	v_mul_f32_e32 v43, v44, v42
	v_mul_f32_e32 v45, v39, v43
	v_fma_f32 v39, v43, v39, -v45
	v_fmac_f32_e32 v39, v43, v36
	v_sub_f32_e32 v36, v47, v42
	v_add_f32_e32 v36, v40, v36
	v_add_f32_e32 v40, v45, v39
	v_sub_f32_e32 v46, v42, v40
	v_sub_f32_e32 v42, v42, v46
	;; [unrolled: 1-line block ×4, first 2 shown]
	v_add_f32_e32 v36, v36, v40
	v_sub_f32_e32 v39, v45, v39
	v_add_f32_e32 v36, v39, v36
	v_add_f32_e32 v39, v41, v43
	;; [unrolled: 1-line block ×3, first 2 shown]
	v_sub_f32_e32 v40, v39, v41
	v_mul_f32_e32 v36, v44, v36
	v_sub_f32_e32 v40, v43, v40
	v_add_f32_e32 v36, v40, v36
	v_cvt_f32_i32_e32 v35, v35
	v_add_f32_e32 v40, v39, v36
	v_mul_f32_e32 v41, v40, v40
	v_mov_b32_e32 v42, 0x3ecc95a3
	v_fmac_f32_e32 v42, 0x3e9b6dac, v41
	v_mov_b32_e32 v43, 0x3f2aaada
	v_fmac_f32_e32 v43, v41, v42
	s_mov_b32 s28, 0x3f317218
	v_mul_f32_e32 v42, 0x3f317218, v35
	v_fma_f32 v44, v35, s28, -v42
	v_fmac_f32_e32 v44, 0xb102e308, v35
	v_sub_f32_e32 v35, v40, v39
	v_sub_f32_e32 v35, v36, v35
	v_add_f32_e32 v36, v42, v44
	v_sub_f32_e32 v39, v36, v42
	v_ldexp_f32 v42, v40, 1
	v_mul_f32_e32 v40, v40, v41
	v_mul_f32_e32 v40, v40, v43
	v_add_f32_e32 v41, v42, v40
	v_sub_f32_e32 v42, v41, v42
	v_ldexp_f32 v35, v35, 1
	v_sub_f32_e32 v40, v40, v42
	v_add_f32_e32 v35, v35, v40
	v_add_f32_e32 v40, v41, v35
	v_sub_f32_e32 v41, v40, v41
	v_sub_f32_e32 v35, v35, v41
	v_add_f32_e32 v41, v36, v40
	v_sub_f32_e32 v42, v41, v36
	v_sub_f32_e32 v43, v41, v42
	;; [unrolled: 1-line block ×5, first 2 shown]
	v_add_f32_e32 v36, v40, v36
	v_add_f32_e32 v40, v39, v35
	v_sub_f32_e32 v42, v40, v39
	v_sub_f32_e32 v43, v40, v42
	;; [unrolled: 1-line block ×4, first 2 shown]
	v_add_f32_e32 v36, v40, v36
	v_add_f32_e32 v35, v35, v39
	;; [unrolled: 1-line block ×3, first 2 shown]
	v_sub_f32_e32 v40, v39, v41
	v_sub_f32_e32 v36, v36, v40
	v_add_f32_e32 v35, v35, v36
	v_add_f32_e32 v35, v39, v35
	v_cmp_neq_f32_e64 s[28:29], s37, v38
	v_cndmask_b32_e64 v35, v37, v35, s[28:29]
	s_mov_b32 s28, 0x33800000
	v_cmp_lt_f32_e64 s[28:29], |v38|, s28
	v_cndmask_b32_e64 v35, v35, v38, s[28:29]
	v_add_f32_e32 v36, v15, v35
.LBB157_244:
	s_or_b64 exec, exec, s[34:35]
	v_max_f32_e32 v15, v33, v33
	v_max_f32_e32 v35, v36, v36
	v_min_f32_e32 v37, v35, v15
	v_cmp_u_f32_e64 s[34:35], v36, v36
	v_max_f32_e32 v35, v35, v15
	v_cndmask_b32_e64 v37, v37, v36, s[34:35]
	v_cmp_u_f32_e64 s[28:29], v33, v33
	v_cndmask_b32_e64 v35, v35, v36, s[34:35]
	v_cndmask_b32_e64 v37, v37, v33, s[28:29]
	v_cndmask_b32_e64 v35, v35, v33, s[28:29]
	v_cmp_neq_f32_e64 s[34:35], v37, v35
	v_cmp_class_f32_e64 s[36:37], v37, s36
	s_or_b64 s[34:35], s[34:35], s[36:37]
	s_and_saveexec_b64 s[36:37], s[34:35]
	s_cbranch_execz .LBB157_246
; %bb.245:
	v_sub_f32_e32 v36, v37, v35
	s_mov_b32 s34, 0x3fb8aa3b
	v_mul_f32_e32 v37, 0x3fb8aa3b, v36
	v_fma_f32 v38, v36, s34, -v37
	v_rndne_f32_e32 v39, v37
	v_fmac_f32_e32 v38, 0x32a5705f, v36
	v_sub_f32_e32 v37, v37, v39
	v_add_f32_e32 v37, v37, v38
	v_exp_f32_e32 v37, v37
	v_cvt_i32_f32_e32 v38, v39
	s_mov_b32 s34, 0xc2ce8ed0
	v_cmp_ngt_f32_e64 s[34:35], s34, v36
	s_mov_b32 s38, 0x7f800000
	v_ldexp_f32 v37, v37, v38
	v_cndmask_b32_e64 v37, 0, v37, s[34:35]
	s_mov_b32 s34, 0x42b17218
	v_mov_b32_e32 v38, 0x7f800000
	v_cmp_nlt_f32_e64 s[34:35], s34, v36
	v_cndmask_b32_e64 v39, v38, v37, s[34:35]
	v_add_f32_e32 v40, 1.0, v39
	v_cvt_f64_f32_e32 v[36:37], v40
	v_add_f32_e32 v41, -1.0, v40
	v_sub_f32_e32 v42, v41, v40
	v_sub_f32_e32 v41, v39, v41
	v_frexp_exp_i32_f64_e32 v36, v[36:37]
	v_add_f32_e32 v37, 1.0, v42
	v_add_f32_e32 v37, v41, v37
	v_frexp_mant_f32_e32 v41, v40
	s_mov_b32 s34, 0x3f2aaaab
	v_cmp_gt_f32_e64 s[34:35], s34, v41
	v_subbrev_co_u32_e64 v36, s[34:35], 0, v36, s[34:35]
	v_sub_u32_e32 v41, 0, v36
	v_ldexp_f32 v40, v40, v41
	v_ldexp_f32 v37, v37, v41
	v_add_f32_e32 v41, -1.0, v40
	v_add_f32_e32 v44, 1.0, v40
	v_add_f32_e32 v42, 1.0, v41
	v_add_f32_e32 v45, -1.0, v44
	v_sub_f32_e32 v42, v40, v42
	v_sub_f32_e32 v40, v40, v45
	v_add_f32_e32 v42, v37, v42
	v_add_f32_e32 v37, v37, v40
	;; [unrolled: 1-line block ×3, first 2 shown]
	v_rcp_f32_e32 v45, v40
	v_add_f32_e32 v43, v41, v42
	v_sub_f32_e32 v41, v41, v43
	v_add_f32_e32 v41, v42, v41
	v_sub_f32_e32 v42, v44, v40
	v_add_f32_e32 v37, v37, v42
	v_mul_f32_e32 v42, v43, v45
	v_mul_f32_e32 v44, v40, v42
	v_fma_f32 v46, v42, v40, -v44
	v_fmac_f32_e32 v46, v42, v37
	v_add_f32_e32 v47, v44, v46
	v_sub_f32_e32 v48, v43, v47
	v_sub_f32_e32 v43, v43, v48
	;; [unrolled: 1-line block ×4, first 2 shown]
	v_add_f32_e32 v41, v41, v43
	v_sub_f32_e32 v43, v44, v46
	v_add_f32_e32 v41, v43, v41
	v_add_f32_e32 v43, v48, v41
	v_mul_f32_e32 v44, v45, v43
	v_mul_f32_e32 v46, v40, v44
	v_fma_f32 v40, v44, v40, -v46
	v_fmac_f32_e32 v40, v44, v37
	v_sub_f32_e32 v37, v48, v43
	v_add_f32_e32 v37, v41, v37
	v_add_f32_e32 v41, v46, v40
	v_sub_f32_e32 v47, v43, v41
	v_sub_f32_e32 v43, v43, v47
	v_sub_f32_e32 v46, v41, v46
	v_sub_f32_e32 v41, v43, v41
	v_add_f32_e32 v37, v37, v41
	v_sub_f32_e32 v40, v46, v40
	v_add_f32_e32 v37, v40, v37
	v_add_f32_e32 v40, v42, v44
	;; [unrolled: 1-line block ×3, first 2 shown]
	v_sub_f32_e32 v41, v40, v42
	v_mul_f32_e32 v37, v45, v37
	v_sub_f32_e32 v41, v44, v41
	v_add_f32_e32 v37, v41, v37
	v_cvt_f32_i32_e32 v36, v36
	v_add_f32_e32 v41, v40, v37
	v_mul_f32_e32 v42, v41, v41
	v_mov_b32_e32 v43, 0x3ecc95a3
	v_fmac_f32_e32 v43, 0x3e9b6dac, v42
	v_mov_b32_e32 v44, 0x3f2aaada
	v_fmac_f32_e32 v44, v42, v43
	s_mov_b32 s34, 0x3f317218
	v_mul_f32_e32 v43, 0x3f317218, v36
	v_fma_f32 v45, v36, s34, -v43
	v_fmac_f32_e32 v45, 0xb102e308, v36
	v_sub_f32_e32 v36, v41, v40
	v_sub_f32_e32 v36, v37, v36
	v_add_f32_e32 v37, v43, v45
	v_sub_f32_e32 v40, v37, v43
	v_ldexp_f32 v43, v41, 1
	v_mul_f32_e32 v41, v41, v42
	v_mul_f32_e32 v41, v41, v44
	v_add_f32_e32 v42, v43, v41
	v_sub_f32_e32 v43, v42, v43
	v_ldexp_f32 v36, v36, 1
	v_sub_f32_e32 v41, v41, v43
	v_add_f32_e32 v36, v36, v41
	v_add_f32_e32 v41, v42, v36
	v_sub_f32_e32 v42, v41, v42
	v_sub_f32_e32 v36, v36, v42
	v_add_f32_e32 v42, v37, v41
	v_sub_f32_e32 v43, v42, v37
	v_sub_f32_e32 v44, v42, v43
	;; [unrolled: 1-line block ×5, first 2 shown]
	v_add_f32_e32 v37, v41, v37
	v_add_f32_e32 v41, v40, v36
	v_sub_f32_e32 v43, v41, v40
	v_sub_f32_e32 v44, v41, v43
	;; [unrolled: 1-line block ×4, first 2 shown]
	v_add_f32_e32 v37, v41, v37
	v_add_f32_e32 v36, v36, v40
	;; [unrolled: 1-line block ×3, first 2 shown]
	v_sub_f32_e32 v41, v40, v42
	v_sub_f32_e32 v37, v37, v41
	v_add_f32_e32 v36, v36, v37
	v_add_f32_e32 v36, v40, v36
	v_cmp_neq_f32_e64 s[34:35], s38, v39
	v_cndmask_b32_e64 v36, v38, v36, s[34:35]
	s_mov_b32 s34, 0x33800000
	v_cmp_lt_f32_e64 s[34:35], |v39|, s34
	v_cndmask_b32_e64 v36, v36, v39, s[34:35]
	v_add_f32_e32 v36, v35, v36
.LBB157_246:
	s_or_b64 exec, exec, s[36:37]
	v_mbcnt_lo_u32_b32 v35, -1, 0
	v_mbcnt_hi_u32_b32 v35, -1, v35
	v_and_b32_e32 v37, 15, v35
	v_mov_b32_dpp v38, v36 row_shr:1 row_mask:0xf bank_mask:0xf
	v_cmp_ne_u32_e64 s[34:35], 0, v37
	s_and_saveexec_b64 s[38:39], s[34:35]
	s_cbranch_execz .LBB157_250
; %bb.247:
	v_max_f32_e32 v40, v36, v36
	v_max_f32_e32 v41, v38, v38
	v_min_f32_e32 v39, v41, v40
	v_cmp_u_f32_e64 s[34:35], v38, v38
	v_max_f32_e32 v40, v41, v40
	v_cndmask_b32_e64 v39, v39, v38, s[34:35]
	v_cmp_u_f32_e64 s[36:37], v36, v36
	v_cndmask_b32_e64 v40, v40, v38, s[34:35]
	v_cndmask_b32_e64 v39, v39, v36, s[36:37]
	;; [unrolled: 1-line block ×3, first 2 shown]
	s_movk_i32 s36, 0x1f8
	v_cmp_neq_f32_e64 s[34:35], v39, v36
	v_cmp_class_f32_e64 s[36:37], v39, s36
	s_or_b64 s[34:35], s[34:35], s[36:37]
	s_and_saveexec_b64 s[36:37], s[34:35]
	s_cbranch_execz .LBB157_249
; %bb.248:
	v_sub_f32_e32 v38, v39, v36
	s_mov_b32 s34, 0x3fb8aa3b
	v_mul_f32_e32 v39, 0x3fb8aa3b, v38
	v_fma_f32 v40, v38, s34, -v39
	v_rndne_f32_e32 v41, v39
	v_fmac_f32_e32 v40, 0x32a5705f, v38
	v_sub_f32_e32 v39, v39, v41
	v_add_f32_e32 v39, v39, v40
	v_exp_f32_e32 v39, v39
	v_cvt_i32_f32_e32 v40, v41
	s_mov_b32 s34, 0xc2ce8ed0
	v_cmp_ngt_f32_e64 s[34:35], s34, v38
	s_mov_b32 s40, 0x7f800000
	v_ldexp_f32 v39, v39, v40
	v_cndmask_b32_e64 v39, 0, v39, s[34:35]
	s_mov_b32 s34, 0x42b17218
	v_mov_b32_e32 v40, 0x7f800000
	v_cmp_nlt_f32_e64 s[34:35], s34, v38
	v_cndmask_b32_e64 v41, v40, v39, s[34:35]
	v_add_f32_e32 v42, 1.0, v41
	v_cvt_f64_f32_e32 v[38:39], v42
	v_add_f32_e32 v43, -1.0, v42
	v_sub_f32_e32 v44, v43, v42
	v_sub_f32_e32 v43, v41, v43
	v_frexp_exp_i32_f64_e32 v38, v[38:39]
	v_add_f32_e32 v39, 1.0, v44
	v_add_f32_e32 v39, v43, v39
	v_frexp_mant_f32_e32 v43, v42
	s_mov_b32 s34, 0x3f2aaaab
	v_cmp_gt_f32_e64 s[34:35], s34, v43
	v_subbrev_co_u32_e64 v38, s[34:35], 0, v38, s[34:35]
	v_sub_u32_e32 v43, 0, v38
	v_ldexp_f32 v42, v42, v43
	v_ldexp_f32 v39, v39, v43
	v_add_f32_e32 v43, -1.0, v42
	v_add_f32_e32 v46, 1.0, v42
	v_add_f32_e32 v44, 1.0, v43
	v_add_f32_e32 v47, -1.0, v46
	v_sub_f32_e32 v44, v42, v44
	v_sub_f32_e32 v42, v42, v47
	v_add_f32_e32 v44, v39, v44
	v_add_f32_e32 v39, v39, v42
	;; [unrolled: 1-line block ×3, first 2 shown]
	v_rcp_f32_e32 v47, v42
	v_add_f32_e32 v45, v43, v44
	v_sub_f32_e32 v43, v43, v45
	v_add_f32_e32 v43, v44, v43
	v_sub_f32_e32 v44, v46, v42
	v_add_f32_e32 v39, v39, v44
	v_mul_f32_e32 v44, v45, v47
	v_mul_f32_e32 v46, v42, v44
	v_fma_f32 v48, v44, v42, -v46
	v_fmac_f32_e32 v48, v44, v39
	v_add_f32_e32 v49, v46, v48
	v_sub_f32_e32 v50, v45, v49
	v_sub_f32_e32 v45, v45, v50
	;; [unrolled: 1-line block ×4, first 2 shown]
	v_add_f32_e32 v43, v43, v45
	v_sub_f32_e32 v45, v46, v48
	v_add_f32_e32 v43, v45, v43
	v_add_f32_e32 v45, v50, v43
	v_mul_f32_e32 v46, v47, v45
	v_mul_f32_e32 v48, v42, v46
	v_fma_f32 v42, v46, v42, -v48
	v_fmac_f32_e32 v42, v46, v39
	v_sub_f32_e32 v39, v50, v45
	v_add_f32_e32 v39, v43, v39
	v_add_f32_e32 v43, v48, v42
	v_sub_f32_e32 v49, v45, v43
	v_sub_f32_e32 v45, v45, v49
	;; [unrolled: 1-line block ×4, first 2 shown]
	v_add_f32_e32 v39, v39, v43
	v_sub_f32_e32 v42, v48, v42
	v_add_f32_e32 v39, v42, v39
	v_add_f32_e32 v42, v44, v46
	;; [unrolled: 1-line block ×3, first 2 shown]
	v_sub_f32_e32 v43, v42, v44
	v_mul_f32_e32 v39, v47, v39
	v_sub_f32_e32 v43, v46, v43
	v_add_f32_e32 v39, v43, v39
	v_cvt_f32_i32_e32 v38, v38
	v_add_f32_e32 v43, v42, v39
	v_mul_f32_e32 v44, v43, v43
	v_mov_b32_e32 v45, 0x3ecc95a3
	v_fmac_f32_e32 v45, 0x3e9b6dac, v44
	v_mov_b32_e32 v46, 0x3f2aaada
	v_fmac_f32_e32 v46, v44, v45
	s_mov_b32 s34, 0x3f317218
	v_mul_f32_e32 v45, 0x3f317218, v38
	v_fma_f32 v47, v38, s34, -v45
	v_fmac_f32_e32 v47, 0xb102e308, v38
	v_sub_f32_e32 v38, v43, v42
	v_sub_f32_e32 v38, v39, v38
	v_add_f32_e32 v39, v45, v47
	v_sub_f32_e32 v42, v39, v45
	v_ldexp_f32 v45, v43, 1
	v_mul_f32_e32 v43, v43, v44
	v_mul_f32_e32 v43, v43, v46
	v_add_f32_e32 v44, v45, v43
	v_sub_f32_e32 v45, v44, v45
	v_ldexp_f32 v38, v38, 1
	v_sub_f32_e32 v43, v43, v45
	v_add_f32_e32 v38, v38, v43
	v_add_f32_e32 v43, v44, v38
	v_sub_f32_e32 v44, v43, v44
	v_sub_f32_e32 v38, v38, v44
	v_add_f32_e32 v44, v39, v43
	v_sub_f32_e32 v45, v44, v39
	v_sub_f32_e32 v46, v44, v45
	v_sub_f32_e32 v42, v47, v42
	v_sub_f32_e32 v39, v39, v46
	v_sub_f32_e32 v43, v43, v45
	v_add_f32_e32 v39, v43, v39
	v_add_f32_e32 v43, v42, v38
	v_sub_f32_e32 v45, v43, v42
	v_sub_f32_e32 v46, v43, v45
	;; [unrolled: 1-line block ×4, first 2 shown]
	v_add_f32_e32 v39, v43, v39
	v_add_f32_e32 v38, v38, v42
	;; [unrolled: 1-line block ×3, first 2 shown]
	v_sub_f32_e32 v43, v42, v44
	v_sub_f32_e32 v39, v39, v43
	v_add_f32_e32 v38, v38, v39
	v_add_f32_e32 v38, v42, v38
	v_cmp_neq_f32_e64 s[34:35], s40, v41
	v_cndmask_b32_e64 v38, v40, v38, s[34:35]
	s_mov_b32 s34, 0x33800000
	v_cmp_lt_f32_e64 s[34:35], |v41|, s34
	v_cndmask_b32_e64 v38, v38, v41, s[34:35]
	v_add_f32_e32 v38, v36, v38
.LBB157_249:
	s_or_b64 exec, exec, s[36:37]
	v_mov_b32_e32 v36, v38
.LBB157_250:
	s_or_b64 exec, exec, s[38:39]
	s_nop 0
	v_mov_b32_dpp v38, v36 row_shr:2 row_mask:0xf bank_mask:0xf
	v_cmp_lt_u32_e64 s[34:35], 1, v37
	s_and_saveexec_b64 s[38:39], s[34:35]
	s_cbranch_execz .LBB157_254
; %bb.251:
	v_max_f32_e32 v40, v36, v36
	v_max_f32_e32 v41, v38, v38
	v_min_f32_e32 v39, v41, v40
	v_cmp_u_f32_e64 s[34:35], v38, v38
	v_max_f32_e32 v40, v41, v40
	v_cndmask_b32_e64 v39, v39, v38, s[34:35]
	v_cmp_u_f32_e64 s[36:37], v36, v36
	v_cndmask_b32_e64 v40, v40, v38, s[34:35]
	v_cndmask_b32_e64 v39, v39, v36, s[36:37]
	;; [unrolled: 1-line block ×3, first 2 shown]
	s_movk_i32 s36, 0x1f8
	v_cmp_neq_f32_e64 s[34:35], v39, v36
	v_cmp_class_f32_e64 s[36:37], v39, s36
	s_or_b64 s[34:35], s[34:35], s[36:37]
	s_and_saveexec_b64 s[36:37], s[34:35]
	s_cbranch_execz .LBB157_253
; %bb.252:
	v_sub_f32_e32 v38, v39, v36
	s_mov_b32 s34, 0x3fb8aa3b
	v_mul_f32_e32 v39, 0x3fb8aa3b, v38
	v_fma_f32 v40, v38, s34, -v39
	v_rndne_f32_e32 v41, v39
	v_fmac_f32_e32 v40, 0x32a5705f, v38
	v_sub_f32_e32 v39, v39, v41
	v_add_f32_e32 v39, v39, v40
	v_exp_f32_e32 v39, v39
	v_cvt_i32_f32_e32 v40, v41
	s_mov_b32 s34, 0xc2ce8ed0
	v_cmp_ngt_f32_e64 s[34:35], s34, v38
	s_mov_b32 s40, 0x7f800000
	v_ldexp_f32 v39, v39, v40
	v_cndmask_b32_e64 v39, 0, v39, s[34:35]
	s_mov_b32 s34, 0x42b17218
	v_mov_b32_e32 v40, 0x7f800000
	v_cmp_nlt_f32_e64 s[34:35], s34, v38
	v_cndmask_b32_e64 v41, v40, v39, s[34:35]
	v_add_f32_e32 v42, 1.0, v41
	v_cvt_f64_f32_e32 v[38:39], v42
	v_add_f32_e32 v43, -1.0, v42
	v_sub_f32_e32 v44, v43, v42
	v_sub_f32_e32 v43, v41, v43
	v_frexp_exp_i32_f64_e32 v38, v[38:39]
	v_add_f32_e32 v39, 1.0, v44
	v_add_f32_e32 v39, v43, v39
	v_frexp_mant_f32_e32 v43, v42
	s_mov_b32 s34, 0x3f2aaaab
	v_cmp_gt_f32_e64 s[34:35], s34, v43
	v_subbrev_co_u32_e64 v38, s[34:35], 0, v38, s[34:35]
	v_sub_u32_e32 v43, 0, v38
	v_ldexp_f32 v42, v42, v43
	v_ldexp_f32 v39, v39, v43
	v_add_f32_e32 v43, -1.0, v42
	v_add_f32_e32 v46, 1.0, v42
	v_add_f32_e32 v44, 1.0, v43
	v_add_f32_e32 v47, -1.0, v46
	v_sub_f32_e32 v44, v42, v44
	v_sub_f32_e32 v42, v42, v47
	v_add_f32_e32 v44, v39, v44
	v_add_f32_e32 v39, v39, v42
	;; [unrolled: 1-line block ×3, first 2 shown]
	v_rcp_f32_e32 v47, v42
	v_add_f32_e32 v45, v43, v44
	v_sub_f32_e32 v43, v43, v45
	v_add_f32_e32 v43, v44, v43
	v_sub_f32_e32 v44, v46, v42
	v_add_f32_e32 v39, v39, v44
	v_mul_f32_e32 v44, v45, v47
	v_mul_f32_e32 v46, v42, v44
	v_fma_f32 v48, v44, v42, -v46
	v_fmac_f32_e32 v48, v44, v39
	v_add_f32_e32 v49, v46, v48
	v_sub_f32_e32 v50, v45, v49
	v_sub_f32_e32 v45, v45, v50
	;; [unrolled: 1-line block ×4, first 2 shown]
	v_add_f32_e32 v43, v43, v45
	v_sub_f32_e32 v45, v46, v48
	v_add_f32_e32 v43, v45, v43
	v_add_f32_e32 v45, v50, v43
	v_mul_f32_e32 v46, v47, v45
	v_mul_f32_e32 v48, v42, v46
	v_fma_f32 v42, v46, v42, -v48
	v_fmac_f32_e32 v42, v46, v39
	v_sub_f32_e32 v39, v50, v45
	v_add_f32_e32 v39, v43, v39
	v_add_f32_e32 v43, v48, v42
	v_sub_f32_e32 v49, v45, v43
	v_sub_f32_e32 v45, v45, v49
	;; [unrolled: 1-line block ×4, first 2 shown]
	v_add_f32_e32 v39, v39, v43
	v_sub_f32_e32 v42, v48, v42
	v_add_f32_e32 v39, v42, v39
	v_add_f32_e32 v42, v44, v46
	;; [unrolled: 1-line block ×3, first 2 shown]
	v_sub_f32_e32 v43, v42, v44
	v_mul_f32_e32 v39, v47, v39
	v_sub_f32_e32 v43, v46, v43
	v_add_f32_e32 v39, v43, v39
	v_cvt_f32_i32_e32 v38, v38
	v_add_f32_e32 v43, v42, v39
	v_mul_f32_e32 v44, v43, v43
	v_mov_b32_e32 v45, 0x3ecc95a3
	v_fmac_f32_e32 v45, 0x3e9b6dac, v44
	v_mov_b32_e32 v46, 0x3f2aaada
	v_fmac_f32_e32 v46, v44, v45
	s_mov_b32 s34, 0x3f317218
	v_mul_f32_e32 v45, 0x3f317218, v38
	v_fma_f32 v47, v38, s34, -v45
	v_fmac_f32_e32 v47, 0xb102e308, v38
	v_sub_f32_e32 v38, v43, v42
	v_sub_f32_e32 v38, v39, v38
	v_add_f32_e32 v39, v45, v47
	v_sub_f32_e32 v42, v39, v45
	v_ldexp_f32 v45, v43, 1
	v_mul_f32_e32 v43, v43, v44
	v_mul_f32_e32 v43, v43, v46
	v_add_f32_e32 v44, v45, v43
	v_sub_f32_e32 v45, v44, v45
	v_ldexp_f32 v38, v38, 1
	v_sub_f32_e32 v43, v43, v45
	v_add_f32_e32 v38, v38, v43
	v_add_f32_e32 v43, v44, v38
	v_sub_f32_e32 v44, v43, v44
	v_sub_f32_e32 v38, v38, v44
	v_add_f32_e32 v44, v39, v43
	v_sub_f32_e32 v45, v44, v39
	v_sub_f32_e32 v46, v44, v45
	;; [unrolled: 1-line block ×5, first 2 shown]
	v_add_f32_e32 v39, v43, v39
	v_add_f32_e32 v43, v42, v38
	v_sub_f32_e32 v45, v43, v42
	v_sub_f32_e32 v46, v43, v45
	;; [unrolled: 1-line block ×4, first 2 shown]
	v_add_f32_e32 v39, v43, v39
	v_add_f32_e32 v38, v38, v42
	;; [unrolled: 1-line block ×3, first 2 shown]
	v_sub_f32_e32 v43, v42, v44
	v_sub_f32_e32 v39, v39, v43
	v_add_f32_e32 v38, v38, v39
	v_add_f32_e32 v38, v42, v38
	v_cmp_neq_f32_e64 s[34:35], s40, v41
	v_cndmask_b32_e64 v38, v40, v38, s[34:35]
	s_mov_b32 s34, 0x33800000
	v_cmp_lt_f32_e64 s[34:35], |v41|, s34
	v_cndmask_b32_e64 v38, v38, v41, s[34:35]
	v_add_f32_e32 v38, v36, v38
.LBB157_253:
	s_or_b64 exec, exec, s[36:37]
	v_mov_b32_e32 v36, v38
.LBB157_254:
	s_or_b64 exec, exec, s[38:39]
	s_nop 0
	v_mov_b32_dpp v38, v36 row_shr:4 row_mask:0xf bank_mask:0xf
	v_cmp_lt_u32_e64 s[34:35], 3, v37
	s_and_saveexec_b64 s[38:39], s[34:35]
	s_cbranch_execz .LBB157_258
; %bb.255:
	v_max_f32_e32 v40, v36, v36
	v_max_f32_e32 v41, v38, v38
	v_min_f32_e32 v39, v41, v40
	v_cmp_u_f32_e64 s[34:35], v38, v38
	v_max_f32_e32 v40, v41, v40
	v_cndmask_b32_e64 v39, v39, v38, s[34:35]
	v_cmp_u_f32_e64 s[36:37], v36, v36
	v_cndmask_b32_e64 v40, v40, v38, s[34:35]
	v_cndmask_b32_e64 v39, v39, v36, s[36:37]
	;; [unrolled: 1-line block ×3, first 2 shown]
	s_movk_i32 s36, 0x1f8
	v_cmp_neq_f32_e64 s[34:35], v39, v36
	v_cmp_class_f32_e64 s[36:37], v39, s36
	s_or_b64 s[34:35], s[34:35], s[36:37]
	s_and_saveexec_b64 s[36:37], s[34:35]
	s_cbranch_execz .LBB157_257
; %bb.256:
	v_sub_f32_e32 v38, v39, v36
	s_mov_b32 s34, 0x3fb8aa3b
	v_mul_f32_e32 v39, 0x3fb8aa3b, v38
	v_fma_f32 v40, v38, s34, -v39
	v_rndne_f32_e32 v41, v39
	v_fmac_f32_e32 v40, 0x32a5705f, v38
	v_sub_f32_e32 v39, v39, v41
	v_add_f32_e32 v39, v39, v40
	v_exp_f32_e32 v39, v39
	v_cvt_i32_f32_e32 v40, v41
	s_mov_b32 s34, 0xc2ce8ed0
	v_cmp_ngt_f32_e64 s[34:35], s34, v38
	s_mov_b32 s40, 0x7f800000
	v_ldexp_f32 v39, v39, v40
	v_cndmask_b32_e64 v39, 0, v39, s[34:35]
	s_mov_b32 s34, 0x42b17218
	v_mov_b32_e32 v40, 0x7f800000
	v_cmp_nlt_f32_e64 s[34:35], s34, v38
	v_cndmask_b32_e64 v41, v40, v39, s[34:35]
	v_add_f32_e32 v42, 1.0, v41
	v_cvt_f64_f32_e32 v[38:39], v42
	v_add_f32_e32 v43, -1.0, v42
	v_sub_f32_e32 v44, v43, v42
	v_sub_f32_e32 v43, v41, v43
	v_frexp_exp_i32_f64_e32 v38, v[38:39]
	v_add_f32_e32 v39, 1.0, v44
	v_add_f32_e32 v39, v43, v39
	v_frexp_mant_f32_e32 v43, v42
	s_mov_b32 s34, 0x3f2aaaab
	v_cmp_gt_f32_e64 s[34:35], s34, v43
	v_subbrev_co_u32_e64 v38, s[34:35], 0, v38, s[34:35]
	v_sub_u32_e32 v43, 0, v38
	v_ldexp_f32 v42, v42, v43
	v_ldexp_f32 v39, v39, v43
	v_add_f32_e32 v43, -1.0, v42
	v_add_f32_e32 v46, 1.0, v42
	v_add_f32_e32 v44, 1.0, v43
	v_add_f32_e32 v47, -1.0, v46
	v_sub_f32_e32 v44, v42, v44
	v_sub_f32_e32 v42, v42, v47
	v_add_f32_e32 v44, v39, v44
	v_add_f32_e32 v39, v39, v42
	;; [unrolled: 1-line block ×3, first 2 shown]
	v_rcp_f32_e32 v47, v42
	v_add_f32_e32 v45, v43, v44
	v_sub_f32_e32 v43, v43, v45
	v_add_f32_e32 v43, v44, v43
	v_sub_f32_e32 v44, v46, v42
	v_add_f32_e32 v39, v39, v44
	v_mul_f32_e32 v44, v45, v47
	v_mul_f32_e32 v46, v42, v44
	v_fma_f32 v48, v44, v42, -v46
	v_fmac_f32_e32 v48, v44, v39
	v_add_f32_e32 v49, v46, v48
	v_sub_f32_e32 v50, v45, v49
	v_sub_f32_e32 v45, v45, v50
	;; [unrolled: 1-line block ×4, first 2 shown]
	v_add_f32_e32 v43, v43, v45
	v_sub_f32_e32 v45, v46, v48
	v_add_f32_e32 v43, v45, v43
	v_add_f32_e32 v45, v50, v43
	v_mul_f32_e32 v46, v47, v45
	v_mul_f32_e32 v48, v42, v46
	v_fma_f32 v42, v46, v42, -v48
	v_fmac_f32_e32 v42, v46, v39
	v_sub_f32_e32 v39, v50, v45
	v_add_f32_e32 v39, v43, v39
	v_add_f32_e32 v43, v48, v42
	v_sub_f32_e32 v49, v45, v43
	v_sub_f32_e32 v45, v45, v49
	;; [unrolled: 1-line block ×4, first 2 shown]
	v_add_f32_e32 v39, v39, v43
	v_sub_f32_e32 v42, v48, v42
	v_add_f32_e32 v39, v42, v39
	v_add_f32_e32 v42, v44, v46
	;; [unrolled: 1-line block ×3, first 2 shown]
	v_sub_f32_e32 v43, v42, v44
	v_mul_f32_e32 v39, v47, v39
	v_sub_f32_e32 v43, v46, v43
	v_add_f32_e32 v39, v43, v39
	v_cvt_f32_i32_e32 v38, v38
	v_add_f32_e32 v43, v42, v39
	v_mul_f32_e32 v44, v43, v43
	v_mov_b32_e32 v45, 0x3ecc95a3
	v_fmac_f32_e32 v45, 0x3e9b6dac, v44
	v_mov_b32_e32 v46, 0x3f2aaada
	v_fmac_f32_e32 v46, v44, v45
	s_mov_b32 s34, 0x3f317218
	v_mul_f32_e32 v45, 0x3f317218, v38
	v_fma_f32 v47, v38, s34, -v45
	v_fmac_f32_e32 v47, 0xb102e308, v38
	v_sub_f32_e32 v38, v43, v42
	v_sub_f32_e32 v38, v39, v38
	v_add_f32_e32 v39, v45, v47
	v_sub_f32_e32 v42, v39, v45
	v_ldexp_f32 v45, v43, 1
	v_mul_f32_e32 v43, v43, v44
	v_mul_f32_e32 v43, v43, v46
	v_add_f32_e32 v44, v45, v43
	v_sub_f32_e32 v45, v44, v45
	v_ldexp_f32 v38, v38, 1
	v_sub_f32_e32 v43, v43, v45
	v_add_f32_e32 v38, v38, v43
	v_add_f32_e32 v43, v44, v38
	v_sub_f32_e32 v44, v43, v44
	v_sub_f32_e32 v38, v38, v44
	v_add_f32_e32 v44, v39, v43
	v_sub_f32_e32 v45, v44, v39
	v_sub_f32_e32 v46, v44, v45
	;; [unrolled: 1-line block ×5, first 2 shown]
	v_add_f32_e32 v39, v43, v39
	v_add_f32_e32 v43, v42, v38
	v_sub_f32_e32 v45, v43, v42
	v_sub_f32_e32 v46, v43, v45
	;; [unrolled: 1-line block ×4, first 2 shown]
	v_add_f32_e32 v39, v43, v39
	v_add_f32_e32 v38, v38, v42
	;; [unrolled: 1-line block ×3, first 2 shown]
	v_sub_f32_e32 v43, v42, v44
	v_sub_f32_e32 v39, v39, v43
	v_add_f32_e32 v38, v38, v39
	v_add_f32_e32 v38, v42, v38
	v_cmp_neq_f32_e64 s[34:35], s40, v41
	v_cndmask_b32_e64 v38, v40, v38, s[34:35]
	s_mov_b32 s34, 0x33800000
	v_cmp_lt_f32_e64 s[34:35], |v41|, s34
	v_cndmask_b32_e64 v38, v38, v41, s[34:35]
	v_add_f32_e32 v38, v36, v38
.LBB157_257:
	s_or_b64 exec, exec, s[36:37]
	v_mov_b32_e32 v36, v38
.LBB157_258:
	s_or_b64 exec, exec, s[38:39]
	s_nop 0
	v_mov_b32_dpp v38, v36 row_shr:8 row_mask:0xf bank_mask:0xf
	v_cmp_lt_u32_e64 s[34:35], 7, v37
	s_and_saveexec_b64 s[38:39], s[34:35]
	s_cbranch_execz .LBB157_262
; %bb.259:
	v_max_f32_e32 v39, v36, v36
	v_max_f32_e32 v40, v38, v38
	v_min_f32_e32 v37, v40, v39
	v_cmp_u_f32_e64 s[34:35], v38, v38
	v_max_f32_e32 v39, v40, v39
	v_cndmask_b32_e64 v37, v37, v38, s[34:35]
	v_cmp_u_f32_e64 s[36:37], v36, v36
	v_cndmask_b32_e64 v39, v39, v38, s[34:35]
	v_cndmask_b32_e64 v37, v37, v36, s[36:37]
	;; [unrolled: 1-line block ×3, first 2 shown]
	s_movk_i32 s36, 0x1f8
	v_cmp_neq_f32_e64 s[34:35], v37, v36
	v_cmp_class_f32_e64 s[36:37], v37, s36
	s_or_b64 s[34:35], s[34:35], s[36:37]
	s_and_saveexec_b64 s[36:37], s[34:35]
	s_cbranch_execz .LBB157_261
; %bb.260:
	v_sub_f32_e32 v37, v37, v36
	s_mov_b32 s34, 0x3fb8aa3b
	v_mul_f32_e32 v38, 0x3fb8aa3b, v37
	v_fma_f32 v39, v37, s34, -v38
	v_rndne_f32_e32 v40, v38
	v_fmac_f32_e32 v39, 0x32a5705f, v37
	v_sub_f32_e32 v38, v38, v40
	v_add_f32_e32 v38, v38, v39
	v_exp_f32_e32 v38, v38
	v_cvt_i32_f32_e32 v39, v40
	s_mov_b32 s34, 0xc2ce8ed0
	v_cmp_ngt_f32_e64 s[34:35], s34, v37
	s_mov_b32 s40, 0x7f800000
	v_ldexp_f32 v38, v38, v39
	v_cndmask_b32_e64 v38, 0, v38, s[34:35]
	s_mov_b32 s34, 0x42b17218
	v_mov_b32_e32 v39, 0x7f800000
	v_cmp_nlt_f32_e64 s[34:35], s34, v37
	v_cndmask_b32_e64 v40, v39, v38, s[34:35]
	v_add_f32_e32 v41, 1.0, v40
	v_cvt_f64_f32_e32 v[37:38], v41
	v_add_f32_e32 v42, -1.0, v41
	v_sub_f32_e32 v43, v42, v41
	v_sub_f32_e32 v42, v40, v42
	v_frexp_exp_i32_f64_e32 v37, v[37:38]
	v_add_f32_e32 v38, 1.0, v43
	v_add_f32_e32 v38, v42, v38
	v_frexp_mant_f32_e32 v42, v41
	s_mov_b32 s34, 0x3f2aaaab
	v_cmp_gt_f32_e64 s[34:35], s34, v42
	v_subbrev_co_u32_e64 v37, s[34:35], 0, v37, s[34:35]
	v_sub_u32_e32 v42, 0, v37
	v_ldexp_f32 v41, v41, v42
	v_ldexp_f32 v38, v38, v42
	v_add_f32_e32 v42, -1.0, v41
	v_add_f32_e32 v45, 1.0, v41
	v_add_f32_e32 v43, 1.0, v42
	v_add_f32_e32 v46, -1.0, v45
	v_sub_f32_e32 v43, v41, v43
	v_sub_f32_e32 v41, v41, v46
	v_add_f32_e32 v43, v38, v43
	v_add_f32_e32 v38, v38, v41
	;; [unrolled: 1-line block ×3, first 2 shown]
	v_rcp_f32_e32 v46, v41
	v_add_f32_e32 v44, v42, v43
	v_sub_f32_e32 v42, v42, v44
	v_add_f32_e32 v42, v43, v42
	v_sub_f32_e32 v43, v45, v41
	v_add_f32_e32 v38, v38, v43
	v_mul_f32_e32 v43, v44, v46
	v_mul_f32_e32 v45, v41, v43
	v_fma_f32 v47, v43, v41, -v45
	v_fmac_f32_e32 v47, v43, v38
	v_add_f32_e32 v48, v45, v47
	v_sub_f32_e32 v49, v44, v48
	v_sub_f32_e32 v44, v44, v49
	;; [unrolled: 1-line block ×4, first 2 shown]
	v_add_f32_e32 v42, v42, v44
	v_sub_f32_e32 v44, v45, v47
	v_add_f32_e32 v42, v44, v42
	v_add_f32_e32 v44, v49, v42
	v_mul_f32_e32 v45, v46, v44
	v_mul_f32_e32 v47, v41, v45
	v_fma_f32 v41, v45, v41, -v47
	v_fmac_f32_e32 v41, v45, v38
	v_sub_f32_e32 v38, v49, v44
	v_add_f32_e32 v38, v42, v38
	v_add_f32_e32 v42, v47, v41
	v_sub_f32_e32 v48, v44, v42
	v_sub_f32_e32 v44, v44, v48
	v_sub_f32_e32 v47, v42, v47
	v_sub_f32_e32 v42, v44, v42
	v_add_f32_e32 v38, v38, v42
	v_sub_f32_e32 v41, v47, v41
	v_add_f32_e32 v38, v41, v38
	v_add_f32_e32 v41, v43, v45
	;; [unrolled: 1-line block ×3, first 2 shown]
	v_sub_f32_e32 v42, v41, v43
	v_mul_f32_e32 v38, v46, v38
	v_sub_f32_e32 v42, v45, v42
	v_add_f32_e32 v38, v42, v38
	v_cvt_f32_i32_e32 v37, v37
	v_add_f32_e32 v42, v41, v38
	v_mul_f32_e32 v43, v42, v42
	v_mov_b32_e32 v44, 0x3ecc95a3
	v_fmac_f32_e32 v44, 0x3e9b6dac, v43
	v_mov_b32_e32 v45, 0x3f2aaada
	v_fmac_f32_e32 v45, v43, v44
	s_mov_b32 s34, 0x3f317218
	v_mul_f32_e32 v44, 0x3f317218, v37
	v_fma_f32 v46, v37, s34, -v44
	v_fmac_f32_e32 v46, 0xb102e308, v37
	v_sub_f32_e32 v37, v42, v41
	v_sub_f32_e32 v37, v38, v37
	v_add_f32_e32 v38, v44, v46
	v_sub_f32_e32 v41, v38, v44
	v_ldexp_f32 v44, v42, 1
	v_mul_f32_e32 v42, v42, v43
	v_mul_f32_e32 v42, v42, v45
	v_add_f32_e32 v43, v44, v42
	v_sub_f32_e32 v44, v43, v44
	v_ldexp_f32 v37, v37, 1
	v_sub_f32_e32 v42, v42, v44
	v_add_f32_e32 v37, v37, v42
	v_add_f32_e32 v42, v43, v37
	v_sub_f32_e32 v43, v42, v43
	v_sub_f32_e32 v37, v37, v43
	v_add_f32_e32 v43, v38, v42
	v_sub_f32_e32 v44, v43, v38
	v_sub_f32_e32 v45, v43, v44
	;; [unrolled: 1-line block ×5, first 2 shown]
	v_add_f32_e32 v38, v42, v38
	v_add_f32_e32 v42, v41, v37
	v_sub_f32_e32 v44, v42, v41
	v_sub_f32_e32 v45, v42, v44
	;; [unrolled: 1-line block ×4, first 2 shown]
	v_add_f32_e32 v38, v42, v38
	v_add_f32_e32 v37, v37, v41
	;; [unrolled: 1-line block ×3, first 2 shown]
	v_sub_f32_e32 v42, v41, v43
	v_sub_f32_e32 v38, v38, v42
	v_add_f32_e32 v37, v37, v38
	v_add_f32_e32 v37, v41, v37
	v_cmp_neq_f32_e64 s[34:35], s40, v40
	v_cndmask_b32_e64 v37, v39, v37, s[34:35]
	s_mov_b32 s34, 0x33800000
	v_cmp_lt_f32_e64 s[34:35], |v40|, s34
	v_cndmask_b32_e64 v37, v37, v40, s[34:35]
	v_add_f32_e32 v38, v36, v37
.LBB157_261:
	s_or_b64 exec, exec, s[36:37]
	v_mov_b32_e32 v36, v38
.LBB157_262:
	s_or_b64 exec, exec, s[38:39]
	v_and_b32_e32 v38, 16, v35
	v_mov_b32_dpp v37, v36 row_bcast:15 row_mask:0xf bank_mask:0xf
	v_cmp_ne_u32_e64 s[34:35], 0, v38
	s_and_saveexec_b64 s[38:39], s[34:35]
	s_cbranch_execz .LBB157_266
; %bb.263:
	v_max_f32_e32 v39, v36, v36
	v_max_f32_e32 v40, v37, v37
	v_min_f32_e32 v38, v40, v39
	v_cmp_u_f32_e64 s[34:35], v37, v37
	v_max_f32_e32 v39, v40, v39
	v_cndmask_b32_e64 v38, v38, v37, s[34:35]
	v_cmp_u_f32_e64 s[36:37], v36, v36
	v_cndmask_b32_e64 v39, v39, v37, s[34:35]
	v_cndmask_b32_e64 v38, v38, v36, s[36:37]
	;; [unrolled: 1-line block ×3, first 2 shown]
	s_movk_i32 s36, 0x1f8
	v_cmp_neq_f32_e64 s[34:35], v38, v36
	v_cmp_class_f32_e64 s[36:37], v38, s36
	s_or_b64 s[34:35], s[34:35], s[36:37]
	s_and_saveexec_b64 s[36:37], s[34:35]
	s_cbranch_execz .LBB157_265
; %bb.264:
	v_sub_f32_e32 v37, v38, v36
	s_mov_b32 s34, 0x3fb8aa3b
	v_mul_f32_e32 v38, 0x3fb8aa3b, v37
	v_fma_f32 v39, v37, s34, -v38
	v_rndne_f32_e32 v40, v38
	v_fmac_f32_e32 v39, 0x32a5705f, v37
	v_sub_f32_e32 v38, v38, v40
	v_add_f32_e32 v38, v38, v39
	v_exp_f32_e32 v38, v38
	v_cvt_i32_f32_e32 v39, v40
	s_mov_b32 s34, 0xc2ce8ed0
	v_cmp_ngt_f32_e64 s[34:35], s34, v37
	s_mov_b32 s40, 0x7f800000
	v_ldexp_f32 v38, v38, v39
	v_cndmask_b32_e64 v38, 0, v38, s[34:35]
	s_mov_b32 s34, 0x42b17218
	v_mov_b32_e32 v39, 0x7f800000
	v_cmp_nlt_f32_e64 s[34:35], s34, v37
	v_cndmask_b32_e64 v40, v39, v38, s[34:35]
	v_add_f32_e32 v41, 1.0, v40
	v_cvt_f64_f32_e32 v[37:38], v41
	v_add_f32_e32 v42, -1.0, v41
	v_sub_f32_e32 v43, v42, v41
	v_sub_f32_e32 v42, v40, v42
	v_frexp_exp_i32_f64_e32 v37, v[37:38]
	v_add_f32_e32 v38, 1.0, v43
	v_add_f32_e32 v38, v42, v38
	v_frexp_mant_f32_e32 v42, v41
	s_mov_b32 s34, 0x3f2aaaab
	v_cmp_gt_f32_e64 s[34:35], s34, v42
	v_subbrev_co_u32_e64 v37, s[34:35], 0, v37, s[34:35]
	v_sub_u32_e32 v42, 0, v37
	v_ldexp_f32 v41, v41, v42
	v_ldexp_f32 v38, v38, v42
	v_add_f32_e32 v42, -1.0, v41
	v_add_f32_e32 v45, 1.0, v41
	v_add_f32_e32 v43, 1.0, v42
	v_add_f32_e32 v46, -1.0, v45
	v_sub_f32_e32 v43, v41, v43
	v_sub_f32_e32 v41, v41, v46
	v_add_f32_e32 v43, v38, v43
	v_add_f32_e32 v38, v38, v41
	;; [unrolled: 1-line block ×3, first 2 shown]
	v_rcp_f32_e32 v46, v41
	v_add_f32_e32 v44, v42, v43
	v_sub_f32_e32 v42, v42, v44
	v_add_f32_e32 v42, v43, v42
	v_sub_f32_e32 v43, v45, v41
	v_add_f32_e32 v38, v38, v43
	v_mul_f32_e32 v43, v44, v46
	v_mul_f32_e32 v45, v41, v43
	v_fma_f32 v47, v43, v41, -v45
	v_fmac_f32_e32 v47, v43, v38
	v_add_f32_e32 v48, v45, v47
	v_sub_f32_e32 v49, v44, v48
	v_sub_f32_e32 v44, v44, v49
	;; [unrolled: 1-line block ×4, first 2 shown]
	v_add_f32_e32 v42, v42, v44
	v_sub_f32_e32 v44, v45, v47
	v_add_f32_e32 v42, v44, v42
	v_add_f32_e32 v44, v49, v42
	v_mul_f32_e32 v45, v46, v44
	v_mul_f32_e32 v47, v41, v45
	v_fma_f32 v41, v45, v41, -v47
	v_fmac_f32_e32 v41, v45, v38
	v_sub_f32_e32 v38, v49, v44
	v_add_f32_e32 v38, v42, v38
	v_add_f32_e32 v42, v47, v41
	v_sub_f32_e32 v48, v44, v42
	v_sub_f32_e32 v44, v44, v48
	;; [unrolled: 1-line block ×4, first 2 shown]
	v_add_f32_e32 v38, v38, v42
	v_sub_f32_e32 v41, v47, v41
	v_add_f32_e32 v38, v41, v38
	v_add_f32_e32 v41, v43, v45
	;; [unrolled: 1-line block ×3, first 2 shown]
	v_sub_f32_e32 v42, v41, v43
	v_mul_f32_e32 v38, v46, v38
	v_sub_f32_e32 v42, v45, v42
	v_add_f32_e32 v38, v42, v38
	v_cvt_f32_i32_e32 v37, v37
	v_add_f32_e32 v42, v41, v38
	v_mul_f32_e32 v43, v42, v42
	v_mov_b32_e32 v44, 0x3ecc95a3
	v_fmac_f32_e32 v44, 0x3e9b6dac, v43
	v_mov_b32_e32 v45, 0x3f2aaada
	v_fmac_f32_e32 v45, v43, v44
	s_mov_b32 s34, 0x3f317218
	v_mul_f32_e32 v44, 0x3f317218, v37
	v_fma_f32 v46, v37, s34, -v44
	v_fmac_f32_e32 v46, 0xb102e308, v37
	v_sub_f32_e32 v37, v42, v41
	v_sub_f32_e32 v37, v38, v37
	v_add_f32_e32 v38, v44, v46
	v_sub_f32_e32 v41, v38, v44
	v_ldexp_f32 v44, v42, 1
	v_mul_f32_e32 v42, v42, v43
	v_mul_f32_e32 v42, v42, v45
	v_add_f32_e32 v43, v44, v42
	v_sub_f32_e32 v44, v43, v44
	v_ldexp_f32 v37, v37, 1
	v_sub_f32_e32 v42, v42, v44
	v_add_f32_e32 v37, v37, v42
	v_add_f32_e32 v42, v43, v37
	v_sub_f32_e32 v43, v42, v43
	v_sub_f32_e32 v37, v37, v43
	v_add_f32_e32 v43, v38, v42
	v_sub_f32_e32 v44, v43, v38
	v_sub_f32_e32 v45, v43, v44
	;; [unrolled: 1-line block ×5, first 2 shown]
	v_add_f32_e32 v38, v42, v38
	v_add_f32_e32 v42, v41, v37
	v_sub_f32_e32 v44, v42, v41
	v_sub_f32_e32 v45, v42, v44
	v_sub_f32_e32 v41, v41, v45
	v_sub_f32_e32 v37, v37, v44
	v_add_f32_e32 v38, v42, v38
	v_add_f32_e32 v37, v37, v41
	;; [unrolled: 1-line block ×3, first 2 shown]
	v_sub_f32_e32 v42, v41, v43
	v_sub_f32_e32 v38, v38, v42
	v_add_f32_e32 v37, v37, v38
	v_add_f32_e32 v37, v41, v37
	v_cmp_neq_f32_e64 s[34:35], s40, v40
	v_cndmask_b32_e64 v37, v39, v37, s[34:35]
	s_mov_b32 s34, 0x33800000
	v_cmp_lt_f32_e64 s[34:35], |v40|, s34
	v_cndmask_b32_e64 v37, v37, v40, s[34:35]
	v_add_f32_e32 v37, v36, v37
.LBB157_265:
	s_or_b64 exec, exec, s[36:37]
	v_mov_b32_e32 v36, v37
.LBB157_266:
	s_or_b64 exec, exec, s[38:39]
	s_nop 0
	v_mov_b32_dpp v37, v36 row_bcast:31 row_mask:0xf bank_mask:0xf
	v_cmp_lt_u32_e64 s[34:35], 31, v35
	s_and_saveexec_b64 s[38:39], s[34:35]
	s_cbranch_execz .LBB157_270
; %bb.267:
	v_max_f32_e32 v39, v36, v36
	v_max_f32_e32 v40, v37, v37
	v_min_f32_e32 v38, v40, v39
	v_cmp_u_f32_e64 s[34:35], v37, v37
	v_max_f32_e32 v39, v40, v39
	v_cndmask_b32_e64 v38, v38, v37, s[34:35]
	v_cmp_u_f32_e64 s[36:37], v36, v36
	v_cndmask_b32_e64 v39, v39, v37, s[34:35]
	v_cndmask_b32_e64 v38, v38, v36, s[36:37]
	;; [unrolled: 1-line block ×3, first 2 shown]
	s_movk_i32 s36, 0x1f8
	v_cmp_neq_f32_e64 s[34:35], v38, v36
	v_cmp_class_f32_e64 s[36:37], v38, s36
	s_or_b64 s[34:35], s[34:35], s[36:37]
	s_and_saveexec_b64 s[36:37], s[34:35]
	s_cbranch_execz .LBB157_269
; %bb.268:
	v_sub_f32_e32 v37, v38, v36
	s_mov_b32 s34, 0x3fb8aa3b
	v_mul_f32_e32 v38, 0x3fb8aa3b, v37
	v_fma_f32 v39, v37, s34, -v38
	v_rndne_f32_e32 v40, v38
	v_fmac_f32_e32 v39, 0x32a5705f, v37
	v_sub_f32_e32 v38, v38, v40
	v_add_f32_e32 v38, v38, v39
	v_exp_f32_e32 v38, v38
	v_cvt_i32_f32_e32 v39, v40
	s_mov_b32 s34, 0xc2ce8ed0
	v_cmp_ngt_f32_e64 s[34:35], s34, v37
	s_mov_b32 s40, 0x7f800000
	v_ldexp_f32 v38, v38, v39
	v_cndmask_b32_e64 v38, 0, v38, s[34:35]
	s_mov_b32 s34, 0x42b17218
	v_mov_b32_e32 v39, 0x7f800000
	v_cmp_nlt_f32_e64 s[34:35], s34, v37
	v_cndmask_b32_e64 v40, v39, v38, s[34:35]
	v_add_f32_e32 v41, 1.0, v40
	v_cvt_f64_f32_e32 v[37:38], v41
	v_add_f32_e32 v42, -1.0, v41
	v_sub_f32_e32 v43, v42, v41
	v_sub_f32_e32 v42, v40, v42
	v_frexp_exp_i32_f64_e32 v37, v[37:38]
	v_add_f32_e32 v38, 1.0, v43
	v_add_f32_e32 v38, v42, v38
	v_frexp_mant_f32_e32 v42, v41
	s_mov_b32 s34, 0x3f2aaaab
	v_cmp_gt_f32_e64 s[34:35], s34, v42
	v_subbrev_co_u32_e64 v37, s[34:35], 0, v37, s[34:35]
	v_sub_u32_e32 v42, 0, v37
	v_ldexp_f32 v41, v41, v42
	v_ldexp_f32 v38, v38, v42
	v_add_f32_e32 v42, -1.0, v41
	v_add_f32_e32 v45, 1.0, v41
	v_add_f32_e32 v43, 1.0, v42
	v_add_f32_e32 v46, -1.0, v45
	v_sub_f32_e32 v43, v41, v43
	v_sub_f32_e32 v41, v41, v46
	v_add_f32_e32 v43, v38, v43
	v_add_f32_e32 v38, v38, v41
	;; [unrolled: 1-line block ×3, first 2 shown]
	v_rcp_f32_e32 v46, v41
	v_add_f32_e32 v44, v42, v43
	v_sub_f32_e32 v42, v42, v44
	v_add_f32_e32 v42, v43, v42
	v_sub_f32_e32 v43, v45, v41
	v_add_f32_e32 v38, v38, v43
	v_mul_f32_e32 v43, v44, v46
	v_mul_f32_e32 v45, v41, v43
	v_fma_f32 v47, v43, v41, -v45
	v_fmac_f32_e32 v47, v43, v38
	v_add_f32_e32 v48, v45, v47
	v_sub_f32_e32 v49, v44, v48
	v_sub_f32_e32 v44, v44, v49
	;; [unrolled: 1-line block ×4, first 2 shown]
	v_add_f32_e32 v42, v42, v44
	v_sub_f32_e32 v44, v45, v47
	v_add_f32_e32 v42, v44, v42
	v_add_f32_e32 v44, v49, v42
	v_mul_f32_e32 v45, v46, v44
	v_mul_f32_e32 v47, v41, v45
	v_fma_f32 v41, v45, v41, -v47
	v_fmac_f32_e32 v41, v45, v38
	v_sub_f32_e32 v38, v49, v44
	v_add_f32_e32 v38, v42, v38
	v_add_f32_e32 v42, v47, v41
	v_sub_f32_e32 v48, v44, v42
	v_sub_f32_e32 v44, v44, v48
	;; [unrolled: 1-line block ×4, first 2 shown]
	v_add_f32_e32 v38, v38, v42
	v_sub_f32_e32 v41, v47, v41
	v_add_f32_e32 v38, v41, v38
	v_add_f32_e32 v41, v43, v45
	;; [unrolled: 1-line block ×3, first 2 shown]
	v_sub_f32_e32 v42, v41, v43
	v_mul_f32_e32 v38, v46, v38
	v_sub_f32_e32 v42, v45, v42
	v_add_f32_e32 v38, v42, v38
	v_cvt_f32_i32_e32 v37, v37
	v_add_f32_e32 v42, v41, v38
	v_mul_f32_e32 v43, v42, v42
	v_mov_b32_e32 v44, 0x3ecc95a3
	v_fmac_f32_e32 v44, 0x3e9b6dac, v43
	v_mov_b32_e32 v45, 0x3f2aaada
	v_fmac_f32_e32 v45, v43, v44
	s_mov_b32 s34, 0x3f317218
	v_mul_f32_e32 v44, 0x3f317218, v37
	v_fma_f32 v46, v37, s34, -v44
	v_fmac_f32_e32 v46, 0xb102e308, v37
	v_sub_f32_e32 v37, v42, v41
	v_sub_f32_e32 v37, v38, v37
	v_add_f32_e32 v38, v44, v46
	v_sub_f32_e32 v41, v38, v44
	v_ldexp_f32 v44, v42, 1
	v_mul_f32_e32 v42, v42, v43
	v_mul_f32_e32 v42, v42, v45
	v_add_f32_e32 v43, v44, v42
	v_sub_f32_e32 v44, v43, v44
	v_ldexp_f32 v37, v37, 1
	v_sub_f32_e32 v42, v42, v44
	v_add_f32_e32 v37, v37, v42
	v_add_f32_e32 v42, v43, v37
	v_sub_f32_e32 v43, v42, v43
	v_sub_f32_e32 v37, v37, v43
	v_add_f32_e32 v43, v38, v42
	v_sub_f32_e32 v44, v43, v38
	v_sub_f32_e32 v45, v43, v44
	v_sub_f32_e32 v41, v46, v41
	v_sub_f32_e32 v38, v38, v45
	v_sub_f32_e32 v42, v42, v44
	v_add_f32_e32 v38, v42, v38
	v_add_f32_e32 v42, v41, v37
	v_sub_f32_e32 v44, v42, v41
	v_sub_f32_e32 v45, v42, v44
	;; [unrolled: 1-line block ×4, first 2 shown]
	v_add_f32_e32 v38, v42, v38
	v_add_f32_e32 v37, v37, v41
	v_add_f32_e32 v41, v43, v38
	v_sub_f32_e32 v42, v41, v43
	v_sub_f32_e32 v38, v38, v42
	v_add_f32_e32 v37, v37, v38
	v_add_f32_e32 v37, v41, v37
	v_cmp_neq_f32_e64 s[34:35], s40, v40
	v_cndmask_b32_e64 v37, v39, v37, s[34:35]
	s_mov_b32 s34, 0x33800000
	v_cmp_lt_f32_e64 s[34:35], |v40|, s34
	v_cndmask_b32_e64 v37, v37, v40, s[34:35]
	v_add_f32_e32 v37, v36, v37
.LBB157_269:
	s_or_b64 exec, exec, s[36:37]
	v_mov_b32_e32 v36, v37
.LBB157_270:
	s_or_b64 exec, exec, s[38:39]
	v_or_b32_e32 v38, 63, v0
	v_lshrrev_b32_e32 v37, 6, v0
	v_cmp_eq_u32_e64 s[34:35], v0, v38
	s_and_saveexec_b64 s[36:37], s[34:35]
; %bb.271:
	v_lshlrev_b32_e32 v38, 2, v37
	ds_write_b32 v38, v36
; %bb.272:
	s_or_b64 exec, exec, s[36:37]
	v_cmp_gt_u32_e64 s[34:35], 4, v0
	s_waitcnt lgkmcnt(0)
	s_barrier
	s_and_saveexec_b64 s[38:39], s[34:35]
	s_cbranch_execz .LBB157_282
; %bb.273:
	ds_read_b32 v39, v31
	v_and_b32_e32 v38, 3, v35
	v_cmp_ne_u32_e64 s[34:35], 0, v38
	s_waitcnt lgkmcnt(0)
	v_mov_b32_dpp v40, v39 row_shr:1 row_mask:0xf bank_mask:0xf
	s_and_saveexec_b64 s[40:41], s[34:35]
	s_cbranch_execz .LBB157_277
; %bb.274:
	v_max_f32_e32 v42, v39, v39
	v_max_f32_e32 v43, v40, v40
	v_min_f32_e32 v41, v43, v42
	v_cmp_u_f32_e64 s[34:35], v40, v40
	v_max_f32_e32 v42, v43, v42
	v_cndmask_b32_e64 v41, v41, v40, s[34:35]
	v_cmp_u_f32_e64 s[36:37], v39, v39
	v_cndmask_b32_e64 v42, v42, v40, s[34:35]
	v_cndmask_b32_e64 v41, v41, v39, s[36:37]
	;; [unrolled: 1-line block ×3, first 2 shown]
	s_movk_i32 s36, 0x1f8
	v_cmp_neq_f32_e64 s[34:35], v41, v39
	v_cmp_class_f32_e64 s[36:37], v41, s36
	s_or_b64 s[34:35], s[34:35], s[36:37]
	s_and_saveexec_b64 s[36:37], s[34:35]
	s_cbranch_execz .LBB157_276
; %bb.275:
	v_sub_f32_e32 v40, v41, v39
	s_mov_b32 s34, 0x3fb8aa3b
	v_mul_f32_e32 v41, 0x3fb8aa3b, v40
	v_fma_f32 v42, v40, s34, -v41
	v_rndne_f32_e32 v43, v41
	v_fmac_f32_e32 v42, 0x32a5705f, v40
	v_sub_f32_e32 v41, v41, v43
	v_add_f32_e32 v41, v41, v42
	v_exp_f32_e32 v41, v41
	v_cvt_i32_f32_e32 v42, v43
	s_mov_b32 s34, 0xc2ce8ed0
	v_cmp_ngt_f32_e64 s[34:35], s34, v40
	s_mov_b32 s44, 0x7f800000
	v_ldexp_f32 v41, v41, v42
	v_cndmask_b32_e64 v41, 0, v41, s[34:35]
	s_mov_b32 s34, 0x42b17218
	v_mov_b32_e32 v42, 0x7f800000
	v_cmp_nlt_f32_e64 s[34:35], s34, v40
	v_cndmask_b32_e64 v43, v42, v41, s[34:35]
	v_add_f32_e32 v44, 1.0, v43
	v_cvt_f64_f32_e32 v[40:41], v44
	v_add_f32_e32 v45, -1.0, v44
	v_sub_f32_e32 v46, v45, v44
	v_sub_f32_e32 v45, v43, v45
	v_frexp_exp_i32_f64_e32 v40, v[40:41]
	v_add_f32_e32 v41, 1.0, v46
	v_add_f32_e32 v41, v45, v41
	v_frexp_mant_f32_e32 v45, v44
	s_mov_b32 s34, 0x3f2aaaab
	v_cmp_gt_f32_e64 s[34:35], s34, v45
	v_subbrev_co_u32_e64 v40, s[34:35], 0, v40, s[34:35]
	v_sub_u32_e32 v45, 0, v40
	v_ldexp_f32 v44, v44, v45
	v_ldexp_f32 v41, v41, v45
	v_add_f32_e32 v45, -1.0, v44
	v_add_f32_e32 v48, 1.0, v44
	v_add_f32_e32 v46, 1.0, v45
	v_add_f32_e32 v49, -1.0, v48
	v_sub_f32_e32 v46, v44, v46
	v_sub_f32_e32 v44, v44, v49
	v_add_f32_e32 v46, v41, v46
	v_add_f32_e32 v41, v41, v44
	;; [unrolled: 1-line block ×3, first 2 shown]
	v_rcp_f32_e32 v49, v44
	v_add_f32_e32 v47, v45, v46
	v_sub_f32_e32 v45, v45, v47
	v_add_f32_e32 v45, v46, v45
	v_sub_f32_e32 v46, v48, v44
	v_add_f32_e32 v41, v41, v46
	v_mul_f32_e32 v46, v47, v49
	v_mul_f32_e32 v48, v44, v46
	v_fma_f32 v50, v46, v44, -v48
	v_fmac_f32_e32 v50, v46, v41
	v_add_f32_e32 v51, v48, v50
	v_sub_f32_e32 v52, v47, v51
	v_sub_f32_e32 v47, v47, v52
	;; [unrolled: 1-line block ×4, first 2 shown]
	v_add_f32_e32 v45, v45, v47
	v_sub_f32_e32 v47, v48, v50
	v_add_f32_e32 v45, v47, v45
	v_add_f32_e32 v47, v52, v45
	v_mul_f32_e32 v48, v49, v47
	v_mul_f32_e32 v50, v44, v48
	v_fma_f32 v44, v48, v44, -v50
	v_fmac_f32_e32 v44, v48, v41
	v_sub_f32_e32 v41, v52, v47
	v_add_f32_e32 v41, v45, v41
	v_add_f32_e32 v45, v50, v44
	v_sub_f32_e32 v51, v47, v45
	v_sub_f32_e32 v47, v47, v51
	;; [unrolled: 1-line block ×4, first 2 shown]
	v_add_f32_e32 v41, v41, v45
	v_sub_f32_e32 v44, v50, v44
	v_add_f32_e32 v41, v44, v41
	v_add_f32_e32 v44, v46, v48
	;; [unrolled: 1-line block ×3, first 2 shown]
	v_sub_f32_e32 v45, v44, v46
	v_mul_f32_e32 v41, v49, v41
	v_sub_f32_e32 v45, v48, v45
	v_add_f32_e32 v41, v45, v41
	v_cvt_f32_i32_e32 v40, v40
	v_add_f32_e32 v45, v44, v41
	v_mul_f32_e32 v46, v45, v45
	v_mov_b32_e32 v47, 0x3ecc95a3
	v_fmac_f32_e32 v47, 0x3e9b6dac, v46
	v_mov_b32_e32 v48, 0x3f2aaada
	v_fmac_f32_e32 v48, v46, v47
	s_mov_b32 s34, 0x3f317218
	v_mul_f32_e32 v47, 0x3f317218, v40
	v_fma_f32 v49, v40, s34, -v47
	v_fmac_f32_e32 v49, 0xb102e308, v40
	v_sub_f32_e32 v40, v45, v44
	v_sub_f32_e32 v40, v41, v40
	v_add_f32_e32 v41, v47, v49
	v_sub_f32_e32 v44, v41, v47
	v_ldexp_f32 v47, v45, 1
	v_mul_f32_e32 v45, v45, v46
	v_mul_f32_e32 v45, v45, v48
	v_add_f32_e32 v46, v47, v45
	v_sub_f32_e32 v47, v46, v47
	v_ldexp_f32 v40, v40, 1
	v_sub_f32_e32 v45, v45, v47
	v_add_f32_e32 v40, v40, v45
	v_add_f32_e32 v45, v46, v40
	v_sub_f32_e32 v46, v45, v46
	v_sub_f32_e32 v40, v40, v46
	v_add_f32_e32 v46, v41, v45
	v_sub_f32_e32 v47, v46, v41
	v_sub_f32_e32 v48, v46, v47
	;; [unrolled: 1-line block ×5, first 2 shown]
	v_add_f32_e32 v41, v45, v41
	v_add_f32_e32 v45, v44, v40
	v_sub_f32_e32 v47, v45, v44
	v_sub_f32_e32 v48, v45, v47
	v_sub_f32_e32 v44, v44, v48
	v_sub_f32_e32 v40, v40, v47
	v_add_f32_e32 v41, v45, v41
	v_add_f32_e32 v40, v40, v44
	v_add_f32_e32 v44, v46, v41
	v_sub_f32_e32 v45, v44, v46
	v_sub_f32_e32 v41, v41, v45
	v_add_f32_e32 v40, v40, v41
	v_add_f32_e32 v40, v44, v40
	v_cmp_neq_f32_e64 s[34:35], s44, v43
	v_cndmask_b32_e64 v40, v42, v40, s[34:35]
	s_mov_b32 s34, 0x33800000
	v_cmp_lt_f32_e64 s[34:35], |v43|, s34
	v_cndmask_b32_e64 v40, v40, v43, s[34:35]
	v_add_f32_e32 v40, v39, v40
.LBB157_276:
	s_or_b64 exec, exec, s[36:37]
	v_mov_b32_e32 v39, v40
.LBB157_277:
	s_or_b64 exec, exec, s[40:41]
	s_nop 0
	v_mov_b32_dpp v40, v39 row_shr:2 row_mask:0xf bank_mask:0xf
	v_cmp_lt_u32_e64 s[34:35], 1, v38
	s_and_saveexec_b64 s[40:41], s[34:35]
	s_cbranch_execz .LBB157_281
; %bb.278:
	v_max_f32_e32 v38, v39, v39
	v_max_f32_e32 v42, v40, v40
	v_min_f32_e32 v41, v42, v38
	v_cmp_u_f32_e64 s[34:35], v40, v40
	v_max_f32_e32 v38, v42, v38
	v_cndmask_b32_e64 v41, v41, v40, s[34:35]
	v_cmp_u_f32_e64 s[36:37], v39, v39
	v_cndmask_b32_e64 v38, v38, v40, s[34:35]
	v_cndmask_b32_e64 v41, v41, v39, s[36:37]
	;; [unrolled: 1-line block ×3, first 2 shown]
	s_movk_i32 s36, 0x1f8
	v_cmp_neq_f32_e64 s[34:35], v41, v38
	v_cmp_class_f32_e64 s[36:37], v41, s36
	s_or_b64 s[34:35], s[34:35], s[36:37]
	s_and_saveexec_b64 s[36:37], s[34:35]
	s_cbranch_execz .LBB157_280
; %bb.279:
	v_sub_f32_e32 v39, v41, v38
	s_mov_b32 s34, 0x3fb8aa3b
	v_mul_f32_e32 v40, 0x3fb8aa3b, v39
	v_fma_f32 v41, v39, s34, -v40
	v_rndne_f32_e32 v42, v40
	v_fmac_f32_e32 v41, 0x32a5705f, v39
	v_sub_f32_e32 v40, v40, v42
	v_add_f32_e32 v40, v40, v41
	v_exp_f32_e32 v40, v40
	v_cvt_i32_f32_e32 v41, v42
	s_mov_b32 s34, 0xc2ce8ed0
	v_cmp_ngt_f32_e64 s[34:35], s34, v39
	s_mov_b32 s44, 0x7f800000
	v_ldexp_f32 v40, v40, v41
	v_cndmask_b32_e64 v40, 0, v40, s[34:35]
	s_mov_b32 s34, 0x42b17218
	v_mov_b32_e32 v41, 0x7f800000
	v_cmp_nlt_f32_e64 s[34:35], s34, v39
	v_cndmask_b32_e64 v42, v41, v40, s[34:35]
	v_add_f32_e32 v43, 1.0, v42
	v_cvt_f64_f32_e32 v[39:40], v43
	v_add_f32_e32 v44, -1.0, v43
	v_sub_f32_e32 v45, v44, v43
	v_sub_f32_e32 v44, v42, v44
	v_frexp_exp_i32_f64_e32 v39, v[39:40]
	v_add_f32_e32 v40, 1.0, v45
	v_add_f32_e32 v40, v44, v40
	v_frexp_mant_f32_e32 v44, v43
	s_mov_b32 s34, 0x3f2aaaab
	v_cmp_gt_f32_e64 s[34:35], s34, v44
	v_subbrev_co_u32_e64 v39, s[34:35], 0, v39, s[34:35]
	v_sub_u32_e32 v44, 0, v39
	v_ldexp_f32 v43, v43, v44
	v_ldexp_f32 v40, v40, v44
	v_add_f32_e32 v44, -1.0, v43
	v_add_f32_e32 v47, 1.0, v43
	v_add_f32_e32 v45, 1.0, v44
	v_add_f32_e32 v48, -1.0, v47
	v_sub_f32_e32 v45, v43, v45
	v_sub_f32_e32 v43, v43, v48
	v_add_f32_e32 v45, v40, v45
	v_add_f32_e32 v40, v40, v43
	;; [unrolled: 1-line block ×3, first 2 shown]
	v_rcp_f32_e32 v48, v43
	v_add_f32_e32 v46, v44, v45
	v_sub_f32_e32 v44, v44, v46
	v_add_f32_e32 v44, v45, v44
	v_sub_f32_e32 v45, v47, v43
	v_add_f32_e32 v40, v40, v45
	v_mul_f32_e32 v45, v46, v48
	v_mul_f32_e32 v47, v43, v45
	v_fma_f32 v49, v45, v43, -v47
	v_fmac_f32_e32 v49, v45, v40
	v_add_f32_e32 v50, v47, v49
	v_sub_f32_e32 v51, v46, v50
	v_sub_f32_e32 v46, v46, v51
	;; [unrolled: 1-line block ×4, first 2 shown]
	v_add_f32_e32 v44, v44, v46
	v_sub_f32_e32 v46, v47, v49
	v_add_f32_e32 v44, v46, v44
	v_add_f32_e32 v46, v51, v44
	v_mul_f32_e32 v47, v48, v46
	v_mul_f32_e32 v49, v43, v47
	v_fma_f32 v43, v47, v43, -v49
	v_fmac_f32_e32 v43, v47, v40
	v_sub_f32_e32 v40, v51, v46
	v_add_f32_e32 v40, v44, v40
	v_add_f32_e32 v44, v49, v43
	v_sub_f32_e32 v50, v46, v44
	v_sub_f32_e32 v46, v46, v50
	;; [unrolled: 1-line block ×4, first 2 shown]
	v_add_f32_e32 v40, v40, v44
	v_sub_f32_e32 v43, v49, v43
	v_add_f32_e32 v40, v43, v40
	v_add_f32_e32 v43, v45, v47
	;; [unrolled: 1-line block ×3, first 2 shown]
	v_sub_f32_e32 v44, v43, v45
	v_mul_f32_e32 v40, v48, v40
	v_sub_f32_e32 v44, v47, v44
	v_add_f32_e32 v40, v44, v40
	v_cvt_f32_i32_e32 v39, v39
	v_add_f32_e32 v44, v43, v40
	v_mul_f32_e32 v45, v44, v44
	v_mov_b32_e32 v46, 0x3ecc95a3
	v_fmac_f32_e32 v46, 0x3e9b6dac, v45
	v_mov_b32_e32 v47, 0x3f2aaada
	v_fmac_f32_e32 v47, v45, v46
	s_mov_b32 s34, 0x3f317218
	v_mul_f32_e32 v46, 0x3f317218, v39
	v_fma_f32 v48, v39, s34, -v46
	v_fmac_f32_e32 v48, 0xb102e308, v39
	v_sub_f32_e32 v39, v44, v43
	v_sub_f32_e32 v39, v40, v39
	v_add_f32_e32 v40, v46, v48
	v_sub_f32_e32 v43, v40, v46
	v_ldexp_f32 v46, v44, 1
	v_mul_f32_e32 v44, v44, v45
	v_mul_f32_e32 v44, v44, v47
	v_add_f32_e32 v45, v46, v44
	v_sub_f32_e32 v46, v45, v46
	v_ldexp_f32 v39, v39, 1
	v_sub_f32_e32 v44, v44, v46
	v_add_f32_e32 v39, v39, v44
	v_add_f32_e32 v44, v45, v39
	v_sub_f32_e32 v45, v44, v45
	v_sub_f32_e32 v39, v39, v45
	v_add_f32_e32 v45, v40, v44
	v_sub_f32_e32 v46, v45, v40
	v_sub_f32_e32 v47, v45, v46
	;; [unrolled: 1-line block ×5, first 2 shown]
	v_add_f32_e32 v40, v44, v40
	v_add_f32_e32 v44, v43, v39
	v_sub_f32_e32 v46, v44, v43
	v_sub_f32_e32 v47, v44, v46
	;; [unrolled: 1-line block ×4, first 2 shown]
	v_add_f32_e32 v40, v44, v40
	v_add_f32_e32 v39, v39, v43
	;; [unrolled: 1-line block ×3, first 2 shown]
	v_sub_f32_e32 v44, v43, v45
	v_sub_f32_e32 v40, v40, v44
	v_add_f32_e32 v39, v39, v40
	v_add_f32_e32 v39, v43, v39
	v_cmp_neq_f32_e64 s[34:35], s44, v42
	v_cndmask_b32_e64 v39, v41, v39, s[34:35]
	s_mov_b32 s34, 0x33800000
	v_cmp_lt_f32_e64 s[34:35], |v42|, s34
	v_cndmask_b32_e64 v39, v39, v42, s[34:35]
	v_add_f32_e32 v40, v38, v39
.LBB157_280:
	s_or_b64 exec, exec, s[36:37]
	v_mov_b32_e32 v39, v40
.LBB157_281:
	s_or_b64 exec, exec, s[40:41]
	ds_write_b32 v31, v39
.LBB157_282:
	s_or_b64 exec, exec, s[38:39]
	v_cmp_lt_u32_e64 s[34:35], 63, v0
	s_waitcnt lgkmcnt(0)
	s_barrier
                                        ; implicit-def: $vgpr38
	s_and_saveexec_b64 s[38:39], s[34:35]
	s_cbranch_execz .LBB157_286
; %bb.283:
	v_lshl_add_u32 v37, v37, 2, -4
	ds_read_b32 v38, v37
	v_max_f32_e32 v37, v36, v36
	v_cmp_u_f32_e64 s[36:37], v36, v36
	s_waitcnt lgkmcnt(0)
	v_max_f32_e32 v39, v38, v38
	v_min_f32_e32 v40, v39, v37
	v_max_f32_e32 v37, v39, v37
	v_cmp_u_f32_e64 s[34:35], v38, v38
	v_cndmask_b32_e64 v39, v40, v38, s[34:35]
	v_cndmask_b32_e64 v37, v37, v38, s[34:35]
	;; [unrolled: 1-line block ×4, first 2 shown]
	s_movk_i32 s36, 0x1f8
	v_cmp_neq_f32_e64 s[34:35], v39, v37
	v_cmp_class_f32_e64 s[36:37], v39, s36
	s_or_b64 s[34:35], s[34:35], s[36:37]
	v_mov_b32_e32 v36, v38
	s_and_saveexec_b64 s[36:37], s[34:35]
	s_cbranch_execz .LBB157_285
; %bb.284:
	v_sub_f32_e32 v36, v39, v37
	s_mov_b32 s34, 0x3fb8aa3b
	v_mul_f32_e32 v39, 0x3fb8aa3b, v36
	v_fma_f32 v40, v36, s34, -v39
	v_rndne_f32_e32 v41, v39
	v_fmac_f32_e32 v40, 0x32a5705f, v36
	v_sub_f32_e32 v39, v39, v41
	v_add_f32_e32 v39, v39, v40
	v_exp_f32_e32 v39, v39
	v_cvt_i32_f32_e32 v40, v41
	s_mov_b32 s34, 0xc2ce8ed0
	v_cmp_ngt_f32_e64 s[34:35], s34, v36
	v_mov_b32_e32 v41, 0x7f800000
	v_ldexp_f32 v39, v39, v40
	v_cndmask_b32_e64 v39, 0, v39, s[34:35]
	s_mov_b32 s34, 0x42b17218
	v_cmp_nlt_f32_e64 s[34:35], s34, v36
	v_cndmask_b32_e64 v36, v41, v39, s[34:35]
	v_add_f32_e32 v42, 1.0, v36
	v_cvt_f64_f32_e32 v[39:40], v42
	v_add_f32_e32 v43, -1.0, v42
	v_sub_f32_e32 v44, v43, v42
	v_sub_f32_e32 v43, v36, v43
	v_frexp_exp_i32_f64_e32 v39, v[39:40]
	v_add_f32_e32 v40, 1.0, v44
	v_add_f32_e32 v40, v43, v40
	v_frexp_mant_f32_e32 v43, v42
	s_mov_b32 s34, 0x3f2aaaab
	v_cmp_gt_f32_e64 s[34:35], s34, v43
	s_mov_b32 s40, 0x7f800000
	v_subbrev_co_u32_e64 v39, s[34:35], 0, v39, s[34:35]
	v_sub_u32_e32 v43, 0, v39
	v_ldexp_f32 v42, v42, v43
	v_ldexp_f32 v40, v40, v43
	v_add_f32_e32 v43, -1.0, v42
	v_add_f32_e32 v46, 1.0, v42
	v_add_f32_e32 v44, 1.0, v43
	v_add_f32_e32 v47, -1.0, v46
	v_sub_f32_e32 v44, v42, v44
	v_sub_f32_e32 v42, v42, v47
	v_add_f32_e32 v44, v40, v44
	v_add_f32_e32 v40, v40, v42
	v_add_f32_e32 v42, v46, v40
	v_rcp_f32_e32 v47, v42
	v_add_f32_e32 v45, v43, v44
	v_sub_f32_e32 v43, v43, v45
	v_add_f32_e32 v43, v44, v43
	v_sub_f32_e32 v44, v46, v42
	v_add_f32_e32 v40, v40, v44
	v_mul_f32_e32 v44, v45, v47
	v_mul_f32_e32 v46, v42, v44
	v_fma_f32 v48, v44, v42, -v46
	v_fmac_f32_e32 v48, v44, v40
	v_add_f32_e32 v49, v46, v48
	v_sub_f32_e32 v50, v45, v49
	v_sub_f32_e32 v45, v45, v50
	;; [unrolled: 1-line block ×4, first 2 shown]
	v_add_f32_e32 v43, v43, v45
	v_sub_f32_e32 v45, v46, v48
	v_add_f32_e32 v43, v45, v43
	v_add_f32_e32 v45, v50, v43
	v_mul_f32_e32 v46, v47, v45
	v_mul_f32_e32 v48, v42, v46
	v_fma_f32 v42, v46, v42, -v48
	v_fmac_f32_e32 v42, v46, v40
	v_sub_f32_e32 v40, v50, v45
	v_add_f32_e32 v40, v43, v40
	v_add_f32_e32 v43, v48, v42
	v_sub_f32_e32 v49, v45, v43
	v_sub_f32_e32 v45, v45, v49
	;; [unrolled: 1-line block ×4, first 2 shown]
	v_add_f32_e32 v40, v40, v43
	v_sub_f32_e32 v42, v48, v42
	v_add_f32_e32 v40, v42, v40
	v_add_f32_e32 v42, v44, v46
	;; [unrolled: 1-line block ×3, first 2 shown]
	v_sub_f32_e32 v43, v42, v44
	v_mul_f32_e32 v40, v47, v40
	v_sub_f32_e32 v43, v46, v43
	v_add_f32_e32 v40, v43, v40
	v_cvt_f32_i32_e32 v39, v39
	v_add_f32_e32 v43, v42, v40
	v_mul_f32_e32 v44, v43, v43
	v_mov_b32_e32 v45, 0x3ecc95a3
	v_fmac_f32_e32 v45, 0x3e9b6dac, v44
	v_mov_b32_e32 v46, 0x3f2aaada
	v_fmac_f32_e32 v46, v44, v45
	s_mov_b32 s34, 0x3f317218
	v_mul_f32_e32 v45, 0x3f317218, v39
	v_fma_f32 v47, v39, s34, -v45
	v_fmac_f32_e32 v47, 0xb102e308, v39
	v_sub_f32_e32 v39, v43, v42
	v_sub_f32_e32 v39, v40, v39
	v_add_f32_e32 v40, v45, v47
	v_sub_f32_e32 v42, v40, v45
	v_ldexp_f32 v45, v43, 1
	v_mul_f32_e32 v43, v43, v44
	v_mul_f32_e32 v43, v43, v46
	v_add_f32_e32 v44, v45, v43
	v_sub_f32_e32 v45, v44, v45
	v_ldexp_f32 v39, v39, 1
	v_sub_f32_e32 v43, v43, v45
	v_add_f32_e32 v39, v39, v43
	v_add_f32_e32 v43, v44, v39
	v_sub_f32_e32 v44, v43, v44
	v_sub_f32_e32 v39, v39, v44
	v_add_f32_e32 v44, v40, v43
	v_sub_f32_e32 v45, v44, v40
	v_sub_f32_e32 v46, v44, v45
	;; [unrolled: 1-line block ×5, first 2 shown]
	v_add_f32_e32 v40, v43, v40
	v_add_f32_e32 v43, v42, v39
	v_sub_f32_e32 v45, v43, v42
	v_sub_f32_e32 v46, v43, v45
	;; [unrolled: 1-line block ×4, first 2 shown]
	v_add_f32_e32 v40, v43, v40
	v_add_f32_e32 v39, v39, v42
	;; [unrolled: 1-line block ×3, first 2 shown]
	v_sub_f32_e32 v43, v42, v44
	v_sub_f32_e32 v40, v40, v43
	v_add_f32_e32 v39, v39, v40
	v_add_f32_e32 v39, v42, v39
	v_cmp_neq_f32_e64 s[34:35], s40, v36
	v_cndmask_b32_e64 v39, v41, v39, s[34:35]
	s_mov_b32 s34, 0x33800000
	v_cmp_lt_f32_e64 s[34:35], |v36|, s34
	v_cndmask_b32_e64 v36, v39, v36, s[34:35]
	v_add_f32_e32 v36, v37, v36
.LBB157_285:
	s_or_b64 exec, exec, s[36:37]
.LBB157_286:
	s_or_b64 exec, exec, s[38:39]
	v_add_u32_e32 v37, -1, v35
	v_and_b32_e32 v39, 64, v35
	v_cmp_lt_i32_e64 s[34:35], v37, v39
	v_cndmask_b32_e64 v37, v37, v35, s[34:35]
	v_lshlrev_b32_e32 v37, 2, v37
	ds_bpermute_b32 v36, v37, v36
	s_and_saveexec_b64 s[34:35], s[2:3]
	s_cbranch_execz .LBB157_290
; %bb.287:
	v_cmp_eq_u32_e64 s[2:3], 0, v35
	s_waitcnt lgkmcnt(0)
	v_cndmask_b32_e64 v35, v36, v38, s[2:3]
	v_max_f32_e32 v18, v35, v35
	v_min_f32_e32 v17, v18, v16
	v_cmp_u_f32_e64 s[2:3], v35, v35
	v_max_f32_e32 v16, v18, v16
	v_cndmask_b32_e64 v17, v17, v35, s[2:3]
	v_cndmask_b32_e64 v16, v16, v35, s[2:3]
	;; [unrolled: 1-line block ×4, first 2 shown]
	s_movk_i32 s30, 0x1f8
	v_cmp_neq_f32_e64 s[2:3], v17, v1
	v_cmp_class_f32_e64 s[30:31], v17, s30
	s_or_b64 s[2:3], s[2:3], s[30:31]
	s_and_saveexec_b64 s[30:31], s[2:3]
	s_cbranch_execz .LBB157_289
; %bb.288:
	v_sub_f32_e32 v16, v17, v1
	s_mov_b32 s2, 0x3fb8aa3b
	v_mul_f32_e32 v17, 0x3fb8aa3b, v16
	v_fma_f32 v18, v16, s2, -v17
	v_rndne_f32_e32 v35, v17
	v_fmac_f32_e32 v18, 0x32a5705f, v16
	v_sub_f32_e32 v17, v17, v35
	v_add_f32_e32 v17, v17, v18
	v_exp_f32_e32 v17, v17
	v_cvt_i32_f32_e32 v18, v35
	s_mov_b32 s2, 0xc2ce8ed0
	v_cmp_ngt_f32_e64 s[2:3], s2, v16
	s_mov_b32 s36, 0x7f800000
	v_ldexp_f32 v17, v17, v18
	v_cndmask_b32_e64 v17, 0, v17, s[2:3]
	s_mov_b32 s2, 0x42b17218
	v_mov_b32_e32 v18, 0x7f800000
	v_cmp_nlt_f32_e64 s[2:3], s2, v16
	v_cndmask_b32_e64 v35, v18, v17, s[2:3]
	v_add_f32_e32 v36, 1.0, v35
	v_cvt_f64_f32_e32 v[16:17], v36
	v_add_f32_e32 v37, -1.0, v36
	v_sub_f32_e32 v38, v37, v36
	v_sub_f32_e32 v37, v35, v37
	v_frexp_exp_i32_f64_e32 v16, v[16:17]
	v_add_f32_e32 v17, 1.0, v38
	v_add_f32_e32 v17, v37, v17
	v_frexp_mant_f32_e32 v37, v36
	s_mov_b32 s2, 0x3f2aaaab
	v_cmp_gt_f32_e64 s[2:3], s2, v37
	v_subbrev_co_u32_e64 v16, s[2:3], 0, v16, s[2:3]
	v_sub_u32_e32 v37, 0, v16
	v_ldexp_f32 v36, v36, v37
	v_ldexp_f32 v17, v17, v37
	v_add_f32_e32 v37, -1.0, v36
	v_add_f32_e32 v40, 1.0, v36
	v_add_f32_e32 v38, 1.0, v37
	v_add_f32_e32 v41, -1.0, v40
	v_sub_f32_e32 v38, v36, v38
	v_sub_f32_e32 v36, v36, v41
	v_add_f32_e32 v38, v17, v38
	v_add_f32_e32 v17, v17, v36
	;; [unrolled: 1-line block ×3, first 2 shown]
	v_rcp_f32_e32 v41, v36
	v_add_f32_e32 v39, v37, v38
	v_sub_f32_e32 v37, v37, v39
	v_add_f32_e32 v37, v38, v37
	v_sub_f32_e32 v38, v40, v36
	v_add_f32_e32 v17, v17, v38
	v_mul_f32_e32 v38, v39, v41
	v_mul_f32_e32 v40, v36, v38
	v_fma_f32 v42, v38, v36, -v40
	v_fmac_f32_e32 v42, v38, v17
	v_add_f32_e32 v43, v40, v42
	v_sub_f32_e32 v44, v39, v43
	v_sub_f32_e32 v39, v39, v44
	v_sub_f32_e32 v40, v43, v40
	v_sub_f32_e32 v39, v39, v43
	v_add_f32_e32 v37, v37, v39
	v_sub_f32_e32 v39, v40, v42
	v_add_f32_e32 v37, v39, v37
	v_add_f32_e32 v39, v44, v37
	v_mul_f32_e32 v40, v41, v39
	v_mul_f32_e32 v42, v36, v40
	v_fma_f32 v36, v40, v36, -v42
	v_fmac_f32_e32 v36, v40, v17
	v_sub_f32_e32 v17, v44, v39
	v_add_f32_e32 v17, v37, v17
	v_add_f32_e32 v37, v42, v36
	v_sub_f32_e32 v43, v39, v37
	v_sub_f32_e32 v39, v39, v43
	;; [unrolled: 1-line block ×4, first 2 shown]
	v_add_f32_e32 v17, v17, v37
	v_sub_f32_e32 v36, v42, v36
	v_add_f32_e32 v17, v36, v17
	v_add_f32_e32 v36, v38, v40
	;; [unrolled: 1-line block ×3, first 2 shown]
	v_sub_f32_e32 v37, v36, v38
	v_mul_f32_e32 v17, v41, v17
	v_sub_f32_e32 v37, v40, v37
	v_add_f32_e32 v17, v37, v17
	v_cvt_f32_i32_e32 v16, v16
	v_add_f32_e32 v37, v36, v17
	v_mul_f32_e32 v38, v37, v37
	v_mov_b32_e32 v39, 0x3ecc95a3
	v_fmac_f32_e32 v39, 0x3e9b6dac, v38
	v_mov_b32_e32 v40, 0x3f2aaada
	v_fmac_f32_e32 v40, v38, v39
	s_mov_b32 s2, 0x3f317218
	v_mul_f32_e32 v39, 0x3f317218, v16
	v_fma_f32 v41, v16, s2, -v39
	v_fmac_f32_e32 v41, 0xb102e308, v16
	v_sub_f32_e32 v16, v37, v36
	v_sub_f32_e32 v16, v17, v16
	v_add_f32_e32 v17, v39, v41
	v_sub_f32_e32 v36, v17, v39
	v_ldexp_f32 v39, v37, 1
	v_mul_f32_e32 v37, v37, v38
	v_mul_f32_e32 v37, v37, v40
	v_add_f32_e32 v38, v39, v37
	v_sub_f32_e32 v39, v38, v39
	v_ldexp_f32 v16, v16, 1
	v_sub_f32_e32 v37, v37, v39
	v_add_f32_e32 v16, v16, v37
	v_add_f32_e32 v37, v38, v16
	v_sub_f32_e32 v38, v37, v38
	v_sub_f32_e32 v16, v16, v38
	v_add_f32_e32 v38, v17, v37
	v_sub_f32_e32 v39, v38, v17
	v_sub_f32_e32 v40, v38, v39
	;; [unrolled: 1-line block ×5, first 2 shown]
	v_add_f32_e32 v17, v37, v17
	v_add_f32_e32 v37, v36, v16
	v_sub_f32_e32 v39, v37, v36
	v_sub_f32_e32 v40, v37, v39
	;; [unrolled: 1-line block ×4, first 2 shown]
	v_add_f32_e32 v17, v37, v17
	v_add_f32_e32 v16, v16, v36
	;; [unrolled: 1-line block ×3, first 2 shown]
	v_sub_f32_e32 v37, v36, v38
	v_sub_f32_e32 v17, v17, v37
	v_add_f32_e32 v16, v16, v17
	v_add_f32_e32 v16, v36, v16
	v_cmp_neq_f32_e64 s[2:3], s36, v35
	v_cndmask_b32_e64 v16, v18, v16, s[2:3]
	s_mov_b32 s2, 0x33800000
	v_cmp_lt_f32_e64 s[2:3], |v35|, s2
	v_cndmask_b32_e64 v16, v16, v35, s[2:3]
	v_add_f32_e32 v35, v1, v16
.LBB157_289:
	s_or_b64 exec, exec, s[30:31]
	v_max_f32_e32 v1, v35, v35
	v_min_f32_e32 v17, v1, v34
	v_max_f32_e32 v18, v1, v34
	v_mov_b32_e32 v1, v35
	;;#ASMSTART
	;;#ASMEND
.LBB157_290:
	s_or_b64 exec, exec, s[34:35]
	v_cmp_u_f32_e64 s[2:3], v1, v1
	v_cndmask_b32_e64 v16, v17, v1, s[2:3]
	v_cndmask_b32_e32 v17, v16, v2, vcc
	v_cndmask_b32_e64 v16, v18, v1, s[2:3]
	v_cndmask_b32_e32 v16, v16, v2, vcc
	s_movk_i32 s30, 0x1f8
	v_cmp_neq_f32_e32 vcc, v17, v16
	v_cmp_class_f32_e64 s[2:3], v17, s30
	s_or_b64 s[34:35], vcc, s[2:3]
	v_mov_b32_e32 v2, v1
	s_and_saveexec_b64 s[2:3], s[34:35]
	s_cbranch_execz .LBB157_292
; %bb.291:
	v_sub_f32_e32 v2, v17, v16
	s_mov_b32 s31, 0x3fb8aa3b
	v_mul_f32_e32 v17, 0x3fb8aa3b, v2
	v_fma_f32 v18, v2, s31, -v17
	v_rndne_f32_e32 v34, v17
	v_fmac_f32_e32 v18, 0x32a5705f, v2
	v_sub_f32_e32 v17, v17, v34
	v_add_f32_e32 v17, v17, v18
	v_exp_f32_e32 v17, v17
	v_cvt_i32_f32_e32 v18, v34
	s_mov_b32 s31, 0xc2ce8ed0
	v_cmp_ngt_f32_e32 vcc, s31, v2
	s_mov_b32 s31, 0x42b17218
	v_ldexp_f32 v17, v17, v18
	v_cndmask_b32_e32 v17, 0, v17, vcc
	v_mov_b32_e32 v34, 0x7f800000
	v_cmp_nlt_f32_e32 vcc, s31, v2
	v_cndmask_b32_e32 v2, v34, v17, vcc
	v_add_f32_e32 v35, 1.0, v2
	v_cvt_f64_f32_e32 v[17:18], v35
	s_waitcnt lgkmcnt(0)
	v_add_f32_e32 v36, -1.0, v35
	v_sub_f32_e32 v37, v36, v35
	v_sub_f32_e32 v36, v2, v36
	v_frexp_exp_i32_f64_e32 v17, v[17:18]
	v_add_f32_e32 v18, 1.0, v37
	v_add_f32_e32 v18, v36, v18
	v_frexp_mant_f32_e32 v36, v35
	s_mov_b32 s34, 0x3f2aaaab
	v_cmp_gt_f32_e32 vcc, s34, v36
	s_mov_b32 s34, 0x3f317218
	s_mov_b32 s31, 0x7f800000
	v_subbrev_co_u32_e32 v17, vcc, 0, v17, vcc
	v_sub_u32_e32 v36, 0, v17
	v_ldexp_f32 v35, v35, v36
	v_ldexp_f32 v18, v18, v36
	v_add_f32_e32 v36, -1.0, v35
	v_add_f32_e32 v39, 1.0, v35
	v_add_f32_e32 v37, 1.0, v36
	v_add_f32_e32 v40, -1.0, v39
	v_sub_f32_e32 v37, v35, v37
	v_sub_f32_e32 v35, v35, v40
	v_add_f32_e32 v37, v18, v37
	v_add_f32_e32 v18, v18, v35
	v_add_f32_e32 v35, v39, v18
	v_rcp_f32_e32 v40, v35
	v_add_f32_e32 v38, v36, v37
	v_sub_f32_e32 v36, v36, v38
	v_add_f32_e32 v36, v37, v36
	v_sub_f32_e32 v37, v39, v35
	v_add_f32_e32 v18, v18, v37
	v_mul_f32_e32 v37, v38, v40
	v_mul_f32_e32 v39, v35, v37
	v_fma_f32 v41, v37, v35, -v39
	v_fmac_f32_e32 v41, v37, v18
	v_add_f32_e32 v42, v39, v41
	v_sub_f32_e32 v43, v38, v42
	v_sub_f32_e32 v38, v38, v43
	;; [unrolled: 1-line block ×4, first 2 shown]
	v_add_f32_e32 v36, v36, v38
	v_sub_f32_e32 v38, v39, v41
	v_add_f32_e32 v36, v38, v36
	v_add_f32_e32 v38, v43, v36
	v_mul_f32_e32 v39, v40, v38
	v_mul_f32_e32 v41, v35, v39
	v_fma_f32 v35, v39, v35, -v41
	v_fmac_f32_e32 v35, v39, v18
	v_sub_f32_e32 v18, v43, v38
	v_add_f32_e32 v18, v36, v18
	v_add_f32_e32 v36, v41, v35
	v_sub_f32_e32 v42, v38, v36
	v_sub_f32_e32 v38, v38, v42
	;; [unrolled: 1-line block ×4, first 2 shown]
	v_add_f32_e32 v18, v18, v36
	v_sub_f32_e32 v35, v41, v35
	v_add_f32_e32 v18, v35, v18
	v_add_f32_e32 v35, v37, v39
	v_add_f32_e32 v18, v42, v18
	v_sub_f32_e32 v36, v35, v37
	v_mul_f32_e32 v18, v40, v18
	v_sub_f32_e32 v36, v39, v36
	v_add_f32_e32 v18, v36, v18
	v_cvt_f32_i32_e32 v17, v17
	v_add_f32_e32 v36, v35, v18
	v_mul_f32_e32 v37, v36, v36
	v_mov_b32_e32 v38, 0x3ecc95a3
	v_fmac_f32_e32 v38, 0x3e9b6dac, v37
	v_mov_b32_e32 v39, 0x3f2aaada
	v_fmac_f32_e32 v39, v37, v38
	v_mul_f32_e32 v38, 0x3f317218, v17
	v_fma_f32 v40, v17, s34, -v38
	v_fmac_f32_e32 v40, 0xb102e308, v17
	v_sub_f32_e32 v17, v36, v35
	v_sub_f32_e32 v17, v18, v17
	v_add_f32_e32 v18, v38, v40
	v_sub_f32_e32 v35, v18, v38
	v_ldexp_f32 v38, v36, 1
	v_mul_f32_e32 v36, v36, v37
	v_mul_f32_e32 v36, v36, v39
	v_add_f32_e32 v37, v38, v36
	v_sub_f32_e32 v38, v37, v38
	v_ldexp_f32 v17, v17, 1
	v_sub_f32_e32 v36, v36, v38
	v_add_f32_e32 v17, v17, v36
	v_add_f32_e32 v36, v37, v17
	v_sub_f32_e32 v37, v36, v37
	v_sub_f32_e32 v17, v17, v37
	v_add_f32_e32 v37, v18, v36
	v_sub_f32_e32 v38, v37, v18
	v_sub_f32_e32 v39, v37, v38
	;; [unrolled: 1-line block ×5, first 2 shown]
	v_add_f32_e32 v18, v36, v18
	v_add_f32_e32 v36, v35, v17
	v_sub_f32_e32 v38, v36, v35
	v_sub_f32_e32 v39, v36, v38
	;; [unrolled: 1-line block ×4, first 2 shown]
	v_add_f32_e32 v18, v36, v18
	v_add_f32_e32 v17, v17, v35
	;; [unrolled: 1-line block ×3, first 2 shown]
	v_sub_f32_e32 v36, v35, v37
	v_sub_f32_e32 v18, v18, v36
	v_add_f32_e32 v17, v17, v18
	v_add_f32_e32 v17, v35, v17
	v_cmp_neq_f32_e32 vcc, s31, v2
	s_mov_b32 s31, 0x33800000
	v_cndmask_b32_e32 v17, v34, v17, vcc
	v_cmp_lt_f32_e64 vcc, |v2|, s31
	v_cndmask_b32_e32 v2, v17, v2, vcc
	v_add_f32_e32 v2, v16, v2
.LBB157_292:
	s_or_b64 exec, exec, s[2:3]
	v_max_f32_e32 v16, v2, v2
	v_min_f32_e32 v17, v16, v3
	v_cmp_u_f32_e32 vcc, v2, v2
	v_max_f32_e32 v3, v16, v3
	v_cndmask_b32_e32 v17, v17, v2, vcc
	v_cndmask_b32_e32 v3, v3, v2, vcc
	v_cndmask_b32_e64 v17, v17, v29, s[4:5]
	v_cndmask_b32_e64 v16, v3, v29, s[4:5]
	v_cmp_neq_f32_e32 vcc, v17, v16
	v_cmp_class_f32_e64 s[2:3], v17, s30
	s_or_b64 s[4:5], vcc, s[2:3]
	v_mov_b32_e32 v3, v2
	s_and_saveexec_b64 s[2:3], s[4:5]
	s_cbranch_execz .LBB157_294
; %bb.293:
	v_sub_f32_e32 v3, v17, v16
	s_mov_b32 s4, 0x3fb8aa3b
	v_mul_f32_e32 v17, 0x3fb8aa3b, v3
	v_fma_f32 v18, v3, s4, -v17
	v_rndne_f32_e32 v29, v17
	v_fmac_f32_e32 v18, 0x32a5705f, v3
	v_sub_f32_e32 v17, v17, v29
	v_add_f32_e32 v17, v17, v18
	v_exp_f32_e32 v17, v17
	v_cvt_i32_f32_e32 v18, v29
	s_mov_b32 s4, 0xc2ce8ed0
	v_cmp_ngt_f32_e32 vcc, s4, v3
	s_mov_b32 s4, 0x42b17218
	v_ldexp_f32 v17, v17, v18
	v_cndmask_b32_e32 v17, 0, v17, vcc
	v_mov_b32_e32 v29, 0x7f800000
	v_cmp_nlt_f32_e32 vcc, s4, v3
	v_cndmask_b32_e32 v3, v29, v17, vcc
	v_add_f32_e32 v34, 1.0, v3
	v_cvt_f64_f32_e32 v[17:18], v34
	v_add_f32_e32 v35, -1.0, v34
	s_waitcnt lgkmcnt(0)
	v_sub_f32_e32 v36, v35, v34
	v_sub_f32_e32 v35, v3, v35
	v_frexp_exp_i32_f64_e32 v17, v[17:18]
	v_add_f32_e32 v18, 1.0, v36
	v_add_f32_e32 v18, v35, v18
	v_frexp_mant_f32_e32 v35, v34
	s_mov_b32 s5, 0x3f2aaaab
	v_cmp_gt_f32_e32 vcc, s5, v35
	s_mov_b32 s5, 0x3f317218
	s_mov_b32 s4, 0x7f800000
	v_subbrev_co_u32_e32 v17, vcc, 0, v17, vcc
	v_sub_u32_e32 v35, 0, v17
	v_ldexp_f32 v34, v34, v35
	v_ldexp_f32 v18, v18, v35
	v_add_f32_e32 v35, -1.0, v34
	v_add_f32_e32 v38, 1.0, v34
	v_add_f32_e32 v36, 1.0, v35
	v_add_f32_e32 v39, -1.0, v38
	v_sub_f32_e32 v36, v34, v36
	v_sub_f32_e32 v34, v34, v39
	v_add_f32_e32 v36, v18, v36
	v_add_f32_e32 v18, v18, v34
	;; [unrolled: 1-line block ×3, first 2 shown]
	v_rcp_f32_e32 v39, v34
	v_add_f32_e32 v37, v35, v36
	v_sub_f32_e32 v35, v35, v37
	v_add_f32_e32 v35, v36, v35
	v_sub_f32_e32 v36, v38, v34
	v_add_f32_e32 v18, v18, v36
	v_mul_f32_e32 v36, v37, v39
	v_mul_f32_e32 v38, v34, v36
	v_fma_f32 v40, v36, v34, -v38
	v_fmac_f32_e32 v40, v36, v18
	v_add_f32_e32 v41, v38, v40
	v_sub_f32_e32 v42, v37, v41
	v_sub_f32_e32 v37, v37, v42
	;; [unrolled: 1-line block ×4, first 2 shown]
	v_add_f32_e32 v35, v35, v37
	v_sub_f32_e32 v37, v38, v40
	v_add_f32_e32 v35, v37, v35
	v_add_f32_e32 v37, v42, v35
	v_mul_f32_e32 v38, v39, v37
	v_mul_f32_e32 v40, v34, v38
	v_fma_f32 v34, v38, v34, -v40
	v_fmac_f32_e32 v34, v38, v18
	v_sub_f32_e32 v18, v42, v37
	v_add_f32_e32 v18, v35, v18
	v_add_f32_e32 v35, v40, v34
	v_sub_f32_e32 v41, v37, v35
	v_sub_f32_e32 v37, v37, v41
	v_sub_f32_e32 v40, v35, v40
	v_sub_f32_e32 v35, v37, v35
	v_add_f32_e32 v18, v18, v35
	v_sub_f32_e32 v34, v40, v34
	v_add_f32_e32 v18, v34, v18
	v_add_f32_e32 v34, v36, v38
	;; [unrolled: 1-line block ×3, first 2 shown]
	v_sub_f32_e32 v35, v34, v36
	v_mul_f32_e32 v18, v39, v18
	v_sub_f32_e32 v35, v38, v35
	v_add_f32_e32 v18, v35, v18
	v_cvt_f32_i32_e32 v17, v17
	v_add_f32_e32 v35, v34, v18
	v_mul_f32_e32 v36, v35, v35
	v_mov_b32_e32 v37, 0x3ecc95a3
	v_fmac_f32_e32 v37, 0x3e9b6dac, v36
	v_mov_b32_e32 v38, 0x3f2aaada
	v_fmac_f32_e32 v38, v36, v37
	v_mul_f32_e32 v37, 0x3f317218, v17
	v_fma_f32 v39, v17, s5, -v37
	v_fmac_f32_e32 v39, 0xb102e308, v17
	v_sub_f32_e32 v17, v35, v34
	v_sub_f32_e32 v17, v18, v17
	v_add_f32_e32 v18, v37, v39
	v_sub_f32_e32 v34, v18, v37
	v_ldexp_f32 v37, v35, 1
	v_mul_f32_e32 v35, v35, v36
	v_mul_f32_e32 v35, v35, v38
	v_add_f32_e32 v36, v37, v35
	v_sub_f32_e32 v37, v36, v37
	v_ldexp_f32 v17, v17, 1
	v_sub_f32_e32 v35, v35, v37
	v_add_f32_e32 v17, v17, v35
	v_add_f32_e32 v35, v36, v17
	v_sub_f32_e32 v36, v35, v36
	v_sub_f32_e32 v17, v17, v36
	v_add_f32_e32 v36, v18, v35
	v_sub_f32_e32 v37, v36, v18
	v_sub_f32_e32 v38, v36, v37
	;; [unrolled: 1-line block ×5, first 2 shown]
	v_add_f32_e32 v18, v35, v18
	v_add_f32_e32 v35, v34, v17
	v_sub_f32_e32 v37, v35, v34
	v_sub_f32_e32 v38, v35, v37
	;; [unrolled: 1-line block ×4, first 2 shown]
	v_add_f32_e32 v18, v35, v18
	v_add_f32_e32 v17, v17, v34
	;; [unrolled: 1-line block ×3, first 2 shown]
	v_sub_f32_e32 v35, v34, v36
	v_sub_f32_e32 v18, v18, v35
	v_add_f32_e32 v17, v17, v18
	v_add_f32_e32 v17, v34, v17
	v_cmp_neq_f32_e32 vcc, s4, v3
	s_mov_b32 s4, 0x33800000
	v_cndmask_b32_e32 v17, v29, v17, vcc
	v_cmp_lt_f32_e64 vcc, |v3|, s4
	v_cndmask_b32_e32 v3, v17, v3, vcc
	v_add_f32_e32 v3, v16, v3
.LBB157_294:
	s_or_b64 exec, exec, s[2:3]
	v_max_f32_e32 v16, v3, v3
	v_min_f32_e32 v17, v16, v4
	v_cmp_u_f32_e32 vcc, v3, v3
	v_max_f32_e32 v4, v16, v4
	v_cndmask_b32_e32 v17, v17, v3, vcc
	v_cndmask_b32_e32 v4, v4, v3, vcc
	v_cndmask_b32_e64 v17, v17, v30, s[6:7]
	v_cndmask_b32_e64 v16, v4, v30, s[6:7]
	s_movk_i32 s4, 0x1f8
	v_cmp_neq_f32_e32 vcc, v17, v16
	v_cmp_class_f32_e64 s[2:3], v17, s4
	s_or_b64 s[6:7], vcc, s[2:3]
	v_mov_b32_e32 v4, v3
	s_and_saveexec_b64 s[2:3], s[6:7]
	s_cbranch_execz .LBB157_296
; %bb.295:
	v_sub_f32_e32 v4, v17, v16
	s_mov_b32 s5, 0x3fb8aa3b
	v_mul_f32_e32 v17, 0x3fb8aa3b, v4
	v_fma_f32 v18, v4, s5, -v17
	v_rndne_f32_e32 v29, v17
	v_fmac_f32_e32 v18, 0x32a5705f, v4
	v_sub_f32_e32 v17, v17, v29
	v_add_f32_e32 v17, v17, v18
	v_exp_f32_e32 v17, v17
	v_cvt_i32_f32_e32 v18, v29
	s_mov_b32 s5, 0xc2ce8ed0
	v_cmp_ngt_f32_e32 vcc, s5, v4
	s_mov_b32 s5, 0x42b17218
	v_ldexp_f32 v17, v17, v18
	v_cndmask_b32_e32 v17, 0, v17, vcc
	v_mov_b32_e32 v29, 0x7f800000
	v_cmp_nlt_f32_e32 vcc, s5, v4
	v_cndmask_b32_e32 v4, v29, v17, vcc
	v_add_f32_e32 v30, 1.0, v4
	v_cvt_f64_f32_e32 v[17:18], v30
	v_add_f32_e32 v34, -1.0, v30
	v_sub_f32_e32 v35, v34, v30
	v_sub_f32_e32 v34, v4, v34
	v_frexp_exp_i32_f64_e32 v17, v[17:18]
	v_add_f32_e32 v18, 1.0, v35
	v_add_f32_e32 v18, v34, v18
	v_frexp_mant_f32_e32 v34, v30
	s_mov_b32 s6, 0x3f2aaaab
	v_cmp_gt_f32_e32 vcc, s6, v34
	s_mov_b32 s6, 0x3f317218
	s_mov_b32 s5, 0x7f800000
	v_subbrev_co_u32_e32 v17, vcc, 0, v17, vcc
	v_sub_u32_e32 v34, 0, v17
	v_ldexp_f32 v30, v30, v34
	v_ldexp_f32 v18, v18, v34
	v_add_f32_e32 v34, -1.0, v30
	v_add_f32_e32 v37, 1.0, v30
	v_add_f32_e32 v35, 1.0, v34
	v_add_f32_e32 v38, -1.0, v37
	v_sub_f32_e32 v35, v30, v35
	v_sub_f32_e32 v30, v30, v38
	v_add_f32_e32 v35, v18, v35
	v_add_f32_e32 v18, v18, v30
	;; [unrolled: 1-line block ×3, first 2 shown]
	v_rcp_f32_e32 v38, v30
	s_waitcnt lgkmcnt(0)
	v_add_f32_e32 v36, v34, v35
	v_sub_f32_e32 v34, v34, v36
	v_add_f32_e32 v34, v35, v34
	v_sub_f32_e32 v35, v37, v30
	v_add_f32_e32 v18, v18, v35
	v_mul_f32_e32 v35, v36, v38
	v_mul_f32_e32 v37, v30, v35
	v_fma_f32 v39, v35, v30, -v37
	v_fmac_f32_e32 v39, v35, v18
	v_add_f32_e32 v40, v37, v39
	v_sub_f32_e32 v41, v36, v40
	v_sub_f32_e32 v36, v36, v41
	;; [unrolled: 1-line block ×4, first 2 shown]
	v_add_f32_e32 v34, v34, v36
	v_sub_f32_e32 v36, v37, v39
	v_add_f32_e32 v34, v36, v34
	v_add_f32_e32 v36, v41, v34
	v_mul_f32_e32 v37, v38, v36
	v_mul_f32_e32 v39, v30, v37
	v_fma_f32 v30, v37, v30, -v39
	v_fmac_f32_e32 v30, v37, v18
	v_sub_f32_e32 v18, v41, v36
	v_add_f32_e32 v18, v34, v18
	v_add_f32_e32 v34, v39, v30
	v_sub_f32_e32 v40, v36, v34
	v_sub_f32_e32 v36, v36, v40
	;; [unrolled: 1-line block ×4, first 2 shown]
	v_add_f32_e32 v18, v18, v34
	v_sub_f32_e32 v30, v39, v30
	v_add_f32_e32 v18, v30, v18
	v_add_f32_e32 v30, v35, v37
	;; [unrolled: 1-line block ×3, first 2 shown]
	v_sub_f32_e32 v34, v30, v35
	v_mul_f32_e32 v18, v38, v18
	v_sub_f32_e32 v34, v37, v34
	v_add_f32_e32 v18, v34, v18
	v_cvt_f32_i32_e32 v17, v17
	v_add_f32_e32 v34, v30, v18
	v_mul_f32_e32 v35, v34, v34
	v_mov_b32_e32 v36, 0x3ecc95a3
	v_fmac_f32_e32 v36, 0x3e9b6dac, v35
	v_mov_b32_e32 v37, 0x3f2aaada
	v_fmac_f32_e32 v37, v35, v36
	v_mul_f32_e32 v36, 0x3f317218, v17
	v_fma_f32 v38, v17, s6, -v36
	v_fmac_f32_e32 v38, 0xb102e308, v17
	v_sub_f32_e32 v17, v34, v30
	v_sub_f32_e32 v17, v18, v17
	v_add_f32_e32 v18, v36, v38
	v_sub_f32_e32 v30, v18, v36
	v_ldexp_f32 v36, v34, 1
	v_mul_f32_e32 v34, v34, v35
	v_mul_f32_e32 v34, v34, v37
	v_add_f32_e32 v35, v36, v34
	v_sub_f32_e32 v36, v35, v36
	v_ldexp_f32 v17, v17, 1
	v_sub_f32_e32 v34, v34, v36
	v_add_f32_e32 v17, v17, v34
	v_add_f32_e32 v34, v35, v17
	v_sub_f32_e32 v35, v34, v35
	v_sub_f32_e32 v17, v17, v35
	v_add_f32_e32 v35, v18, v34
	v_sub_f32_e32 v36, v35, v18
	v_sub_f32_e32 v37, v35, v36
	;; [unrolled: 1-line block ×5, first 2 shown]
	v_add_f32_e32 v18, v34, v18
	v_add_f32_e32 v34, v30, v17
	v_sub_f32_e32 v36, v34, v30
	v_sub_f32_e32 v37, v34, v36
	;; [unrolled: 1-line block ×4, first 2 shown]
	v_add_f32_e32 v18, v34, v18
	v_add_f32_e32 v17, v17, v30
	;; [unrolled: 1-line block ×3, first 2 shown]
	v_sub_f32_e32 v34, v30, v35
	v_sub_f32_e32 v18, v18, v34
	v_add_f32_e32 v17, v17, v18
	v_add_f32_e32 v17, v30, v17
	v_cmp_neq_f32_e32 vcc, s5, v4
	s_mov_b32 s5, 0x33800000
	v_cndmask_b32_e32 v17, v29, v17, vcc
	v_cmp_lt_f32_e64 vcc, |v4|, s5
	v_cndmask_b32_e32 v4, v17, v4, vcc
	v_add_f32_e32 v4, v16, v4
.LBB157_296:
	s_or_b64 exec, exec, s[2:3]
	v_max_f32_e32 v16, v4, v4
	v_min_f32_e32 v17, v16, v5
	v_cmp_u_f32_e32 vcc, v4, v4
	v_max_f32_e32 v5, v16, v5
	v_cndmask_b32_e32 v17, v17, v4, vcc
	v_cndmask_b32_e32 v5, v5, v4, vcc
	v_cndmask_b32_e64 v17, v17, v27, s[8:9]
	v_cndmask_b32_e64 v16, v5, v27, s[8:9]
	v_cmp_neq_f32_e32 vcc, v17, v16
	v_cmp_class_f32_e64 s[2:3], v17, s4
	s_or_b64 s[4:5], vcc, s[2:3]
	v_mov_b32_e32 v5, v4
	s_and_saveexec_b64 s[2:3], s[4:5]
	s_cbranch_execz .LBB157_298
; %bb.297:
	v_sub_f32_e32 v5, v17, v16
	s_mov_b32 s4, 0x3fb8aa3b
	v_mul_f32_e32 v17, 0x3fb8aa3b, v5
	v_fma_f32 v18, v5, s4, -v17
	v_rndne_f32_e32 v27, v17
	v_fmac_f32_e32 v18, 0x32a5705f, v5
	v_sub_f32_e32 v17, v17, v27
	v_add_f32_e32 v17, v17, v18
	v_exp_f32_e32 v17, v17
	v_cvt_i32_f32_e32 v18, v27
	s_mov_b32 s4, 0xc2ce8ed0
	v_cmp_ngt_f32_e32 vcc, s4, v5
	s_mov_b32 s4, 0x42b17218
	v_ldexp_f32 v17, v17, v18
	v_cndmask_b32_e32 v17, 0, v17, vcc
	v_mov_b32_e32 v27, 0x7f800000
	v_cmp_nlt_f32_e32 vcc, s4, v5
	v_cndmask_b32_e32 v5, v27, v17, vcc
	v_add_f32_e32 v29, 1.0, v5
	v_cvt_f64_f32_e32 v[17:18], v29
	v_add_f32_e32 v30, -1.0, v29
	v_sub_f32_e32 v34, v30, v29
	v_sub_f32_e32 v30, v5, v30
	v_frexp_exp_i32_f64_e32 v17, v[17:18]
	v_add_f32_e32 v18, 1.0, v34
	v_add_f32_e32 v18, v30, v18
	v_frexp_mant_f32_e32 v30, v29
	s_mov_b32 s5, 0x3f2aaaab
	v_cmp_gt_f32_e32 vcc, s5, v30
	s_mov_b32 s5, 0x3f317218
	s_mov_b32 s4, 0x7f800000
	v_subbrev_co_u32_e32 v17, vcc, 0, v17, vcc
	v_sub_u32_e32 v30, 0, v17
	v_ldexp_f32 v29, v29, v30
	v_ldexp_f32 v18, v18, v30
	v_add_f32_e32 v30, -1.0, v29
	s_waitcnt lgkmcnt(0)
	v_add_f32_e32 v36, 1.0, v29
	v_add_f32_e32 v34, 1.0, v30
	v_add_f32_e32 v37, -1.0, v36
	v_sub_f32_e32 v34, v29, v34
	v_sub_f32_e32 v29, v29, v37
	v_add_f32_e32 v34, v18, v34
	v_add_f32_e32 v18, v18, v29
	;; [unrolled: 1-line block ×3, first 2 shown]
	v_rcp_f32_e32 v37, v29
	v_add_f32_e32 v35, v30, v34
	v_sub_f32_e32 v30, v30, v35
	v_add_f32_e32 v30, v34, v30
	v_sub_f32_e32 v34, v36, v29
	v_add_f32_e32 v18, v18, v34
	v_mul_f32_e32 v34, v35, v37
	v_mul_f32_e32 v36, v29, v34
	v_fma_f32 v38, v34, v29, -v36
	v_fmac_f32_e32 v38, v34, v18
	v_add_f32_e32 v39, v36, v38
	v_sub_f32_e32 v40, v35, v39
	v_sub_f32_e32 v35, v35, v40
	;; [unrolled: 1-line block ×4, first 2 shown]
	v_add_f32_e32 v30, v30, v35
	v_sub_f32_e32 v35, v36, v38
	v_add_f32_e32 v30, v35, v30
	v_add_f32_e32 v35, v40, v30
	v_mul_f32_e32 v36, v37, v35
	v_mul_f32_e32 v38, v29, v36
	v_fma_f32 v29, v36, v29, -v38
	v_fmac_f32_e32 v29, v36, v18
	v_sub_f32_e32 v18, v40, v35
	v_add_f32_e32 v18, v30, v18
	v_add_f32_e32 v30, v38, v29
	v_sub_f32_e32 v39, v35, v30
	v_sub_f32_e32 v35, v35, v39
	;; [unrolled: 1-line block ×4, first 2 shown]
	v_add_f32_e32 v18, v18, v30
	v_sub_f32_e32 v29, v38, v29
	v_add_f32_e32 v18, v29, v18
	v_add_f32_e32 v29, v34, v36
	;; [unrolled: 1-line block ×3, first 2 shown]
	v_sub_f32_e32 v30, v29, v34
	v_mul_f32_e32 v18, v37, v18
	v_sub_f32_e32 v30, v36, v30
	v_add_f32_e32 v18, v30, v18
	v_cvt_f32_i32_e32 v17, v17
	v_add_f32_e32 v30, v29, v18
	v_mul_f32_e32 v34, v30, v30
	v_mov_b32_e32 v35, 0x3ecc95a3
	v_fmac_f32_e32 v35, 0x3e9b6dac, v34
	v_mov_b32_e32 v36, 0x3f2aaada
	v_fmac_f32_e32 v36, v34, v35
	v_mul_f32_e32 v35, 0x3f317218, v17
	v_fma_f32 v37, v17, s5, -v35
	v_fmac_f32_e32 v37, 0xb102e308, v17
	v_sub_f32_e32 v17, v30, v29
	v_sub_f32_e32 v17, v18, v17
	v_add_f32_e32 v18, v35, v37
	v_sub_f32_e32 v29, v18, v35
	v_ldexp_f32 v35, v30, 1
	v_mul_f32_e32 v30, v30, v34
	v_mul_f32_e32 v30, v30, v36
	v_add_f32_e32 v34, v35, v30
	v_sub_f32_e32 v35, v34, v35
	v_ldexp_f32 v17, v17, 1
	v_sub_f32_e32 v30, v30, v35
	v_add_f32_e32 v17, v17, v30
	v_add_f32_e32 v30, v34, v17
	v_sub_f32_e32 v34, v30, v34
	v_sub_f32_e32 v17, v17, v34
	v_add_f32_e32 v34, v18, v30
	v_sub_f32_e32 v35, v34, v18
	v_sub_f32_e32 v36, v34, v35
	;; [unrolled: 1-line block ×5, first 2 shown]
	v_add_f32_e32 v18, v30, v18
	v_add_f32_e32 v30, v29, v17
	v_sub_f32_e32 v35, v30, v29
	v_sub_f32_e32 v36, v30, v35
	v_sub_f32_e32 v29, v29, v36
	v_sub_f32_e32 v17, v17, v35
	v_add_f32_e32 v18, v30, v18
	v_add_f32_e32 v17, v17, v29
	;; [unrolled: 1-line block ×3, first 2 shown]
	v_sub_f32_e32 v30, v29, v34
	v_sub_f32_e32 v18, v18, v30
	v_add_f32_e32 v17, v17, v18
	v_add_f32_e32 v17, v29, v17
	v_cmp_neq_f32_e32 vcc, s4, v5
	s_mov_b32 s4, 0x33800000
	v_cndmask_b32_e32 v17, v27, v17, vcc
	v_cmp_lt_f32_e64 vcc, |v5|, s4
	v_cndmask_b32_e32 v5, v17, v5, vcc
	v_add_f32_e32 v5, v16, v5
.LBB157_298:
	s_or_b64 exec, exec, s[2:3]
	v_max_f32_e32 v16, v5, v5
	v_min_f32_e32 v17, v16, v6
	v_cmp_u_f32_e32 vcc, v5, v5
	v_max_f32_e32 v6, v16, v6
	v_cndmask_b32_e32 v17, v17, v5, vcc
	v_cndmask_b32_e32 v6, v6, v5, vcc
	v_cndmask_b32_e64 v17, v17, v28, s[10:11]
	v_cndmask_b32_e64 v16, v6, v28, s[10:11]
	s_movk_i32 s4, 0x1f8
	v_cmp_neq_f32_e32 vcc, v17, v16
	v_cmp_class_f32_e64 s[2:3], v17, s4
	s_or_b64 s[6:7], vcc, s[2:3]
	v_mov_b32_e32 v6, v5
	s_and_saveexec_b64 s[2:3], s[6:7]
	s_cbranch_execz .LBB157_300
; %bb.299:
	v_sub_f32_e32 v6, v17, v16
	s_mov_b32 s5, 0x3fb8aa3b
	v_mul_f32_e32 v17, 0x3fb8aa3b, v6
	v_fma_f32 v18, v6, s5, -v17
	v_rndne_f32_e32 v27, v17
	v_fmac_f32_e32 v18, 0x32a5705f, v6
	v_sub_f32_e32 v17, v17, v27
	v_add_f32_e32 v17, v17, v18
	v_exp_f32_e32 v17, v17
	v_cvt_i32_f32_e32 v18, v27
	s_mov_b32 s5, 0xc2ce8ed0
	v_cmp_ngt_f32_e32 vcc, s5, v6
	s_mov_b32 s5, 0x42b17218
	v_ldexp_f32 v17, v17, v18
	v_cndmask_b32_e32 v17, 0, v17, vcc
	v_mov_b32_e32 v27, 0x7f800000
	v_cmp_nlt_f32_e32 vcc, s5, v6
	v_cndmask_b32_e32 v6, v27, v17, vcc
	v_add_f32_e32 v28, 1.0, v6
	v_cvt_f64_f32_e32 v[17:18], v28
	v_add_f32_e32 v29, -1.0, v28
	v_sub_f32_e32 v30, v29, v28
	v_sub_f32_e32 v29, v6, v29
	v_frexp_exp_i32_f64_e32 v17, v[17:18]
	v_add_f32_e32 v18, 1.0, v30
	v_add_f32_e32 v18, v29, v18
	v_frexp_mant_f32_e32 v29, v28
	s_mov_b32 s6, 0x3f2aaaab
	v_cmp_gt_f32_e32 vcc, s6, v29
	s_mov_b32 s6, 0x3f317218
	s_mov_b32 s5, 0x7f800000
	v_subbrev_co_u32_e32 v17, vcc, 0, v17, vcc
	v_sub_u32_e32 v29, 0, v17
	v_ldexp_f32 v28, v28, v29
	v_ldexp_f32 v18, v18, v29
	v_add_f32_e32 v29, -1.0, v28
	v_add_f32_e32 v35, 1.0, v28
	v_add_f32_e32 v30, 1.0, v29
	s_waitcnt lgkmcnt(0)
	v_add_f32_e32 v36, -1.0, v35
	v_sub_f32_e32 v30, v28, v30
	v_sub_f32_e32 v28, v28, v36
	v_add_f32_e32 v30, v18, v30
	v_add_f32_e32 v18, v18, v28
	;; [unrolled: 1-line block ×3, first 2 shown]
	v_rcp_f32_e32 v36, v28
	v_add_f32_e32 v34, v29, v30
	v_sub_f32_e32 v29, v29, v34
	v_add_f32_e32 v29, v30, v29
	v_sub_f32_e32 v30, v35, v28
	v_add_f32_e32 v18, v18, v30
	v_mul_f32_e32 v30, v34, v36
	v_mul_f32_e32 v35, v28, v30
	v_fma_f32 v37, v30, v28, -v35
	v_fmac_f32_e32 v37, v30, v18
	v_add_f32_e32 v38, v35, v37
	v_sub_f32_e32 v39, v34, v38
	v_sub_f32_e32 v34, v34, v39
	;; [unrolled: 1-line block ×4, first 2 shown]
	v_add_f32_e32 v29, v29, v34
	v_sub_f32_e32 v34, v35, v37
	v_add_f32_e32 v29, v34, v29
	v_add_f32_e32 v34, v39, v29
	v_mul_f32_e32 v35, v36, v34
	v_mul_f32_e32 v37, v28, v35
	v_fma_f32 v28, v35, v28, -v37
	v_fmac_f32_e32 v28, v35, v18
	v_sub_f32_e32 v18, v39, v34
	v_add_f32_e32 v18, v29, v18
	v_add_f32_e32 v29, v37, v28
	v_sub_f32_e32 v38, v34, v29
	v_sub_f32_e32 v34, v34, v38
	;; [unrolled: 1-line block ×4, first 2 shown]
	v_add_f32_e32 v18, v18, v29
	v_sub_f32_e32 v28, v37, v28
	v_add_f32_e32 v18, v28, v18
	v_add_f32_e32 v28, v30, v35
	v_add_f32_e32 v18, v38, v18
	v_sub_f32_e32 v29, v28, v30
	v_mul_f32_e32 v18, v36, v18
	v_sub_f32_e32 v29, v35, v29
	v_add_f32_e32 v18, v29, v18
	v_cvt_f32_i32_e32 v17, v17
	v_add_f32_e32 v29, v28, v18
	v_mul_f32_e32 v30, v29, v29
	v_mov_b32_e32 v34, 0x3ecc95a3
	v_fmac_f32_e32 v34, 0x3e9b6dac, v30
	v_mov_b32_e32 v35, 0x3f2aaada
	v_fmac_f32_e32 v35, v30, v34
	v_mul_f32_e32 v34, 0x3f317218, v17
	v_fma_f32 v36, v17, s6, -v34
	v_fmac_f32_e32 v36, 0xb102e308, v17
	v_sub_f32_e32 v17, v29, v28
	v_sub_f32_e32 v17, v18, v17
	v_add_f32_e32 v18, v34, v36
	v_sub_f32_e32 v28, v18, v34
	v_ldexp_f32 v34, v29, 1
	v_mul_f32_e32 v29, v29, v30
	v_mul_f32_e32 v29, v29, v35
	v_add_f32_e32 v30, v34, v29
	v_sub_f32_e32 v34, v30, v34
	v_ldexp_f32 v17, v17, 1
	v_sub_f32_e32 v29, v29, v34
	v_add_f32_e32 v17, v17, v29
	v_add_f32_e32 v29, v30, v17
	v_sub_f32_e32 v30, v29, v30
	v_sub_f32_e32 v17, v17, v30
	v_add_f32_e32 v30, v18, v29
	v_sub_f32_e32 v34, v30, v18
	v_sub_f32_e32 v35, v30, v34
	;; [unrolled: 1-line block ×5, first 2 shown]
	v_add_f32_e32 v18, v29, v18
	v_add_f32_e32 v29, v28, v17
	v_sub_f32_e32 v34, v29, v28
	v_sub_f32_e32 v35, v29, v34
	;; [unrolled: 1-line block ×4, first 2 shown]
	v_add_f32_e32 v18, v29, v18
	v_add_f32_e32 v17, v17, v28
	;; [unrolled: 1-line block ×3, first 2 shown]
	v_sub_f32_e32 v29, v28, v30
	v_sub_f32_e32 v18, v18, v29
	v_add_f32_e32 v17, v17, v18
	v_add_f32_e32 v17, v28, v17
	v_cmp_neq_f32_e32 vcc, s5, v6
	s_mov_b32 s5, 0x33800000
	v_cndmask_b32_e32 v17, v27, v17, vcc
	v_cmp_lt_f32_e64 vcc, |v6|, s5
	v_cndmask_b32_e32 v6, v17, v6, vcc
	v_add_f32_e32 v6, v16, v6
.LBB157_300:
	s_or_b64 exec, exec, s[2:3]
	v_max_f32_e32 v16, v6, v6
	v_min_f32_e32 v17, v16, v7
	v_cmp_u_f32_e32 vcc, v6, v6
	v_max_f32_e32 v7, v16, v7
	v_cndmask_b32_e32 v17, v17, v6, vcc
	v_cndmask_b32_e32 v7, v7, v6, vcc
	v_cndmask_b32_e64 v17, v17, v25, s[12:13]
	v_cndmask_b32_e64 v16, v7, v25, s[12:13]
	v_cmp_neq_f32_e32 vcc, v17, v16
	v_cmp_class_f32_e64 s[2:3], v17, s4
	s_or_b64 s[4:5], vcc, s[2:3]
	v_mov_b32_e32 v7, v6
	s_and_saveexec_b64 s[2:3], s[4:5]
	s_cbranch_execz .LBB157_302
; %bb.301:
	v_sub_f32_e32 v7, v17, v16
	s_mov_b32 s4, 0x3fb8aa3b
	v_mul_f32_e32 v17, 0x3fb8aa3b, v7
	v_fma_f32 v18, v7, s4, -v17
	v_rndne_f32_e32 v25, v17
	v_fmac_f32_e32 v18, 0x32a5705f, v7
	v_sub_f32_e32 v17, v17, v25
	v_add_f32_e32 v17, v17, v18
	v_exp_f32_e32 v17, v17
	v_cvt_i32_f32_e32 v18, v25
	s_mov_b32 s4, 0xc2ce8ed0
	v_cmp_ngt_f32_e32 vcc, s4, v7
	s_mov_b32 s4, 0x42b17218
	v_ldexp_f32 v17, v17, v18
	v_cndmask_b32_e32 v17, 0, v17, vcc
	v_mov_b32_e32 v25, 0x7f800000
	v_cmp_nlt_f32_e32 vcc, s4, v7
	v_cndmask_b32_e32 v7, v25, v17, vcc
	v_add_f32_e32 v27, 1.0, v7
	v_cvt_f64_f32_e32 v[17:18], v27
	v_add_f32_e32 v28, -1.0, v27
	v_sub_f32_e32 v29, v28, v27
	v_sub_f32_e32 v28, v7, v28
	v_frexp_exp_i32_f64_e32 v17, v[17:18]
	v_add_f32_e32 v18, 1.0, v29
	v_add_f32_e32 v18, v28, v18
	v_frexp_mant_f32_e32 v28, v27
	s_mov_b32 s5, 0x3f2aaaab
	v_cmp_gt_f32_e32 vcc, s5, v28
	s_mov_b32 s5, 0x3f317218
	s_mov_b32 s4, 0x7f800000
	v_subbrev_co_u32_e32 v17, vcc, 0, v17, vcc
	v_sub_u32_e32 v28, 0, v17
	v_ldexp_f32 v27, v27, v28
	v_ldexp_f32 v18, v18, v28
	v_add_f32_e32 v28, -1.0, v27
	v_add_f32_e32 v34, 1.0, v27
	v_add_f32_e32 v29, 1.0, v28
	v_add_f32_e32 v35, -1.0, v34
	v_sub_f32_e32 v29, v27, v29
	v_sub_f32_e32 v27, v27, v35
	v_add_f32_e32 v29, v18, v29
	v_add_f32_e32 v18, v18, v27
	;; [unrolled: 1-line block ×3, first 2 shown]
	v_rcp_f32_e32 v35, v27
	v_add_f32_e32 v30, v28, v29
	v_sub_f32_e32 v28, v28, v30
	v_add_f32_e32 v28, v29, v28
	v_sub_f32_e32 v29, v34, v27
	v_add_f32_e32 v18, v18, v29
	v_mul_f32_e32 v29, v30, v35
	v_mul_f32_e32 v34, v27, v29
	s_waitcnt lgkmcnt(0)
	v_fma_f32 v36, v29, v27, -v34
	v_fmac_f32_e32 v36, v29, v18
	v_add_f32_e32 v37, v34, v36
	v_sub_f32_e32 v38, v30, v37
	v_sub_f32_e32 v30, v30, v38
	;; [unrolled: 1-line block ×4, first 2 shown]
	v_add_f32_e32 v28, v28, v30
	v_sub_f32_e32 v30, v34, v36
	v_add_f32_e32 v28, v30, v28
	v_add_f32_e32 v30, v38, v28
	v_mul_f32_e32 v34, v35, v30
	v_mul_f32_e32 v36, v27, v34
	v_fma_f32 v27, v34, v27, -v36
	v_fmac_f32_e32 v27, v34, v18
	v_sub_f32_e32 v18, v38, v30
	v_add_f32_e32 v18, v28, v18
	v_add_f32_e32 v28, v36, v27
	v_sub_f32_e32 v37, v30, v28
	v_sub_f32_e32 v30, v30, v37
	;; [unrolled: 1-line block ×4, first 2 shown]
	v_add_f32_e32 v18, v18, v28
	v_sub_f32_e32 v27, v36, v27
	v_add_f32_e32 v18, v27, v18
	v_add_f32_e32 v27, v29, v34
	;; [unrolled: 1-line block ×3, first 2 shown]
	v_sub_f32_e32 v28, v27, v29
	v_mul_f32_e32 v18, v35, v18
	v_sub_f32_e32 v28, v34, v28
	v_add_f32_e32 v18, v28, v18
	v_cvt_f32_i32_e32 v17, v17
	v_add_f32_e32 v28, v27, v18
	v_mul_f32_e32 v29, v28, v28
	v_mov_b32_e32 v30, 0x3ecc95a3
	v_fmac_f32_e32 v30, 0x3e9b6dac, v29
	v_mov_b32_e32 v34, 0x3f2aaada
	v_fmac_f32_e32 v34, v29, v30
	v_mul_f32_e32 v30, 0x3f317218, v17
	v_fma_f32 v35, v17, s5, -v30
	v_fmac_f32_e32 v35, 0xb102e308, v17
	v_sub_f32_e32 v17, v28, v27
	v_sub_f32_e32 v17, v18, v17
	v_add_f32_e32 v18, v30, v35
	v_sub_f32_e32 v27, v18, v30
	v_ldexp_f32 v30, v28, 1
	v_mul_f32_e32 v28, v28, v29
	v_mul_f32_e32 v28, v28, v34
	v_add_f32_e32 v29, v30, v28
	v_sub_f32_e32 v30, v29, v30
	v_ldexp_f32 v17, v17, 1
	v_sub_f32_e32 v28, v28, v30
	v_add_f32_e32 v17, v17, v28
	v_add_f32_e32 v28, v29, v17
	v_sub_f32_e32 v29, v28, v29
	v_sub_f32_e32 v17, v17, v29
	v_add_f32_e32 v29, v18, v28
	v_sub_f32_e32 v30, v29, v18
	v_sub_f32_e32 v34, v29, v30
	;; [unrolled: 1-line block ×5, first 2 shown]
	v_add_f32_e32 v18, v28, v18
	v_add_f32_e32 v28, v27, v17
	v_sub_f32_e32 v30, v28, v27
	v_sub_f32_e32 v34, v28, v30
	;; [unrolled: 1-line block ×4, first 2 shown]
	v_add_f32_e32 v18, v28, v18
	v_add_f32_e32 v17, v17, v27
	;; [unrolled: 1-line block ×3, first 2 shown]
	v_sub_f32_e32 v28, v27, v29
	v_sub_f32_e32 v18, v18, v28
	v_add_f32_e32 v17, v17, v18
	v_add_f32_e32 v17, v27, v17
	v_cmp_neq_f32_e32 vcc, s4, v7
	s_mov_b32 s4, 0x33800000
	v_cndmask_b32_e32 v17, v25, v17, vcc
	v_cmp_lt_f32_e64 vcc, |v7|, s4
	v_cndmask_b32_e32 v7, v17, v7, vcc
	v_add_f32_e32 v7, v16, v7
.LBB157_302:
	s_or_b64 exec, exec, s[2:3]
	v_max_f32_e32 v16, v7, v7
	v_min_f32_e32 v17, v16, v8
	v_cmp_u_f32_e32 vcc, v7, v7
	v_max_f32_e32 v8, v16, v8
	v_cndmask_b32_e32 v17, v17, v7, vcc
	v_cndmask_b32_e32 v8, v8, v7, vcc
	v_cndmask_b32_e64 v17, v17, v26, s[14:15]
	v_cndmask_b32_e64 v16, v8, v26, s[14:15]
	s_movk_i32 s4, 0x1f8
	v_cmp_neq_f32_e32 vcc, v17, v16
	v_cmp_class_f32_e64 s[2:3], v17, s4
	s_or_b64 s[6:7], vcc, s[2:3]
	v_mov_b32_e32 v8, v7
	s_and_saveexec_b64 s[2:3], s[6:7]
	s_cbranch_execz .LBB157_304
; %bb.303:
	v_sub_f32_e32 v8, v17, v16
	s_mov_b32 s5, 0x3fb8aa3b
	v_mul_f32_e32 v17, 0x3fb8aa3b, v8
	v_fma_f32 v18, v8, s5, -v17
	v_rndne_f32_e32 v25, v17
	v_fmac_f32_e32 v18, 0x32a5705f, v8
	v_sub_f32_e32 v17, v17, v25
	v_add_f32_e32 v17, v17, v18
	v_exp_f32_e32 v17, v17
	v_cvt_i32_f32_e32 v18, v25
	s_mov_b32 s5, 0xc2ce8ed0
	v_cmp_ngt_f32_e32 vcc, s5, v8
	s_mov_b32 s5, 0x42b17218
	v_ldexp_f32 v17, v17, v18
	v_cndmask_b32_e32 v17, 0, v17, vcc
	v_mov_b32_e32 v25, 0x7f800000
	v_cmp_nlt_f32_e32 vcc, s5, v8
	v_cndmask_b32_e32 v8, v25, v17, vcc
	v_add_f32_e32 v26, 1.0, v8
	v_cvt_f64_f32_e32 v[17:18], v26
	v_add_f32_e32 v27, -1.0, v26
	v_sub_f32_e32 v28, v27, v26
	v_sub_f32_e32 v27, v8, v27
	v_frexp_exp_i32_f64_e32 v17, v[17:18]
	v_add_f32_e32 v18, 1.0, v28
	v_add_f32_e32 v18, v27, v18
	v_frexp_mant_f32_e32 v27, v26
	s_mov_b32 s6, 0x3f2aaaab
	v_cmp_gt_f32_e32 vcc, s6, v27
	s_mov_b32 s6, 0x3f317218
	s_mov_b32 s5, 0x7f800000
	v_subbrev_co_u32_e32 v17, vcc, 0, v17, vcc
	v_sub_u32_e32 v27, 0, v17
	v_ldexp_f32 v26, v26, v27
	v_ldexp_f32 v18, v18, v27
	v_add_f32_e32 v27, -1.0, v26
	v_add_f32_e32 v30, 1.0, v26
	v_add_f32_e32 v28, 1.0, v27
	v_add_f32_e32 v34, -1.0, v30
	v_sub_f32_e32 v28, v26, v28
	v_sub_f32_e32 v26, v26, v34
	v_add_f32_e32 v28, v18, v28
	v_add_f32_e32 v18, v18, v26
	;; [unrolled: 1-line block ×3, first 2 shown]
	v_rcp_f32_e32 v34, v26
	v_add_f32_e32 v29, v27, v28
	v_sub_f32_e32 v27, v27, v29
	v_add_f32_e32 v27, v28, v27
	v_sub_f32_e32 v28, v30, v26
	v_add_f32_e32 v18, v18, v28
	v_mul_f32_e32 v28, v29, v34
	v_mul_f32_e32 v30, v26, v28
	v_fma_f32 v35, v28, v26, -v30
	v_fmac_f32_e32 v35, v28, v18
	s_waitcnt lgkmcnt(0)
	v_add_f32_e32 v36, v30, v35
	v_sub_f32_e32 v37, v29, v36
	v_sub_f32_e32 v29, v29, v37
	;; [unrolled: 1-line block ×4, first 2 shown]
	v_add_f32_e32 v27, v27, v29
	v_sub_f32_e32 v29, v30, v35
	v_add_f32_e32 v27, v29, v27
	v_add_f32_e32 v29, v37, v27
	v_mul_f32_e32 v30, v34, v29
	v_mul_f32_e32 v35, v26, v30
	v_fma_f32 v26, v30, v26, -v35
	v_fmac_f32_e32 v26, v30, v18
	v_sub_f32_e32 v18, v37, v29
	v_add_f32_e32 v18, v27, v18
	v_add_f32_e32 v27, v35, v26
	v_sub_f32_e32 v36, v29, v27
	v_sub_f32_e32 v29, v29, v36
	;; [unrolled: 1-line block ×4, first 2 shown]
	v_add_f32_e32 v18, v18, v27
	v_sub_f32_e32 v26, v35, v26
	v_add_f32_e32 v18, v26, v18
	v_add_f32_e32 v26, v28, v30
	;; [unrolled: 1-line block ×3, first 2 shown]
	v_sub_f32_e32 v27, v26, v28
	v_mul_f32_e32 v18, v34, v18
	v_sub_f32_e32 v27, v30, v27
	v_add_f32_e32 v18, v27, v18
	v_cvt_f32_i32_e32 v17, v17
	v_add_f32_e32 v27, v26, v18
	v_mul_f32_e32 v28, v27, v27
	v_mov_b32_e32 v29, 0x3ecc95a3
	v_fmac_f32_e32 v29, 0x3e9b6dac, v28
	v_mov_b32_e32 v30, 0x3f2aaada
	v_fmac_f32_e32 v30, v28, v29
	v_mul_f32_e32 v29, 0x3f317218, v17
	v_fma_f32 v34, v17, s6, -v29
	v_fmac_f32_e32 v34, 0xb102e308, v17
	v_sub_f32_e32 v17, v27, v26
	v_sub_f32_e32 v17, v18, v17
	v_add_f32_e32 v18, v29, v34
	v_sub_f32_e32 v26, v18, v29
	v_ldexp_f32 v29, v27, 1
	v_mul_f32_e32 v27, v27, v28
	v_mul_f32_e32 v27, v27, v30
	v_add_f32_e32 v28, v29, v27
	v_sub_f32_e32 v29, v28, v29
	v_ldexp_f32 v17, v17, 1
	v_sub_f32_e32 v27, v27, v29
	v_add_f32_e32 v17, v17, v27
	v_add_f32_e32 v27, v28, v17
	v_sub_f32_e32 v28, v27, v28
	v_sub_f32_e32 v17, v17, v28
	v_add_f32_e32 v28, v18, v27
	v_sub_f32_e32 v29, v28, v18
	v_sub_f32_e32 v30, v28, v29
	;; [unrolled: 1-line block ×5, first 2 shown]
	v_add_f32_e32 v18, v27, v18
	v_add_f32_e32 v27, v26, v17
	v_sub_f32_e32 v29, v27, v26
	v_sub_f32_e32 v30, v27, v29
	;; [unrolled: 1-line block ×4, first 2 shown]
	v_add_f32_e32 v18, v27, v18
	v_add_f32_e32 v17, v17, v26
	v_add_f32_e32 v26, v28, v18
	v_sub_f32_e32 v27, v26, v28
	v_sub_f32_e32 v18, v18, v27
	v_add_f32_e32 v17, v17, v18
	v_add_f32_e32 v17, v26, v17
	v_cmp_neq_f32_e32 vcc, s5, v8
	s_mov_b32 s5, 0x33800000
	v_cndmask_b32_e32 v17, v25, v17, vcc
	v_cmp_lt_f32_e64 vcc, |v8|, s5
	v_cndmask_b32_e32 v8, v17, v8, vcc
	v_add_f32_e32 v8, v16, v8
.LBB157_304:
	s_or_b64 exec, exec, s[2:3]
	v_max_f32_e32 v16, v8, v8
	v_min_f32_e32 v17, v16, v9
	v_cmp_u_f32_e32 vcc, v8, v8
	v_max_f32_e32 v9, v16, v9
	v_cndmask_b32_e32 v17, v17, v8, vcc
	v_cndmask_b32_e32 v9, v9, v8, vcc
	v_cndmask_b32_e64 v17, v17, v23, s[16:17]
	v_cndmask_b32_e64 v16, v9, v23, s[16:17]
	v_cmp_neq_f32_e32 vcc, v17, v16
	v_cmp_class_f32_e64 s[2:3], v17, s4
	s_or_b64 s[4:5], vcc, s[2:3]
	v_mov_b32_e32 v9, v8
	s_and_saveexec_b64 s[2:3], s[4:5]
	s_cbranch_execz .LBB157_306
; %bb.305:
	v_sub_f32_e32 v9, v17, v16
	s_mov_b32 s4, 0x3fb8aa3b
	v_mul_f32_e32 v17, 0x3fb8aa3b, v9
	v_fma_f32 v18, v9, s4, -v17
	v_rndne_f32_e32 v23, v17
	v_fmac_f32_e32 v18, 0x32a5705f, v9
	v_sub_f32_e32 v17, v17, v23
	v_add_f32_e32 v17, v17, v18
	v_exp_f32_e32 v17, v17
	v_cvt_i32_f32_e32 v18, v23
	s_mov_b32 s4, 0xc2ce8ed0
	v_cmp_ngt_f32_e32 vcc, s4, v9
	s_mov_b32 s4, 0x42b17218
	v_ldexp_f32 v17, v17, v18
	v_cndmask_b32_e32 v17, 0, v17, vcc
	v_mov_b32_e32 v23, 0x7f800000
	v_cmp_nlt_f32_e32 vcc, s4, v9
	v_cndmask_b32_e32 v9, v23, v17, vcc
	v_add_f32_e32 v25, 1.0, v9
	v_cvt_f64_f32_e32 v[17:18], v25
	v_add_f32_e32 v26, -1.0, v25
	v_sub_f32_e32 v27, v26, v25
	v_sub_f32_e32 v26, v9, v26
	v_frexp_exp_i32_f64_e32 v17, v[17:18]
	v_add_f32_e32 v18, 1.0, v27
	v_add_f32_e32 v18, v26, v18
	v_frexp_mant_f32_e32 v26, v25
	s_mov_b32 s5, 0x3f2aaaab
	v_cmp_gt_f32_e32 vcc, s5, v26
	s_mov_b32 s5, 0x3f317218
	s_mov_b32 s4, 0x7f800000
	v_subbrev_co_u32_e32 v17, vcc, 0, v17, vcc
	v_sub_u32_e32 v26, 0, v17
	v_ldexp_f32 v25, v25, v26
	v_ldexp_f32 v18, v18, v26
	v_add_f32_e32 v26, -1.0, v25
	v_add_f32_e32 v29, 1.0, v25
	v_add_f32_e32 v27, 1.0, v26
	v_add_f32_e32 v30, -1.0, v29
	v_sub_f32_e32 v27, v25, v27
	v_sub_f32_e32 v25, v25, v30
	v_add_f32_e32 v27, v18, v27
	v_add_f32_e32 v18, v18, v25
	;; [unrolled: 1-line block ×3, first 2 shown]
	v_rcp_f32_e32 v30, v25
	v_add_f32_e32 v28, v26, v27
	v_sub_f32_e32 v26, v26, v28
	v_add_f32_e32 v26, v27, v26
	v_sub_f32_e32 v27, v29, v25
	v_add_f32_e32 v18, v18, v27
	v_mul_f32_e32 v27, v28, v30
	v_mul_f32_e32 v29, v25, v27
	v_fma_f32 v34, v27, v25, -v29
	v_fmac_f32_e32 v34, v27, v18
	v_add_f32_e32 v35, v29, v34
	s_waitcnt lgkmcnt(0)
	v_sub_f32_e32 v36, v28, v35
	v_sub_f32_e32 v28, v28, v36
	v_sub_f32_e32 v29, v35, v29
	v_sub_f32_e32 v28, v28, v35
	v_add_f32_e32 v26, v26, v28
	v_sub_f32_e32 v28, v29, v34
	v_add_f32_e32 v26, v28, v26
	v_add_f32_e32 v28, v36, v26
	v_mul_f32_e32 v29, v30, v28
	v_mul_f32_e32 v34, v25, v29
	v_fma_f32 v25, v29, v25, -v34
	v_fmac_f32_e32 v25, v29, v18
	v_sub_f32_e32 v18, v36, v28
	v_add_f32_e32 v18, v26, v18
	v_add_f32_e32 v26, v34, v25
	v_sub_f32_e32 v35, v28, v26
	v_sub_f32_e32 v28, v28, v35
	;; [unrolled: 1-line block ×4, first 2 shown]
	v_add_f32_e32 v18, v18, v26
	v_sub_f32_e32 v25, v34, v25
	v_add_f32_e32 v18, v25, v18
	v_add_f32_e32 v25, v27, v29
	;; [unrolled: 1-line block ×3, first 2 shown]
	v_sub_f32_e32 v26, v25, v27
	v_mul_f32_e32 v18, v30, v18
	v_sub_f32_e32 v26, v29, v26
	v_add_f32_e32 v18, v26, v18
	v_cvt_f32_i32_e32 v17, v17
	v_add_f32_e32 v26, v25, v18
	v_mul_f32_e32 v27, v26, v26
	v_mov_b32_e32 v28, 0x3ecc95a3
	v_fmac_f32_e32 v28, 0x3e9b6dac, v27
	v_mov_b32_e32 v29, 0x3f2aaada
	v_fmac_f32_e32 v29, v27, v28
	v_mul_f32_e32 v28, 0x3f317218, v17
	v_fma_f32 v30, v17, s5, -v28
	v_fmac_f32_e32 v30, 0xb102e308, v17
	v_sub_f32_e32 v17, v26, v25
	v_sub_f32_e32 v17, v18, v17
	v_add_f32_e32 v18, v28, v30
	v_sub_f32_e32 v25, v18, v28
	v_ldexp_f32 v28, v26, 1
	v_mul_f32_e32 v26, v26, v27
	v_mul_f32_e32 v26, v26, v29
	v_add_f32_e32 v27, v28, v26
	v_sub_f32_e32 v28, v27, v28
	v_ldexp_f32 v17, v17, 1
	v_sub_f32_e32 v26, v26, v28
	v_add_f32_e32 v17, v17, v26
	v_add_f32_e32 v26, v27, v17
	v_sub_f32_e32 v27, v26, v27
	v_sub_f32_e32 v17, v17, v27
	v_add_f32_e32 v27, v18, v26
	v_sub_f32_e32 v28, v27, v18
	v_sub_f32_e32 v29, v27, v28
	;; [unrolled: 1-line block ×5, first 2 shown]
	v_add_f32_e32 v18, v26, v18
	v_add_f32_e32 v26, v25, v17
	v_sub_f32_e32 v28, v26, v25
	v_sub_f32_e32 v29, v26, v28
	;; [unrolled: 1-line block ×4, first 2 shown]
	v_add_f32_e32 v18, v26, v18
	v_add_f32_e32 v17, v17, v25
	;; [unrolled: 1-line block ×3, first 2 shown]
	v_sub_f32_e32 v26, v25, v27
	v_sub_f32_e32 v18, v18, v26
	v_add_f32_e32 v17, v17, v18
	v_add_f32_e32 v17, v25, v17
	v_cmp_neq_f32_e32 vcc, s4, v9
	s_mov_b32 s4, 0x33800000
	v_cndmask_b32_e32 v17, v23, v17, vcc
	v_cmp_lt_f32_e64 vcc, |v9|, s4
	v_cndmask_b32_e32 v9, v17, v9, vcc
	v_add_f32_e32 v9, v16, v9
.LBB157_306:
	s_or_b64 exec, exec, s[2:3]
	v_max_f32_e32 v16, v9, v9
	v_min_f32_e32 v17, v16, v10
	v_cmp_u_f32_e32 vcc, v9, v9
	v_max_f32_e32 v10, v16, v10
	v_cndmask_b32_e32 v17, v17, v9, vcc
	v_cndmask_b32_e32 v10, v10, v9, vcc
	v_cndmask_b32_e64 v17, v17, v24, s[18:19]
	v_cndmask_b32_e64 v16, v10, v24, s[18:19]
	s_movk_i32 s4, 0x1f8
	v_cmp_neq_f32_e32 vcc, v17, v16
	v_cmp_class_f32_e64 s[2:3], v17, s4
	s_or_b64 s[6:7], vcc, s[2:3]
	v_mov_b32_e32 v10, v9
	s_and_saveexec_b64 s[2:3], s[6:7]
	s_cbranch_execz .LBB157_308
; %bb.307:
	v_sub_f32_e32 v10, v17, v16
	s_mov_b32 s5, 0x3fb8aa3b
	v_mul_f32_e32 v17, 0x3fb8aa3b, v10
	v_fma_f32 v18, v10, s5, -v17
	v_rndne_f32_e32 v23, v17
	v_fmac_f32_e32 v18, 0x32a5705f, v10
	v_sub_f32_e32 v17, v17, v23
	v_add_f32_e32 v17, v17, v18
	v_exp_f32_e32 v17, v17
	v_cvt_i32_f32_e32 v18, v23
	s_mov_b32 s5, 0xc2ce8ed0
	v_cmp_ngt_f32_e32 vcc, s5, v10
	s_mov_b32 s5, 0x42b17218
	v_ldexp_f32 v17, v17, v18
	v_cndmask_b32_e32 v17, 0, v17, vcc
	v_mov_b32_e32 v23, 0x7f800000
	v_cmp_nlt_f32_e32 vcc, s5, v10
	v_cndmask_b32_e32 v10, v23, v17, vcc
	v_add_f32_e32 v24, 1.0, v10
	v_cvt_f64_f32_e32 v[17:18], v24
	v_add_f32_e32 v25, -1.0, v24
	v_sub_f32_e32 v26, v25, v24
	v_sub_f32_e32 v25, v10, v25
	v_frexp_exp_i32_f64_e32 v17, v[17:18]
	v_add_f32_e32 v18, 1.0, v26
	v_add_f32_e32 v18, v25, v18
	v_frexp_mant_f32_e32 v25, v24
	s_mov_b32 s6, 0x3f2aaaab
	v_cmp_gt_f32_e32 vcc, s6, v25
	s_mov_b32 s6, 0x3f317218
	s_mov_b32 s5, 0x7f800000
	v_subbrev_co_u32_e32 v17, vcc, 0, v17, vcc
	v_sub_u32_e32 v25, 0, v17
	v_ldexp_f32 v24, v24, v25
	v_ldexp_f32 v18, v18, v25
	v_add_f32_e32 v25, -1.0, v24
	v_add_f32_e32 v28, 1.0, v24
	v_add_f32_e32 v26, 1.0, v25
	v_add_f32_e32 v29, -1.0, v28
	v_sub_f32_e32 v26, v24, v26
	v_sub_f32_e32 v24, v24, v29
	v_add_f32_e32 v26, v18, v26
	v_add_f32_e32 v18, v18, v24
	;; [unrolled: 1-line block ×3, first 2 shown]
	v_rcp_f32_e32 v29, v24
	v_add_f32_e32 v27, v25, v26
	v_sub_f32_e32 v25, v25, v27
	v_add_f32_e32 v25, v26, v25
	v_sub_f32_e32 v26, v28, v24
	v_add_f32_e32 v18, v18, v26
	v_mul_f32_e32 v26, v27, v29
	v_mul_f32_e32 v28, v24, v26
	v_fma_f32 v30, v26, v24, -v28
	v_fmac_f32_e32 v30, v26, v18
	v_add_f32_e32 v34, v28, v30
	v_sub_f32_e32 v35, v27, v34
	v_sub_f32_e32 v27, v27, v35
	;; [unrolled: 1-line block ×4, first 2 shown]
	v_add_f32_e32 v25, v25, v27
	v_sub_f32_e32 v27, v28, v30
	v_add_f32_e32 v25, v27, v25
	v_add_f32_e32 v27, v35, v25
	v_mul_f32_e32 v28, v29, v27
	v_mul_f32_e32 v30, v24, v28
	v_fma_f32 v24, v28, v24, -v30
	v_fmac_f32_e32 v24, v28, v18
	v_sub_f32_e32 v18, v35, v27
	v_add_f32_e32 v18, v25, v18
	v_add_f32_e32 v25, v30, v24
	v_sub_f32_e32 v34, v27, v25
	v_sub_f32_e32 v27, v27, v34
	;; [unrolled: 1-line block ×4, first 2 shown]
	v_add_f32_e32 v18, v18, v25
	v_sub_f32_e32 v24, v30, v24
	v_add_f32_e32 v18, v24, v18
	v_add_f32_e32 v24, v26, v28
	;; [unrolled: 1-line block ×3, first 2 shown]
	v_sub_f32_e32 v25, v24, v26
	v_mul_f32_e32 v18, v29, v18
	v_sub_f32_e32 v25, v28, v25
	v_add_f32_e32 v18, v25, v18
	v_cvt_f32_i32_e32 v17, v17
	v_add_f32_e32 v25, v24, v18
	v_mul_f32_e32 v26, v25, v25
	v_mov_b32_e32 v27, 0x3ecc95a3
	v_fmac_f32_e32 v27, 0x3e9b6dac, v26
	v_mov_b32_e32 v28, 0x3f2aaada
	v_fmac_f32_e32 v28, v26, v27
	v_mul_f32_e32 v27, 0x3f317218, v17
	v_fma_f32 v29, v17, s6, -v27
	v_fmac_f32_e32 v29, 0xb102e308, v17
	v_sub_f32_e32 v17, v25, v24
	v_sub_f32_e32 v17, v18, v17
	v_add_f32_e32 v18, v27, v29
	v_sub_f32_e32 v24, v18, v27
	v_ldexp_f32 v27, v25, 1
	v_mul_f32_e32 v25, v25, v26
	v_mul_f32_e32 v25, v25, v28
	v_add_f32_e32 v26, v27, v25
	v_sub_f32_e32 v27, v26, v27
	v_ldexp_f32 v17, v17, 1
	v_sub_f32_e32 v25, v25, v27
	v_add_f32_e32 v17, v17, v25
	v_add_f32_e32 v25, v26, v17
	v_sub_f32_e32 v26, v25, v26
	v_sub_f32_e32 v17, v17, v26
	v_add_f32_e32 v26, v18, v25
	v_sub_f32_e32 v27, v26, v18
	v_sub_f32_e32 v28, v26, v27
	;; [unrolled: 1-line block ×5, first 2 shown]
	v_add_f32_e32 v18, v25, v18
	v_add_f32_e32 v25, v24, v17
	v_sub_f32_e32 v27, v25, v24
	v_sub_f32_e32 v28, v25, v27
	;; [unrolled: 1-line block ×4, first 2 shown]
	v_add_f32_e32 v18, v25, v18
	v_add_f32_e32 v17, v17, v24
	;; [unrolled: 1-line block ×3, first 2 shown]
	v_sub_f32_e32 v25, v24, v26
	v_sub_f32_e32 v18, v18, v25
	v_add_f32_e32 v17, v17, v18
	v_add_f32_e32 v17, v24, v17
	v_cmp_neq_f32_e32 vcc, s5, v10
	s_mov_b32 s5, 0x33800000
	v_cndmask_b32_e32 v17, v23, v17, vcc
	v_cmp_lt_f32_e64 vcc, |v10|, s5
	v_cndmask_b32_e32 v10, v17, v10, vcc
	v_add_f32_e32 v10, v16, v10
.LBB157_308:
	s_or_b64 exec, exec, s[2:3]
	v_max_f32_e32 v16, v10, v10
	v_min_f32_e32 v17, v16, v11
	v_cmp_u_f32_e32 vcc, v10, v10
	v_max_f32_e32 v11, v16, v11
	v_cndmask_b32_e32 v17, v17, v10, vcc
	v_cndmask_b32_e32 v11, v11, v10, vcc
	v_cndmask_b32_e64 v17, v17, v21, s[20:21]
	v_cndmask_b32_e64 v16, v11, v21, s[20:21]
	v_cmp_neq_f32_e32 vcc, v17, v16
	v_cmp_class_f32_e64 s[2:3], v17, s4
	s_or_b64 s[4:5], vcc, s[2:3]
	v_mov_b32_e32 v11, v10
	s_and_saveexec_b64 s[2:3], s[4:5]
	s_cbranch_execz .LBB157_310
; %bb.309:
	v_sub_f32_e32 v11, v17, v16
	s_mov_b32 s4, 0x3fb8aa3b
	v_mul_f32_e32 v17, 0x3fb8aa3b, v11
	v_fma_f32 v18, v11, s4, -v17
	v_rndne_f32_e32 v21, v17
	v_fmac_f32_e32 v18, 0x32a5705f, v11
	v_sub_f32_e32 v17, v17, v21
	v_add_f32_e32 v17, v17, v18
	v_exp_f32_e32 v17, v17
	v_cvt_i32_f32_e32 v18, v21
	s_mov_b32 s4, 0xc2ce8ed0
	v_cmp_ngt_f32_e32 vcc, s4, v11
	s_mov_b32 s4, 0x42b17218
	v_ldexp_f32 v17, v17, v18
	v_cndmask_b32_e32 v17, 0, v17, vcc
	v_mov_b32_e32 v21, 0x7f800000
	v_cmp_nlt_f32_e32 vcc, s4, v11
	v_cndmask_b32_e32 v11, v21, v17, vcc
	v_add_f32_e32 v23, 1.0, v11
	v_cvt_f64_f32_e32 v[17:18], v23
	v_add_f32_e32 v24, -1.0, v23
	v_sub_f32_e32 v25, v24, v23
	v_sub_f32_e32 v24, v11, v24
	v_frexp_exp_i32_f64_e32 v17, v[17:18]
	v_add_f32_e32 v18, 1.0, v25
	v_add_f32_e32 v18, v24, v18
	v_frexp_mant_f32_e32 v24, v23
	s_mov_b32 s5, 0x3f2aaaab
	v_cmp_gt_f32_e32 vcc, s5, v24
	s_mov_b32 s5, 0x3f317218
	s_mov_b32 s4, 0x7f800000
	v_subbrev_co_u32_e32 v17, vcc, 0, v17, vcc
	v_sub_u32_e32 v24, 0, v17
	v_ldexp_f32 v23, v23, v24
	v_ldexp_f32 v18, v18, v24
	v_add_f32_e32 v24, -1.0, v23
	v_add_f32_e32 v27, 1.0, v23
	v_add_f32_e32 v25, 1.0, v24
	v_add_f32_e32 v28, -1.0, v27
	v_sub_f32_e32 v25, v23, v25
	v_sub_f32_e32 v23, v23, v28
	v_add_f32_e32 v25, v18, v25
	v_add_f32_e32 v18, v18, v23
	;; [unrolled: 1-line block ×3, first 2 shown]
	v_rcp_f32_e32 v28, v23
	v_add_f32_e32 v26, v24, v25
	v_sub_f32_e32 v24, v24, v26
	v_add_f32_e32 v24, v25, v24
	v_sub_f32_e32 v25, v27, v23
	v_add_f32_e32 v18, v18, v25
	v_mul_f32_e32 v25, v26, v28
	v_mul_f32_e32 v27, v23, v25
	v_fma_f32 v29, v25, v23, -v27
	v_fmac_f32_e32 v29, v25, v18
	v_add_f32_e32 v30, v27, v29
	v_sub_f32_e32 v34, v26, v30
	v_sub_f32_e32 v26, v26, v34
	;; [unrolled: 1-line block ×4, first 2 shown]
	v_add_f32_e32 v24, v24, v26
	v_sub_f32_e32 v26, v27, v29
	v_add_f32_e32 v24, v26, v24
	v_add_f32_e32 v26, v34, v24
	v_mul_f32_e32 v27, v28, v26
	v_mul_f32_e32 v29, v23, v27
	v_fma_f32 v23, v27, v23, -v29
	v_fmac_f32_e32 v23, v27, v18
	v_sub_f32_e32 v18, v34, v26
	v_add_f32_e32 v18, v24, v18
	v_add_f32_e32 v24, v29, v23
	v_sub_f32_e32 v30, v26, v24
	v_sub_f32_e32 v26, v26, v30
	;; [unrolled: 1-line block ×4, first 2 shown]
	v_add_f32_e32 v18, v18, v24
	v_sub_f32_e32 v23, v29, v23
	v_add_f32_e32 v18, v23, v18
	v_add_f32_e32 v23, v25, v27
	;; [unrolled: 1-line block ×3, first 2 shown]
	v_sub_f32_e32 v24, v23, v25
	v_mul_f32_e32 v18, v28, v18
	v_sub_f32_e32 v24, v27, v24
	v_add_f32_e32 v18, v24, v18
	v_cvt_f32_i32_e32 v17, v17
	v_add_f32_e32 v24, v23, v18
	v_mul_f32_e32 v25, v24, v24
	v_mov_b32_e32 v26, 0x3ecc95a3
	v_fmac_f32_e32 v26, 0x3e9b6dac, v25
	v_mov_b32_e32 v27, 0x3f2aaada
	v_fmac_f32_e32 v27, v25, v26
	v_mul_f32_e32 v26, 0x3f317218, v17
	v_fma_f32 v28, v17, s5, -v26
	v_fmac_f32_e32 v28, 0xb102e308, v17
	v_sub_f32_e32 v17, v24, v23
	v_sub_f32_e32 v17, v18, v17
	v_add_f32_e32 v18, v26, v28
	v_sub_f32_e32 v23, v18, v26
	v_ldexp_f32 v26, v24, 1
	v_mul_f32_e32 v24, v24, v25
	v_mul_f32_e32 v24, v24, v27
	v_add_f32_e32 v25, v26, v24
	v_sub_f32_e32 v26, v25, v26
	v_ldexp_f32 v17, v17, 1
	v_sub_f32_e32 v24, v24, v26
	v_add_f32_e32 v17, v17, v24
	v_add_f32_e32 v24, v25, v17
	v_sub_f32_e32 v25, v24, v25
	v_sub_f32_e32 v17, v17, v25
	v_add_f32_e32 v25, v18, v24
	v_sub_f32_e32 v26, v25, v18
	v_sub_f32_e32 v27, v25, v26
	;; [unrolled: 1-line block ×5, first 2 shown]
	v_add_f32_e32 v18, v24, v18
	v_add_f32_e32 v24, v23, v17
	v_sub_f32_e32 v26, v24, v23
	v_sub_f32_e32 v27, v24, v26
	;; [unrolled: 1-line block ×4, first 2 shown]
	v_add_f32_e32 v18, v24, v18
	v_add_f32_e32 v17, v17, v23
	;; [unrolled: 1-line block ×3, first 2 shown]
	v_sub_f32_e32 v24, v23, v25
	v_sub_f32_e32 v18, v18, v24
	v_add_f32_e32 v17, v17, v18
	v_add_f32_e32 v17, v23, v17
	v_cmp_neq_f32_e32 vcc, s4, v11
	s_mov_b32 s4, 0x33800000
	v_cndmask_b32_e32 v17, v21, v17, vcc
	v_cmp_lt_f32_e64 vcc, |v11|, s4
	v_cndmask_b32_e32 v11, v17, v11, vcc
	v_add_f32_e32 v11, v16, v11
.LBB157_310:
	s_or_b64 exec, exec, s[2:3]
	v_max_f32_e32 v16, v11, v11
	v_min_f32_e32 v17, v16, v12
	v_cmp_u_f32_e32 vcc, v11, v11
	v_max_f32_e32 v12, v16, v12
	v_cndmask_b32_e32 v17, v17, v11, vcc
	v_cndmask_b32_e32 v12, v12, v11, vcc
	v_cndmask_b32_e64 v17, v17, v22, s[22:23]
	v_cndmask_b32_e64 v16, v12, v22, s[22:23]
	s_movk_i32 s4, 0x1f8
	v_cmp_neq_f32_e32 vcc, v17, v16
	v_cmp_class_f32_e64 s[2:3], v17, s4
	s_or_b64 s[6:7], vcc, s[2:3]
	v_mov_b32_e32 v12, v11
	s_and_saveexec_b64 s[2:3], s[6:7]
	s_cbranch_execz .LBB157_312
; %bb.311:
	v_sub_f32_e32 v12, v17, v16
	s_mov_b32 s5, 0x3fb8aa3b
	v_mul_f32_e32 v17, 0x3fb8aa3b, v12
	v_fma_f32 v18, v12, s5, -v17
	v_rndne_f32_e32 v21, v17
	v_fmac_f32_e32 v18, 0x32a5705f, v12
	v_sub_f32_e32 v17, v17, v21
	v_add_f32_e32 v17, v17, v18
	v_exp_f32_e32 v17, v17
	v_cvt_i32_f32_e32 v18, v21
	s_mov_b32 s5, 0xc2ce8ed0
	v_cmp_ngt_f32_e32 vcc, s5, v12
	s_mov_b32 s5, 0x42b17218
	v_ldexp_f32 v17, v17, v18
	v_cndmask_b32_e32 v17, 0, v17, vcc
	v_mov_b32_e32 v21, 0x7f800000
	v_cmp_nlt_f32_e32 vcc, s5, v12
	v_cndmask_b32_e32 v12, v21, v17, vcc
	v_add_f32_e32 v22, 1.0, v12
	v_cvt_f64_f32_e32 v[17:18], v22
	v_add_f32_e32 v23, -1.0, v22
	v_sub_f32_e32 v24, v23, v22
	v_sub_f32_e32 v23, v12, v23
	v_frexp_exp_i32_f64_e32 v17, v[17:18]
	v_add_f32_e32 v18, 1.0, v24
	v_add_f32_e32 v18, v23, v18
	v_frexp_mant_f32_e32 v23, v22
	s_mov_b32 s6, 0x3f2aaaab
	v_cmp_gt_f32_e32 vcc, s6, v23
	s_mov_b32 s6, 0x3f317218
	s_mov_b32 s5, 0x7f800000
	v_subbrev_co_u32_e32 v17, vcc, 0, v17, vcc
	v_sub_u32_e32 v23, 0, v17
	v_ldexp_f32 v22, v22, v23
	v_ldexp_f32 v18, v18, v23
	v_add_f32_e32 v23, -1.0, v22
	v_add_f32_e32 v26, 1.0, v22
	v_add_f32_e32 v24, 1.0, v23
	v_add_f32_e32 v27, -1.0, v26
	v_sub_f32_e32 v24, v22, v24
	v_sub_f32_e32 v22, v22, v27
	v_add_f32_e32 v24, v18, v24
	v_add_f32_e32 v18, v18, v22
	;; [unrolled: 1-line block ×3, first 2 shown]
	v_rcp_f32_e32 v27, v22
	v_add_f32_e32 v25, v23, v24
	v_sub_f32_e32 v23, v23, v25
	v_add_f32_e32 v23, v24, v23
	v_sub_f32_e32 v24, v26, v22
	v_add_f32_e32 v18, v18, v24
	v_mul_f32_e32 v24, v25, v27
	v_mul_f32_e32 v26, v22, v24
	v_fma_f32 v28, v24, v22, -v26
	v_fmac_f32_e32 v28, v24, v18
	v_add_f32_e32 v29, v26, v28
	v_sub_f32_e32 v30, v25, v29
	v_sub_f32_e32 v25, v25, v30
	;; [unrolled: 1-line block ×4, first 2 shown]
	v_add_f32_e32 v23, v23, v25
	v_sub_f32_e32 v25, v26, v28
	v_add_f32_e32 v23, v25, v23
	v_add_f32_e32 v25, v30, v23
	v_mul_f32_e32 v26, v27, v25
	v_mul_f32_e32 v28, v22, v26
	v_fma_f32 v22, v26, v22, -v28
	v_fmac_f32_e32 v22, v26, v18
	v_sub_f32_e32 v18, v30, v25
	v_add_f32_e32 v18, v23, v18
	v_add_f32_e32 v23, v28, v22
	v_sub_f32_e32 v29, v25, v23
	v_sub_f32_e32 v25, v25, v29
	;; [unrolled: 1-line block ×4, first 2 shown]
	v_add_f32_e32 v18, v18, v23
	v_sub_f32_e32 v22, v28, v22
	v_add_f32_e32 v18, v22, v18
	v_add_f32_e32 v22, v24, v26
	;; [unrolled: 1-line block ×3, first 2 shown]
	v_sub_f32_e32 v23, v22, v24
	v_mul_f32_e32 v18, v27, v18
	v_sub_f32_e32 v23, v26, v23
	v_add_f32_e32 v18, v23, v18
	v_cvt_f32_i32_e32 v17, v17
	v_add_f32_e32 v23, v22, v18
	v_mul_f32_e32 v24, v23, v23
	v_mov_b32_e32 v25, 0x3ecc95a3
	v_fmac_f32_e32 v25, 0x3e9b6dac, v24
	v_mov_b32_e32 v26, 0x3f2aaada
	v_fmac_f32_e32 v26, v24, v25
	v_mul_f32_e32 v25, 0x3f317218, v17
	v_fma_f32 v27, v17, s6, -v25
	v_fmac_f32_e32 v27, 0xb102e308, v17
	v_sub_f32_e32 v17, v23, v22
	v_sub_f32_e32 v17, v18, v17
	v_add_f32_e32 v18, v25, v27
	v_sub_f32_e32 v22, v18, v25
	v_ldexp_f32 v25, v23, 1
	v_mul_f32_e32 v23, v23, v24
	v_mul_f32_e32 v23, v23, v26
	v_add_f32_e32 v24, v25, v23
	v_sub_f32_e32 v25, v24, v25
	v_ldexp_f32 v17, v17, 1
	v_sub_f32_e32 v23, v23, v25
	v_add_f32_e32 v17, v17, v23
	v_add_f32_e32 v23, v24, v17
	v_sub_f32_e32 v24, v23, v24
	v_sub_f32_e32 v17, v17, v24
	v_add_f32_e32 v24, v18, v23
	v_sub_f32_e32 v25, v24, v18
	v_sub_f32_e32 v26, v24, v25
	;; [unrolled: 1-line block ×5, first 2 shown]
	v_add_f32_e32 v18, v23, v18
	v_add_f32_e32 v23, v22, v17
	v_sub_f32_e32 v25, v23, v22
	v_sub_f32_e32 v26, v23, v25
	v_sub_f32_e32 v22, v22, v26
	v_sub_f32_e32 v17, v17, v25
	v_add_f32_e32 v18, v23, v18
	v_add_f32_e32 v17, v17, v22
	;; [unrolled: 1-line block ×3, first 2 shown]
	v_sub_f32_e32 v23, v22, v24
	v_sub_f32_e32 v18, v18, v23
	v_add_f32_e32 v17, v17, v18
	v_add_f32_e32 v17, v22, v17
	v_cmp_neq_f32_e32 vcc, s5, v12
	s_mov_b32 s5, 0x33800000
	v_cndmask_b32_e32 v17, v21, v17, vcc
	v_cmp_lt_f32_e64 vcc, |v12|, s5
	v_cndmask_b32_e32 v12, v17, v12, vcc
	v_add_f32_e32 v12, v16, v12
.LBB157_312:
	s_or_b64 exec, exec, s[2:3]
	v_max_f32_e32 v16, v12, v12
	v_min_f32_e32 v17, v16, v13
	v_cmp_u_f32_e32 vcc, v12, v12
	v_max_f32_e32 v13, v16, v13
	v_cndmask_b32_e32 v17, v17, v12, vcc
	v_cndmask_b32_e32 v13, v13, v12, vcc
	v_cndmask_b32_e64 v17, v17, v19, s[24:25]
	v_cndmask_b32_e64 v16, v13, v19, s[24:25]
	v_cmp_neq_f32_e32 vcc, v17, v16
	v_cmp_class_f32_e64 s[2:3], v17, s4
	s_or_b64 s[4:5], vcc, s[2:3]
	v_mov_b32_e32 v13, v12
	s_and_saveexec_b64 s[2:3], s[4:5]
	s_cbranch_execz .LBB157_314
; %bb.313:
	v_sub_f32_e32 v13, v17, v16
	s_mov_b32 s4, 0x3fb8aa3b
	v_mul_f32_e32 v17, 0x3fb8aa3b, v13
	v_fma_f32 v18, v13, s4, -v17
	v_rndne_f32_e32 v19, v17
	v_fmac_f32_e32 v18, 0x32a5705f, v13
	v_sub_f32_e32 v17, v17, v19
	v_add_f32_e32 v17, v17, v18
	v_exp_f32_e32 v17, v17
	v_cvt_i32_f32_e32 v18, v19
	s_mov_b32 s4, 0xc2ce8ed0
	v_cmp_ngt_f32_e32 vcc, s4, v13
	s_mov_b32 s4, 0x42b17218
	v_ldexp_f32 v17, v17, v18
	v_cndmask_b32_e32 v17, 0, v17, vcc
	v_mov_b32_e32 v19, 0x7f800000
	v_cmp_nlt_f32_e32 vcc, s4, v13
	v_cndmask_b32_e32 v13, v19, v17, vcc
	v_add_f32_e32 v21, 1.0, v13
	v_cvt_f64_f32_e32 v[17:18], v21
	v_add_f32_e32 v22, -1.0, v21
	v_sub_f32_e32 v23, v22, v21
	v_sub_f32_e32 v22, v13, v22
	v_frexp_exp_i32_f64_e32 v17, v[17:18]
	v_add_f32_e32 v18, 1.0, v23
	v_add_f32_e32 v18, v22, v18
	v_frexp_mant_f32_e32 v22, v21
	s_mov_b32 s5, 0x3f2aaaab
	v_cmp_gt_f32_e32 vcc, s5, v22
	s_mov_b32 s5, 0x3f317218
	s_mov_b32 s4, 0x7f800000
	v_subbrev_co_u32_e32 v17, vcc, 0, v17, vcc
	v_sub_u32_e32 v22, 0, v17
	v_ldexp_f32 v21, v21, v22
	v_ldexp_f32 v18, v18, v22
	v_add_f32_e32 v22, -1.0, v21
	v_add_f32_e32 v25, 1.0, v21
	v_add_f32_e32 v23, 1.0, v22
	v_add_f32_e32 v26, -1.0, v25
	v_sub_f32_e32 v23, v21, v23
	v_sub_f32_e32 v21, v21, v26
	v_add_f32_e32 v23, v18, v23
	v_add_f32_e32 v18, v18, v21
	;; [unrolled: 1-line block ×3, first 2 shown]
	v_rcp_f32_e32 v26, v21
	v_add_f32_e32 v24, v22, v23
	v_sub_f32_e32 v22, v22, v24
	v_add_f32_e32 v22, v23, v22
	v_sub_f32_e32 v23, v25, v21
	v_add_f32_e32 v18, v18, v23
	v_mul_f32_e32 v23, v24, v26
	v_mul_f32_e32 v25, v21, v23
	v_fma_f32 v27, v23, v21, -v25
	v_fmac_f32_e32 v27, v23, v18
	v_add_f32_e32 v28, v25, v27
	v_sub_f32_e32 v29, v24, v28
	v_sub_f32_e32 v24, v24, v29
	;; [unrolled: 1-line block ×4, first 2 shown]
	v_add_f32_e32 v22, v22, v24
	v_sub_f32_e32 v24, v25, v27
	v_add_f32_e32 v22, v24, v22
	v_add_f32_e32 v24, v29, v22
	v_mul_f32_e32 v25, v26, v24
	v_mul_f32_e32 v27, v21, v25
	v_fma_f32 v21, v25, v21, -v27
	v_fmac_f32_e32 v21, v25, v18
	v_sub_f32_e32 v18, v29, v24
	v_add_f32_e32 v18, v22, v18
	v_add_f32_e32 v22, v27, v21
	v_sub_f32_e32 v28, v24, v22
	v_sub_f32_e32 v24, v24, v28
	;; [unrolled: 1-line block ×4, first 2 shown]
	v_add_f32_e32 v18, v18, v22
	v_sub_f32_e32 v21, v27, v21
	v_add_f32_e32 v18, v21, v18
	v_add_f32_e32 v21, v23, v25
	;; [unrolled: 1-line block ×3, first 2 shown]
	v_sub_f32_e32 v22, v21, v23
	v_mul_f32_e32 v18, v26, v18
	v_sub_f32_e32 v22, v25, v22
	v_add_f32_e32 v18, v22, v18
	v_cvt_f32_i32_e32 v17, v17
	v_add_f32_e32 v22, v21, v18
	v_mul_f32_e32 v23, v22, v22
	v_mov_b32_e32 v24, 0x3ecc95a3
	v_fmac_f32_e32 v24, 0x3e9b6dac, v23
	v_mov_b32_e32 v25, 0x3f2aaada
	v_fmac_f32_e32 v25, v23, v24
	v_mul_f32_e32 v24, 0x3f317218, v17
	v_fma_f32 v26, v17, s5, -v24
	v_fmac_f32_e32 v26, 0xb102e308, v17
	v_sub_f32_e32 v17, v22, v21
	v_sub_f32_e32 v17, v18, v17
	v_add_f32_e32 v18, v24, v26
	v_sub_f32_e32 v21, v18, v24
	v_ldexp_f32 v24, v22, 1
	v_mul_f32_e32 v22, v22, v23
	v_mul_f32_e32 v22, v22, v25
	v_add_f32_e32 v23, v24, v22
	v_sub_f32_e32 v24, v23, v24
	v_ldexp_f32 v17, v17, 1
	v_sub_f32_e32 v22, v22, v24
	v_add_f32_e32 v17, v17, v22
	v_add_f32_e32 v22, v23, v17
	v_sub_f32_e32 v23, v22, v23
	v_sub_f32_e32 v17, v17, v23
	v_add_f32_e32 v23, v18, v22
	v_sub_f32_e32 v24, v23, v18
	v_sub_f32_e32 v25, v23, v24
	;; [unrolled: 1-line block ×5, first 2 shown]
	v_add_f32_e32 v18, v22, v18
	v_add_f32_e32 v22, v21, v17
	v_sub_f32_e32 v24, v22, v21
	v_sub_f32_e32 v25, v22, v24
	;; [unrolled: 1-line block ×4, first 2 shown]
	v_add_f32_e32 v18, v22, v18
	v_add_f32_e32 v17, v17, v21
	;; [unrolled: 1-line block ×3, first 2 shown]
	v_sub_f32_e32 v22, v21, v23
	v_sub_f32_e32 v18, v18, v22
	v_add_f32_e32 v17, v17, v18
	v_add_f32_e32 v17, v21, v17
	v_cmp_neq_f32_e32 vcc, s4, v13
	s_mov_b32 s4, 0x33800000
	v_cndmask_b32_e32 v17, v19, v17, vcc
	v_cmp_lt_f32_e64 vcc, |v13|, s4
	v_cndmask_b32_e32 v13, v17, v13, vcc
	v_add_f32_e32 v13, v16, v13
.LBB157_314:
	s_or_b64 exec, exec, s[2:3]
	v_max_f32_e32 v16, v13, v13
	v_min_f32_e32 v17, v16, v14
	v_cmp_u_f32_e32 vcc, v13, v13
	v_max_f32_e32 v14, v16, v14
	v_cndmask_b32_e32 v17, v17, v13, vcc
	v_cndmask_b32_e32 v14, v14, v13, vcc
	v_cndmask_b32_e64 v17, v17, v20, s[26:27]
	v_cndmask_b32_e64 v16, v14, v20, s[26:27]
	s_movk_i32 s4, 0x1f8
	v_cmp_neq_f32_e32 vcc, v17, v16
	v_cmp_class_f32_e64 s[2:3], v17, s4
	s_or_b64 s[6:7], vcc, s[2:3]
	v_mov_b32_e32 v14, v13
	s_and_saveexec_b64 s[2:3], s[6:7]
	s_cbranch_execz .LBB157_316
; %bb.315:
	v_sub_f32_e32 v14, v17, v16
	s_mov_b32 s5, 0x3fb8aa3b
	v_mul_f32_e32 v17, 0x3fb8aa3b, v14
	v_fma_f32 v18, v14, s5, -v17
	v_rndne_f32_e32 v19, v17
	v_fmac_f32_e32 v18, 0x32a5705f, v14
	v_sub_f32_e32 v17, v17, v19
	v_add_f32_e32 v17, v17, v18
	v_exp_f32_e32 v17, v17
	v_cvt_i32_f32_e32 v18, v19
	s_mov_b32 s5, 0xc2ce8ed0
	v_cmp_ngt_f32_e32 vcc, s5, v14
	s_mov_b32 s5, 0x42b17218
	v_ldexp_f32 v17, v17, v18
	v_cndmask_b32_e32 v17, 0, v17, vcc
	v_mov_b32_e32 v19, 0x7f800000
	v_cmp_nlt_f32_e32 vcc, s5, v14
	v_cndmask_b32_e32 v14, v19, v17, vcc
	v_add_f32_e32 v20, 1.0, v14
	v_cvt_f64_f32_e32 v[17:18], v20
	v_add_f32_e32 v21, -1.0, v20
	v_sub_f32_e32 v22, v21, v20
	v_sub_f32_e32 v21, v14, v21
	v_frexp_exp_i32_f64_e32 v17, v[17:18]
	v_add_f32_e32 v18, 1.0, v22
	v_add_f32_e32 v18, v21, v18
	v_frexp_mant_f32_e32 v21, v20
	s_mov_b32 s6, 0x3f2aaaab
	v_cmp_gt_f32_e32 vcc, s6, v21
	s_mov_b32 s6, 0x3f317218
	s_mov_b32 s5, 0x7f800000
	v_subbrev_co_u32_e32 v17, vcc, 0, v17, vcc
	v_sub_u32_e32 v21, 0, v17
	v_ldexp_f32 v20, v20, v21
	v_ldexp_f32 v18, v18, v21
	v_add_f32_e32 v21, -1.0, v20
	v_add_f32_e32 v24, 1.0, v20
	v_add_f32_e32 v22, 1.0, v21
	v_add_f32_e32 v25, -1.0, v24
	v_sub_f32_e32 v22, v20, v22
	v_sub_f32_e32 v20, v20, v25
	v_add_f32_e32 v22, v18, v22
	v_add_f32_e32 v18, v18, v20
	;; [unrolled: 1-line block ×3, first 2 shown]
	v_rcp_f32_e32 v25, v20
	v_add_f32_e32 v23, v21, v22
	v_sub_f32_e32 v21, v21, v23
	v_add_f32_e32 v21, v22, v21
	v_sub_f32_e32 v22, v24, v20
	v_add_f32_e32 v18, v18, v22
	v_mul_f32_e32 v22, v23, v25
	v_mul_f32_e32 v24, v20, v22
	v_fma_f32 v26, v22, v20, -v24
	v_fmac_f32_e32 v26, v22, v18
	v_add_f32_e32 v27, v24, v26
	v_sub_f32_e32 v28, v23, v27
	v_sub_f32_e32 v23, v23, v28
	;; [unrolled: 1-line block ×4, first 2 shown]
	v_add_f32_e32 v21, v21, v23
	v_sub_f32_e32 v23, v24, v26
	v_add_f32_e32 v21, v23, v21
	v_add_f32_e32 v23, v28, v21
	v_mul_f32_e32 v24, v25, v23
	v_mul_f32_e32 v26, v20, v24
	v_fma_f32 v20, v24, v20, -v26
	v_fmac_f32_e32 v20, v24, v18
	v_sub_f32_e32 v18, v28, v23
	v_add_f32_e32 v18, v21, v18
	v_add_f32_e32 v21, v26, v20
	v_sub_f32_e32 v27, v23, v21
	v_sub_f32_e32 v23, v23, v27
	;; [unrolled: 1-line block ×4, first 2 shown]
	v_add_f32_e32 v18, v18, v21
	v_sub_f32_e32 v20, v26, v20
	v_add_f32_e32 v18, v20, v18
	v_add_f32_e32 v20, v22, v24
	;; [unrolled: 1-line block ×3, first 2 shown]
	v_sub_f32_e32 v21, v20, v22
	v_mul_f32_e32 v18, v25, v18
	v_sub_f32_e32 v21, v24, v21
	v_add_f32_e32 v18, v21, v18
	v_cvt_f32_i32_e32 v17, v17
	v_add_f32_e32 v21, v20, v18
	v_mul_f32_e32 v22, v21, v21
	v_mov_b32_e32 v23, 0x3ecc95a3
	v_fmac_f32_e32 v23, 0x3e9b6dac, v22
	v_mov_b32_e32 v24, 0x3f2aaada
	v_fmac_f32_e32 v24, v22, v23
	v_mul_f32_e32 v23, 0x3f317218, v17
	v_fma_f32 v25, v17, s6, -v23
	v_fmac_f32_e32 v25, 0xb102e308, v17
	v_sub_f32_e32 v17, v21, v20
	v_sub_f32_e32 v17, v18, v17
	v_add_f32_e32 v18, v23, v25
	v_sub_f32_e32 v20, v18, v23
	v_ldexp_f32 v23, v21, 1
	v_mul_f32_e32 v21, v21, v22
	v_mul_f32_e32 v21, v21, v24
	v_add_f32_e32 v22, v23, v21
	v_sub_f32_e32 v23, v22, v23
	v_ldexp_f32 v17, v17, 1
	v_sub_f32_e32 v21, v21, v23
	v_add_f32_e32 v17, v17, v21
	v_add_f32_e32 v21, v22, v17
	v_sub_f32_e32 v22, v21, v22
	v_sub_f32_e32 v17, v17, v22
	v_add_f32_e32 v22, v18, v21
	v_sub_f32_e32 v23, v22, v18
	v_sub_f32_e32 v24, v22, v23
	;; [unrolled: 1-line block ×5, first 2 shown]
	v_add_f32_e32 v18, v21, v18
	v_add_f32_e32 v21, v20, v17
	v_sub_f32_e32 v23, v21, v20
	v_sub_f32_e32 v24, v21, v23
	;; [unrolled: 1-line block ×4, first 2 shown]
	v_add_f32_e32 v18, v21, v18
	v_add_f32_e32 v17, v17, v20
	;; [unrolled: 1-line block ×3, first 2 shown]
	v_sub_f32_e32 v21, v20, v22
	v_sub_f32_e32 v18, v18, v21
	v_add_f32_e32 v17, v17, v18
	v_add_f32_e32 v17, v20, v17
	v_cmp_neq_f32_e32 vcc, s5, v14
	s_mov_b32 s5, 0x33800000
	v_cndmask_b32_e32 v17, v19, v17, vcc
	v_cmp_lt_f32_e64 vcc, |v14|, s5
	v_cndmask_b32_e32 v14, v17, v14, vcc
	v_add_f32_e32 v14, v16, v14
.LBB157_316:
	s_or_b64 exec, exec, s[2:3]
	v_max_f32_e32 v16, v14, v14
	v_min_f32_e32 v17, v16, v15
	v_cmp_u_f32_e32 vcc, v14, v14
	v_max_f32_e32 v15, v16, v15
	v_cndmask_b32_e32 v17, v17, v14, vcc
	v_cndmask_b32_e32 v15, v15, v14, vcc
	v_cndmask_b32_e64 v17, v17, v33, s[28:29]
	v_cndmask_b32_e64 v16, v15, v33, s[28:29]
	v_cmp_neq_f32_e32 vcc, v17, v16
	v_cmp_class_f32_e64 s[2:3], v17, s4
	s_or_b64 s[4:5], vcc, s[2:3]
	v_mov_b32_e32 v15, v14
	s_and_saveexec_b64 s[2:3], s[4:5]
	s_cbranch_execz .LBB157_318
; %bb.317:
	v_sub_f32_e32 v15, v17, v16
	s_mov_b32 s4, 0x3fb8aa3b
	v_mul_f32_e32 v17, 0x3fb8aa3b, v15
	v_fma_f32 v18, v15, s4, -v17
	v_rndne_f32_e32 v19, v17
	v_fmac_f32_e32 v18, 0x32a5705f, v15
	v_sub_f32_e32 v17, v17, v19
	v_add_f32_e32 v17, v17, v18
	v_exp_f32_e32 v17, v17
	v_cvt_i32_f32_e32 v18, v19
	s_mov_b32 s4, 0xc2ce8ed0
	v_cmp_ngt_f32_e32 vcc, s4, v15
	s_mov_b32 s4, 0x42b17218
	v_ldexp_f32 v17, v17, v18
	v_cndmask_b32_e32 v17, 0, v17, vcc
	v_mov_b32_e32 v19, 0x7f800000
	v_cmp_nlt_f32_e32 vcc, s4, v15
	v_cndmask_b32_e32 v15, v19, v17, vcc
	v_add_f32_e32 v20, 1.0, v15
	v_cvt_f64_f32_e32 v[17:18], v20
	v_add_f32_e32 v21, -1.0, v20
	v_sub_f32_e32 v22, v21, v20
	v_sub_f32_e32 v21, v15, v21
	v_frexp_exp_i32_f64_e32 v17, v[17:18]
	v_add_f32_e32 v18, 1.0, v22
	v_add_f32_e32 v18, v21, v18
	v_frexp_mant_f32_e32 v21, v20
	s_mov_b32 s5, 0x3f2aaaab
	v_cmp_gt_f32_e32 vcc, s5, v21
	s_mov_b32 s5, 0x3f317218
	s_mov_b32 s4, 0x7f800000
	v_subbrev_co_u32_e32 v17, vcc, 0, v17, vcc
	v_sub_u32_e32 v21, 0, v17
	v_ldexp_f32 v20, v20, v21
	v_ldexp_f32 v18, v18, v21
	v_add_f32_e32 v21, -1.0, v20
	v_add_f32_e32 v24, 1.0, v20
	v_add_f32_e32 v22, 1.0, v21
	v_add_f32_e32 v25, -1.0, v24
	v_sub_f32_e32 v22, v20, v22
	v_sub_f32_e32 v20, v20, v25
	v_add_f32_e32 v22, v18, v22
	v_add_f32_e32 v18, v18, v20
	;; [unrolled: 1-line block ×3, first 2 shown]
	v_rcp_f32_e32 v25, v20
	v_add_f32_e32 v23, v21, v22
	v_sub_f32_e32 v21, v21, v23
	v_add_f32_e32 v21, v22, v21
	v_sub_f32_e32 v22, v24, v20
	v_add_f32_e32 v18, v18, v22
	v_mul_f32_e32 v22, v23, v25
	v_mul_f32_e32 v24, v20, v22
	v_fma_f32 v26, v22, v20, -v24
	v_fmac_f32_e32 v26, v22, v18
	v_add_f32_e32 v27, v24, v26
	v_sub_f32_e32 v28, v23, v27
	v_sub_f32_e32 v23, v23, v28
	;; [unrolled: 1-line block ×4, first 2 shown]
	v_add_f32_e32 v21, v21, v23
	v_sub_f32_e32 v23, v24, v26
	v_add_f32_e32 v21, v23, v21
	v_add_f32_e32 v23, v28, v21
	v_mul_f32_e32 v24, v25, v23
	v_mul_f32_e32 v26, v20, v24
	v_fma_f32 v20, v24, v20, -v26
	v_fmac_f32_e32 v20, v24, v18
	v_sub_f32_e32 v18, v28, v23
	v_add_f32_e32 v18, v21, v18
	v_add_f32_e32 v21, v26, v20
	v_sub_f32_e32 v27, v23, v21
	v_sub_f32_e32 v23, v23, v27
	;; [unrolled: 1-line block ×4, first 2 shown]
	v_add_f32_e32 v18, v18, v21
	v_sub_f32_e32 v20, v26, v20
	v_add_f32_e32 v18, v20, v18
	v_add_f32_e32 v20, v22, v24
	;; [unrolled: 1-line block ×3, first 2 shown]
	v_sub_f32_e32 v21, v20, v22
	v_mul_f32_e32 v18, v25, v18
	v_sub_f32_e32 v21, v24, v21
	v_add_f32_e32 v18, v21, v18
	v_cvt_f32_i32_e32 v17, v17
	v_add_f32_e32 v21, v20, v18
	v_mul_f32_e32 v22, v21, v21
	v_mov_b32_e32 v23, 0x3ecc95a3
	v_fmac_f32_e32 v23, 0x3e9b6dac, v22
	v_mov_b32_e32 v24, 0x3f2aaada
	v_fmac_f32_e32 v24, v22, v23
	v_mul_f32_e32 v23, 0x3f317218, v17
	v_fma_f32 v25, v17, s5, -v23
	v_fmac_f32_e32 v25, 0xb102e308, v17
	v_sub_f32_e32 v17, v21, v20
	v_sub_f32_e32 v17, v18, v17
	v_add_f32_e32 v18, v23, v25
	v_sub_f32_e32 v20, v18, v23
	v_ldexp_f32 v23, v21, 1
	v_mul_f32_e32 v21, v21, v22
	v_mul_f32_e32 v21, v21, v24
	v_add_f32_e32 v22, v23, v21
	v_sub_f32_e32 v23, v22, v23
	v_ldexp_f32 v17, v17, 1
	v_sub_f32_e32 v21, v21, v23
	v_add_f32_e32 v17, v17, v21
	v_add_f32_e32 v21, v22, v17
	v_sub_f32_e32 v22, v21, v22
	v_sub_f32_e32 v17, v17, v22
	v_add_f32_e32 v22, v18, v21
	v_sub_f32_e32 v23, v22, v18
	v_sub_f32_e32 v24, v22, v23
	;; [unrolled: 1-line block ×5, first 2 shown]
	v_add_f32_e32 v18, v21, v18
	v_add_f32_e32 v21, v20, v17
	v_sub_f32_e32 v23, v21, v20
	v_sub_f32_e32 v24, v21, v23
	;; [unrolled: 1-line block ×4, first 2 shown]
	v_add_f32_e32 v18, v21, v18
	v_add_f32_e32 v17, v17, v20
	;; [unrolled: 1-line block ×3, first 2 shown]
	v_sub_f32_e32 v21, v20, v22
	v_sub_f32_e32 v18, v18, v21
	v_add_f32_e32 v17, v17, v18
	v_add_f32_e32 v17, v20, v17
	v_cmp_neq_f32_e32 vcc, s4, v15
	s_mov_b32 s4, 0x33800000
	v_cndmask_b32_e32 v17, v19, v17, vcc
	v_cmp_lt_f32_e64 vcc, |v15|, s4
	v_cndmask_b32_e32 v15, v17, v15, vcc
	v_add_f32_e32 v15, v16, v15
.LBB157_318:
	s_or_b64 exec, exec, s[2:3]
	s_movk_i32 s2, 0xff
	v_cmp_eq_u32_e32 vcc, s2, v0
	s_and_saveexec_b64 s[2:3], vcc
	s_cbranch_execz .LBB157_320
; %bb.319:
	v_mov_b32_e32 v17, 0
	v_mov_b32_e32 v16, 2
	global_store_dwordx2 v17, v[15:16], s[42:43] offset:512
.LBB157_320:
	s_or_b64 exec, exec, s[2:3]
	v_mov_b32_e32 v18, v16
	v_mov_b32_e32 v17, v15
	;; [unrolled: 1-line block ×16, first 2 shown]
.LBB157_321:
	s_add_u32 s2, s56, s54
	s_addc_u32 s3, s57, s55
	s_add_u32 s2, s2, s52
	s_addc_u32 s3, s3, s53
	s_mov_b64 s[4:5], -1
	s_and_b64 vcc, exec, s[0:1]
	s_waitcnt vmcnt(0) lgkmcnt(0)
	s_barrier
	s_cbranch_vccz .LBB157_323
; %bb.322:
	v_mov_b32_e32 v33, s3
	v_add_co_u32_e32 v34, vcc, s2, v31
	ds_write2_b32 v32, v3, v4 offset1:1
	ds_write2_b32 v32, v5, v6 offset0:2 offset1:3
	ds_write2_b32 v32, v7, v8 offset0:4 offset1:5
	;; [unrolled: 1-line block ×6, first 2 shown]
	ds_write_b32 v32, v17 offset:56
	s_waitcnt lgkmcnt(0)
	s_barrier
	ds_read2st64_b32 v[1:2], v31 offset1:4
	ds_read2st64_b32 v[18:19], v31 offset0:8 offset1:12
	ds_read2st64_b32 v[20:21], v31 offset0:16 offset1:20
	ds_read2st64_b32 v[22:23], v31 offset0:24 offset1:28
	ds_read2st64_b32 v[24:25], v31 offset0:32 offset1:36
	ds_read2st64_b32 v[26:27], v31 offset0:40 offset1:44
	ds_read2st64_b32 v[28:29], v31 offset0:48 offset1:52
	ds_read_b32 v30, v31 offset:14336
	v_addc_co_u32_e32 v33, vcc, 0, v33, vcc
	s_movk_i32 s0, 0x1000
	s_waitcnt lgkmcnt(7)
	global_store_dword v31, v1, s[2:3]
	global_store_dword v31, v2, s[2:3] offset:1024
	s_waitcnt lgkmcnt(6)
	global_store_dword v31, v18, s[2:3] offset:2048
	global_store_dword v31, v19, s[2:3] offset:3072
	v_add_co_u32_e32 v1, vcc, s0, v34
	v_addc_co_u32_e32 v2, vcc, 0, v33, vcc
	s_movk_i32 s0, 0x2000
	v_add_co_u32_e32 v18, vcc, s0, v34
	v_addc_co_u32_e32 v19, vcc, 0, v33, vcc
	s_waitcnt lgkmcnt(5)
	global_store_dword v[18:19], v20, off offset:-4096
	global_store_dword v[1:2], v21, off offset:1024
	s_waitcnt lgkmcnt(4)
	global_store_dword v[1:2], v22, off offset:2048
	global_store_dword v[1:2], v23, off offset:3072
	s_waitcnt lgkmcnt(3)
	global_store_dword v[18:19], v24, off
	global_store_dword v[18:19], v25, off offset:1024
	s_waitcnt lgkmcnt(2)
	global_store_dword v[18:19], v26, off offset:2048
	global_store_dword v[18:19], v27, off offset:3072
	v_add_co_u32_e32 v1, vcc, 0x3000, v34
	v_addc_co_u32_e32 v2, vcc, 0, v33, vcc
	s_waitcnt lgkmcnt(1)
	global_store_dword v[1:2], v28, off
	global_store_dword v[1:2], v29, off offset:1024
	s_waitcnt lgkmcnt(0)
	global_store_dword v[1:2], v30, off offset:2048
	s_mov_b64 s[4:5], 0
.LBB157_323:
	s_andn2_b64 vcc, exec, s[4:5]
	s_cbranch_vccnz .LBB157_409
; %bb.324:
	ds_write2_b32 v32, v3, v4 offset1:1
	ds_write2_b32 v32, v5, v6 offset0:2 offset1:3
	ds_write2_b32 v32, v7, v8 offset0:4 offset1:5
	;; [unrolled: 1-line block ×6, first 2 shown]
	ds_write_b32 v32, v17 offset:56
	s_waitcnt vmcnt(0) lgkmcnt(0)
	s_barrier
	ds_read2st64_b32 v[4:5], v31 offset1:4
	ds_read2st64_b32 v[8:9], v31 offset0:8 offset1:12
	ds_read2st64_b32 v[6:7], v31 offset0:16 offset1:20
	;; [unrolled: 1-line block ×6, first 2 shown]
	ds_read_b32 v18, v31 offset:14336
	v_mov_b32_e32 v17, s3
	v_add_co_u32_e32 v16, vcc, s2, v31
	v_addc_co_u32_e32 v17, vcc, 0, v17, vcc
	v_mov_b32_e32 v1, 0
	v_cmp_gt_u32_e32 vcc, s33, v0
	s_and_saveexec_b64 s[0:1], vcc
	s_cbranch_execz .LBB157_326
; %bb.325:
	s_waitcnt lgkmcnt(7)
	global_store_dword v[16:17], v4, off
.LBB157_326:
	s_or_b64 exec, exec, s[0:1]
	v_or_b32_e32 v19, 0x100, v0
	v_cmp_gt_u32_e32 vcc, s33, v19
	s_and_saveexec_b64 s[0:1], vcc
	s_cbranch_execz .LBB157_328
; %bb.327:
	s_waitcnt lgkmcnt(7)
	global_store_dword v[16:17], v5, off offset:1024
.LBB157_328:
	s_or_b64 exec, exec, s[0:1]
	v_or_b32_e32 v19, 0x200, v0
	v_cmp_gt_u32_e32 vcc, s33, v19
	s_and_saveexec_b64 s[0:1], vcc
	s_cbranch_execz .LBB157_330
; %bb.329:
	s_waitcnt lgkmcnt(6)
	global_store_dword v[16:17], v8, off offset:2048
.LBB157_330:
	;; [unrolled: 9-line block ×3, first 2 shown]
	s_or_b64 exec, exec, s[0:1]
	v_or_b32_e32 v19, 0x400, v0
	v_cmp_gt_u32_e32 vcc, s33, v19
	s_and_saveexec_b64 s[0:1], vcc
	s_cbranch_execz .LBB157_334
; %bb.333:
	v_add_co_u32_e32 v19, vcc, 0x1000, v16
	v_addc_co_u32_e32 v20, vcc, 0, v17, vcc
	s_waitcnt lgkmcnt(5)
	global_store_dword v[19:20], v6, off
.LBB157_334:
	s_or_b64 exec, exec, s[0:1]
	v_or_b32_e32 v19, 0x500, v0
	v_cmp_gt_u32_e32 vcc, s33, v19
	s_and_saveexec_b64 s[0:1], vcc
	s_cbranch_execz .LBB157_336
; %bb.335:
	v_add_co_u32_e32 v19, vcc, 0x1000, v16
	v_addc_co_u32_e32 v20, vcc, 0, v17, vcc
	s_waitcnt lgkmcnt(5)
	global_store_dword v[19:20], v7, off offset:1024
.LBB157_336:
	s_or_b64 exec, exec, s[0:1]
	v_or_b32_e32 v19, 0x600, v0
	v_cmp_gt_u32_e32 vcc, s33, v19
	s_and_saveexec_b64 s[0:1], vcc
	s_cbranch_execz .LBB157_338
; %bb.337:
	v_add_co_u32_e32 v19, vcc, 0x1000, v16
	v_addc_co_u32_e32 v20, vcc, 0, v17, vcc
	s_waitcnt lgkmcnt(4)
	global_store_dword v[19:20], v14, off offset:2048
.LBB157_338:
	;; [unrolled: 11-line block ×3, first 2 shown]
	s_or_b64 exec, exec, s[0:1]
	v_or_b32_e32 v19, 0x800, v0
	v_cmp_gt_u32_e32 vcc, s33, v19
	s_and_saveexec_b64 s[0:1], vcc
	s_cbranch_execz .LBB157_342
; %bb.341:
	v_add_co_u32_e32 v19, vcc, 0x2000, v16
	v_addc_co_u32_e32 v20, vcc, 0, v17, vcc
	s_waitcnt lgkmcnt(3)
	global_store_dword v[19:20], v10, off
.LBB157_342:
	s_or_b64 exec, exec, s[0:1]
	v_or_b32_e32 v19, 0x900, v0
	v_cmp_gt_u32_e32 vcc, s33, v19
	s_and_saveexec_b64 s[0:1], vcc
	s_cbranch_execz .LBB157_344
; %bb.343:
	v_add_co_u32_e32 v19, vcc, 0x2000, v16
	v_addc_co_u32_e32 v20, vcc, 0, v17, vcc
	s_waitcnt lgkmcnt(3)
	global_store_dword v[19:20], v11, off offset:1024
.LBB157_344:
	s_or_b64 exec, exec, s[0:1]
	v_or_b32_e32 v19, 0xa00, v0
	v_cmp_gt_u32_e32 vcc, s33, v19
	s_and_saveexec_b64 s[0:1], vcc
	s_cbranch_execz .LBB157_346
; %bb.345:
	v_add_co_u32_e32 v19, vcc, 0x2000, v16
	v_addc_co_u32_e32 v20, vcc, 0, v17, vcc
	s_waitcnt lgkmcnt(2)
	global_store_dword v[19:20], v2, off offset:2048
.LBB157_346:
	;; [unrolled: 11-line block ×3, first 2 shown]
	s_or_b64 exec, exec, s[0:1]
	v_or_b32_e32 v19, 0xc00, v0
	v_cmp_gt_u32_e32 vcc, s33, v19
	s_and_saveexec_b64 s[0:1], vcc
	s_cbranch_execz .LBB157_350
; %bb.349:
	v_add_co_u32_e32 v19, vcc, 0x3000, v16
	v_addc_co_u32_e32 v20, vcc, 0, v17, vcc
	s_waitcnt lgkmcnt(1)
	global_store_dword v[19:20], v12, off
.LBB157_350:
	s_or_b64 exec, exec, s[0:1]
	v_or_b32_e32 v19, 0xd00, v0
	v_cmp_gt_u32_e32 vcc, s33, v19
	s_and_saveexec_b64 s[0:1], vcc
	s_cbranch_execz .LBB157_352
; %bb.351:
	v_add_co_u32_e32 v19, vcc, 0x3000, v16
	v_addc_co_u32_e32 v20, vcc, 0, v17, vcc
	s_waitcnt lgkmcnt(1)
	global_store_dword v[19:20], v13, off offset:1024
.LBB157_352:
	s_or_b64 exec, exec, s[0:1]
	v_or_b32_e32 v19, 0xe00, v0
	v_cmp_gt_u32_e32 vcc, s33, v19
	s_and_saveexec_b64 s[0:1], vcc
	s_cbranch_execz .LBB157_354
; %bb.353:
	v_add_co_u32_e32 v16, vcc, 0x3000, v16
	v_addc_co_u32_e32 v17, vcc, 0, v17, vcc
	s_waitcnt lgkmcnt(0)
	global_store_dword v[16:17], v18, off offset:2048
.LBB157_354:
	s_or_b64 exec, exec, s[0:1]
	v_cmp_lt_u64_e64 s[0:1], s[50:51], 2
	s_and_b64 vcc, exec, s[0:1]
	s_cbranch_vccnz .LBB157_409
; %bb.355:
	s_add_u32 s0, s33, -1
	s_addc_u32 s1, s62, -1
	s_mul_i32 s5, s1, 0x88888889
	s_mul_hi_u32 s6, s0, 0x88888889
	s_mul_hi_u32 s4, s1, 0x88888889
	s_add_u32 s5, s5, s6
	s_mul_i32 s3, s0, 0x88888888
	s_addc_u32 s4, s4, 0
	s_mul_hi_u32 s2, s0, 0x88888888
	s_add_u32 s3, s3, s5
	s_addc_u32 s2, s2, 0
	s_add_u32 s2, s4, s2
	s_addc_u32 s3, 0, 0
	s_mul_i32 s5, s1, 0x88888888
	s_mul_hi_u32 s4, s1, 0x88888888
	s_add_u32 s2, s5, s2
	s_addc_u32 s3, s4, s3
	s_lshr_b64 s[2:3], s[2:3], 3
	v_cmp_eq_u64_e32 vcc, s[2:3], v[0:1]
	s_and_saveexec_b64 s[2:3], vcc
	s_cbranch_execz .LBB157_409
; %bb.356:
	v_mul_hi_u32_u24_e32 v1, 15, v0
	v_mul_u32_u24_e32 v0, 15, v0
	v_mov_b32_e32 v16, s1
	v_sub_co_u32_e32 v0, vcc, s0, v0
	v_subb_co_u32_e32 v1, vcc, v16, v1, vcc
	v_cmp_lt_i64_e32 vcc, 7, v[0:1]
	s_and_saveexec_b64 s[0:1], vcc
	s_xor_b64 s[0:1], exec, s[0:1]
	s_cbranch_execz .LBB157_382
; %bb.357:
	v_cmp_lt_i64_e32 vcc, 10, v[0:1]
	s_and_saveexec_b64 s[2:3], vcc
	s_xor_b64 s[2:3], exec, s[2:3]
	s_cbranch_execz .LBB157_371
; %bb.358:
	;; [unrolled: 5-line block ×4, first 2 shown]
	v_mov_b32_e32 v0, 0
	s_waitcnt lgkmcnt(0)
	global_store_dword v0, v18, s[46:47]
                                        ; implicit-def: $vgpr12_vgpr13
.LBB157_361:
	s_andn2_saveexec_b64 s[6:7], s[6:7]
	s_cbranch_execz .LBB157_363
; %bb.362:
	v_mov_b32_e32 v0, 0
	s_waitcnt lgkmcnt(1)
	global_store_dword v0, v13, s[46:47]
.LBB157_363:
	s_or_b64 exec, exec, s[6:7]
                                        ; implicit-def: $vgpr2_vgpr3
                                        ; implicit-def: $vgpr0_vgpr1
                                        ; implicit-def: $vgpr12_vgpr13
.LBB157_364:
	s_andn2_saveexec_b64 s[4:5], s[4:5]
	s_cbranch_execz .LBB157_370
; %bb.365:
	v_cmp_lt_i64_e32 vcc, 11, v[0:1]
	s_and_saveexec_b64 s[6:7], vcc
	s_xor_b64 s[6:7], exec, s[6:7]
	s_cbranch_execz .LBB157_367
; %bb.366:
	v_mov_b32_e32 v0, 0
	s_waitcnt lgkmcnt(1)
	global_store_dword v0, v12, s[46:47]
                                        ; implicit-def: $vgpr2_vgpr3
.LBB157_367:
	s_andn2_saveexec_b64 s[6:7], s[6:7]
	s_cbranch_execz .LBB157_369
; %bb.368:
	v_mov_b32_e32 v0, 0
	s_waitcnt lgkmcnt(2)
	global_store_dword v0, v3, s[46:47]
.LBB157_369:
	s_or_b64 exec, exec, s[6:7]
.LBB157_370:
	s_or_b64 exec, exec, s[4:5]
                                        ; implicit-def: $vgpr10_vgpr11
                                        ; implicit-def: $vgpr0_vgpr1
                                        ; implicit-def: $vgpr2_vgpr3
.LBB157_371:
	s_andn2_saveexec_b64 s[2:3], s[2:3]
	s_cbranch_execz .LBB157_381
; %bb.372:
	v_cmp_lt_i64_e32 vcc, 8, v[0:1]
	s_and_saveexec_b64 s[4:5], vcc
	s_xor_b64 s[4:5], exec, s[4:5]
	s_cbranch_execz .LBB157_378
; %bb.373:
	v_cmp_lt_i64_e32 vcc, 9, v[0:1]
	s_and_saveexec_b64 s[6:7], vcc
	s_xor_b64 s[6:7], exec, s[6:7]
	s_cbranch_execz .LBB157_375
; %bb.374:
	v_mov_b32_e32 v0, 0
	s_waitcnt lgkmcnt(2)
	global_store_dword v0, v2, s[46:47]
                                        ; implicit-def: $vgpr10_vgpr11
.LBB157_375:
	s_andn2_saveexec_b64 s[6:7], s[6:7]
	s_cbranch_execz .LBB157_377
; %bb.376:
	v_mov_b32_e32 v0, 0
	s_waitcnt lgkmcnt(3)
	global_store_dword v0, v11, s[46:47]
.LBB157_377:
	s_or_b64 exec, exec, s[6:7]
                                        ; implicit-def: $vgpr10_vgpr11
.LBB157_378:
	s_andn2_saveexec_b64 s[4:5], s[4:5]
	s_cbranch_execz .LBB157_380
; %bb.379:
	v_mov_b32_e32 v0, 0
	s_waitcnt lgkmcnt(3)
	global_store_dword v0, v10, s[46:47]
.LBB157_380:
	s_or_b64 exec, exec, s[4:5]
.LBB157_381:
	s_or_b64 exec, exec, s[2:3]
                                        ; implicit-def: $vgpr0_vgpr1
                                        ; implicit-def: $vgpr4_vgpr5
                                        ; implicit-def: $vgpr6_vgpr7
                                        ; implicit-def: $vgpr8_vgpr9
                                        ; implicit-def: $vgpr14_vgpr15
.LBB157_382:
	s_andn2_saveexec_b64 s[0:1], s[0:1]
	s_cbranch_execz .LBB157_409
; %bb.383:
	v_cmp_lt_i64_e32 vcc, 3, v[0:1]
	s_and_saveexec_b64 s[0:1], vcc
	s_xor_b64 s[0:1], exec, s[0:1]
	s_cbranch_execz .LBB157_397
; %bb.384:
	v_cmp_lt_i64_e32 vcc, 5, v[0:1]
	s_and_saveexec_b64 s[2:3], vcc
	s_xor_b64 s[2:3], exec, s[2:3]
	;; [unrolled: 5-line block ×3, first 2 shown]
	s_cbranch_execz .LBB157_387
; %bb.386:
	v_mov_b32_e32 v0, 0
	s_waitcnt lgkmcnt(4)
	global_store_dword v0, v15, s[46:47]
                                        ; implicit-def: $vgpr14_vgpr15
.LBB157_387:
	s_andn2_saveexec_b64 s[4:5], s[4:5]
	s_cbranch_execz .LBB157_389
; %bb.388:
	v_mov_b32_e32 v0, 0
	s_waitcnt lgkmcnt(4)
	global_store_dword v0, v14, s[46:47]
.LBB157_389:
	s_or_b64 exec, exec, s[4:5]
                                        ; implicit-def: $vgpr6_vgpr7
                                        ; implicit-def: $vgpr0_vgpr1
.LBB157_390:
	s_andn2_saveexec_b64 s[2:3], s[2:3]
	s_cbranch_execz .LBB157_396
; %bb.391:
	v_cmp_lt_i64_e32 vcc, 4, v[0:1]
	s_and_saveexec_b64 s[4:5], vcc
	s_xor_b64 s[4:5], exec, s[4:5]
	s_cbranch_execz .LBB157_393
; %bb.392:
	v_mov_b32_e32 v0, 0
	s_waitcnt lgkmcnt(5)
	global_store_dword v0, v7, s[46:47]
                                        ; implicit-def: $vgpr6_vgpr7
.LBB157_393:
	s_andn2_saveexec_b64 s[4:5], s[4:5]
	s_cbranch_execz .LBB157_395
; %bb.394:
	v_mov_b32_e32 v0, 0
	s_waitcnt lgkmcnt(5)
	global_store_dword v0, v6, s[46:47]
.LBB157_395:
	s_or_b64 exec, exec, s[4:5]
.LBB157_396:
	s_or_b64 exec, exec, s[2:3]
                                        ; implicit-def: $vgpr0_vgpr1
                                        ; implicit-def: $vgpr4_vgpr5
                                        ; implicit-def: $vgpr8_vgpr9
.LBB157_397:
	s_andn2_saveexec_b64 s[0:1], s[0:1]
	s_cbranch_execz .LBB157_409
; %bb.398:
	v_cmp_lt_i64_e32 vcc, 1, v[0:1]
	s_and_saveexec_b64 s[0:1], vcc
	s_xor_b64 s[0:1], exec, s[0:1]
	s_cbranch_execz .LBB157_404
; %bb.399:
	v_cmp_lt_i64_e32 vcc, 2, v[0:1]
	s_and_saveexec_b64 s[2:3], vcc
	s_xor_b64 s[2:3], exec, s[2:3]
	s_cbranch_execz .LBB157_401
; %bb.400:
	v_mov_b32_e32 v0, 0
	s_waitcnt lgkmcnt(6)
	global_store_dword v0, v9, s[46:47]
                                        ; implicit-def: $vgpr8_vgpr9
.LBB157_401:
	s_andn2_saveexec_b64 s[2:3], s[2:3]
	s_cbranch_execz .LBB157_403
; %bb.402:
	v_mov_b32_e32 v0, 0
	s_waitcnt lgkmcnt(6)
	global_store_dword v0, v8, s[46:47]
.LBB157_403:
	s_or_b64 exec, exec, s[2:3]
                                        ; implicit-def: $vgpr4_vgpr5
                                        ; implicit-def: $vgpr0_vgpr1
.LBB157_404:
	s_andn2_saveexec_b64 s[0:1], s[0:1]
	s_cbranch_execz .LBB157_409
; %bb.405:
	v_cmp_ne_u64_e32 vcc, 1, v[0:1]
	s_and_saveexec_b64 s[0:1], vcc
	s_xor_b64 s[0:1], exec, s[0:1]
	s_cbranch_execz .LBB157_407
; %bb.406:
	v_mov_b32_e32 v0, 0
	s_waitcnt lgkmcnt(7)
	global_store_dword v0, v4, s[46:47]
                                        ; implicit-def: $vgpr4_vgpr5
.LBB157_407:
	s_andn2_saveexec_b64 s[0:1], s[0:1]
	s_cbranch_execz .LBB157_409
; %bb.408:
	v_mov_b32_e32 v0, 0
	s_waitcnt lgkmcnt(7)
	global_store_dword v0, v5, s[46:47]
.LBB157_409:
	s_endpgm
	.section	.rodata,"a",@progbits
	.p2align	6, 0x0
	.amdhsa_kernel _ZN7rocprim17ROCPRIM_400000_NS6detail17trampoline_kernelINS0_14default_configENS1_20scan_config_selectorIfEEZZNS1_9scan_implILNS1_25lookback_scan_determinismE0ELb0ELb0ES3_PKfPffZZZN2at6native31launch_logcumsumexp_cuda_kernelERKNSB_10TensorBaseESF_lENKUlvE_clEvENKUlvE0_clEvEUlffE_fEEDaPvRmT3_T4_T5_mT6_P12ihipStream_tbENKUlT_T0_E_clISt17integral_constantIbLb0EESV_IbLb1EEEEDaSR_SS_EUlSR_E_NS1_11comp_targetILNS1_3genE2ELNS1_11target_archE906ELNS1_3gpuE6ELNS1_3repE0EEENS1_30default_config_static_selectorELNS0_4arch9wavefront6targetE1EEEvT1_
		.amdhsa_group_segment_fixed_size 15360
		.amdhsa_private_segment_fixed_size 0
		.amdhsa_kernarg_size 96
		.amdhsa_user_sgpr_count 6
		.amdhsa_user_sgpr_private_segment_buffer 1
		.amdhsa_user_sgpr_dispatch_ptr 0
		.amdhsa_user_sgpr_queue_ptr 0
		.amdhsa_user_sgpr_kernarg_segment_ptr 1
		.amdhsa_user_sgpr_dispatch_id 0
		.amdhsa_user_sgpr_flat_scratch_init 0
		.amdhsa_user_sgpr_private_segment_size 0
		.amdhsa_uses_dynamic_stack 0
		.amdhsa_system_sgpr_private_segment_wavefront_offset 0
		.amdhsa_system_sgpr_workgroup_id_x 1
		.amdhsa_system_sgpr_workgroup_id_y 0
		.amdhsa_system_sgpr_workgroup_id_z 0
		.amdhsa_system_sgpr_workgroup_info 0
		.amdhsa_system_vgpr_workitem_id 0
		.amdhsa_next_free_vgpr 71
		.amdhsa_next_free_sgpr 98
		.amdhsa_reserve_vcc 1
		.amdhsa_reserve_flat_scratch 0
		.amdhsa_float_round_mode_32 0
		.amdhsa_float_round_mode_16_64 0
		.amdhsa_float_denorm_mode_32 3
		.amdhsa_float_denorm_mode_16_64 3
		.amdhsa_dx10_clamp 1
		.amdhsa_ieee_mode 1
		.amdhsa_fp16_overflow 0
		.amdhsa_exception_fp_ieee_invalid_op 0
		.amdhsa_exception_fp_denorm_src 0
		.amdhsa_exception_fp_ieee_div_zero 0
		.amdhsa_exception_fp_ieee_overflow 0
		.amdhsa_exception_fp_ieee_underflow 0
		.amdhsa_exception_fp_ieee_inexact 0
		.amdhsa_exception_int_div_zero 0
	.end_amdhsa_kernel
	.section	.text._ZN7rocprim17ROCPRIM_400000_NS6detail17trampoline_kernelINS0_14default_configENS1_20scan_config_selectorIfEEZZNS1_9scan_implILNS1_25lookback_scan_determinismE0ELb0ELb0ES3_PKfPffZZZN2at6native31launch_logcumsumexp_cuda_kernelERKNSB_10TensorBaseESF_lENKUlvE_clEvENKUlvE0_clEvEUlffE_fEEDaPvRmT3_T4_T5_mT6_P12ihipStream_tbENKUlT_T0_E_clISt17integral_constantIbLb0EESV_IbLb1EEEEDaSR_SS_EUlSR_E_NS1_11comp_targetILNS1_3genE2ELNS1_11target_archE906ELNS1_3gpuE6ELNS1_3repE0EEENS1_30default_config_static_selectorELNS0_4arch9wavefront6targetE1EEEvT1_,"axG",@progbits,_ZN7rocprim17ROCPRIM_400000_NS6detail17trampoline_kernelINS0_14default_configENS1_20scan_config_selectorIfEEZZNS1_9scan_implILNS1_25lookback_scan_determinismE0ELb0ELb0ES3_PKfPffZZZN2at6native31launch_logcumsumexp_cuda_kernelERKNSB_10TensorBaseESF_lENKUlvE_clEvENKUlvE0_clEvEUlffE_fEEDaPvRmT3_T4_T5_mT6_P12ihipStream_tbENKUlT_T0_E_clISt17integral_constantIbLb0EESV_IbLb1EEEEDaSR_SS_EUlSR_E_NS1_11comp_targetILNS1_3genE2ELNS1_11target_archE906ELNS1_3gpuE6ELNS1_3repE0EEENS1_30default_config_static_selectorELNS0_4arch9wavefront6targetE1EEEvT1_,comdat
.Lfunc_end157:
	.size	_ZN7rocprim17ROCPRIM_400000_NS6detail17trampoline_kernelINS0_14default_configENS1_20scan_config_selectorIfEEZZNS1_9scan_implILNS1_25lookback_scan_determinismE0ELb0ELb0ES3_PKfPffZZZN2at6native31launch_logcumsumexp_cuda_kernelERKNSB_10TensorBaseESF_lENKUlvE_clEvENKUlvE0_clEvEUlffE_fEEDaPvRmT3_T4_T5_mT6_P12ihipStream_tbENKUlT_T0_E_clISt17integral_constantIbLb0EESV_IbLb1EEEEDaSR_SS_EUlSR_E_NS1_11comp_targetILNS1_3genE2ELNS1_11target_archE906ELNS1_3gpuE6ELNS1_3repE0EEENS1_30default_config_static_selectorELNS0_4arch9wavefront6targetE1EEEvT1_, .Lfunc_end157-_ZN7rocprim17ROCPRIM_400000_NS6detail17trampoline_kernelINS0_14default_configENS1_20scan_config_selectorIfEEZZNS1_9scan_implILNS1_25lookback_scan_determinismE0ELb0ELb0ES3_PKfPffZZZN2at6native31launch_logcumsumexp_cuda_kernelERKNSB_10TensorBaseESF_lENKUlvE_clEvENKUlvE0_clEvEUlffE_fEEDaPvRmT3_T4_T5_mT6_P12ihipStream_tbENKUlT_T0_E_clISt17integral_constantIbLb0EESV_IbLb1EEEEDaSR_SS_EUlSR_E_NS1_11comp_targetILNS1_3genE2ELNS1_11target_archE906ELNS1_3gpuE6ELNS1_3repE0EEENS1_30default_config_static_selectorELNS0_4arch9wavefront6targetE1EEEvT1_
                                        ; -- End function
	.set _ZN7rocprim17ROCPRIM_400000_NS6detail17trampoline_kernelINS0_14default_configENS1_20scan_config_selectorIfEEZZNS1_9scan_implILNS1_25lookback_scan_determinismE0ELb0ELb0ES3_PKfPffZZZN2at6native31launch_logcumsumexp_cuda_kernelERKNSB_10TensorBaseESF_lENKUlvE_clEvENKUlvE0_clEvEUlffE_fEEDaPvRmT3_T4_T5_mT6_P12ihipStream_tbENKUlT_T0_E_clISt17integral_constantIbLb0EESV_IbLb1EEEEDaSR_SS_EUlSR_E_NS1_11comp_targetILNS1_3genE2ELNS1_11target_archE906ELNS1_3gpuE6ELNS1_3repE0EEENS1_30default_config_static_selectorELNS0_4arch9wavefront6targetE1EEEvT1_.num_vgpr, 71
	.set _ZN7rocprim17ROCPRIM_400000_NS6detail17trampoline_kernelINS0_14default_configENS1_20scan_config_selectorIfEEZZNS1_9scan_implILNS1_25lookback_scan_determinismE0ELb0ELb0ES3_PKfPffZZZN2at6native31launch_logcumsumexp_cuda_kernelERKNSB_10TensorBaseESF_lENKUlvE_clEvENKUlvE0_clEvEUlffE_fEEDaPvRmT3_T4_T5_mT6_P12ihipStream_tbENKUlT_T0_E_clISt17integral_constantIbLb0EESV_IbLb1EEEEDaSR_SS_EUlSR_E_NS1_11comp_targetILNS1_3genE2ELNS1_11target_archE906ELNS1_3gpuE6ELNS1_3repE0EEENS1_30default_config_static_selectorELNS0_4arch9wavefront6targetE1EEEvT1_.num_agpr, 0
	.set _ZN7rocprim17ROCPRIM_400000_NS6detail17trampoline_kernelINS0_14default_configENS1_20scan_config_selectorIfEEZZNS1_9scan_implILNS1_25lookback_scan_determinismE0ELb0ELb0ES3_PKfPffZZZN2at6native31launch_logcumsumexp_cuda_kernelERKNSB_10TensorBaseESF_lENKUlvE_clEvENKUlvE0_clEvEUlffE_fEEDaPvRmT3_T4_T5_mT6_P12ihipStream_tbENKUlT_T0_E_clISt17integral_constantIbLb0EESV_IbLb1EEEEDaSR_SS_EUlSR_E_NS1_11comp_targetILNS1_3genE2ELNS1_11target_archE906ELNS1_3gpuE6ELNS1_3repE0EEENS1_30default_config_static_selectorELNS0_4arch9wavefront6targetE1EEEvT1_.numbered_sgpr, 74
	.set _ZN7rocprim17ROCPRIM_400000_NS6detail17trampoline_kernelINS0_14default_configENS1_20scan_config_selectorIfEEZZNS1_9scan_implILNS1_25lookback_scan_determinismE0ELb0ELb0ES3_PKfPffZZZN2at6native31launch_logcumsumexp_cuda_kernelERKNSB_10TensorBaseESF_lENKUlvE_clEvENKUlvE0_clEvEUlffE_fEEDaPvRmT3_T4_T5_mT6_P12ihipStream_tbENKUlT_T0_E_clISt17integral_constantIbLb0EESV_IbLb1EEEEDaSR_SS_EUlSR_E_NS1_11comp_targetILNS1_3genE2ELNS1_11target_archE906ELNS1_3gpuE6ELNS1_3repE0EEENS1_30default_config_static_selectorELNS0_4arch9wavefront6targetE1EEEvT1_.num_named_barrier, 0
	.set _ZN7rocprim17ROCPRIM_400000_NS6detail17trampoline_kernelINS0_14default_configENS1_20scan_config_selectorIfEEZZNS1_9scan_implILNS1_25lookback_scan_determinismE0ELb0ELb0ES3_PKfPffZZZN2at6native31launch_logcumsumexp_cuda_kernelERKNSB_10TensorBaseESF_lENKUlvE_clEvENKUlvE0_clEvEUlffE_fEEDaPvRmT3_T4_T5_mT6_P12ihipStream_tbENKUlT_T0_E_clISt17integral_constantIbLb0EESV_IbLb1EEEEDaSR_SS_EUlSR_E_NS1_11comp_targetILNS1_3genE2ELNS1_11target_archE906ELNS1_3gpuE6ELNS1_3repE0EEENS1_30default_config_static_selectorELNS0_4arch9wavefront6targetE1EEEvT1_.private_seg_size, 0
	.set _ZN7rocprim17ROCPRIM_400000_NS6detail17trampoline_kernelINS0_14default_configENS1_20scan_config_selectorIfEEZZNS1_9scan_implILNS1_25lookback_scan_determinismE0ELb0ELb0ES3_PKfPffZZZN2at6native31launch_logcumsumexp_cuda_kernelERKNSB_10TensorBaseESF_lENKUlvE_clEvENKUlvE0_clEvEUlffE_fEEDaPvRmT3_T4_T5_mT6_P12ihipStream_tbENKUlT_T0_E_clISt17integral_constantIbLb0EESV_IbLb1EEEEDaSR_SS_EUlSR_E_NS1_11comp_targetILNS1_3genE2ELNS1_11target_archE906ELNS1_3gpuE6ELNS1_3repE0EEENS1_30default_config_static_selectorELNS0_4arch9wavefront6targetE1EEEvT1_.uses_vcc, 1
	.set _ZN7rocprim17ROCPRIM_400000_NS6detail17trampoline_kernelINS0_14default_configENS1_20scan_config_selectorIfEEZZNS1_9scan_implILNS1_25lookback_scan_determinismE0ELb0ELb0ES3_PKfPffZZZN2at6native31launch_logcumsumexp_cuda_kernelERKNSB_10TensorBaseESF_lENKUlvE_clEvENKUlvE0_clEvEUlffE_fEEDaPvRmT3_T4_T5_mT6_P12ihipStream_tbENKUlT_T0_E_clISt17integral_constantIbLb0EESV_IbLb1EEEEDaSR_SS_EUlSR_E_NS1_11comp_targetILNS1_3genE2ELNS1_11target_archE906ELNS1_3gpuE6ELNS1_3repE0EEENS1_30default_config_static_selectorELNS0_4arch9wavefront6targetE1EEEvT1_.uses_flat_scratch, 0
	.set _ZN7rocprim17ROCPRIM_400000_NS6detail17trampoline_kernelINS0_14default_configENS1_20scan_config_selectorIfEEZZNS1_9scan_implILNS1_25lookback_scan_determinismE0ELb0ELb0ES3_PKfPffZZZN2at6native31launch_logcumsumexp_cuda_kernelERKNSB_10TensorBaseESF_lENKUlvE_clEvENKUlvE0_clEvEUlffE_fEEDaPvRmT3_T4_T5_mT6_P12ihipStream_tbENKUlT_T0_E_clISt17integral_constantIbLb0EESV_IbLb1EEEEDaSR_SS_EUlSR_E_NS1_11comp_targetILNS1_3genE2ELNS1_11target_archE906ELNS1_3gpuE6ELNS1_3repE0EEENS1_30default_config_static_selectorELNS0_4arch9wavefront6targetE1EEEvT1_.has_dyn_sized_stack, 0
	.set _ZN7rocprim17ROCPRIM_400000_NS6detail17trampoline_kernelINS0_14default_configENS1_20scan_config_selectorIfEEZZNS1_9scan_implILNS1_25lookback_scan_determinismE0ELb0ELb0ES3_PKfPffZZZN2at6native31launch_logcumsumexp_cuda_kernelERKNSB_10TensorBaseESF_lENKUlvE_clEvENKUlvE0_clEvEUlffE_fEEDaPvRmT3_T4_T5_mT6_P12ihipStream_tbENKUlT_T0_E_clISt17integral_constantIbLb0EESV_IbLb1EEEEDaSR_SS_EUlSR_E_NS1_11comp_targetILNS1_3genE2ELNS1_11target_archE906ELNS1_3gpuE6ELNS1_3repE0EEENS1_30default_config_static_selectorELNS0_4arch9wavefront6targetE1EEEvT1_.has_recursion, 0
	.set _ZN7rocprim17ROCPRIM_400000_NS6detail17trampoline_kernelINS0_14default_configENS1_20scan_config_selectorIfEEZZNS1_9scan_implILNS1_25lookback_scan_determinismE0ELb0ELb0ES3_PKfPffZZZN2at6native31launch_logcumsumexp_cuda_kernelERKNSB_10TensorBaseESF_lENKUlvE_clEvENKUlvE0_clEvEUlffE_fEEDaPvRmT3_T4_T5_mT6_P12ihipStream_tbENKUlT_T0_E_clISt17integral_constantIbLb0EESV_IbLb1EEEEDaSR_SS_EUlSR_E_NS1_11comp_targetILNS1_3genE2ELNS1_11target_archE906ELNS1_3gpuE6ELNS1_3repE0EEENS1_30default_config_static_selectorELNS0_4arch9wavefront6targetE1EEEvT1_.has_indirect_call, 0
	.section	.AMDGPU.csdata,"",@progbits
; Kernel info:
; codeLenInByte = 72136
; TotalNumSgprs: 78
; NumVgprs: 71
; ScratchSize: 0
; MemoryBound: 0
; FloatMode: 240
; IeeeMode: 1
; LDSByteSize: 15360 bytes/workgroup (compile time only)
; SGPRBlocks: 12
; VGPRBlocks: 17
; NumSGPRsForWavesPerEU: 102
; NumVGPRsForWavesPerEU: 71
; Occupancy: 3
; WaveLimiterHint : 1
; COMPUTE_PGM_RSRC2:SCRATCH_EN: 0
; COMPUTE_PGM_RSRC2:USER_SGPR: 6
; COMPUTE_PGM_RSRC2:TRAP_HANDLER: 0
; COMPUTE_PGM_RSRC2:TGID_X_EN: 1
; COMPUTE_PGM_RSRC2:TGID_Y_EN: 0
; COMPUTE_PGM_RSRC2:TGID_Z_EN: 0
; COMPUTE_PGM_RSRC2:TIDIG_COMP_CNT: 0
	.section	.text._ZN7rocprim17ROCPRIM_400000_NS6detail17trampoline_kernelINS0_14default_configENS1_20scan_config_selectorIfEEZZNS1_9scan_implILNS1_25lookback_scan_determinismE0ELb0ELb0ES3_PKfPffZZZN2at6native31launch_logcumsumexp_cuda_kernelERKNSB_10TensorBaseESF_lENKUlvE_clEvENKUlvE0_clEvEUlffE_fEEDaPvRmT3_T4_T5_mT6_P12ihipStream_tbENKUlT_T0_E_clISt17integral_constantIbLb0EESV_IbLb1EEEEDaSR_SS_EUlSR_E_NS1_11comp_targetILNS1_3genE10ELNS1_11target_archE1201ELNS1_3gpuE5ELNS1_3repE0EEENS1_30default_config_static_selectorELNS0_4arch9wavefront6targetE1EEEvT1_,"axG",@progbits,_ZN7rocprim17ROCPRIM_400000_NS6detail17trampoline_kernelINS0_14default_configENS1_20scan_config_selectorIfEEZZNS1_9scan_implILNS1_25lookback_scan_determinismE0ELb0ELb0ES3_PKfPffZZZN2at6native31launch_logcumsumexp_cuda_kernelERKNSB_10TensorBaseESF_lENKUlvE_clEvENKUlvE0_clEvEUlffE_fEEDaPvRmT3_T4_T5_mT6_P12ihipStream_tbENKUlT_T0_E_clISt17integral_constantIbLb0EESV_IbLb1EEEEDaSR_SS_EUlSR_E_NS1_11comp_targetILNS1_3genE10ELNS1_11target_archE1201ELNS1_3gpuE5ELNS1_3repE0EEENS1_30default_config_static_selectorELNS0_4arch9wavefront6targetE1EEEvT1_,comdat
	.globl	_ZN7rocprim17ROCPRIM_400000_NS6detail17trampoline_kernelINS0_14default_configENS1_20scan_config_selectorIfEEZZNS1_9scan_implILNS1_25lookback_scan_determinismE0ELb0ELb0ES3_PKfPffZZZN2at6native31launch_logcumsumexp_cuda_kernelERKNSB_10TensorBaseESF_lENKUlvE_clEvENKUlvE0_clEvEUlffE_fEEDaPvRmT3_T4_T5_mT6_P12ihipStream_tbENKUlT_T0_E_clISt17integral_constantIbLb0EESV_IbLb1EEEEDaSR_SS_EUlSR_E_NS1_11comp_targetILNS1_3genE10ELNS1_11target_archE1201ELNS1_3gpuE5ELNS1_3repE0EEENS1_30default_config_static_selectorELNS0_4arch9wavefront6targetE1EEEvT1_ ; -- Begin function _ZN7rocprim17ROCPRIM_400000_NS6detail17trampoline_kernelINS0_14default_configENS1_20scan_config_selectorIfEEZZNS1_9scan_implILNS1_25lookback_scan_determinismE0ELb0ELb0ES3_PKfPffZZZN2at6native31launch_logcumsumexp_cuda_kernelERKNSB_10TensorBaseESF_lENKUlvE_clEvENKUlvE0_clEvEUlffE_fEEDaPvRmT3_T4_T5_mT6_P12ihipStream_tbENKUlT_T0_E_clISt17integral_constantIbLb0EESV_IbLb1EEEEDaSR_SS_EUlSR_E_NS1_11comp_targetILNS1_3genE10ELNS1_11target_archE1201ELNS1_3gpuE5ELNS1_3repE0EEENS1_30default_config_static_selectorELNS0_4arch9wavefront6targetE1EEEvT1_
	.p2align	8
	.type	_ZN7rocprim17ROCPRIM_400000_NS6detail17trampoline_kernelINS0_14default_configENS1_20scan_config_selectorIfEEZZNS1_9scan_implILNS1_25lookback_scan_determinismE0ELb0ELb0ES3_PKfPffZZZN2at6native31launch_logcumsumexp_cuda_kernelERKNSB_10TensorBaseESF_lENKUlvE_clEvENKUlvE0_clEvEUlffE_fEEDaPvRmT3_T4_T5_mT6_P12ihipStream_tbENKUlT_T0_E_clISt17integral_constantIbLb0EESV_IbLb1EEEEDaSR_SS_EUlSR_E_NS1_11comp_targetILNS1_3genE10ELNS1_11target_archE1201ELNS1_3gpuE5ELNS1_3repE0EEENS1_30default_config_static_selectorELNS0_4arch9wavefront6targetE1EEEvT1_,@function
_ZN7rocprim17ROCPRIM_400000_NS6detail17trampoline_kernelINS0_14default_configENS1_20scan_config_selectorIfEEZZNS1_9scan_implILNS1_25lookback_scan_determinismE0ELb0ELb0ES3_PKfPffZZZN2at6native31launch_logcumsumexp_cuda_kernelERKNSB_10TensorBaseESF_lENKUlvE_clEvENKUlvE0_clEvEUlffE_fEEDaPvRmT3_T4_T5_mT6_P12ihipStream_tbENKUlT_T0_E_clISt17integral_constantIbLb0EESV_IbLb1EEEEDaSR_SS_EUlSR_E_NS1_11comp_targetILNS1_3genE10ELNS1_11target_archE1201ELNS1_3gpuE5ELNS1_3repE0EEENS1_30default_config_static_selectorELNS0_4arch9wavefront6targetE1EEEvT1_: ; @_ZN7rocprim17ROCPRIM_400000_NS6detail17trampoline_kernelINS0_14default_configENS1_20scan_config_selectorIfEEZZNS1_9scan_implILNS1_25lookback_scan_determinismE0ELb0ELb0ES3_PKfPffZZZN2at6native31launch_logcumsumexp_cuda_kernelERKNSB_10TensorBaseESF_lENKUlvE_clEvENKUlvE0_clEvEUlffE_fEEDaPvRmT3_T4_T5_mT6_P12ihipStream_tbENKUlT_T0_E_clISt17integral_constantIbLb0EESV_IbLb1EEEEDaSR_SS_EUlSR_E_NS1_11comp_targetILNS1_3genE10ELNS1_11target_archE1201ELNS1_3gpuE5ELNS1_3repE0EEENS1_30default_config_static_selectorELNS0_4arch9wavefront6targetE1EEEvT1_
; %bb.0:
	.section	.rodata,"a",@progbits
	.p2align	6, 0x0
	.amdhsa_kernel _ZN7rocprim17ROCPRIM_400000_NS6detail17trampoline_kernelINS0_14default_configENS1_20scan_config_selectorIfEEZZNS1_9scan_implILNS1_25lookback_scan_determinismE0ELb0ELb0ES3_PKfPffZZZN2at6native31launch_logcumsumexp_cuda_kernelERKNSB_10TensorBaseESF_lENKUlvE_clEvENKUlvE0_clEvEUlffE_fEEDaPvRmT3_T4_T5_mT6_P12ihipStream_tbENKUlT_T0_E_clISt17integral_constantIbLb0EESV_IbLb1EEEEDaSR_SS_EUlSR_E_NS1_11comp_targetILNS1_3genE10ELNS1_11target_archE1201ELNS1_3gpuE5ELNS1_3repE0EEENS1_30default_config_static_selectorELNS0_4arch9wavefront6targetE1EEEvT1_
		.amdhsa_group_segment_fixed_size 0
		.amdhsa_private_segment_fixed_size 0
		.amdhsa_kernarg_size 96
		.amdhsa_user_sgpr_count 6
		.amdhsa_user_sgpr_private_segment_buffer 1
		.amdhsa_user_sgpr_dispatch_ptr 0
		.amdhsa_user_sgpr_queue_ptr 0
		.amdhsa_user_sgpr_kernarg_segment_ptr 1
		.amdhsa_user_sgpr_dispatch_id 0
		.amdhsa_user_sgpr_flat_scratch_init 0
		.amdhsa_user_sgpr_private_segment_size 0
		.amdhsa_uses_dynamic_stack 0
		.amdhsa_system_sgpr_private_segment_wavefront_offset 0
		.amdhsa_system_sgpr_workgroup_id_x 1
		.amdhsa_system_sgpr_workgroup_id_y 0
		.amdhsa_system_sgpr_workgroup_id_z 0
		.amdhsa_system_sgpr_workgroup_info 0
		.amdhsa_system_vgpr_workitem_id 0
		.amdhsa_next_free_vgpr 1
		.amdhsa_next_free_sgpr 0
		.amdhsa_reserve_vcc 0
		.amdhsa_reserve_flat_scratch 0
		.amdhsa_float_round_mode_32 0
		.amdhsa_float_round_mode_16_64 0
		.amdhsa_float_denorm_mode_32 3
		.amdhsa_float_denorm_mode_16_64 3
		.amdhsa_dx10_clamp 1
		.amdhsa_ieee_mode 1
		.amdhsa_fp16_overflow 0
		.amdhsa_exception_fp_ieee_invalid_op 0
		.amdhsa_exception_fp_denorm_src 0
		.amdhsa_exception_fp_ieee_div_zero 0
		.amdhsa_exception_fp_ieee_overflow 0
		.amdhsa_exception_fp_ieee_underflow 0
		.amdhsa_exception_fp_ieee_inexact 0
		.amdhsa_exception_int_div_zero 0
	.end_amdhsa_kernel
	.section	.text._ZN7rocprim17ROCPRIM_400000_NS6detail17trampoline_kernelINS0_14default_configENS1_20scan_config_selectorIfEEZZNS1_9scan_implILNS1_25lookback_scan_determinismE0ELb0ELb0ES3_PKfPffZZZN2at6native31launch_logcumsumexp_cuda_kernelERKNSB_10TensorBaseESF_lENKUlvE_clEvENKUlvE0_clEvEUlffE_fEEDaPvRmT3_T4_T5_mT6_P12ihipStream_tbENKUlT_T0_E_clISt17integral_constantIbLb0EESV_IbLb1EEEEDaSR_SS_EUlSR_E_NS1_11comp_targetILNS1_3genE10ELNS1_11target_archE1201ELNS1_3gpuE5ELNS1_3repE0EEENS1_30default_config_static_selectorELNS0_4arch9wavefront6targetE1EEEvT1_,"axG",@progbits,_ZN7rocprim17ROCPRIM_400000_NS6detail17trampoline_kernelINS0_14default_configENS1_20scan_config_selectorIfEEZZNS1_9scan_implILNS1_25lookback_scan_determinismE0ELb0ELb0ES3_PKfPffZZZN2at6native31launch_logcumsumexp_cuda_kernelERKNSB_10TensorBaseESF_lENKUlvE_clEvENKUlvE0_clEvEUlffE_fEEDaPvRmT3_T4_T5_mT6_P12ihipStream_tbENKUlT_T0_E_clISt17integral_constantIbLb0EESV_IbLb1EEEEDaSR_SS_EUlSR_E_NS1_11comp_targetILNS1_3genE10ELNS1_11target_archE1201ELNS1_3gpuE5ELNS1_3repE0EEENS1_30default_config_static_selectorELNS0_4arch9wavefront6targetE1EEEvT1_,comdat
.Lfunc_end158:
	.size	_ZN7rocprim17ROCPRIM_400000_NS6detail17trampoline_kernelINS0_14default_configENS1_20scan_config_selectorIfEEZZNS1_9scan_implILNS1_25lookback_scan_determinismE0ELb0ELb0ES3_PKfPffZZZN2at6native31launch_logcumsumexp_cuda_kernelERKNSB_10TensorBaseESF_lENKUlvE_clEvENKUlvE0_clEvEUlffE_fEEDaPvRmT3_T4_T5_mT6_P12ihipStream_tbENKUlT_T0_E_clISt17integral_constantIbLb0EESV_IbLb1EEEEDaSR_SS_EUlSR_E_NS1_11comp_targetILNS1_3genE10ELNS1_11target_archE1201ELNS1_3gpuE5ELNS1_3repE0EEENS1_30default_config_static_selectorELNS0_4arch9wavefront6targetE1EEEvT1_, .Lfunc_end158-_ZN7rocprim17ROCPRIM_400000_NS6detail17trampoline_kernelINS0_14default_configENS1_20scan_config_selectorIfEEZZNS1_9scan_implILNS1_25lookback_scan_determinismE0ELb0ELb0ES3_PKfPffZZZN2at6native31launch_logcumsumexp_cuda_kernelERKNSB_10TensorBaseESF_lENKUlvE_clEvENKUlvE0_clEvEUlffE_fEEDaPvRmT3_T4_T5_mT6_P12ihipStream_tbENKUlT_T0_E_clISt17integral_constantIbLb0EESV_IbLb1EEEEDaSR_SS_EUlSR_E_NS1_11comp_targetILNS1_3genE10ELNS1_11target_archE1201ELNS1_3gpuE5ELNS1_3repE0EEENS1_30default_config_static_selectorELNS0_4arch9wavefront6targetE1EEEvT1_
                                        ; -- End function
	.set _ZN7rocprim17ROCPRIM_400000_NS6detail17trampoline_kernelINS0_14default_configENS1_20scan_config_selectorIfEEZZNS1_9scan_implILNS1_25lookback_scan_determinismE0ELb0ELb0ES3_PKfPffZZZN2at6native31launch_logcumsumexp_cuda_kernelERKNSB_10TensorBaseESF_lENKUlvE_clEvENKUlvE0_clEvEUlffE_fEEDaPvRmT3_T4_T5_mT6_P12ihipStream_tbENKUlT_T0_E_clISt17integral_constantIbLb0EESV_IbLb1EEEEDaSR_SS_EUlSR_E_NS1_11comp_targetILNS1_3genE10ELNS1_11target_archE1201ELNS1_3gpuE5ELNS1_3repE0EEENS1_30default_config_static_selectorELNS0_4arch9wavefront6targetE1EEEvT1_.num_vgpr, 0
	.set _ZN7rocprim17ROCPRIM_400000_NS6detail17trampoline_kernelINS0_14default_configENS1_20scan_config_selectorIfEEZZNS1_9scan_implILNS1_25lookback_scan_determinismE0ELb0ELb0ES3_PKfPffZZZN2at6native31launch_logcumsumexp_cuda_kernelERKNSB_10TensorBaseESF_lENKUlvE_clEvENKUlvE0_clEvEUlffE_fEEDaPvRmT3_T4_T5_mT6_P12ihipStream_tbENKUlT_T0_E_clISt17integral_constantIbLb0EESV_IbLb1EEEEDaSR_SS_EUlSR_E_NS1_11comp_targetILNS1_3genE10ELNS1_11target_archE1201ELNS1_3gpuE5ELNS1_3repE0EEENS1_30default_config_static_selectorELNS0_4arch9wavefront6targetE1EEEvT1_.num_agpr, 0
	.set _ZN7rocprim17ROCPRIM_400000_NS6detail17trampoline_kernelINS0_14default_configENS1_20scan_config_selectorIfEEZZNS1_9scan_implILNS1_25lookback_scan_determinismE0ELb0ELb0ES3_PKfPffZZZN2at6native31launch_logcumsumexp_cuda_kernelERKNSB_10TensorBaseESF_lENKUlvE_clEvENKUlvE0_clEvEUlffE_fEEDaPvRmT3_T4_T5_mT6_P12ihipStream_tbENKUlT_T0_E_clISt17integral_constantIbLb0EESV_IbLb1EEEEDaSR_SS_EUlSR_E_NS1_11comp_targetILNS1_3genE10ELNS1_11target_archE1201ELNS1_3gpuE5ELNS1_3repE0EEENS1_30default_config_static_selectorELNS0_4arch9wavefront6targetE1EEEvT1_.numbered_sgpr, 0
	.set _ZN7rocprim17ROCPRIM_400000_NS6detail17trampoline_kernelINS0_14default_configENS1_20scan_config_selectorIfEEZZNS1_9scan_implILNS1_25lookback_scan_determinismE0ELb0ELb0ES3_PKfPffZZZN2at6native31launch_logcumsumexp_cuda_kernelERKNSB_10TensorBaseESF_lENKUlvE_clEvENKUlvE0_clEvEUlffE_fEEDaPvRmT3_T4_T5_mT6_P12ihipStream_tbENKUlT_T0_E_clISt17integral_constantIbLb0EESV_IbLb1EEEEDaSR_SS_EUlSR_E_NS1_11comp_targetILNS1_3genE10ELNS1_11target_archE1201ELNS1_3gpuE5ELNS1_3repE0EEENS1_30default_config_static_selectorELNS0_4arch9wavefront6targetE1EEEvT1_.num_named_barrier, 0
	.set _ZN7rocprim17ROCPRIM_400000_NS6detail17trampoline_kernelINS0_14default_configENS1_20scan_config_selectorIfEEZZNS1_9scan_implILNS1_25lookback_scan_determinismE0ELb0ELb0ES3_PKfPffZZZN2at6native31launch_logcumsumexp_cuda_kernelERKNSB_10TensorBaseESF_lENKUlvE_clEvENKUlvE0_clEvEUlffE_fEEDaPvRmT3_T4_T5_mT6_P12ihipStream_tbENKUlT_T0_E_clISt17integral_constantIbLb0EESV_IbLb1EEEEDaSR_SS_EUlSR_E_NS1_11comp_targetILNS1_3genE10ELNS1_11target_archE1201ELNS1_3gpuE5ELNS1_3repE0EEENS1_30default_config_static_selectorELNS0_4arch9wavefront6targetE1EEEvT1_.private_seg_size, 0
	.set _ZN7rocprim17ROCPRIM_400000_NS6detail17trampoline_kernelINS0_14default_configENS1_20scan_config_selectorIfEEZZNS1_9scan_implILNS1_25lookback_scan_determinismE0ELb0ELb0ES3_PKfPffZZZN2at6native31launch_logcumsumexp_cuda_kernelERKNSB_10TensorBaseESF_lENKUlvE_clEvENKUlvE0_clEvEUlffE_fEEDaPvRmT3_T4_T5_mT6_P12ihipStream_tbENKUlT_T0_E_clISt17integral_constantIbLb0EESV_IbLb1EEEEDaSR_SS_EUlSR_E_NS1_11comp_targetILNS1_3genE10ELNS1_11target_archE1201ELNS1_3gpuE5ELNS1_3repE0EEENS1_30default_config_static_selectorELNS0_4arch9wavefront6targetE1EEEvT1_.uses_vcc, 0
	.set _ZN7rocprim17ROCPRIM_400000_NS6detail17trampoline_kernelINS0_14default_configENS1_20scan_config_selectorIfEEZZNS1_9scan_implILNS1_25lookback_scan_determinismE0ELb0ELb0ES3_PKfPffZZZN2at6native31launch_logcumsumexp_cuda_kernelERKNSB_10TensorBaseESF_lENKUlvE_clEvENKUlvE0_clEvEUlffE_fEEDaPvRmT3_T4_T5_mT6_P12ihipStream_tbENKUlT_T0_E_clISt17integral_constantIbLb0EESV_IbLb1EEEEDaSR_SS_EUlSR_E_NS1_11comp_targetILNS1_3genE10ELNS1_11target_archE1201ELNS1_3gpuE5ELNS1_3repE0EEENS1_30default_config_static_selectorELNS0_4arch9wavefront6targetE1EEEvT1_.uses_flat_scratch, 0
	.set _ZN7rocprim17ROCPRIM_400000_NS6detail17trampoline_kernelINS0_14default_configENS1_20scan_config_selectorIfEEZZNS1_9scan_implILNS1_25lookback_scan_determinismE0ELb0ELb0ES3_PKfPffZZZN2at6native31launch_logcumsumexp_cuda_kernelERKNSB_10TensorBaseESF_lENKUlvE_clEvENKUlvE0_clEvEUlffE_fEEDaPvRmT3_T4_T5_mT6_P12ihipStream_tbENKUlT_T0_E_clISt17integral_constantIbLb0EESV_IbLb1EEEEDaSR_SS_EUlSR_E_NS1_11comp_targetILNS1_3genE10ELNS1_11target_archE1201ELNS1_3gpuE5ELNS1_3repE0EEENS1_30default_config_static_selectorELNS0_4arch9wavefront6targetE1EEEvT1_.has_dyn_sized_stack, 0
	.set _ZN7rocprim17ROCPRIM_400000_NS6detail17trampoline_kernelINS0_14default_configENS1_20scan_config_selectorIfEEZZNS1_9scan_implILNS1_25lookback_scan_determinismE0ELb0ELb0ES3_PKfPffZZZN2at6native31launch_logcumsumexp_cuda_kernelERKNSB_10TensorBaseESF_lENKUlvE_clEvENKUlvE0_clEvEUlffE_fEEDaPvRmT3_T4_T5_mT6_P12ihipStream_tbENKUlT_T0_E_clISt17integral_constantIbLb0EESV_IbLb1EEEEDaSR_SS_EUlSR_E_NS1_11comp_targetILNS1_3genE10ELNS1_11target_archE1201ELNS1_3gpuE5ELNS1_3repE0EEENS1_30default_config_static_selectorELNS0_4arch9wavefront6targetE1EEEvT1_.has_recursion, 0
	.set _ZN7rocprim17ROCPRIM_400000_NS6detail17trampoline_kernelINS0_14default_configENS1_20scan_config_selectorIfEEZZNS1_9scan_implILNS1_25lookback_scan_determinismE0ELb0ELb0ES3_PKfPffZZZN2at6native31launch_logcumsumexp_cuda_kernelERKNSB_10TensorBaseESF_lENKUlvE_clEvENKUlvE0_clEvEUlffE_fEEDaPvRmT3_T4_T5_mT6_P12ihipStream_tbENKUlT_T0_E_clISt17integral_constantIbLb0EESV_IbLb1EEEEDaSR_SS_EUlSR_E_NS1_11comp_targetILNS1_3genE10ELNS1_11target_archE1201ELNS1_3gpuE5ELNS1_3repE0EEENS1_30default_config_static_selectorELNS0_4arch9wavefront6targetE1EEEvT1_.has_indirect_call, 0
	.section	.AMDGPU.csdata,"",@progbits
; Kernel info:
; codeLenInByte = 0
; TotalNumSgprs: 4
; NumVgprs: 0
; ScratchSize: 0
; MemoryBound: 0
; FloatMode: 240
; IeeeMode: 1
; LDSByteSize: 0 bytes/workgroup (compile time only)
; SGPRBlocks: 0
; VGPRBlocks: 0
; NumSGPRsForWavesPerEU: 4
; NumVGPRsForWavesPerEU: 1
; Occupancy: 10
; WaveLimiterHint : 0
; COMPUTE_PGM_RSRC2:SCRATCH_EN: 0
; COMPUTE_PGM_RSRC2:USER_SGPR: 6
; COMPUTE_PGM_RSRC2:TRAP_HANDLER: 0
; COMPUTE_PGM_RSRC2:TGID_X_EN: 1
; COMPUTE_PGM_RSRC2:TGID_Y_EN: 0
; COMPUTE_PGM_RSRC2:TGID_Z_EN: 0
; COMPUTE_PGM_RSRC2:TIDIG_COMP_CNT: 0
	.section	.text._ZN7rocprim17ROCPRIM_400000_NS6detail17trampoline_kernelINS0_14default_configENS1_20scan_config_selectorIfEEZZNS1_9scan_implILNS1_25lookback_scan_determinismE0ELb0ELb0ES3_PKfPffZZZN2at6native31launch_logcumsumexp_cuda_kernelERKNSB_10TensorBaseESF_lENKUlvE_clEvENKUlvE0_clEvEUlffE_fEEDaPvRmT3_T4_T5_mT6_P12ihipStream_tbENKUlT_T0_E_clISt17integral_constantIbLb0EESV_IbLb1EEEEDaSR_SS_EUlSR_E_NS1_11comp_targetILNS1_3genE10ELNS1_11target_archE1200ELNS1_3gpuE4ELNS1_3repE0EEENS1_30default_config_static_selectorELNS0_4arch9wavefront6targetE1EEEvT1_,"axG",@progbits,_ZN7rocprim17ROCPRIM_400000_NS6detail17trampoline_kernelINS0_14default_configENS1_20scan_config_selectorIfEEZZNS1_9scan_implILNS1_25lookback_scan_determinismE0ELb0ELb0ES3_PKfPffZZZN2at6native31launch_logcumsumexp_cuda_kernelERKNSB_10TensorBaseESF_lENKUlvE_clEvENKUlvE0_clEvEUlffE_fEEDaPvRmT3_T4_T5_mT6_P12ihipStream_tbENKUlT_T0_E_clISt17integral_constantIbLb0EESV_IbLb1EEEEDaSR_SS_EUlSR_E_NS1_11comp_targetILNS1_3genE10ELNS1_11target_archE1200ELNS1_3gpuE4ELNS1_3repE0EEENS1_30default_config_static_selectorELNS0_4arch9wavefront6targetE1EEEvT1_,comdat
	.globl	_ZN7rocprim17ROCPRIM_400000_NS6detail17trampoline_kernelINS0_14default_configENS1_20scan_config_selectorIfEEZZNS1_9scan_implILNS1_25lookback_scan_determinismE0ELb0ELb0ES3_PKfPffZZZN2at6native31launch_logcumsumexp_cuda_kernelERKNSB_10TensorBaseESF_lENKUlvE_clEvENKUlvE0_clEvEUlffE_fEEDaPvRmT3_T4_T5_mT6_P12ihipStream_tbENKUlT_T0_E_clISt17integral_constantIbLb0EESV_IbLb1EEEEDaSR_SS_EUlSR_E_NS1_11comp_targetILNS1_3genE10ELNS1_11target_archE1200ELNS1_3gpuE4ELNS1_3repE0EEENS1_30default_config_static_selectorELNS0_4arch9wavefront6targetE1EEEvT1_ ; -- Begin function _ZN7rocprim17ROCPRIM_400000_NS6detail17trampoline_kernelINS0_14default_configENS1_20scan_config_selectorIfEEZZNS1_9scan_implILNS1_25lookback_scan_determinismE0ELb0ELb0ES3_PKfPffZZZN2at6native31launch_logcumsumexp_cuda_kernelERKNSB_10TensorBaseESF_lENKUlvE_clEvENKUlvE0_clEvEUlffE_fEEDaPvRmT3_T4_T5_mT6_P12ihipStream_tbENKUlT_T0_E_clISt17integral_constantIbLb0EESV_IbLb1EEEEDaSR_SS_EUlSR_E_NS1_11comp_targetILNS1_3genE10ELNS1_11target_archE1200ELNS1_3gpuE4ELNS1_3repE0EEENS1_30default_config_static_selectorELNS0_4arch9wavefront6targetE1EEEvT1_
	.p2align	8
	.type	_ZN7rocprim17ROCPRIM_400000_NS6detail17trampoline_kernelINS0_14default_configENS1_20scan_config_selectorIfEEZZNS1_9scan_implILNS1_25lookback_scan_determinismE0ELb0ELb0ES3_PKfPffZZZN2at6native31launch_logcumsumexp_cuda_kernelERKNSB_10TensorBaseESF_lENKUlvE_clEvENKUlvE0_clEvEUlffE_fEEDaPvRmT3_T4_T5_mT6_P12ihipStream_tbENKUlT_T0_E_clISt17integral_constantIbLb0EESV_IbLb1EEEEDaSR_SS_EUlSR_E_NS1_11comp_targetILNS1_3genE10ELNS1_11target_archE1200ELNS1_3gpuE4ELNS1_3repE0EEENS1_30default_config_static_selectorELNS0_4arch9wavefront6targetE1EEEvT1_,@function
_ZN7rocprim17ROCPRIM_400000_NS6detail17trampoline_kernelINS0_14default_configENS1_20scan_config_selectorIfEEZZNS1_9scan_implILNS1_25lookback_scan_determinismE0ELb0ELb0ES3_PKfPffZZZN2at6native31launch_logcumsumexp_cuda_kernelERKNSB_10TensorBaseESF_lENKUlvE_clEvENKUlvE0_clEvEUlffE_fEEDaPvRmT3_T4_T5_mT6_P12ihipStream_tbENKUlT_T0_E_clISt17integral_constantIbLb0EESV_IbLb1EEEEDaSR_SS_EUlSR_E_NS1_11comp_targetILNS1_3genE10ELNS1_11target_archE1200ELNS1_3gpuE4ELNS1_3repE0EEENS1_30default_config_static_selectorELNS0_4arch9wavefront6targetE1EEEvT1_: ; @_ZN7rocprim17ROCPRIM_400000_NS6detail17trampoline_kernelINS0_14default_configENS1_20scan_config_selectorIfEEZZNS1_9scan_implILNS1_25lookback_scan_determinismE0ELb0ELb0ES3_PKfPffZZZN2at6native31launch_logcumsumexp_cuda_kernelERKNSB_10TensorBaseESF_lENKUlvE_clEvENKUlvE0_clEvEUlffE_fEEDaPvRmT3_T4_T5_mT6_P12ihipStream_tbENKUlT_T0_E_clISt17integral_constantIbLb0EESV_IbLb1EEEEDaSR_SS_EUlSR_E_NS1_11comp_targetILNS1_3genE10ELNS1_11target_archE1200ELNS1_3gpuE4ELNS1_3repE0EEENS1_30default_config_static_selectorELNS0_4arch9wavefront6targetE1EEEvT1_
; %bb.0:
	.section	.rodata,"a",@progbits
	.p2align	6, 0x0
	.amdhsa_kernel _ZN7rocprim17ROCPRIM_400000_NS6detail17trampoline_kernelINS0_14default_configENS1_20scan_config_selectorIfEEZZNS1_9scan_implILNS1_25lookback_scan_determinismE0ELb0ELb0ES3_PKfPffZZZN2at6native31launch_logcumsumexp_cuda_kernelERKNSB_10TensorBaseESF_lENKUlvE_clEvENKUlvE0_clEvEUlffE_fEEDaPvRmT3_T4_T5_mT6_P12ihipStream_tbENKUlT_T0_E_clISt17integral_constantIbLb0EESV_IbLb1EEEEDaSR_SS_EUlSR_E_NS1_11comp_targetILNS1_3genE10ELNS1_11target_archE1200ELNS1_3gpuE4ELNS1_3repE0EEENS1_30default_config_static_selectorELNS0_4arch9wavefront6targetE1EEEvT1_
		.amdhsa_group_segment_fixed_size 0
		.amdhsa_private_segment_fixed_size 0
		.amdhsa_kernarg_size 96
		.amdhsa_user_sgpr_count 6
		.amdhsa_user_sgpr_private_segment_buffer 1
		.amdhsa_user_sgpr_dispatch_ptr 0
		.amdhsa_user_sgpr_queue_ptr 0
		.amdhsa_user_sgpr_kernarg_segment_ptr 1
		.amdhsa_user_sgpr_dispatch_id 0
		.amdhsa_user_sgpr_flat_scratch_init 0
		.amdhsa_user_sgpr_private_segment_size 0
		.amdhsa_uses_dynamic_stack 0
		.amdhsa_system_sgpr_private_segment_wavefront_offset 0
		.amdhsa_system_sgpr_workgroup_id_x 1
		.amdhsa_system_sgpr_workgroup_id_y 0
		.amdhsa_system_sgpr_workgroup_id_z 0
		.amdhsa_system_sgpr_workgroup_info 0
		.amdhsa_system_vgpr_workitem_id 0
		.amdhsa_next_free_vgpr 1
		.amdhsa_next_free_sgpr 0
		.amdhsa_reserve_vcc 0
		.amdhsa_reserve_flat_scratch 0
		.amdhsa_float_round_mode_32 0
		.amdhsa_float_round_mode_16_64 0
		.amdhsa_float_denorm_mode_32 3
		.amdhsa_float_denorm_mode_16_64 3
		.amdhsa_dx10_clamp 1
		.amdhsa_ieee_mode 1
		.amdhsa_fp16_overflow 0
		.amdhsa_exception_fp_ieee_invalid_op 0
		.amdhsa_exception_fp_denorm_src 0
		.amdhsa_exception_fp_ieee_div_zero 0
		.amdhsa_exception_fp_ieee_overflow 0
		.amdhsa_exception_fp_ieee_underflow 0
		.amdhsa_exception_fp_ieee_inexact 0
		.amdhsa_exception_int_div_zero 0
	.end_amdhsa_kernel
	.section	.text._ZN7rocprim17ROCPRIM_400000_NS6detail17trampoline_kernelINS0_14default_configENS1_20scan_config_selectorIfEEZZNS1_9scan_implILNS1_25lookback_scan_determinismE0ELb0ELb0ES3_PKfPffZZZN2at6native31launch_logcumsumexp_cuda_kernelERKNSB_10TensorBaseESF_lENKUlvE_clEvENKUlvE0_clEvEUlffE_fEEDaPvRmT3_T4_T5_mT6_P12ihipStream_tbENKUlT_T0_E_clISt17integral_constantIbLb0EESV_IbLb1EEEEDaSR_SS_EUlSR_E_NS1_11comp_targetILNS1_3genE10ELNS1_11target_archE1200ELNS1_3gpuE4ELNS1_3repE0EEENS1_30default_config_static_selectorELNS0_4arch9wavefront6targetE1EEEvT1_,"axG",@progbits,_ZN7rocprim17ROCPRIM_400000_NS6detail17trampoline_kernelINS0_14default_configENS1_20scan_config_selectorIfEEZZNS1_9scan_implILNS1_25lookback_scan_determinismE0ELb0ELb0ES3_PKfPffZZZN2at6native31launch_logcumsumexp_cuda_kernelERKNSB_10TensorBaseESF_lENKUlvE_clEvENKUlvE0_clEvEUlffE_fEEDaPvRmT3_T4_T5_mT6_P12ihipStream_tbENKUlT_T0_E_clISt17integral_constantIbLb0EESV_IbLb1EEEEDaSR_SS_EUlSR_E_NS1_11comp_targetILNS1_3genE10ELNS1_11target_archE1200ELNS1_3gpuE4ELNS1_3repE0EEENS1_30default_config_static_selectorELNS0_4arch9wavefront6targetE1EEEvT1_,comdat
.Lfunc_end159:
	.size	_ZN7rocprim17ROCPRIM_400000_NS6detail17trampoline_kernelINS0_14default_configENS1_20scan_config_selectorIfEEZZNS1_9scan_implILNS1_25lookback_scan_determinismE0ELb0ELb0ES3_PKfPffZZZN2at6native31launch_logcumsumexp_cuda_kernelERKNSB_10TensorBaseESF_lENKUlvE_clEvENKUlvE0_clEvEUlffE_fEEDaPvRmT3_T4_T5_mT6_P12ihipStream_tbENKUlT_T0_E_clISt17integral_constantIbLb0EESV_IbLb1EEEEDaSR_SS_EUlSR_E_NS1_11comp_targetILNS1_3genE10ELNS1_11target_archE1200ELNS1_3gpuE4ELNS1_3repE0EEENS1_30default_config_static_selectorELNS0_4arch9wavefront6targetE1EEEvT1_, .Lfunc_end159-_ZN7rocprim17ROCPRIM_400000_NS6detail17trampoline_kernelINS0_14default_configENS1_20scan_config_selectorIfEEZZNS1_9scan_implILNS1_25lookback_scan_determinismE0ELb0ELb0ES3_PKfPffZZZN2at6native31launch_logcumsumexp_cuda_kernelERKNSB_10TensorBaseESF_lENKUlvE_clEvENKUlvE0_clEvEUlffE_fEEDaPvRmT3_T4_T5_mT6_P12ihipStream_tbENKUlT_T0_E_clISt17integral_constantIbLb0EESV_IbLb1EEEEDaSR_SS_EUlSR_E_NS1_11comp_targetILNS1_3genE10ELNS1_11target_archE1200ELNS1_3gpuE4ELNS1_3repE0EEENS1_30default_config_static_selectorELNS0_4arch9wavefront6targetE1EEEvT1_
                                        ; -- End function
	.set _ZN7rocprim17ROCPRIM_400000_NS6detail17trampoline_kernelINS0_14default_configENS1_20scan_config_selectorIfEEZZNS1_9scan_implILNS1_25lookback_scan_determinismE0ELb0ELb0ES3_PKfPffZZZN2at6native31launch_logcumsumexp_cuda_kernelERKNSB_10TensorBaseESF_lENKUlvE_clEvENKUlvE0_clEvEUlffE_fEEDaPvRmT3_T4_T5_mT6_P12ihipStream_tbENKUlT_T0_E_clISt17integral_constantIbLb0EESV_IbLb1EEEEDaSR_SS_EUlSR_E_NS1_11comp_targetILNS1_3genE10ELNS1_11target_archE1200ELNS1_3gpuE4ELNS1_3repE0EEENS1_30default_config_static_selectorELNS0_4arch9wavefront6targetE1EEEvT1_.num_vgpr, 0
	.set _ZN7rocprim17ROCPRIM_400000_NS6detail17trampoline_kernelINS0_14default_configENS1_20scan_config_selectorIfEEZZNS1_9scan_implILNS1_25lookback_scan_determinismE0ELb0ELb0ES3_PKfPffZZZN2at6native31launch_logcumsumexp_cuda_kernelERKNSB_10TensorBaseESF_lENKUlvE_clEvENKUlvE0_clEvEUlffE_fEEDaPvRmT3_T4_T5_mT6_P12ihipStream_tbENKUlT_T0_E_clISt17integral_constantIbLb0EESV_IbLb1EEEEDaSR_SS_EUlSR_E_NS1_11comp_targetILNS1_3genE10ELNS1_11target_archE1200ELNS1_3gpuE4ELNS1_3repE0EEENS1_30default_config_static_selectorELNS0_4arch9wavefront6targetE1EEEvT1_.num_agpr, 0
	.set _ZN7rocprim17ROCPRIM_400000_NS6detail17trampoline_kernelINS0_14default_configENS1_20scan_config_selectorIfEEZZNS1_9scan_implILNS1_25lookback_scan_determinismE0ELb0ELb0ES3_PKfPffZZZN2at6native31launch_logcumsumexp_cuda_kernelERKNSB_10TensorBaseESF_lENKUlvE_clEvENKUlvE0_clEvEUlffE_fEEDaPvRmT3_T4_T5_mT6_P12ihipStream_tbENKUlT_T0_E_clISt17integral_constantIbLb0EESV_IbLb1EEEEDaSR_SS_EUlSR_E_NS1_11comp_targetILNS1_3genE10ELNS1_11target_archE1200ELNS1_3gpuE4ELNS1_3repE0EEENS1_30default_config_static_selectorELNS0_4arch9wavefront6targetE1EEEvT1_.numbered_sgpr, 0
	.set _ZN7rocprim17ROCPRIM_400000_NS6detail17trampoline_kernelINS0_14default_configENS1_20scan_config_selectorIfEEZZNS1_9scan_implILNS1_25lookback_scan_determinismE0ELb0ELb0ES3_PKfPffZZZN2at6native31launch_logcumsumexp_cuda_kernelERKNSB_10TensorBaseESF_lENKUlvE_clEvENKUlvE0_clEvEUlffE_fEEDaPvRmT3_T4_T5_mT6_P12ihipStream_tbENKUlT_T0_E_clISt17integral_constantIbLb0EESV_IbLb1EEEEDaSR_SS_EUlSR_E_NS1_11comp_targetILNS1_3genE10ELNS1_11target_archE1200ELNS1_3gpuE4ELNS1_3repE0EEENS1_30default_config_static_selectorELNS0_4arch9wavefront6targetE1EEEvT1_.num_named_barrier, 0
	.set _ZN7rocprim17ROCPRIM_400000_NS6detail17trampoline_kernelINS0_14default_configENS1_20scan_config_selectorIfEEZZNS1_9scan_implILNS1_25lookback_scan_determinismE0ELb0ELb0ES3_PKfPffZZZN2at6native31launch_logcumsumexp_cuda_kernelERKNSB_10TensorBaseESF_lENKUlvE_clEvENKUlvE0_clEvEUlffE_fEEDaPvRmT3_T4_T5_mT6_P12ihipStream_tbENKUlT_T0_E_clISt17integral_constantIbLb0EESV_IbLb1EEEEDaSR_SS_EUlSR_E_NS1_11comp_targetILNS1_3genE10ELNS1_11target_archE1200ELNS1_3gpuE4ELNS1_3repE0EEENS1_30default_config_static_selectorELNS0_4arch9wavefront6targetE1EEEvT1_.private_seg_size, 0
	.set _ZN7rocprim17ROCPRIM_400000_NS6detail17trampoline_kernelINS0_14default_configENS1_20scan_config_selectorIfEEZZNS1_9scan_implILNS1_25lookback_scan_determinismE0ELb0ELb0ES3_PKfPffZZZN2at6native31launch_logcumsumexp_cuda_kernelERKNSB_10TensorBaseESF_lENKUlvE_clEvENKUlvE0_clEvEUlffE_fEEDaPvRmT3_T4_T5_mT6_P12ihipStream_tbENKUlT_T0_E_clISt17integral_constantIbLb0EESV_IbLb1EEEEDaSR_SS_EUlSR_E_NS1_11comp_targetILNS1_3genE10ELNS1_11target_archE1200ELNS1_3gpuE4ELNS1_3repE0EEENS1_30default_config_static_selectorELNS0_4arch9wavefront6targetE1EEEvT1_.uses_vcc, 0
	.set _ZN7rocprim17ROCPRIM_400000_NS6detail17trampoline_kernelINS0_14default_configENS1_20scan_config_selectorIfEEZZNS1_9scan_implILNS1_25lookback_scan_determinismE0ELb0ELb0ES3_PKfPffZZZN2at6native31launch_logcumsumexp_cuda_kernelERKNSB_10TensorBaseESF_lENKUlvE_clEvENKUlvE0_clEvEUlffE_fEEDaPvRmT3_T4_T5_mT6_P12ihipStream_tbENKUlT_T0_E_clISt17integral_constantIbLb0EESV_IbLb1EEEEDaSR_SS_EUlSR_E_NS1_11comp_targetILNS1_3genE10ELNS1_11target_archE1200ELNS1_3gpuE4ELNS1_3repE0EEENS1_30default_config_static_selectorELNS0_4arch9wavefront6targetE1EEEvT1_.uses_flat_scratch, 0
	.set _ZN7rocprim17ROCPRIM_400000_NS6detail17trampoline_kernelINS0_14default_configENS1_20scan_config_selectorIfEEZZNS1_9scan_implILNS1_25lookback_scan_determinismE0ELb0ELb0ES3_PKfPffZZZN2at6native31launch_logcumsumexp_cuda_kernelERKNSB_10TensorBaseESF_lENKUlvE_clEvENKUlvE0_clEvEUlffE_fEEDaPvRmT3_T4_T5_mT6_P12ihipStream_tbENKUlT_T0_E_clISt17integral_constantIbLb0EESV_IbLb1EEEEDaSR_SS_EUlSR_E_NS1_11comp_targetILNS1_3genE10ELNS1_11target_archE1200ELNS1_3gpuE4ELNS1_3repE0EEENS1_30default_config_static_selectorELNS0_4arch9wavefront6targetE1EEEvT1_.has_dyn_sized_stack, 0
	.set _ZN7rocprim17ROCPRIM_400000_NS6detail17trampoline_kernelINS0_14default_configENS1_20scan_config_selectorIfEEZZNS1_9scan_implILNS1_25lookback_scan_determinismE0ELb0ELb0ES3_PKfPffZZZN2at6native31launch_logcumsumexp_cuda_kernelERKNSB_10TensorBaseESF_lENKUlvE_clEvENKUlvE0_clEvEUlffE_fEEDaPvRmT3_T4_T5_mT6_P12ihipStream_tbENKUlT_T0_E_clISt17integral_constantIbLb0EESV_IbLb1EEEEDaSR_SS_EUlSR_E_NS1_11comp_targetILNS1_3genE10ELNS1_11target_archE1200ELNS1_3gpuE4ELNS1_3repE0EEENS1_30default_config_static_selectorELNS0_4arch9wavefront6targetE1EEEvT1_.has_recursion, 0
	.set _ZN7rocprim17ROCPRIM_400000_NS6detail17trampoline_kernelINS0_14default_configENS1_20scan_config_selectorIfEEZZNS1_9scan_implILNS1_25lookback_scan_determinismE0ELb0ELb0ES3_PKfPffZZZN2at6native31launch_logcumsumexp_cuda_kernelERKNSB_10TensorBaseESF_lENKUlvE_clEvENKUlvE0_clEvEUlffE_fEEDaPvRmT3_T4_T5_mT6_P12ihipStream_tbENKUlT_T0_E_clISt17integral_constantIbLb0EESV_IbLb1EEEEDaSR_SS_EUlSR_E_NS1_11comp_targetILNS1_3genE10ELNS1_11target_archE1200ELNS1_3gpuE4ELNS1_3repE0EEENS1_30default_config_static_selectorELNS0_4arch9wavefront6targetE1EEEvT1_.has_indirect_call, 0
	.section	.AMDGPU.csdata,"",@progbits
; Kernel info:
; codeLenInByte = 0
; TotalNumSgprs: 4
; NumVgprs: 0
; ScratchSize: 0
; MemoryBound: 0
; FloatMode: 240
; IeeeMode: 1
; LDSByteSize: 0 bytes/workgroup (compile time only)
; SGPRBlocks: 0
; VGPRBlocks: 0
; NumSGPRsForWavesPerEU: 4
; NumVGPRsForWavesPerEU: 1
; Occupancy: 10
; WaveLimiterHint : 0
; COMPUTE_PGM_RSRC2:SCRATCH_EN: 0
; COMPUTE_PGM_RSRC2:USER_SGPR: 6
; COMPUTE_PGM_RSRC2:TRAP_HANDLER: 0
; COMPUTE_PGM_RSRC2:TGID_X_EN: 1
; COMPUTE_PGM_RSRC2:TGID_Y_EN: 0
; COMPUTE_PGM_RSRC2:TGID_Z_EN: 0
; COMPUTE_PGM_RSRC2:TIDIG_COMP_CNT: 0
	.section	.text._ZN7rocprim17ROCPRIM_400000_NS6detail17trampoline_kernelINS0_14default_configENS1_20scan_config_selectorIfEEZZNS1_9scan_implILNS1_25lookback_scan_determinismE0ELb0ELb0ES3_PKfPffZZZN2at6native31launch_logcumsumexp_cuda_kernelERKNSB_10TensorBaseESF_lENKUlvE_clEvENKUlvE0_clEvEUlffE_fEEDaPvRmT3_T4_T5_mT6_P12ihipStream_tbENKUlT_T0_E_clISt17integral_constantIbLb0EESV_IbLb1EEEEDaSR_SS_EUlSR_E_NS1_11comp_targetILNS1_3genE9ELNS1_11target_archE1100ELNS1_3gpuE3ELNS1_3repE0EEENS1_30default_config_static_selectorELNS0_4arch9wavefront6targetE1EEEvT1_,"axG",@progbits,_ZN7rocprim17ROCPRIM_400000_NS6detail17trampoline_kernelINS0_14default_configENS1_20scan_config_selectorIfEEZZNS1_9scan_implILNS1_25lookback_scan_determinismE0ELb0ELb0ES3_PKfPffZZZN2at6native31launch_logcumsumexp_cuda_kernelERKNSB_10TensorBaseESF_lENKUlvE_clEvENKUlvE0_clEvEUlffE_fEEDaPvRmT3_T4_T5_mT6_P12ihipStream_tbENKUlT_T0_E_clISt17integral_constantIbLb0EESV_IbLb1EEEEDaSR_SS_EUlSR_E_NS1_11comp_targetILNS1_3genE9ELNS1_11target_archE1100ELNS1_3gpuE3ELNS1_3repE0EEENS1_30default_config_static_selectorELNS0_4arch9wavefront6targetE1EEEvT1_,comdat
	.globl	_ZN7rocprim17ROCPRIM_400000_NS6detail17trampoline_kernelINS0_14default_configENS1_20scan_config_selectorIfEEZZNS1_9scan_implILNS1_25lookback_scan_determinismE0ELb0ELb0ES3_PKfPffZZZN2at6native31launch_logcumsumexp_cuda_kernelERKNSB_10TensorBaseESF_lENKUlvE_clEvENKUlvE0_clEvEUlffE_fEEDaPvRmT3_T4_T5_mT6_P12ihipStream_tbENKUlT_T0_E_clISt17integral_constantIbLb0EESV_IbLb1EEEEDaSR_SS_EUlSR_E_NS1_11comp_targetILNS1_3genE9ELNS1_11target_archE1100ELNS1_3gpuE3ELNS1_3repE0EEENS1_30default_config_static_selectorELNS0_4arch9wavefront6targetE1EEEvT1_ ; -- Begin function _ZN7rocprim17ROCPRIM_400000_NS6detail17trampoline_kernelINS0_14default_configENS1_20scan_config_selectorIfEEZZNS1_9scan_implILNS1_25lookback_scan_determinismE0ELb0ELb0ES3_PKfPffZZZN2at6native31launch_logcumsumexp_cuda_kernelERKNSB_10TensorBaseESF_lENKUlvE_clEvENKUlvE0_clEvEUlffE_fEEDaPvRmT3_T4_T5_mT6_P12ihipStream_tbENKUlT_T0_E_clISt17integral_constantIbLb0EESV_IbLb1EEEEDaSR_SS_EUlSR_E_NS1_11comp_targetILNS1_3genE9ELNS1_11target_archE1100ELNS1_3gpuE3ELNS1_3repE0EEENS1_30default_config_static_selectorELNS0_4arch9wavefront6targetE1EEEvT1_
	.p2align	8
	.type	_ZN7rocprim17ROCPRIM_400000_NS6detail17trampoline_kernelINS0_14default_configENS1_20scan_config_selectorIfEEZZNS1_9scan_implILNS1_25lookback_scan_determinismE0ELb0ELb0ES3_PKfPffZZZN2at6native31launch_logcumsumexp_cuda_kernelERKNSB_10TensorBaseESF_lENKUlvE_clEvENKUlvE0_clEvEUlffE_fEEDaPvRmT3_T4_T5_mT6_P12ihipStream_tbENKUlT_T0_E_clISt17integral_constantIbLb0EESV_IbLb1EEEEDaSR_SS_EUlSR_E_NS1_11comp_targetILNS1_3genE9ELNS1_11target_archE1100ELNS1_3gpuE3ELNS1_3repE0EEENS1_30default_config_static_selectorELNS0_4arch9wavefront6targetE1EEEvT1_,@function
_ZN7rocprim17ROCPRIM_400000_NS6detail17trampoline_kernelINS0_14default_configENS1_20scan_config_selectorIfEEZZNS1_9scan_implILNS1_25lookback_scan_determinismE0ELb0ELb0ES3_PKfPffZZZN2at6native31launch_logcumsumexp_cuda_kernelERKNSB_10TensorBaseESF_lENKUlvE_clEvENKUlvE0_clEvEUlffE_fEEDaPvRmT3_T4_T5_mT6_P12ihipStream_tbENKUlT_T0_E_clISt17integral_constantIbLb0EESV_IbLb1EEEEDaSR_SS_EUlSR_E_NS1_11comp_targetILNS1_3genE9ELNS1_11target_archE1100ELNS1_3gpuE3ELNS1_3repE0EEENS1_30default_config_static_selectorELNS0_4arch9wavefront6targetE1EEEvT1_: ; @_ZN7rocprim17ROCPRIM_400000_NS6detail17trampoline_kernelINS0_14default_configENS1_20scan_config_selectorIfEEZZNS1_9scan_implILNS1_25lookback_scan_determinismE0ELb0ELb0ES3_PKfPffZZZN2at6native31launch_logcumsumexp_cuda_kernelERKNSB_10TensorBaseESF_lENKUlvE_clEvENKUlvE0_clEvEUlffE_fEEDaPvRmT3_T4_T5_mT6_P12ihipStream_tbENKUlT_T0_E_clISt17integral_constantIbLb0EESV_IbLb1EEEEDaSR_SS_EUlSR_E_NS1_11comp_targetILNS1_3genE9ELNS1_11target_archE1100ELNS1_3gpuE3ELNS1_3repE0EEENS1_30default_config_static_selectorELNS0_4arch9wavefront6targetE1EEEvT1_
; %bb.0:
	.section	.rodata,"a",@progbits
	.p2align	6, 0x0
	.amdhsa_kernel _ZN7rocprim17ROCPRIM_400000_NS6detail17trampoline_kernelINS0_14default_configENS1_20scan_config_selectorIfEEZZNS1_9scan_implILNS1_25lookback_scan_determinismE0ELb0ELb0ES3_PKfPffZZZN2at6native31launch_logcumsumexp_cuda_kernelERKNSB_10TensorBaseESF_lENKUlvE_clEvENKUlvE0_clEvEUlffE_fEEDaPvRmT3_T4_T5_mT6_P12ihipStream_tbENKUlT_T0_E_clISt17integral_constantIbLb0EESV_IbLb1EEEEDaSR_SS_EUlSR_E_NS1_11comp_targetILNS1_3genE9ELNS1_11target_archE1100ELNS1_3gpuE3ELNS1_3repE0EEENS1_30default_config_static_selectorELNS0_4arch9wavefront6targetE1EEEvT1_
		.amdhsa_group_segment_fixed_size 0
		.amdhsa_private_segment_fixed_size 0
		.amdhsa_kernarg_size 96
		.amdhsa_user_sgpr_count 6
		.amdhsa_user_sgpr_private_segment_buffer 1
		.amdhsa_user_sgpr_dispatch_ptr 0
		.amdhsa_user_sgpr_queue_ptr 0
		.amdhsa_user_sgpr_kernarg_segment_ptr 1
		.amdhsa_user_sgpr_dispatch_id 0
		.amdhsa_user_sgpr_flat_scratch_init 0
		.amdhsa_user_sgpr_private_segment_size 0
		.amdhsa_uses_dynamic_stack 0
		.amdhsa_system_sgpr_private_segment_wavefront_offset 0
		.amdhsa_system_sgpr_workgroup_id_x 1
		.amdhsa_system_sgpr_workgroup_id_y 0
		.amdhsa_system_sgpr_workgroup_id_z 0
		.amdhsa_system_sgpr_workgroup_info 0
		.amdhsa_system_vgpr_workitem_id 0
		.amdhsa_next_free_vgpr 1
		.amdhsa_next_free_sgpr 0
		.amdhsa_reserve_vcc 0
		.amdhsa_reserve_flat_scratch 0
		.amdhsa_float_round_mode_32 0
		.amdhsa_float_round_mode_16_64 0
		.amdhsa_float_denorm_mode_32 3
		.amdhsa_float_denorm_mode_16_64 3
		.amdhsa_dx10_clamp 1
		.amdhsa_ieee_mode 1
		.amdhsa_fp16_overflow 0
		.amdhsa_exception_fp_ieee_invalid_op 0
		.amdhsa_exception_fp_denorm_src 0
		.amdhsa_exception_fp_ieee_div_zero 0
		.amdhsa_exception_fp_ieee_overflow 0
		.amdhsa_exception_fp_ieee_underflow 0
		.amdhsa_exception_fp_ieee_inexact 0
		.amdhsa_exception_int_div_zero 0
	.end_amdhsa_kernel
	.section	.text._ZN7rocprim17ROCPRIM_400000_NS6detail17trampoline_kernelINS0_14default_configENS1_20scan_config_selectorIfEEZZNS1_9scan_implILNS1_25lookback_scan_determinismE0ELb0ELb0ES3_PKfPffZZZN2at6native31launch_logcumsumexp_cuda_kernelERKNSB_10TensorBaseESF_lENKUlvE_clEvENKUlvE0_clEvEUlffE_fEEDaPvRmT3_T4_T5_mT6_P12ihipStream_tbENKUlT_T0_E_clISt17integral_constantIbLb0EESV_IbLb1EEEEDaSR_SS_EUlSR_E_NS1_11comp_targetILNS1_3genE9ELNS1_11target_archE1100ELNS1_3gpuE3ELNS1_3repE0EEENS1_30default_config_static_selectorELNS0_4arch9wavefront6targetE1EEEvT1_,"axG",@progbits,_ZN7rocprim17ROCPRIM_400000_NS6detail17trampoline_kernelINS0_14default_configENS1_20scan_config_selectorIfEEZZNS1_9scan_implILNS1_25lookback_scan_determinismE0ELb0ELb0ES3_PKfPffZZZN2at6native31launch_logcumsumexp_cuda_kernelERKNSB_10TensorBaseESF_lENKUlvE_clEvENKUlvE0_clEvEUlffE_fEEDaPvRmT3_T4_T5_mT6_P12ihipStream_tbENKUlT_T0_E_clISt17integral_constantIbLb0EESV_IbLb1EEEEDaSR_SS_EUlSR_E_NS1_11comp_targetILNS1_3genE9ELNS1_11target_archE1100ELNS1_3gpuE3ELNS1_3repE0EEENS1_30default_config_static_selectorELNS0_4arch9wavefront6targetE1EEEvT1_,comdat
.Lfunc_end160:
	.size	_ZN7rocprim17ROCPRIM_400000_NS6detail17trampoline_kernelINS0_14default_configENS1_20scan_config_selectorIfEEZZNS1_9scan_implILNS1_25lookback_scan_determinismE0ELb0ELb0ES3_PKfPffZZZN2at6native31launch_logcumsumexp_cuda_kernelERKNSB_10TensorBaseESF_lENKUlvE_clEvENKUlvE0_clEvEUlffE_fEEDaPvRmT3_T4_T5_mT6_P12ihipStream_tbENKUlT_T0_E_clISt17integral_constantIbLb0EESV_IbLb1EEEEDaSR_SS_EUlSR_E_NS1_11comp_targetILNS1_3genE9ELNS1_11target_archE1100ELNS1_3gpuE3ELNS1_3repE0EEENS1_30default_config_static_selectorELNS0_4arch9wavefront6targetE1EEEvT1_, .Lfunc_end160-_ZN7rocprim17ROCPRIM_400000_NS6detail17trampoline_kernelINS0_14default_configENS1_20scan_config_selectorIfEEZZNS1_9scan_implILNS1_25lookback_scan_determinismE0ELb0ELb0ES3_PKfPffZZZN2at6native31launch_logcumsumexp_cuda_kernelERKNSB_10TensorBaseESF_lENKUlvE_clEvENKUlvE0_clEvEUlffE_fEEDaPvRmT3_T4_T5_mT6_P12ihipStream_tbENKUlT_T0_E_clISt17integral_constantIbLb0EESV_IbLb1EEEEDaSR_SS_EUlSR_E_NS1_11comp_targetILNS1_3genE9ELNS1_11target_archE1100ELNS1_3gpuE3ELNS1_3repE0EEENS1_30default_config_static_selectorELNS0_4arch9wavefront6targetE1EEEvT1_
                                        ; -- End function
	.set _ZN7rocprim17ROCPRIM_400000_NS6detail17trampoline_kernelINS0_14default_configENS1_20scan_config_selectorIfEEZZNS1_9scan_implILNS1_25lookback_scan_determinismE0ELb0ELb0ES3_PKfPffZZZN2at6native31launch_logcumsumexp_cuda_kernelERKNSB_10TensorBaseESF_lENKUlvE_clEvENKUlvE0_clEvEUlffE_fEEDaPvRmT3_T4_T5_mT6_P12ihipStream_tbENKUlT_T0_E_clISt17integral_constantIbLb0EESV_IbLb1EEEEDaSR_SS_EUlSR_E_NS1_11comp_targetILNS1_3genE9ELNS1_11target_archE1100ELNS1_3gpuE3ELNS1_3repE0EEENS1_30default_config_static_selectorELNS0_4arch9wavefront6targetE1EEEvT1_.num_vgpr, 0
	.set _ZN7rocprim17ROCPRIM_400000_NS6detail17trampoline_kernelINS0_14default_configENS1_20scan_config_selectorIfEEZZNS1_9scan_implILNS1_25lookback_scan_determinismE0ELb0ELb0ES3_PKfPffZZZN2at6native31launch_logcumsumexp_cuda_kernelERKNSB_10TensorBaseESF_lENKUlvE_clEvENKUlvE0_clEvEUlffE_fEEDaPvRmT3_T4_T5_mT6_P12ihipStream_tbENKUlT_T0_E_clISt17integral_constantIbLb0EESV_IbLb1EEEEDaSR_SS_EUlSR_E_NS1_11comp_targetILNS1_3genE9ELNS1_11target_archE1100ELNS1_3gpuE3ELNS1_3repE0EEENS1_30default_config_static_selectorELNS0_4arch9wavefront6targetE1EEEvT1_.num_agpr, 0
	.set _ZN7rocprim17ROCPRIM_400000_NS6detail17trampoline_kernelINS0_14default_configENS1_20scan_config_selectorIfEEZZNS1_9scan_implILNS1_25lookback_scan_determinismE0ELb0ELb0ES3_PKfPffZZZN2at6native31launch_logcumsumexp_cuda_kernelERKNSB_10TensorBaseESF_lENKUlvE_clEvENKUlvE0_clEvEUlffE_fEEDaPvRmT3_T4_T5_mT6_P12ihipStream_tbENKUlT_T0_E_clISt17integral_constantIbLb0EESV_IbLb1EEEEDaSR_SS_EUlSR_E_NS1_11comp_targetILNS1_3genE9ELNS1_11target_archE1100ELNS1_3gpuE3ELNS1_3repE0EEENS1_30default_config_static_selectorELNS0_4arch9wavefront6targetE1EEEvT1_.numbered_sgpr, 0
	.set _ZN7rocprim17ROCPRIM_400000_NS6detail17trampoline_kernelINS0_14default_configENS1_20scan_config_selectorIfEEZZNS1_9scan_implILNS1_25lookback_scan_determinismE0ELb0ELb0ES3_PKfPffZZZN2at6native31launch_logcumsumexp_cuda_kernelERKNSB_10TensorBaseESF_lENKUlvE_clEvENKUlvE0_clEvEUlffE_fEEDaPvRmT3_T4_T5_mT6_P12ihipStream_tbENKUlT_T0_E_clISt17integral_constantIbLb0EESV_IbLb1EEEEDaSR_SS_EUlSR_E_NS1_11comp_targetILNS1_3genE9ELNS1_11target_archE1100ELNS1_3gpuE3ELNS1_3repE0EEENS1_30default_config_static_selectorELNS0_4arch9wavefront6targetE1EEEvT1_.num_named_barrier, 0
	.set _ZN7rocprim17ROCPRIM_400000_NS6detail17trampoline_kernelINS0_14default_configENS1_20scan_config_selectorIfEEZZNS1_9scan_implILNS1_25lookback_scan_determinismE0ELb0ELb0ES3_PKfPffZZZN2at6native31launch_logcumsumexp_cuda_kernelERKNSB_10TensorBaseESF_lENKUlvE_clEvENKUlvE0_clEvEUlffE_fEEDaPvRmT3_T4_T5_mT6_P12ihipStream_tbENKUlT_T0_E_clISt17integral_constantIbLb0EESV_IbLb1EEEEDaSR_SS_EUlSR_E_NS1_11comp_targetILNS1_3genE9ELNS1_11target_archE1100ELNS1_3gpuE3ELNS1_3repE0EEENS1_30default_config_static_selectorELNS0_4arch9wavefront6targetE1EEEvT1_.private_seg_size, 0
	.set _ZN7rocprim17ROCPRIM_400000_NS6detail17trampoline_kernelINS0_14default_configENS1_20scan_config_selectorIfEEZZNS1_9scan_implILNS1_25lookback_scan_determinismE0ELb0ELb0ES3_PKfPffZZZN2at6native31launch_logcumsumexp_cuda_kernelERKNSB_10TensorBaseESF_lENKUlvE_clEvENKUlvE0_clEvEUlffE_fEEDaPvRmT3_T4_T5_mT6_P12ihipStream_tbENKUlT_T0_E_clISt17integral_constantIbLb0EESV_IbLb1EEEEDaSR_SS_EUlSR_E_NS1_11comp_targetILNS1_3genE9ELNS1_11target_archE1100ELNS1_3gpuE3ELNS1_3repE0EEENS1_30default_config_static_selectorELNS0_4arch9wavefront6targetE1EEEvT1_.uses_vcc, 0
	.set _ZN7rocprim17ROCPRIM_400000_NS6detail17trampoline_kernelINS0_14default_configENS1_20scan_config_selectorIfEEZZNS1_9scan_implILNS1_25lookback_scan_determinismE0ELb0ELb0ES3_PKfPffZZZN2at6native31launch_logcumsumexp_cuda_kernelERKNSB_10TensorBaseESF_lENKUlvE_clEvENKUlvE0_clEvEUlffE_fEEDaPvRmT3_T4_T5_mT6_P12ihipStream_tbENKUlT_T0_E_clISt17integral_constantIbLb0EESV_IbLb1EEEEDaSR_SS_EUlSR_E_NS1_11comp_targetILNS1_3genE9ELNS1_11target_archE1100ELNS1_3gpuE3ELNS1_3repE0EEENS1_30default_config_static_selectorELNS0_4arch9wavefront6targetE1EEEvT1_.uses_flat_scratch, 0
	.set _ZN7rocprim17ROCPRIM_400000_NS6detail17trampoline_kernelINS0_14default_configENS1_20scan_config_selectorIfEEZZNS1_9scan_implILNS1_25lookback_scan_determinismE0ELb0ELb0ES3_PKfPffZZZN2at6native31launch_logcumsumexp_cuda_kernelERKNSB_10TensorBaseESF_lENKUlvE_clEvENKUlvE0_clEvEUlffE_fEEDaPvRmT3_T4_T5_mT6_P12ihipStream_tbENKUlT_T0_E_clISt17integral_constantIbLb0EESV_IbLb1EEEEDaSR_SS_EUlSR_E_NS1_11comp_targetILNS1_3genE9ELNS1_11target_archE1100ELNS1_3gpuE3ELNS1_3repE0EEENS1_30default_config_static_selectorELNS0_4arch9wavefront6targetE1EEEvT1_.has_dyn_sized_stack, 0
	.set _ZN7rocprim17ROCPRIM_400000_NS6detail17trampoline_kernelINS0_14default_configENS1_20scan_config_selectorIfEEZZNS1_9scan_implILNS1_25lookback_scan_determinismE0ELb0ELb0ES3_PKfPffZZZN2at6native31launch_logcumsumexp_cuda_kernelERKNSB_10TensorBaseESF_lENKUlvE_clEvENKUlvE0_clEvEUlffE_fEEDaPvRmT3_T4_T5_mT6_P12ihipStream_tbENKUlT_T0_E_clISt17integral_constantIbLb0EESV_IbLb1EEEEDaSR_SS_EUlSR_E_NS1_11comp_targetILNS1_3genE9ELNS1_11target_archE1100ELNS1_3gpuE3ELNS1_3repE0EEENS1_30default_config_static_selectorELNS0_4arch9wavefront6targetE1EEEvT1_.has_recursion, 0
	.set _ZN7rocprim17ROCPRIM_400000_NS6detail17trampoline_kernelINS0_14default_configENS1_20scan_config_selectorIfEEZZNS1_9scan_implILNS1_25lookback_scan_determinismE0ELb0ELb0ES3_PKfPffZZZN2at6native31launch_logcumsumexp_cuda_kernelERKNSB_10TensorBaseESF_lENKUlvE_clEvENKUlvE0_clEvEUlffE_fEEDaPvRmT3_T4_T5_mT6_P12ihipStream_tbENKUlT_T0_E_clISt17integral_constantIbLb0EESV_IbLb1EEEEDaSR_SS_EUlSR_E_NS1_11comp_targetILNS1_3genE9ELNS1_11target_archE1100ELNS1_3gpuE3ELNS1_3repE0EEENS1_30default_config_static_selectorELNS0_4arch9wavefront6targetE1EEEvT1_.has_indirect_call, 0
	.section	.AMDGPU.csdata,"",@progbits
; Kernel info:
; codeLenInByte = 0
; TotalNumSgprs: 4
; NumVgprs: 0
; ScratchSize: 0
; MemoryBound: 0
; FloatMode: 240
; IeeeMode: 1
; LDSByteSize: 0 bytes/workgroup (compile time only)
; SGPRBlocks: 0
; VGPRBlocks: 0
; NumSGPRsForWavesPerEU: 4
; NumVGPRsForWavesPerEU: 1
; Occupancy: 10
; WaveLimiterHint : 0
; COMPUTE_PGM_RSRC2:SCRATCH_EN: 0
; COMPUTE_PGM_RSRC2:USER_SGPR: 6
; COMPUTE_PGM_RSRC2:TRAP_HANDLER: 0
; COMPUTE_PGM_RSRC2:TGID_X_EN: 1
; COMPUTE_PGM_RSRC2:TGID_Y_EN: 0
; COMPUTE_PGM_RSRC2:TGID_Z_EN: 0
; COMPUTE_PGM_RSRC2:TIDIG_COMP_CNT: 0
	.section	.text._ZN7rocprim17ROCPRIM_400000_NS6detail17trampoline_kernelINS0_14default_configENS1_20scan_config_selectorIfEEZZNS1_9scan_implILNS1_25lookback_scan_determinismE0ELb0ELb0ES3_PKfPffZZZN2at6native31launch_logcumsumexp_cuda_kernelERKNSB_10TensorBaseESF_lENKUlvE_clEvENKUlvE0_clEvEUlffE_fEEDaPvRmT3_T4_T5_mT6_P12ihipStream_tbENKUlT_T0_E_clISt17integral_constantIbLb0EESV_IbLb1EEEEDaSR_SS_EUlSR_E_NS1_11comp_targetILNS1_3genE8ELNS1_11target_archE1030ELNS1_3gpuE2ELNS1_3repE0EEENS1_30default_config_static_selectorELNS0_4arch9wavefront6targetE1EEEvT1_,"axG",@progbits,_ZN7rocprim17ROCPRIM_400000_NS6detail17trampoline_kernelINS0_14default_configENS1_20scan_config_selectorIfEEZZNS1_9scan_implILNS1_25lookback_scan_determinismE0ELb0ELb0ES3_PKfPffZZZN2at6native31launch_logcumsumexp_cuda_kernelERKNSB_10TensorBaseESF_lENKUlvE_clEvENKUlvE0_clEvEUlffE_fEEDaPvRmT3_T4_T5_mT6_P12ihipStream_tbENKUlT_T0_E_clISt17integral_constantIbLb0EESV_IbLb1EEEEDaSR_SS_EUlSR_E_NS1_11comp_targetILNS1_3genE8ELNS1_11target_archE1030ELNS1_3gpuE2ELNS1_3repE0EEENS1_30default_config_static_selectorELNS0_4arch9wavefront6targetE1EEEvT1_,comdat
	.globl	_ZN7rocprim17ROCPRIM_400000_NS6detail17trampoline_kernelINS0_14default_configENS1_20scan_config_selectorIfEEZZNS1_9scan_implILNS1_25lookback_scan_determinismE0ELb0ELb0ES3_PKfPffZZZN2at6native31launch_logcumsumexp_cuda_kernelERKNSB_10TensorBaseESF_lENKUlvE_clEvENKUlvE0_clEvEUlffE_fEEDaPvRmT3_T4_T5_mT6_P12ihipStream_tbENKUlT_T0_E_clISt17integral_constantIbLb0EESV_IbLb1EEEEDaSR_SS_EUlSR_E_NS1_11comp_targetILNS1_3genE8ELNS1_11target_archE1030ELNS1_3gpuE2ELNS1_3repE0EEENS1_30default_config_static_selectorELNS0_4arch9wavefront6targetE1EEEvT1_ ; -- Begin function _ZN7rocprim17ROCPRIM_400000_NS6detail17trampoline_kernelINS0_14default_configENS1_20scan_config_selectorIfEEZZNS1_9scan_implILNS1_25lookback_scan_determinismE0ELb0ELb0ES3_PKfPffZZZN2at6native31launch_logcumsumexp_cuda_kernelERKNSB_10TensorBaseESF_lENKUlvE_clEvENKUlvE0_clEvEUlffE_fEEDaPvRmT3_T4_T5_mT6_P12ihipStream_tbENKUlT_T0_E_clISt17integral_constantIbLb0EESV_IbLb1EEEEDaSR_SS_EUlSR_E_NS1_11comp_targetILNS1_3genE8ELNS1_11target_archE1030ELNS1_3gpuE2ELNS1_3repE0EEENS1_30default_config_static_selectorELNS0_4arch9wavefront6targetE1EEEvT1_
	.p2align	8
	.type	_ZN7rocprim17ROCPRIM_400000_NS6detail17trampoline_kernelINS0_14default_configENS1_20scan_config_selectorIfEEZZNS1_9scan_implILNS1_25lookback_scan_determinismE0ELb0ELb0ES3_PKfPffZZZN2at6native31launch_logcumsumexp_cuda_kernelERKNSB_10TensorBaseESF_lENKUlvE_clEvENKUlvE0_clEvEUlffE_fEEDaPvRmT3_T4_T5_mT6_P12ihipStream_tbENKUlT_T0_E_clISt17integral_constantIbLb0EESV_IbLb1EEEEDaSR_SS_EUlSR_E_NS1_11comp_targetILNS1_3genE8ELNS1_11target_archE1030ELNS1_3gpuE2ELNS1_3repE0EEENS1_30default_config_static_selectorELNS0_4arch9wavefront6targetE1EEEvT1_,@function
_ZN7rocprim17ROCPRIM_400000_NS6detail17trampoline_kernelINS0_14default_configENS1_20scan_config_selectorIfEEZZNS1_9scan_implILNS1_25lookback_scan_determinismE0ELb0ELb0ES3_PKfPffZZZN2at6native31launch_logcumsumexp_cuda_kernelERKNSB_10TensorBaseESF_lENKUlvE_clEvENKUlvE0_clEvEUlffE_fEEDaPvRmT3_T4_T5_mT6_P12ihipStream_tbENKUlT_T0_E_clISt17integral_constantIbLb0EESV_IbLb1EEEEDaSR_SS_EUlSR_E_NS1_11comp_targetILNS1_3genE8ELNS1_11target_archE1030ELNS1_3gpuE2ELNS1_3repE0EEENS1_30default_config_static_selectorELNS0_4arch9wavefront6targetE1EEEvT1_: ; @_ZN7rocprim17ROCPRIM_400000_NS6detail17trampoline_kernelINS0_14default_configENS1_20scan_config_selectorIfEEZZNS1_9scan_implILNS1_25lookback_scan_determinismE0ELb0ELb0ES3_PKfPffZZZN2at6native31launch_logcumsumexp_cuda_kernelERKNSB_10TensorBaseESF_lENKUlvE_clEvENKUlvE0_clEvEUlffE_fEEDaPvRmT3_T4_T5_mT6_P12ihipStream_tbENKUlT_T0_E_clISt17integral_constantIbLb0EESV_IbLb1EEEEDaSR_SS_EUlSR_E_NS1_11comp_targetILNS1_3genE8ELNS1_11target_archE1030ELNS1_3gpuE2ELNS1_3repE0EEENS1_30default_config_static_selectorELNS0_4arch9wavefront6targetE1EEEvT1_
; %bb.0:
	.section	.rodata,"a",@progbits
	.p2align	6, 0x0
	.amdhsa_kernel _ZN7rocprim17ROCPRIM_400000_NS6detail17trampoline_kernelINS0_14default_configENS1_20scan_config_selectorIfEEZZNS1_9scan_implILNS1_25lookback_scan_determinismE0ELb0ELb0ES3_PKfPffZZZN2at6native31launch_logcumsumexp_cuda_kernelERKNSB_10TensorBaseESF_lENKUlvE_clEvENKUlvE0_clEvEUlffE_fEEDaPvRmT3_T4_T5_mT6_P12ihipStream_tbENKUlT_T0_E_clISt17integral_constantIbLb0EESV_IbLb1EEEEDaSR_SS_EUlSR_E_NS1_11comp_targetILNS1_3genE8ELNS1_11target_archE1030ELNS1_3gpuE2ELNS1_3repE0EEENS1_30default_config_static_selectorELNS0_4arch9wavefront6targetE1EEEvT1_
		.amdhsa_group_segment_fixed_size 0
		.amdhsa_private_segment_fixed_size 0
		.amdhsa_kernarg_size 96
		.amdhsa_user_sgpr_count 6
		.amdhsa_user_sgpr_private_segment_buffer 1
		.amdhsa_user_sgpr_dispatch_ptr 0
		.amdhsa_user_sgpr_queue_ptr 0
		.amdhsa_user_sgpr_kernarg_segment_ptr 1
		.amdhsa_user_sgpr_dispatch_id 0
		.amdhsa_user_sgpr_flat_scratch_init 0
		.amdhsa_user_sgpr_private_segment_size 0
		.amdhsa_uses_dynamic_stack 0
		.amdhsa_system_sgpr_private_segment_wavefront_offset 0
		.amdhsa_system_sgpr_workgroup_id_x 1
		.amdhsa_system_sgpr_workgroup_id_y 0
		.amdhsa_system_sgpr_workgroup_id_z 0
		.amdhsa_system_sgpr_workgroup_info 0
		.amdhsa_system_vgpr_workitem_id 0
		.amdhsa_next_free_vgpr 1
		.amdhsa_next_free_sgpr 0
		.amdhsa_reserve_vcc 0
		.amdhsa_reserve_flat_scratch 0
		.amdhsa_float_round_mode_32 0
		.amdhsa_float_round_mode_16_64 0
		.amdhsa_float_denorm_mode_32 3
		.amdhsa_float_denorm_mode_16_64 3
		.amdhsa_dx10_clamp 1
		.amdhsa_ieee_mode 1
		.amdhsa_fp16_overflow 0
		.amdhsa_exception_fp_ieee_invalid_op 0
		.amdhsa_exception_fp_denorm_src 0
		.amdhsa_exception_fp_ieee_div_zero 0
		.amdhsa_exception_fp_ieee_overflow 0
		.amdhsa_exception_fp_ieee_underflow 0
		.amdhsa_exception_fp_ieee_inexact 0
		.amdhsa_exception_int_div_zero 0
	.end_amdhsa_kernel
	.section	.text._ZN7rocprim17ROCPRIM_400000_NS6detail17trampoline_kernelINS0_14default_configENS1_20scan_config_selectorIfEEZZNS1_9scan_implILNS1_25lookback_scan_determinismE0ELb0ELb0ES3_PKfPffZZZN2at6native31launch_logcumsumexp_cuda_kernelERKNSB_10TensorBaseESF_lENKUlvE_clEvENKUlvE0_clEvEUlffE_fEEDaPvRmT3_T4_T5_mT6_P12ihipStream_tbENKUlT_T0_E_clISt17integral_constantIbLb0EESV_IbLb1EEEEDaSR_SS_EUlSR_E_NS1_11comp_targetILNS1_3genE8ELNS1_11target_archE1030ELNS1_3gpuE2ELNS1_3repE0EEENS1_30default_config_static_selectorELNS0_4arch9wavefront6targetE1EEEvT1_,"axG",@progbits,_ZN7rocprim17ROCPRIM_400000_NS6detail17trampoline_kernelINS0_14default_configENS1_20scan_config_selectorIfEEZZNS1_9scan_implILNS1_25lookback_scan_determinismE0ELb0ELb0ES3_PKfPffZZZN2at6native31launch_logcumsumexp_cuda_kernelERKNSB_10TensorBaseESF_lENKUlvE_clEvENKUlvE0_clEvEUlffE_fEEDaPvRmT3_T4_T5_mT6_P12ihipStream_tbENKUlT_T0_E_clISt17integral_constantIbLb0EESV_IbLb1EEEEDaSR_SS_EUlSR_E_NS1_11comp_targetILNS1_3genE8ELNS1_11target_archE1030ELNS1_3gpuE2ELNS1_3repE0EEENS1_30default_config_static_selectorELNS0_4arch9wavefront6targetE1EEEvT1_,comdat
.Lfunc_end161:
	.size	_ZN7rocprim17ROCPRIM_400000_NS6detail17trampoline_kernelINS0_14default_configENS1_20scan_config_selectorIfEEZZNS1_9scan_implILNS1_25lookback_scan_determinismE0ELb0ELb0ES3_PKfPffZZZN2at6native31launch_logcumsumexp_cuda_kernelERKNSB_10TensorBaseESF_lENKUlvE_clEvENKUlvE0_clEvEUlffE_fEEDaPvRmT3_T4_T5_mT6_P12ihipStream_tbENKUlT_T0_E_clISt17integral_constantIbLb0EESV_IbLb1EEEEDaSR_SS_EUlSR_E_NS1_11comp_targetILNS1_3genE8ELNS1_11target_archE1030ELNS1_3gpuE2ELNS1_3repE0EEENS1_30default_config_static_selectorELNS0_4arch9wavefront6targetE1EEEvT1_, .Lfunc_end161-_ZN7rocprim17ROCPRIM_400000_NS6detail17trampoline_kernelINS0_14default_configENS1_20scan_config_selectorIfEEZZNS1_9scan_implILNS1_25lookback_scan_determinismE0ELb0ELb0ES3_PKfPffZZZN2at6native31launch_logcumsumexp_cuda_kernelERKNSB_10TensorBaseESF_lENKUlvE_clEvENKUlvE0_clEvEUlffE_fEEDaPvRmT3_T4_T5_mT6_P12ihipStream_tbENKUlT_T0_E_clISt17integral_constantIbLb0EESV_IbLb1EEEEDaSR_SS_EUlSR_E_NS1_11comp_targetILNS1_3genE8ELNS1_11target_archE1030ELNS1_3gpuE2ELNS1_3repE0EEENS1_30default_config_static_selectorELNS0_4arch9wavefront6targetE1EEEvT1_
                                        ; -- End function
	.set _ZN7rocprim17ROCPRIM_400000_NS6detail17trampoline_kernelINS0_14default_configENS1_20scan_config_selectorIfEEZZNS1_9scan_implILNS1_25lookback_scan_determinismE0ELb0ELb0ES3_PKfPffZZZN2at6native31launch_logcumsumexp_cuda_kernelERKNSB_10TensorBaseESF_lENKUlvE_clEvENKUlvE0_clEvEUlffE_fEEDaPvRmT3_T4_T5_mT6_P12ihipStream_tbENKUlT_T0_E_clISt17integral_constantIbLb0EESV_IbLb1EEEEDaSR_SS_EUlSR_E_NS1_11comp_targetILNS1_3genE8ELNS1_11target_archE1030ELNS1_3gpuE2ELNS1_3repE0EEENS1_30default_config_static_selectorELNS0_4arch9wavefront6targetE1EEEvT1_.num_vgpr, 0
	.set _ZN7rocprim17ROCPRIM_400000_NS6detail17trampoline_kernelINS0_14default_configENS1_20scan_config_selectorIfEEZZNS1_9scan_implILNS1_25lookback_scan_determinismE0ELb0ELb0ES3_PKfPffZZZN2at6native31launch_logcumsumexp_cuda_kernelERKNSB_10TensorBaseESF_lENKUlvE_clEvENKUlvE0_clEvEUlffE_fEEDaPvRmT3_T4_T5_mT6_P12ihipStream_tbENKUlT_T0_E_clISt17integral_constantIbLb0EESV_IbLb1EEEEDaSR_SS_EUlSR_E_NS1_11comp_targetILNS1_3genE8ELNS1_11target_archE1030ELNS1_3gpuE2ELNS1_3repE0EEENS1_30default_config_static_selectorELNS0_4arch9wavefront6targetE1EEEvT1_.num_agpr, 0
	.set _ZN7rocprim17ROCPRIM_400000_NS6detail17trampoline_kernelINS0_14default_configENS1_20scan_config_selectorIfEEZZNS1_9scan_implILNS1_25lookback_scan_determinismE0ELb0ELb0ES3_PKfPffZZZN2at6native31launch_logcumsumexp_cuda_kernelERKNSB_10TensorBaseESF_lENKUlvE_clEvENKUlvE0_clEvEUlffE_fEEDaPvRmT3_T4_T5_mT6_P12ihipStream_tbENKUlT_T0_E_clISt17integral_constantIbLb0EESV_IbLb1EEEEDaSR_SS_EUlSR_E_NS1_11comp_targetILNS1_3genE8ELNS1_11target_archE1030ELNS1_3gpuE2ELNS1_3repE0EEENS1_30default_config_static_selectorELNS0_4arch9wavefront6targetE1EEEvT1_.numbered_sgpr, 0
	.set _ZN7rocprim17ROCPRIM_400000_NS6detail17trampoline_kernelINS0_14default_configENS1_20scan_config_selectorIfEEZZNS1_9scan_implILNS1_25lookback_scan_determinismE0ELb0ELb0ES3_PKfPffZZZN2at6native31launch_logcumsumexp_cuda_kernelERKNSB_10TensorBaseESF_lENKUlvE_clEvENKUlvE0_clEvEUlffE_fEEDaPvRmT3_T4_T5_mT6_P12ihipStream_tbENKUlT_T0_E_clISt17integral_constantIbLb0EESV_IbLb1EEEEDaSR_SS_EUlSR_E_NS1_11comp_targetILNS1_3genE8ELNS1_11target_archE1030ELNS1_3gpuE2ELNS1_3repE0EEENS1_30default_config_static_selectorELNS0_4arch9wavefront6targetE1EEEvT1_.num_named_barrier, 0
	.set _ZN7rocprim17ROCPRIM_400000_NS6detail17trampoline_kernelINS0_14default_configENS1_20scan_config_selectorIfEEZZNS1_9scan_implILNS1_25lookback_scan_determinismE0ELb0ELb0ES3_PKfPffZZZN2at6native31launch_logcumsumexp_cuda_kernelERKNSB_10TensorBaseESF_lENKUlvE_clEvENKUlvE0_clEvEUlffE_fEEDaPvRmT3_T4_T5_mT6_P12ihipStream_tbENKUlT_T0_E_clISt17integral_constantIbLb0EESV_IbLb1EEEEDaSR_SS_EUlSR_E_NS1_11comp_targetILNS1_3genE8ELNS1_11target_archE1030ELNS1_3gpuE2ELNS1_3repE0EEENS1_30default_config_static_selectorELNS0_4arch9wavefront6targetE1EEEvT1_.private_seg_size, 0
	.set _ZN7rocprim17ROCPRIM_400000_NS6detail17trampoline_kernelINS0_14default_configENS1_20scan_config_selectorIfEEZZNS1_9scan_implILNS1_25lookback_scan_determinismE0ELb0ELb0ES3_PKfPffZZZN2at6native31launch_logcumsumexp_cuda_kernelERKNSB_10TensorBaseESF_lENKUlvE_clEvENKUlvE0_clEvEUlffE_fEEDaPvRmT3_T4_T5_mT6_P12ihipStream_tbENKUlT_T0_E_clISt17integral_constantIbLb0EESV_IbLb1EEEEDaSR_SS_EUlSR_E_NS1_11comp_targetILNS1_3genE8ELNS1_11target_archE1030ELNS1_3gpuE2ELNS1_3repE0EEENS1_30default_config_static_selectorELNS0_4arch9wavefront6targetE1EEEvT1_.uses_vcc, 0
	.set _ZN7rocprim17ROCPRIM_400000_NS6detail17trampoline_kernelINS0_14default_configENS1_20scan_config_selectorIfEEZZNS1_9scan_implILNS1_25lookback_scan_determinismE0ELb0ELb0ES3_PKfPffZZZN2at6native31launch_logcumsumexp_cuda_kernelERKNSB_10TensorBaseESF_lENKUlvE_clEvENKUlvE0_clEvEUlffE_fEEDaPvRmT3_T4_T5_mT6_P12ihipStream_tbENKUlT_T0_E_clISt17integral_constantIbLb0EESV_IbLb1EEEEDaSR_SS_EUlSR_E_NS1_11comp_targetILNS1_3genE8ELNS1_11target_archE1030ELNS1_3gpuE2ELNS1_3repE0EEENS1_30default_config_static_selectorELNS0_4arch9wavefront6targetE1EEEvT1_.uses_flat_scratch, 0
	.set _ZN7rocprim17ROCPRIM_400000_NS6detail17trampoline_kernelINS0_14default_configENS1_20scan_config_selectorIfEEZZNS1_9scan_implILNS1_25lookback_scan_determinismE0ELb0ELb0ES3_PKfPffZZZN2at6native31launch_logcumsumexp_cuda_kernelERKNSB_10TensorBaseESF_lENKUlvE_clEvENKUlvE0_clEvEUlffE_fEEDaPvRmT3_T4_T5_mT6_P12ihipStream_tbENKUlT_T0_E_clISt17integral_constantIbLb0EESV_IbLb1EEEEDaSR_SS_EUlSR_E_NS1_11comp_targetILNS1_3genE8ELNS1_11target_archE1030ELNS1_3gpuE2ELNS1_3repE0EEENS1_30default_config_static_selectorELNS0_4arch9wavefront6targetE1EEEvT1_.has_dyn_sized_stack, 0
	.set _ZN7rocprim17ROCPRIM_400000_NS6detail17trampoline_kernelINS0_14default_configENS1_20scan_config_selectorIfEEZZNS1_9scan_implILNS1_25lookback_scan_determinismE0ELb0ELb0ES3_PKfPffZZZN2at6native31launch_logcumsumexp_cuda_kernelERKNSB_10TensorBaseESF_lENKUlvE_clEvENKUlvE0_clEvEUlffE_fEEDaPvRmT3_T4_T5_mT6_P12ihipStream_tbENKUlT_T0_E_clISt17integral_constantIbLb0EESV_IbLb1EEEEDaSR_SS_EUlSR_E_NS1_11comp_targetILNS1_3genE8ELNS1_11target_archE1030ELNS1_3gpuE2ELNS1_3repE0EEENS1_30default_config_static_selectorELNS0_4arch9wavefront6targetE1EEEvT1_.has_recursion, 0
	.set _ZN7rocprim17ROCPRIM_400000_NS6detail17trampoline_kernelINS0_14default_configENS1_20scan_config_selectorIfEEZZNS1_9scan_implILNS1_25lookback_scan_determinismE0ELb0ELb0ES3_PKfPffZZZN2at6native31launch_logcumsumexp_cuda_kernelERKNSB_10TensorBaseESF_lENKUlvE_clEvENKUlvE0_clEvEUlffE_fEEDaPvRmT3_T4_T5_mT6_P12ihipStream_tbENKUlT_T0_E_clISt17integral_constantIbLb0EESV_IbLb1EEEEDaSR_SS_EUlSR_E_NS1_11comp_targetILNS1_3genE8ELNS1_11target_archE1030ELNS1_3gpuE2ELNS1_3repE0EEENS1_30default_config_static_selectorELNS0_4arch9wavefront6targetE1EEEvT1_.has_indirect_call, 0
	.section	.AMDGPU.csdata,"",@progbits
; Kernel info:
; codeLenInByte = 0
; TotalNumSgprs: 4
; NumVgprs: 0
; ScratchSize: 0
; MemoryBound: 0
; FloatMode: 240
; IeeeMode: 1
; LDSByteSize: 0 bytes/workgroup (compile time only)
; SGPRBlocks: 0
; VGPRBlocks: 0
; NumSGPRsForWavesPerEU: 4
; NumVGPRsForWavesPerEU: 1
; Occupancy: 10
; WaveLimiterHint : 0
; COMPUTE_PGM_RSRC2:SCRATCH_EN: 0
; COMPUTE_PGM_RSRC2:USER_SGPR: 6
; COMPUTE_PGM_RSRC2:TRAP_HANDLER: 0
; COMPUTE_PGM_RSRC2:TGID_X_EN: 1
; COMPUTE_PGM_RSRC2:TGID_Y_EN: 0
; COMPUTE_PGM_RSRC2:TGID_Z_EN: 0
; COMPUTE_PGM_RSRC2:TIDIG_COMP_CNT: 0
	.section	.text._ZN7rocprim17ROCPRIM_400000_NS6detail17trampoline_kernelINS0_14default_configENS1_20scan_config_selectorIfEEZZNS1_9scan_implILNS1_25lookback_scan_determinismE0ELb0ELb0ES3_PKfPffZZZN2at6native31launch_logcumsumexp_cuda_kernelERKNSB_10TensorBaseESF_lENKUlvE_clEvENKUlvE0_clEvEUlffE_fEEDaPvRmT3_T4_T5_mT6_P12ihipStream_tbENKUlT_T0_E_clISt17integral_constantIbLb0EESV_IbLb1EEEEDaSR_SS_EUlSR_E0_NS1_11comp_targetILNS1_3genE0ELNS1_11target_archE4294967295ELNS1_3gpuE0ELNS1_3repE0EEENS1_30default_config_static_selectorELNS0_4arch9wavefront6targetE1EEEvT1_,"axG",@progbits,_ZN7rocprim17ROCPRIM_400000_NS6detail17trampoline_kernelINS0_14default_configENS1_20scan_config_selectorIfEEZZNS1_9scan_implILNS1_25lookback_scan_determinismE0ELb0ELb0ES3_PKfPffZZZN2at6native31launch_logcumsumexp_cuda_kernelERKNSB_10TensorBaseESF_lENKUlvE_clEvENKUlvE0_clEvEUlffE_fEEDaPvRmT3_T4_T5_mT6_P12ihipStream_tbENKUlT_T0_E_clISt17integral_constantIbLb0EESV_IbLb1EEEEDaSR_SS_EUlSR_E0_NS1_11comp_targetILNS1_3genE0ELNS1_11target_archE4294967295ELNS1_3gpuE0ELNS1_3repE0EEENS1_30default_config_static_selectorELNS0_4arch9wavefront6targetE1EEEvT1_,comdat
	.globl	_ZN7rocprim17ROCPRIM_400000_NS6detail17trampoline_kernelINS0_14default_configENS1_20scan_config_selectorIfEEZZNS1_9scan_implILNS1_25lookback_scan_determinismE0ELb0ELb0ES3_PKfPffZZZN2at6native31launch_logcumsumexp_cuda_kernelERKNSB_10TensorBaseESF_lENKUlvE_clEvENKUlvE0_clEvEUlffE_fEEDaPvRmT3_T4_T5_mT6_P12ihipStream_tbENKUlT_T0_E_clISt17integral_constantIbLb0EESV_IbLb1EEEEDaSR_SS_EUlSR_E0_NS1_11comp_targetILNS1_3genE0ELNS1_11target_archE4294967295ELNS1_3gpuE0ELNS1_3repE0EEENS1_30default_config_static_selectorELNS0_4arch9wavefront6targetE1EEEvT1_ ; -- Begin function _ZN7rocprim17ROCPRIM_400000_NS6detail17trampoline_kernelINS0_14default_configENS1_20scan_config_selectorIfEEZZNS1_9scan_implILNS1_25lookback_scan_determinismE0ELb0ELb0ES3_PKfPffZZZN2at6native31launch_logcumsumexp_cuda_kernelERKNSB_10TensorBaseESF_lENKUlvE_clEvENKUlvE0_clEvEUlffE_fEEDaPvRmT3_T4_T5_mT6_P12ihipStream_tbENKUlT_T0_E_clISt17integral_constantIbLb0EESV_IbLb1EEEEDaSR_SS_EUlSR_E0_NS1_11comp_targetILNS1_3genE0ELNS1_11target_archE4294967295ELNS1_3gpuE0ELNS1_3repE0EEENS1_30default_config_static_selectorELNS0_4arch9wavefront6targetE1EEEvT1_
	.p2align	8
	.type	_ZN7rocprim17ROCPRIM_400000_NS6detail17trampoline_kernelINS0_14default_configENS1_20scan_config_selectorIfEEZZNS1_9scan_implILNS1_25lookback_scan_determinismE0ELb0ELb0ES3_PKfPffZZZN2at6native31launch_logcumsumexp_cuda_kernelERKNSB_10TensorBaseESF_lENKUlvE_clEvENKUlvE0_clEvEUlffE_fEEDaPvRmT3_T4_T5_mT6_P12ihipStream_tbENKUlT_T0_E_clISt17integral_constantIbLb0EESV_IbLb1EEEEDaSR_SS_EUlSR_E0_NS1_11comp_targetILNS1_3genE0ELNS1_11target_archE4294967295ELNS1_3gpuE0ELNS1_3repE0EEENS1_30default_config_static_selectorELNS0_4arch9wavefront6targetE1EEEvT1_,@function
_ZN7rocprim17ROCPRIM_400000_NS6detail17trampoline_kernelINS0_14default_configENS1_20scan_config_selectorIfEEZZNS1_9scan_implILNS1_25lookback_scan_determinismE0ELb0ELb0ES3_PKfPffZZZN2at6native31launch_logcumsumexp_cuda_kernelERKNSB_10TensorBaseESF_lENKUlvE_clEvENKUlvE0_clEvEUlffE_fEEDaPvRmT3_T4_T5_mT6_P12ihipStream_tbENKUlT_T0_E_clISt17integral_constantIbLb0EESV_IbLb1EEEEDaSR_SS_EUlSR_E0_NS1_11comp_targetILNS1_3genE0ELNS1_11target_archE4294967295ELNS1_3gpuE0ELNS1_3repE0EEENS1_30default_config_static_selectorELNS0_4arch9wavefront6targetE1EEEvT1_: ; @_ZN7rocprim17ROCPRIM_400000_NS6detail17trampoline_kernelINS0_14default_configENS1_20scan_config_selectorIfEEZZNS1_9scan_implILNS1_25lookback_scan_determinismE0ELb0ELb0ES3_PKfPffZZZN2at6native31launch_logcumsumexp_cuda_kernelERKNSB_10TensorBaseESF_lENKUlvE_clEvENKUlvE0_clEvEUlffE_fEEDaPvRmT3_T4_T5_mT6_P12ihipStream_tbENKUlT_T0_E_clISt17integral_constantIbLb0EESV_IbLb1EEEEDaSR_SS_EUlSR_E0_NS1_11comp_targetILNS1_3genE0ELNS1_11target_archE4294967295ELNS1_3gpuE0ELNS1_3repE0EEENS1_30default_config_static_selectorELNS0_4arch9wavefront6targetE1EEEvT1_
; %bb.0:
	.section	.rodata,"a",@progbits
	.p2align	6, 0x0
	.amdhsa_kernel _ZN7rocprim17ROCPRIM_400000_NS6detail17trampoline_kernelINS0_14default_configENS1_20scan_config_selectorIfEEZZNS1_9scan_implILNS1_25lookback_scan_determinismE0ELb0ELb0ES3_PKfPffZZZN2at6native31launch_logcumsumexp_cuda_kernelERKNSB_10TensorBaseESF_lENKUlvE_clEvENKUlvE0_clEvEUlffE_fEEDaPvRmT3_T4_T5_mT6_P12ihipStream_tbENKUlT_T0_E_clISt17integral_constantIbLb0EESV_IbLb1EEEEDaSR_SS_EUlSR_E0_NS1_11comp_targetILNS1_3genE0ELNS1_11target_archE4294967295ELNS1_3gpuE0ELNS1_3repE0EEENS1_30default_config_static_selectorELNS0_4arch9wavefront6targetE1EEEvT1_
		.amdhsa_group_segment_fixed_size 0
		.amdhsa_private_segment_fixed_size 0
		.amdhsa_kernarg_size 32
		.amdhsa_user_sgpr_count 6
		.amdhsa_user_sgpr_private_segment_buffer 1
		.amdhsa_user_sgpr_dispatch_ptr 0
		.amdhsa_user_sgpr_queue_ptr 0
		.amdhsa_user_sgpr_kernarg_segment_ptr 1
		.amdhsa_user_sgpr_dispatch_id 0
		.amdhsa_user_sgpr_flat_scratch_init 0
		.amdhsa_user_sgpr_private_segment_size 0
		.amdhsa_uses_dynamic_stack 0
		.amdhsa_system_sgpr_private_segment_wavefront_offset 0
		.amdhsa_system_sgpr_workgroup_id_x 1
		.amdhsa_system_sgpr_workgroup_id_y 0
		.amdhsa_system_sgpr_workgroup_id_z 0
		.amdhsa_system_sgpr_workgroup_info 0
		.amdhsa_system_vgpr_workitem_id 0
		.amdhsa_next_free_vgpr 1
		.amdhsa_next_free_sgpr 0
		.amdhsa_reserve_vcc 0
		.amdhsa_reserve_flat_scratch 0
		.amdhsa_float_round_mode_32 0
		.amdhsa_float_round_mode_16_64 0
		.amdhsa_float_denorm_mode_32 3
		.amdhsa_float_denorm_mode_16_64 3
		.amdhsa_dx10_clamp 1
		.amdhsa_ieee_mode 1
		.amdhsa_fp16_overflow 0
		.amdhsa_exception_fp_ieee_invalid_op 0
		.amdhsa_exception_fp_denorm_src 0
		.amdhsa_exception_fp_ieee_div_zero 0
		.amdhsa_exception_fp_ieee_overflow 0
		.amdhsa_exception_fp_ieee_underflow 0
		.amdhsa_exception_fp_ieee_inexact 0
		.amdhsa_exception_int_div_zero 0
	.end_amdhsa_kernel
	.section	.text._ZN7rocprim17ROCPRIM_400000_NS6detail17trampoline_kernelINS0_14default_configENS1_20scan_config_selectorIfEEZZNS1_9scan_implILNS1_25lookback_scan_determinismE0ELb0ELb0ES3_PKfPffZZZN2at6native31launch_logcumsumexp_cuda_kernelERKNSB_10TensorBaseESF_lENKUlvE_clEvENKUlvE0_clEvEUlffE_fEEDaPvRmT3_T4_T5_mT6_P12ihipStream_tbENKUlT_T0_E_clISt17integral_constantIbLb0EESV_IbLb1EEEEDaSR_SS_EUlSR_E0_NS1_11comp_targetILNS1_3genE0ELNS1_11target_archE4294967295ELNS1_3gpuE0ELNS1_3repE0EEENS1_30default_config_static_selectorELNS0_4arch9wavefront6targetE1EEEvT1_,"axG",@progbits,_ZN7rocprim17ROCPRIM_400000_NS6detail17trampoline_kernelINS0_14default_configENS1_20scan_config_selectorIfEEZZNS1_9scan_implILNS1_25lookback_scan_determinismE0ELb0ELb0ES3_PKfPffZZZN2at6native31launch_logcumsumexp_cuda_kernelERKNSB_10TensorBaseESF_lENKUlvE_clEvENKUlvE0_clEvEUlffE_fEEDaPvRmT3_T4_T5_mT6_P12ihipStream_tbENKUlT_T0_E_clISt17integral_constantIbLb0EESV_IbLb1EEEEDaSR_SS_EUlSR_E0_NS1_11comp_targetILNS1_3genE0ELNS1_11target_archE4294967295ELNS1_3gpuE0ELNS1_3repE0EEENS1_30default_config_static_selectorELNS0_4arch9wavefront6targetE1EEEvT1_,comdat
.Lfunc_end162:
	.size	_ZN7rocprim17ROCPRIM_400000_NS6detail17trampoline_kernelINS0_14default_configENS1_20scan_config_selectorIfEEZZNS1_9scan_implILNS1_25lookback_scan_determinismE0ELb0ELb0ES3_PKfPffZZZN2at6native31launch_logcumsumexp_cuda_kernelERKNSB_10TensorBaseESF_lENKUlvE_clEvENKUlvE0_clEvEUlffE_fEEDaPvRmT3_T4_T5_mT6_P12ihipStream_tbENKUlT_T0_E_clISt17integral_constantIbLb0EESV_IbLb1EEEEDaSR_SS_EUlSR_E0_NS1_11comp_targetILNS1_3genE0ELNS1_11target_archE4294967295ELNS1_3gpuE0ELNS1_3repE0EEENS1_30default_config_static_selectorELNS0_4arch9wavefront6targetE1EEEvT1_, .Lfunc_end162-_ZN7rocprim17ROCPRIM_400000_NS6detail17trampoline_kernelINS0_14default_configENS1_20scan_config_selectorIfEEZZNS1_9scan_implILNS1_25lookback_scan_determinismE0ELb0ELb0ES3_PKfPffZZZN2at6native31launch_logcumsumexp_cuda_kernelERKNSB_10TensorBaseESF_lENKUlvE_clEvENKUlvE0_clEvEUlffE_fEEDaPvRmT3_T4_T5_mT6_P12ihipStream_tbENKUlT_T0_E_clISt17integral_constantIbLb0EESV_IbLb1EEEEDaSR_SS_EUlSR_E0_NS1_11comp_targetILNS1_3genE0ELNS1_11target_archE4294967295ELNS1_3gpuE0ELNS1_3repE0EEENS1_30default_config_static_selectorELNS0_4arch9wavefront6targetE1EEEvT1_
                                        ; -- End function
	.set _ZN7rocprim17ROCPRIM_400000_NS6detail17trampoline_kernelINS0_14default_configENS1_20scan_config_selectorIfEEZZNS1_9scan_implILNS1_25lookback_scan_determinismE0ELb0ELb0ES3_PKfPffZZZN2at6native31launch_logcumsumexp_cuda_kernelERKNSB_10TensorBaseESF_lENKUlvE_clEvENKUlvE0_clEvEUlffE_fEEDaPvRmT3_T4_T5_mT6_P12ihipStream_tbENKUlT_T0_E_clISt17integral_constantIbLb0EESV_IbLb1EEEEDaSR_SS_EUlSR_E0_NS1_11comp_targetILNS1_3genE0ELNS1_11target_archE4294967295ELNS1_3gpuE0ELNS1_3repE0EEENS1_30default_config_static_selectorELNS0_4arch9wavefront6targetE1EEEvT1_.num_vgpr, 0
	.set _ZN7rocprim17ROCPRIM_400000_NS6detail17trampoline_kernelINS0_14default_configENS1_20scan_config_selectorIfEEZZNS1_9scan_implILNS1_25lookback_scan_determinismE0ELb0ELb0ES3_PKfPffZZZN2at6native31launch_logcumsumexp_cuda_kernelERKNSB_10TensorBaseESF_lENKUlvE_clEvENKUlvE0_clEvEUlffE_fEEDaPvRmT3_T4_T5_mT6_P12ihipStream_tbENKUlT_T0_E_clISt17integral_constantIbLb0EESV_IbLb1EEEEDaSR_SS_EUlSR_E0_NS1_11comp_targetILNS1_3genE0ELNS1_11target_archE4294967295ELNS1_3gpuE0ELNS1_3repE0EEENS1_30default_config_static_selectorELNS0_4arch9wavefront6targetE1EEEvT1_.num_agpr, 0
	.set _ZN7rocprim17ROCPRIM_400000_NS6detail17trampoline_kernelINS0_14default_configENS1_20scan_config_selectorIfEEZZNS1_9scan_implILNS1_25lookback_scan_determinismE0ELb0ELb0ES3_PKfPffZZZN2at6native31launch_logcumsumexp_cuda_kernelERKNSB_10TensorBaseESF_lENKUlvE_clEvENKUlvE0_clEvEUlffE_fEEDaPvRmT3_T4_T5_mT6_P12ihipStream_tbENKUlT_T0_E_clISt17integral_constantIbLb0EESV_IbLb1EEEEDaSR_SS_EUlSR_E0_NS1_11comp_targetILNS1_3genE0ELNS1_11target_archE4294967295ELNS1_3gpuE0ELNS1_3repE0EEENS1_30default_config_static_selectorELNS0_4arch9wavefront6targetE1EEEvT1_.numbered_sgpr, 0
	.set _ZN7rocprim17ROCPRIM_400000_NS6detail17trampoline_kernelINS0_14default_configENS1_20scan_config_selectorIfEEZZNS1_9scan_implILNS1_25lookback_scan_determinismE0ELb0ELb0ES3_PKfPffZZZN2at6native31launch_logcumsumexp_cuda_kernelERKNSB_10TensorBaseESF_lENKUlvE_clEvENKUlvE0_clEvEUlffE_fEEDaPvRmT3_T4_T5_mT6_P12ihipStream_tbENKUlT_T0_E_clISt17integral_constantIbLb0EESV_IbLb1EEEEDaSR_SS_EUlSR_E0_NS1_11comp_targetILNS1_3genE0ELNS1_11target_archE4294967295ELNS1_3gpuE0ELNS1_3repE0EEENS1_30default_config_static_selectorELNS0_4arch9wavefront6targetE1EEEvT1_.num_named_barrier, 0
	.set _ZN7rocprim17ROCPRIM_400000_NS6detail17trampoline_kernelINS0_14default_configENS1_20scan_config_selectorIfEEZZNS1_9scan_implILNS1_25lookback_scan_determinismE0ELb0ELb0ES3_PKfPffZZZN2at6native31launch_logcumsumexp_cuda_kernelERKNSB_10TensorBaseESF_lENKUlvE_clEvENKUlvE0_clEvEUlffE_fEEDaPvRmT3_T4_T5_mT6_P12ihipStream_tbENKUlT_T0_E_clISt17integral_constantIbLb0EESV_IbLb1EEEEDaSR_SS_EUlSR_E0_NS1_11comp_targetILNS1_3genE0ELNS1_11target_archE4294967295ELNS1_3gpuE0ELNS1_3repE0EEENS1_30default_config_static_selectorELNS0_4arch9wavefront6targetE1EEEvT1_.private_seg_size, 0
	.set _ZN7rocprim17ROCPRIM_400000_NS6detail17trampoline_kernelINS0_14default_configENS1_20scan_config_selectorIfEEZZNS1_9scan_implILNS1_25lookback_scan_determinismE0ELb0ELb0ES3_PKfPffZZZN2at6native31launch_logcumsumexp_cuda_kernelERKNSB_10TensorBaseESF_lENKUlvE_clEvENKUlvE0_clEvEUlffE_fEEDaPvRmT3_T4_T5_mT6_P12ihipStream_tbENKUlT_T0_E_clISt17integral_constantIbLb0EESV_IbLb1EEEEDaSR_SS_EUlSR_E0_NS1_11comp_targetILNS1_3genE0ELNS1_11target_archE4294967295ELNS1_3gpuE0ELNS1_3repE0EEENS1_30default_config_static_selectorELNS0_4arch9wavefront6targetE1EEEvT1_.uses_vcc, 0
	.set _ZN7rocprim17ROCPRIM_400000_NS6detail17trampoline_kernelINS0_14default_configENS1_20scan_config_selectorIfEEZZNS1_9scan_implILNS1_25lookback_scan_determinismE0ELb0ELb0ES3_PKfPffZZZN2at6native31launch_logcumsumexp_cuda_kernelERKNSB_10TensorBaseESF_lENKUlvE_clEvENKUlvE0_clEvEUlffE_fEEDaPvRmT3_T4_T5_mT6_P12ihipStream_tbENKUlT_T0_E_clISt17integral_constantIbLb0EESV_IbLb1EEEEDaSR_SS_EUlSR_E0_NS1_11comp_targetILNS1_3genE0ELNS1_11target_archE4294967295ELNS1_3gpuE0ELNS1_3repE0EEENS1_30default_config_static_selectorELNS0_4arch9wavefront6targetE1EEEvT1_.uses_flat_scratch, 0
	.set _ZN7rocprim17ROCPRIM_400000_NS6detail17trampoline_kernelINS0_14default_configENS1_20scan_config_selectorIfEEZZNS1_9scan_implILNS1_25lookback_scan_determinismE0ELb0ELb0ES3_PKfPffZZZN2at6native31launch_logcumsumexp_cuda_kernelERKNSB_10TensorBaseESF_lENKUlvE_clEvENKUlvE0_clEvEUlffE_fEEDaPvRmT3_T4_T5_mT6_P12ihipStream_tbENKUlT_T0_E_clISt17integral_constantIbLb0EESV_IbLb1EEEEDaSR_SS_EUlSR_E0_NS1_11comp_targetILNS1_3genE0ELNS1_11target_archE4294967295ELNS1_3gpuE0ELNS1_3repE0EEENS1_30default_config_static_selectorELNS0_4arch9wavefront6targetE1EEEvT1_.has_dyn_sized_stack, 0
	.set _ZN7rocprim17ROCPRIM_400000_NS6detail17trampoline_kernelINS0_14default_configENS1_20scan_config_selectorIfEEZZNS1_9scan_implILNS1_25lookback_scan_determinismE0ELb0ELb0ES3_PKfPffZZZN2at6native31launch_logcumsumexp_cuda_kernelERKNSB_10TensorBaseESF_lENKUlvE_clEvENKUlvE0_clEvEUlffE_fEEDaPvRmT3_T4_T5_mT6_P12ihipStream_tbENKUlT_T0_E_clISt17integral_constantIbLb0EESV_IbLb1EEEEDaSR_SS_EUlSR_E0_NS1_11comp_targetILNS1_3genE0ELNS1_11target_archE4294967295ELNS1_3gpuE0ELNS1_3repE0EEENS1_30default_config_static_selectorELNS0_4arch9wavefront6targetE1EEEvT1_.has_recursion, 0
	.set _ZN7rocprim17ROCPRIM_400000_NS6detail17trampoline_kernelINS0_14default_configENS1_20scan_config_selectorIfEEZZNS1_9scan_implILNS1_25lookback_scan_determinismE0ELb0ELb0ES3_PKfPffZZZN2at6native31launch_logcumsumexp_cuda_kernelERKNSB_10TensorBaseESF_lENKUlvE_clEvENKUlvE0_clEvEUlffE_fEEDaPvRmT3_T4_T5_mT6_P12ihipStream_tbENKUlT_T0_E_clISt17integral_constantIbLb0EESV_IbLb1EEEEDaSR_SS_EUlSR_E0_NS1_11comp_targetILNS1_3genE0ELNS1_11target_archE4294967295ELNS1_3gpuE0ELNS1_3repE0EEENS1_30default_config_static_selectorELNS0_4arch9wavefront6targetE1EEEvT1_.has_indirect_call, 0
	.section	.AMDGPU.csdata,"",@progbits
; Kernel info:
; codeLenInByte = 0
; TotalNumSgprs: 4
; NumVgprs: 0
; ScratchSize: 0
; MemoryBound: 0
; FloatMode: 240
; IeeeMode: 1
; LDSByteSize: 0 bytes/workgroup (compile time only)
; SGPRBlocks: 0
; VGPRBlocks: 0
; NumSGPRsForWavesPerEU: 4
; NumVGPRsForWavesPerEU: 1
; Occupancy: 10
; WaveLimiterHint : 0
; COMPUTE_PGM_RSRC2:SCRATCH_EN: 0
; COMPUTE_PGM_RSRC2:USER_SGPR: 6
; COMPUTE_PGM_RSRC2:TRAP_HANDLER: 0
; COMPUTE_PGM_RSRC2:TGID_X_EN: 1
; COMPUTE_PGM_RSRC2:TGID_Y_EN: 0
; COMPUTE_PGM_RSRC2:TGID_Z_EN: 0
; COMPUTE_PGM_RSRC2:TIDIG_COMP_CNT: 0
	.section	.text._ZN7rocprim17ROCPRIM_400000_NS6detail17trampoline_kernelINS0_14default_configENS1_20scan_config_selectorIfEEZZNS1_9scan_implILNS1_25lookback_scan_determinismE0ELb0ELb0ES3_PKfPffZZZN2at6native31launch_logcumsumexp_cuda_kernelERKNSB_10TensorBaseESF_lENKUlvE_clEvENKUlvE0_clEvEUlffE_fEEDaPvRmT3_T4_T5_mT6_P12ihipStream_tbENKUlT_T0_E_clISt17integral_constantIbLb0EESV_IbLb1EEEEDaSR_SS_EUlSR_E0_NS1_11comp_targetILNS1_3genE5ELNS1_11target_archE942ELNS1_3gpuE9ELNS1_3repE0EEENS1_30default_config_static_selectorELNS0_4arch9wavefront6targetE1EEEvT1_,"axG",@progbits,_ZN7rocprim17ROCPRIM_400000_NS6detail17trampoline_kernelINS0_14default_configENS1_20scan_config_selectorIfEEZZNS1_9scan_implILNS1_25lookback_scan_determinismE0ELb0ELb0ES3_PKfPffZZZN2at6native31launch_logcumsumexp_cuda_kernelERKNSB_10TensorBaseESF_lENKUlvE_clEvENKUlvE0_clEvEUlffE_fEEDaPvRmT3_T4_T5_mT6_P12ihipStream_tbENKUlT_T0_E_clISt17integral_constantIbLb0EESV_IbLb1EEEEDaSR_SS_EUlSR_E0_NS1_11comp_targetILNS1_3genE5ELNS1_11target_archE942ELNS1_3gpuE9ELNS1_3repE0EEENS1_30default_config_static_selectorELNS0_4arch9wavefront6targetE1EEEvT1_,comdat
	.globl	_ZN7rocprim17ROCPRIM_400000_NS6detail17trampoline_kernelINS0_14default_configENS1_20scan_config_selectorIfEEZZNS1_9scan_implILNS1_25lookback_scan_determinismE0ELb0ELb0ES3_PKfPffZZZN2at6native31launch_logcumsumexp_cuda_kernelERKNSB_10TensorBaseESF_lENKUlvE_clEvENKUlvE0_clEvEUlffE_fEEDaPvRmT3_T4_T5_mT6_P12ihipStream_tbENKUlT_T0_E_clISt17integral_constantIbLb0EESV_IbLb1EEEEDaSR_SS_EUlSR_E0_NS1_11comp_targetILNS1_3genE5ELNS1_11target_archE942ELNS1_3gpuE9ELNS1_3repE0EEENS1_30default_config_static_selectorELNS0_4arch9wavefront6targetE1EEEvT1_ ; -- Begin function _ZN7rocprim17ROCPRIM_400000_NS6detail17trampoline_kernelINS0_14default_configENS1_20scan_config_selectorIfEEZZNS1_9scan_implILNS1_25lookback_scan_determinismE0ELb0ELb0ES3_PKfPffZZZN2at6native31launch_logcumsumexp_cuda_kernelERKNSB_10TensorBaseESF_lENKUlvE_clEvENKUlvE0_clEvEUlffE_fEEDaPvRmT3_T4_T5_mT6_P12ihipStream_tbENKUlT_T0_E_clISt17integral_constantIbLb0EESV_IbLb1EEEEDaSR_SS_EUlSR_E0_NS1_11comp_targetILNS1_3genE5ELNS1_11target_archE942ELNS1_3gpuE9ELNS1_3repE0EEENS1_30default_config_static_selectorELNS0_4arch9wavefront6targetE1EEEvT1_
	.p2align	8
	.type	_ZN7rocprim17ROCPRIM_400000_NS6detail17trampoline_kernelINS0_14default_configENS1_20scan_config_selectorIfEEZZNS1_9scan_implILNS1_25lookback_scan_determinismE0ELb0ELb0ES3_PKfPffZZZN2at6native31launch_logcumsumexp_cuda_kernelERKNSB_10TensorBaseESF_lENKUlvE_clEvENKUlvE0_clEvEUlffE_fEEDaPvRmT3_T4_T5_mT6_P12ihipStream_tbENKUlT_T0_E_clISt17integral_constantIbLb0EESV_IbLb1EEEEDaSR_SS_EUlSR_E0_NS1_11comp_targetILNS1_3genE5ELNS1_11target_archE942ELNS1_3gpuE9ELNS1_3repE0EEENS1_30default_config_static_selectorELNS0_4arch9wavefront6targetE1EEEvT1_,@function
_ZN7rocprim17ROCPRIM_400000_NS6detail17trampoline_kernelINS0_14default_configENS1_20scan_config_selectorIfEEZZNS1_9scan_implILNS1_25lookback_scan_determinismE0ELb0ELb0ES3_PKfPffZZZN2at6native31launch_logcumsumexp_cuda_kernelERKNSB_10TensorBaseESF_lENKUlvE_clEvENKUlvE0_clEvEUlffE_fEEDaPvRmT3_T4_T5_mT6_P12ihipStream_tbENKUlT_T0_E_clISt17integral_constantIbLb0EESV_IbLb1EEEEDaSR_SS_EUlSR_E0_NS1_11comp_targetILNS1_3genE5ELNS1_11target_archE942ELNS1_3gpuE9ELNS1_3repE0EEENS1_30default_config_static_selectorELNS0_4arch9wavefront6targetE1EEEvT1_: ; @_ZN7rocprim17ROCPRIM_400000_NS6detail17trampoline_kernelINS0_14default_configENS1_20scan_config_selectorIfEEZZNS1_9scan_implILNS1_25lookback_scan_determinismE0ELb0ELb0ES3_PKfPffZZZN2at6native31launch_logcumsumexp_cuda_kernelERKNSB_10TensorBaseESF_lENKUlvE_clEvENKUlvE0_clEvEUlffE_fEEDaPvRmT3_T4_T5_mT6_P12ihipStream_tbENKUlT_T0_E_clISt17integral_constantIbLb0EESV_IbLb1EEEEDaSR_SS_EUlSR_E0_NS1_11comp_targetILNS1_3genE5ELNS1_11target_archE942ELNS1_3gpuE9ELNS1_3repE0EEENS1_30default_config_static_selectorELNS0_4arch9wavefront6targetE1EEEvT1_
; %bb.0:
	.section	.rodata,"a",@progbits
	.p2align	6, 0x0
	.amdhsa_kernel _ZN7rocprim17ROCPRIM_400000_NS6detail17trampoline_kernelINS0_14default_configENS1_20scan_config_selectorIfEEZZNS1_9scan_implILNS1_25lookback_scan_determinismE0ELb0ELb0ES3_PKfPffZZZN2at6native31launch_logcumsumexp_cuda_kernelERKNSB_10TensorBaseESF_lENKUlvE_clEvENKUlvE0_clEvEUlffE_fEEDaPvRmT3_T4_T5_mT6_P12ihipStream_tbENKUlT_T0_E_clISt17integral_constantIbLb0EESV_IbLb1EEEEDaSR_SS_EUlSR_E0_NS1_11comp_targetILNS1_3genE5ELNS1_11target_archE942ELNS1_3gpuE9ELNS1_3repE0EEENS1_30default_config_static_selectorELNS0_4arch9wavefront6targetE1EEEvT1_
		.amdhsa_group_segment_fixed_size 0
		.amdhsa_private_segment_fixed_size 0
		.amdhsa_kernarg_size 32
		.amdhsa_user_sgpr_count 6
		.amdhsa_user_sgpr_private_segment_buffer 1
		.amdhsa_user_sgpr_dispatch_ptr 0
		.amdhsa_user_sgpr_queue_ptr 0
		.amdhsa_user_sgpr_kernarg_segment_ptr 1
		.amdhsa_user_sgpr_dispatch_id 0
		.amdhsa_user_sgpr_flat_scratch_init 0
		.amdhsa_user_sgpr_private_segment_size 0
		.amdhsa_uses_dynamic_stack 0
		.amdhsa_system_sgpr_private_segment_wavefront_offset 0
		.amdhsa_system_sgpr_workgroup_id_x 1
		.amdhsa_system_sgpr_workgroup_id_y 0
		.amdhsa_system_sgpr_workgroup_id_z 0
		.amdhsa_system_sgpr_workgroup_info 0
		.amdhsa_system_vgpr_workitem_id 0
		.amdhsa_next_free_vgpr 1
		.amdhsa_next_free_sgpr 0
		.amdhsa_reserve_vcc 0
		.amdhsa_reserve_flat_scratch 0
		.amdhsa_float_round_mode_32 0
		.amdhsa_float_round_mode_16_64 0
		.amdhsa_float_denorm_mode_32 3
		.amdhsa_float_denorm_mode_16_64 3
		.amdhsa_dx10_clamp 1
		.amdhsa_ieee_mode 1
		.amdhsa_fp16_overflow 0
		.amdhsa_exception_fp_ieee_invalid_op 0
		.amdhsa_exception_fp_denorm_src 0
		.amdhsa_exception_fp_ieee_div_zero 0
		.amdhsa_exception_fp_ieee_overflow 0
		.amdhsa_exception_fp_ieee_underflow 0
		.amdhsa_exception_fp_ieee_inexact 0
		.amdhsa_exception_int_div_zero 0
	.end_amdhsa_kernel
	.section	.text._ZN7rocprim17ROCPRIM_400000_NS6detail17trampoline_kernelINS0_14default_configENS1_20scan_config_selectorIfEEZZNS1_9scan_implILNS1_25lookback_scan_determinismE0ELb0ELb0ES3_PKfPffZZZN2at6native31launch_logcumsumexp_cuda_kernelERKNSB_10TensorBaseESF_lENKUlvE_clEvENKUlvE0_clEvEUlffE_fEEDaPvRmT3_T4_T5_mT6_P12ihipStream_tbENKUlT_T0_E_clISt17integral_constantIbLb0EESV_IbLb1EEEEDaSR_SS_EUlSR_E0_NS1_11comp_targetILNS1_3genE5ELNS1_11target_archE942ELNS1_3gpuE9ELNS1_3repE0EEENS1_30default_config_static_selectorELNS0_4arch9wavefront6targetE1EEEvT1_,"axG",@progbits,_ZN7rocprim17ROCPRIM_400000_NS6detail17trampoline_kernelINS0_14default_configENS1_20scan_config_selectorIfEEZZNS1_9scan_implILNS1_25lookback_scan_determinismE0ELb0ELb0ES3_PKfPffZZZN2at6native31launch_logcumsumexp_cuda_kernelERKNSB_10TensorBaseESF_lENKUlvE_clEvENKUlvE0_clEvEUlffE_fEEDaPvRmT3_T4_T5_mT6_P12ihipStream_tbENKUlT_T0_E_clISt17integral_constantIbLb0EESV_IbLb1EEEEDaSR_SS_EUlSR_E0_NS1_11comp_targetILNS1_3genE5ELNS1_11target_archE942ELNS1_3gpuE9ELNS1_3repE0EEENS1_30default_config_static_selectorELNS0_4arch9wavefront6targetE1EEEvT1_,comdat
.Lfunc_end163:
	.size	_ZN7rocprim17ROCPRIM_400000_NS6detail17trampoline_kernelINS0_14default_configENS1_20scan_config_selectorIfEEZZNS1_9scan_implILNS1_25lookback_scan_determinismE0ELb0ELb0ES3_PKfPffZZZN2at6native31launch_logcumsumexp_cuda_kernelERKNSB_10TensorBaseESF_lENKUlvE_clEvENKUlvE0_clEvEUlffE_fEEDaPvRmT3_T4_T5_mT6_P12ihipStream_tbENKUlT_T0_E_clISt17integral_constantIbLb0EESV_IbLb1EEEEDaSR_SS_EUlSR_E0_NS1_11comp_targetILNS1_3genE5ELNS1_11target_archE942ELNS1_3gpuE9ELNS1_3repE0EEENS1_30default_config_static_selectorELNS0_4arch9wavefront6targetE1EEEvT1_, .Lfunc_end163-_ZN7rocprim17ROCPRIM_400000_NS6detail17trampoline_kernelINS0_14default_configENS1_20scan_config_selectorIfEEZZNS1_9scan_implILNS1_25lookback_scan_determinismE0ELb0ELb0ES3_PKfPffZZZN2at6native31launch_logcumsumexp_cuda_kernelERKNSB_10TensorBaseESF_lENKUlvE_clEvENKUlvE0_clEvEUlffE_fEEDaPvRmT3_T4_T5_mT6_P12ihipStream_tbENKUlT_T0_E_clISt17integral_constantIbLb0EESV_IbLb1EEEEDaSR_SS_EUlSR_E0_NS1_11comp_targetILNS1_3genE5ELNS1_11target_archE942ELNS1_3gpuE9ELNS1_3repE0EEENS1_30default_config_static_selectorELNS0_4arch9wavefront6targetE1EEEvT1_
                                        ; -- End function
	.set _ZN7rocprim17ROCPRIM_400000_NS6detail17trampoline_kernelINS0_14default_configENS1_20scan_config_selectorIfEEZZNS1_9scan_implILNS1_25lookback_scan_determinismE0ELb0ELb0ES3_PKfPffZZZN2at6native31launch_logcumsumexp_cuda_kernelERKNSB_10TensorBaseESF_lENKUlvE_clEvENKUlvE0_clEvEUlffE_fEEDaPvRmT3_T4_T5_mT6_P12ihipStream_tbENKUlT_T0_E_clISt17integral_constantIbLb0EESV_IbLb1EEEEDaSR_SS_EUlSR_E0_NS1_11comp_targetILNS1_3genE5ELNS1_11target_archE942ELNS1_3gpuE9ELNS1_3repE0EEENS1_30default_config_static_selectorELNS0_4arch9wavefront6targetE1EEEvT1_.num_vgpr, 0
	.set _ZN7rocprim17ROCPRIM_400000_NS6detail17trampoline_kernelINS0_14default_configENS1_20scan_config_selectorIfEEZZNS1_9scan_implILNS1_25lookback_scan_determinismE0ELb0ELb0ES3_PKfPffZZZN2at6native31launch_logcumsumexp_cuda_kernelERKNSB_10TensorBaseESF_lENKUlvE_clEvENKUlvE0_clEvEUlffE_fEEDaPvRmT3_T4_T5_mT6_P12ihipStream_tbENKUlT_T0_E_clISt17integral_constantIbLb0EESV_IbLb1EEEEDaSR_SS_EUlSR_E0_NS1_11comp_targetILNS1_3genE5ELNS1_11target_archE942ELNS1_3gpuE9ELNS1_3repE0EEENS1_30default_config_static_selectorELNS0_4arch9wavefront6targetE1EEEvT1_.num_agpr, 0
	.set _ZN7rocprim17ROCPRIM_400000_NS6detail17trampoline_kernelINS0_14default_configENS1_20scan_config_selectorIfEEZZNS1_9scan_implILNS1_25lookback_scan_determinismE0ELb0ELb0ES3_PKfPffZZZN2at6native31launch_logcumsumexp_cuda_kernelERKNSB_10TensorBaseESF_lENKUlvE_clEvENKUlvE0_clEvEUlffE_fEEDaPvRmT3_T4_T5_mT6_P12ihipStream_tbENKUlT_T0_E_clISt17integral_constantIbLb0EESV_IbLb1EEEEDaSR_SS_EUlSR_E0_NS1_11comp_targetILNS1_3genE5ELNS1_11target_archE942ELNS1_3gpuE9ELNS1_3repE0EEENS1_30default_config_static_selectorELNS0_4arch9wavefront6targetE1EEEvT1_.numbered_sgpr, 0
	.set _ZN7rocprim17ROCPRIM_400000_NS6detail17trampoline_kernelINS0_14default_configENS1_20scan_config_selectorIfEEZZNS1_9scan_implILNS1_25lookback_scan_determinismE0ELb0ELb0ES3_PKfPffZZZN2at6native31launch_logcumsumexp_cuda_kernelERKNSB_10TensorBaseESF_lENKUlvE_clEvENKUlvE0_clEvEUlffE_fEEDaPvRmT3_T4_T5_mT6_P12ihipStream_tbENKUlT_T0_E_clISt17integral_constantIbLb0EESV_IbLb1EEEEDaSR_SS_EUlSR_E0_NS1_11comp_targetILNS1_3genE5ELNS1_11target_archE942ELNS1_3gpuE9ELNS1_3repE0EEENS1_30default_config_static_selectorELNS0_4arch9wavefront6targetE1EEEvT1_.num_named_barrier, 0
	.set _ZN7rocprim17ROCPRIM_400000_NS6detail17trampoline_kernelINS0_14default_configENS1_20scan_config_selectorIfEEZZNS1_9scan_implILNS1_25lookback_scan_determinismE0ELb0ELb0ES3_PKfPffZZZN2at6native31launch_logcumsumexp_cuda_kernelERKNSB_10TensorBaseESF_lENKUlvE_clEvENKUlvE0_clEvEUlffE_fEEDaPvRmT3_T4_T5_mT6_P12ihipStream_tbENKUlT_T0_E_clISt17integral_constantIbLb0EESV_IbLb1EEEEDaSR_SS_EUlSR_E0_NS1_11comp_targetILNS1_3genE5ELNS1_11target_archE942ELNS1_3gpuE9ELNS1_3repE0EEENS1_30default_config_static_selectorELNS0_4arch9wavefront6targetE1EEEvT1_.private_seg_size, 0
	.set _ZN7rocprim17ROCPRIM_400000_NS6detail17trampoline_kernelINS0_14default_configENS1_20scan_config_selectorIfEEZZNS1_9scan_implILNS1_25lookback_scan_determinismE0ELb0ELb0ES3_PKfPffZZZN2at6native31launch_logcumsumexp_cuda_kernelERKNSB_10TensorBaseESF_lENKUlvE_clEvENKUlvE0_clEvEUlffE_fEEDaPvRmT3_T4_T5_mT6_P12ihipStream_tbENKUlT_T0_E_clISt17integral_constantIbLb0EESV_IbLb1EEEEDaSR_SS_EUlSR_E0_NS1_11comp_targetILNS1_3genE5ELNS1_11target_archE942ELNS1_3gpuE9ELNS1_3repE0EEENS1_30default_config_static_selectorELNS0_4arch9wavefront6targetE1EEEvT1_.uses_vcc, 0
	.set _ZN7rocprim17ROCPRIM_400000_NS6detail17trampoline_kernelINS0_14default_configENS1_20scan_config_selectorIfEEZZNS1_9scan_implILNS1_25lookback_scan_determinismE0ELb0ELb0ES3_PKfPffZZZN2at6native31launch_logcumsumexp_cuda_kernelERKNSB_10TensorBaseESF_lENKUlvE_clEvENKUlvE0_clEvEUlffE_fEEDaPvRmT3_T4_T5_mT6_P12ihipStream_tbENKUlT_T0_E_clISt17integral_constantIbLb0EESV_IbLb1EEEEDaSR_SS_EUlSR_E0_NS1_11comp_targetILNS1_3genE5ELNS1_11target_archE942ELNS1_3gpuE9ELNS1_3repE0EEENS1_30default_config_static_selectorELNS0_4arch9wavefront6targetE1EEEvT1_.uses_flat_scratch, 0
	.set _ZN7rocprim17ROCPRIM_400000_NS6detail17trampoline_kernelINS0_14default_configENS1_20scan_config_selectorIfEEZZNS1_9scan_implILNS1_25lookback_scan_determinismE0ELb0ELb0ES3_PKfPffZZZN2at6native31launch_logcumsumexp_cuda_kernelERKNSB_10TensorBaseESF_lENKUlvE_clEvENKUlvE0_clEvEUlffE_fEEDaPvRmT3_T4_T5_mT6_P12ihipStream_tbENKUlT_T0_E_clISt17integral_constantIbLb0EESV_IbLb1EEEEDaSR_SS_EUlSR_E0_NS1_11comp_targetILNS1_3genE5ELNS1_11target_archE942ELNS1_3gpuE9ELNS1_3repE0EEENS1_30default_config_static_selectorELNS0_4arch9wavefront6targetE1EEEvT1_.has_dyn_sized_stack, 0
	.set _ZN7rocprim17ROCPRIM_400000_NS6detail17trampoline_kernelINS0_14default_configENS1_20scan_config_selectorIfEEZZNS1_9scan_implILNS1_25lookback_scan_determinismE0ELb0ELb0ES3_PKfPffZZZN2at6native31launch_logcumsumexp_cuda_kernelERKNSB_10TensorBaseESF_lENKUlvE_clEvENKUlvE0_clEvEUlffE_fEEDaPvRmT3_T4_T5_mT6_P12ihipStream_tbENKUlT_T0_E_clISt17integral_constantIbLb0EESV_IbLb1EEEEDaSR_SS_EUlSR_E0_NS1_11comp_targetILNS1_3genE5ELNS1_11target_archE942ELNS1_3gpuE9ELNS1_3repE0EEENS1_30default_config_static_selectorELNS0_4arch9wavefront6targetE1EEEvT1_.has_recursion, 0
	.set _ZN7rocprim17ROCPRIM_400000_NS6detail17trampoline_kernelINS0_14default_configENS1_20scan_config_selectorIfEEZZNS1_9scan_implILNS1_25lookback_scan_determinismE0ELb0ELb0ES3_PKfPffZZZN2at6native31launch_logcumsumexp_cuda_kernelERKNSB_10TensorBaseESF_lENKUlvE_clEvENKUlvE0_clEvEUlffE_fEEDaPvRmT3_T4_T5_mT6_P12ihipStream_tbENKUlT_T0_E_clISt17integral_constantIbLb0EESV_IbLb1EEEEDaSR_SS_EUlSR_E0_NS1_11comp_targetILNS1_3genE5ELNS1_11target_archE942ELNS1_3gpuE9ELNS1_3repE0EEENS1_30default_config_static_selectorELNS0_4arch9wavefront6targetE1EEEvT1_.has_indirect_call, 0
	.section	.AMDGPU.csdata,"",@progbits
; Kernel info:
; codeLenInByte = 0
; TotalNumSgprs: 4
; NumVgprs: 0
; ScratchSize: 0
; MemoryBound: 0
; FloatMode: 240
; IeeeMode: 1
; LDSByteSize: 0 bytes/workgroup (compile time only)
; SGPRBlocks: 0
; VGPRBlocks: 0
; NumSGPRsForWavesPerEU: 4
; NumVGPRsForWavesPerEU: 1
; Occupancy: 10
; WaveLimiterHint : 0
; COMPUTE_PGM_RSRC2:SCRATCH_EN: 0
; COMPUTE_PGM_RSRC2:USER_SGPR: 6
; COMPUTE_PGM_RSRC2:TRAP_HANDLER: 0
; COMPUTE_PGM_RSRC2:TGID_X_EN: 1
; COMPUTE_PGM_RSRC2:TGID_Y_EN: 0
; COMPUTE_PGM_RSRC2:TGID_Z_EN: 0
; COMPUTE_PGM_RSRC2:TIDIG_COMP_CNT: 0
	.section	.text._ZN7rocprim17ROCPRIM_400000_NS6detail17trampoline_kernelINS0_14default_configENS1_20scan_config_selectorIfEEZZNS1_9scan_implILNS1_25lookback_scan_determinismE0ELb0ELb0ES3_PKfPffZZZN2at6native31launch_logcumsumexp_cuda_kernelERKNSB_10TensorBaseESF_lENKUlvE_clEvENKUlvE0_clEvEUlffE_fEEDaPvRmT3_T4_T5_mT6_P12ihipStream_tbENKUlT_T0_E_clISt17integral_constantIbLb0EESV_IbLb1EEEEDaSR_SS_EUlSR_E0_NS1_11comp_targetILNS1_3genE4ELNS1_11target_archE910ELNS1_3gpuE8ELNS1_3repE0EEENS1_30default_config_static_selectorELNS0_4arch9wavefront6targetE1EEEvT1_,"axG",@progbits,_ZN7rocprim17ROCPRIM_400000_NS6detail17trampoline_kernelINS0_14default_configENS1_20scan_config_selectorIfEEZZNS1_9scan_implILNS1_25lookback_scan_determinismE0ELb0ELb0ES3_PKfPffZZZN2at6native31launch_logcumsumexp_cuda_kernelERKNSB_10TensorBaseESF_lENKUlvE_clEvENKUlvE0_clEvEUlffE_fEEDaPvRmT3_T4_T5_mT6_P12ihipStream_tbENKUlT_T0_E_clISt17integral_constantIbLb0EESV_IbLb1EEEEDaSR_SS_EUlSR_E0_NS1_11comp_targetILNS1_3genE4ELNS1_11target_archE910ELNS1_3gpuE8ELNS1_3repE0EEENS1_30default_config_static_selectorELNS0_4arch9wavefront6targetE1EEEvT1_,comdat
	.globl	_ZN7rocprim17ROCPRIM_400000_NS6detail17trampoline_kernelINS0_14default_configENS1_20scan_config_selectorIfEEZZNS1_9scan_implILNS1_25lookback_scan_determinismE0ELb0ELb0ES3_PKfPffZZZN2at6native31launch_logcumsumexp_cuda_kernelERKNSB_10TensorBaseESF_lENKUlvE_clEvENKUlvE0_clEvEUlffE_fEEDaPvRmT3_T4_T5_mT6_P12ihipStream_tbENKUlT_T0_E_clISt17integral_constantIbLb0EESV_IbLb1EEEEDaSR_SS_EUlSR_E0_NS1_11comp_targetILNS1_3genE4ELNS1_11target_archE910ELNS1_3gpuE8ELNS1_3repE0EEENS1_30default_config_static_selectorELNS0_4arch9wavefront6targetE1EEEvT1_ ; -- Begin function _ZN7rocprim17ROCPRIM_400000_NS6detail17trampoline_kernelINS0_14default_configENS1_20scan_config_selectorIfEEZZNS1_9scan_implILNS1_25lookback_scan_determinismE0ELb0ELb0ES3_PKfPffZZZN2at6native31launch_logcumsumexp_cuda_kernelERKNSB_10TensorBaseESF_lENKUlvE_clEvENKUlvE0_clEvEUlffE_fEEDaPvRmT3_T4_T5_mT6_P12ihipStream_tbENKUlT_T0_E_clISt17integral_constantIbLb0EESV_IbLb1EEEEDaSR_SS_EUlSR_E0_NS1_11comp_targetILNS1_3genE4ELNS1_11target_archE910ELNS1_3gpuE8ELNS1_3repE0EEENS1_30default_config_static_selectorELNS0_4arch9wavefront6targetE1EEEvT1_
	.p2align	8
	.type	_ZN7rocprim17ROCPRIM_400000_NS6detail17trampoline_kernelINS0_14default_configENS1_20scan_config_selectorIfEEZZNS1_9scan_implILNS1_25lookback_scan_determinismE0ELb0ELb0ES3_PKfPffZZZN2at6native31launch_logcumsumexp_cuda_kernelERKNSB_10TensorBaseESF_lENKUlvE_clEvENKUlvE0_clEvEUlffE_fEEDaPvRmT3_T4_T5_mT6_P12ihipStream_tbENKUlT_T0_E_clISt17integral_constantIbLb0EESV_IbLb1EEEEDaSR_SS_EUlSR_E0_NS1_11comp_targetILNS1_3genE4ELNS1_11target_archE910ELNS1_3gpuE8ELNS1_3repE0EEENS1_30default_config_static_selectorELNS0_4arch9wavefront6targetE1EEEvT1_,@function
_ZN7rocprim17ROCPRIM_400000_NS6detail17trampoline_kernelINS0_14default_configENS1_20scan_config_selectorIfEEZZNS1_9scan_implILNS1_25lookback_scan_determinismE0ELb0ELb0ES3_PKfPffZZZN2at6native31launch_logcumsumexp_cuda_kernelERKNSB_10TensorBaseESF_lENKUlvE_clEvENKUlvE0_clEvEUlffE_fEEDaPvRmT3_T4_T5_mT6_P12ihipStream_tbENKUlT_T0_E_clISt17integral_constantIbLb0EESV_IbLb1EEEEDaSR_SS_EUlSR_E0_NS1_11comp_targetILNS1_3genE4ELNS1_11target_archE910ELNS1_3gpuE8ELNS1_3repE0EEENS1_30default_config_static_selectorELNS0_4arch9wavefront6targetE1EEEvT1_: ; @_ZN7rocprim17ROCPRIM_400000_NS6detail17trampoline_kernelINS0_14default_configENS1_20scan_config_selectorIfEEZZNS1_9scan_implILNS1_25lookback_scan_determinismE0ELb0ELb0ES3_PKfPffZZZN2at6native31launch_logcumsumexp_cuda_kernelERKNSB_10TensorBaseESF_lENKUlvE_clEvENKUlvE0_clEvEUlffE_fEEDaPvRmT3_T4_T5_mT6_P12ihipStream_tbENKUlT_T0_E_clISt17integral_constantIbLb0EESV_IbLb1EEEEDaSR_SS_EUlSR_E0_NS1_11comp_targetILNS1_3genE4ELNS1_11target_archE910ELNS1_3gpuE8ELNS1_3repE0EEENS1_30default_config_static_selectorELNS0_4arch9wavefront6targetE1EEEvT1_
; %bb.0:
	.section	.rodata,"a",@progbits
	.p2align	6, 0x0
	.amdhsa_kernel _ZN7rocprim17ROCPRIM_400000_NS6detail17trampoline_kernelINS0_14default_configENS1_20scan_config_selectorIfEEZZNS1_9scan_implILNS1_25lookback_scan_determinismE0ELb0ELb0ES3_PKfPffZZZN2at6native31launch_logcumsumexp_cuda_kernelERKNSB_10TensorBaseESF_lENKUlvE_clEvENKUlvE0_clEvEUlffE_fEEDaPvRmT3_T4_T5_mT6_P12ihipStream_tbENKUlT_T0_E_clISt17integral_constantIbLb0EESV_IbLb1EEEEDaSR_SS_EUlSR_E0_NS1_11comp_targetILNS1_3genE4ELNS1_11target_archE910ELNS1_3gpuE8ELNS1_3repE0EEENS1_30default_config_static_selectorELNS0_4arch9wavefront6targetE1EEEvT1_
		.amdhsa_group_segment_fixed_size 0
		.amdhsa_private_segment_fixed_size 0
		.amdhsa_kernarg_size 32
		.amdhsa_user_sgpr_count 6
		.amdhsa_user_sgpr_private_segment_buffer 1
		.amdhsa_user_sgpr_dispatch_ptr 0
		.amdhsa_user_sgpr_queue_ptr 0
		.amdhsa_user_sgpr_kernarg_segment_ptr 1
		.amdhsa_user_sgpr_dispatch_id 0
		.amdhsa_user_sgpr_flat_scratch_init 0
		.amdhsa_user_sgpr_private_segment_size 0
		.amdhsa_uses_dynamic_stack 0
		.amdhsa_system_sgpr_private_segment_wavefront_offset 0
		.amdhsa_system_sgpr_workgroup_id_x 1
		.amdhsa_system_sgpr_workgroup_id_y 0
		.amdhsa_system_sgpr_workgroup_id_z 0
		.amdhsa_system_sgpr_workgroup_info 0
		.amdhsa_system_vgpr_workitem_id 0
		.amdhsa_next_free_vgpr 1
		.amdhsa_next_free_sgpr 0
		.amdhsa_reserve_vcc 0
		.amdhsa_reserve_flat_scratch 0
		.amdhsa_float_round_mode_32 0
		.amdhsa_float_round_mode_16_64 0
		.amdhsa_float_denorm_mode_32 3
		.amdhsa_float_denorm_mode_16_64 3
		.amdhsa_dx10_clamp 1
		.amdhsa_ieee_mode 1
		.amdhsa_fp16_overflow 0
		.amdhsa_exception_fp_ieee_invalid_op 0
		.amdhsa_exception_fp_denorm_src 0
		.amdhsa_exception_fp_ieee_div_zero 0
		.amdhsa_exception_fp_ieee_overflow 0
		.amdhsa_exception_fp_ieee_underflow 0
		.amdhsa_exception_fp_ieee_inexact 0
		.amdhsa_exception_int_div_zero 0
	.end_amdhsa_kernel
	.section	.text._ZN7rocprim17ROCPRIM_400000_NS6detail17trampoline_kernelINS0_14default_configENS1_20scan_config_selectorIfEEZZNS1_9scan_implILNS1_25lookback_scan_determinismE0ELb0ELb0ES3_PKfPffZZZN2at6native31launch_logcumsumexp_cuda_kernelERKNSB_10TensorBaseESF_lENKUlvE_clEvENKUlvE0_clEvEUlffE_fEEDaPvRmT3_T4_T5_mT6_P12ihipStream_tbENKUlT_T0_E_clISt17integral_constantIbLb0EESV_IbLb1EEEEDaSR_SS_EUlSR_E0_NS1_11comp_targetILNS1_3genE4ELNS1_11target_archE910ELNS1_3gpuE8ELNS1_3repE0EEENS1_30default_config_static_selectorELNS0_4arch9wavefront6targetE1EEEvT1_,"axG",@progbits,_ZN7rocprim17ROCPRIM_400000_NS6detail17trampoline_kernelINS0_14default_configENS1_20scan_config_selectorIfEEZZNS1_9scan_implILNS1_25lookback_scan_determinismE0ELb0ELb0ES3_PKfPffZZZN2at6native31launch_logcumsumexp_cuda_kernelERKNSB_10TensorBaseESF_lENKUlvE_clEvENKUlvE0_clEvEUlffE_fEEDaPvRmT3_T4_T5_mT6_P12ihipStream_tbENKUlT_T0_E_clISt17integral_constantIbLb0EESV_IbLb1EEEEDaSR_SS_EUlSR_E0_NS1_11comp_targetILNS1_3genE4ELNS1_11target_archE910ELNS1_3gpuE8ELNS1_3repE0EEENS1_30default_config_static_selectorELNS0_4arch9wavefront6targetE1EEEvT1_,comdat
.Lfunc_end164:
	.size	_ZN7rocprim17ROCPRIM_400000_NS6detail17trampoline_kernelINS0_14default_configENS1_20scan_config_selectorIfEEZZNS1_9scan_implILNS1_25lookback_scan_determinismE0ELb0ELb0ES3_PKfPffZZZN2at6native31launch_logcumsumexp_cuda_kernelERKNSB_10TensorBaseESF_lENKUlvE_clEvENKUlvE0_clEvEUlffE_fEEDaPvRmT3_T4_T5_mT6_P12ihipStream_tbENKUlT_T0_E_clISt17integral_constantIbLb0EESV_IbLb1EEEEDaSR_SS_EUlSR_E0_NS1_11comp_targetILNS1_3genE4ELNS1_11target_archE910ELNS1_3gpuE8ELNS1_3repE0EEENS1_30default_config_static_selectorELNS0_4arch9wavefront6targetE1EEEvT1_, .Lfunc_end164-_ZN7rocprim17ROCPRIM_400000_NS6detail17trampoline_kernelINS0_14default_configENS1_20scan_config_selectorIfEEZZNS1_9scan_implILNS1_25lookback_scan_determinismE0ELb0ELb0ES3_PKfPffZZZN2at6native31launch_logcumsumexp_cuda_kernelERKNSB_10TensorBaseESF_lENKUlvE_clEvENKUlvE0_clEvEUlffE_fEEDaPvRmT3_T4_T5_mT6_P12ihipStream_tbENKUlT_T0_E_clISt17integral_constantIbLb0EESV_IbLb1EEEEDaSR_SS_EUlSR_E0_NS1_11comp_targetILNS1_3genE4ELNS1_11target_archE910ELNS1_3gpuE8ELNS1_3repE0EEENS1_30default_config_static_selectorELNS0_4arch9wavefront6targetE1EEEvT1_
                                        ; -- End function
	.set _ZN7rocprim17ROCPRIM_400000_NS6detail17trampoline_kernelINS0_14default_configENS1_20scan_config_selectorIfEEZZNS1_9scan_implILNS1_25lookback_scan_determinismE0ELb0ELb0ES3_PKfPffZZZN2at6native31launch_logcumsumexp_cuda_kernelERKNSB_10TensorBaseESF_lENKUlvE_clEvENKUlvE0_clEvEUlffE_fEEDaPvRmT3_T4_T5_mT6_P12ihipStream_tbENKUlT_T0_E_clISt17integral_constantIbLb0EESV_IbLb1EEEEDaSR_SS_EUlSR_E0_NS1_11comp_targetILNS1_3genE4ELNS1_11target_archE910ELNS1_3gpuE8ELNS1_3repE0EEENS1_30default_config_static_selectorELNS0_4arch9wavefront6targetE1EEEvT1_.num_vgpr, 0
	.set _ZN7rocprim17ROCPRIM_400000_NS6detail17trampoline_kernelINS0_14default_configENS1_20scan_config_selectorIfEEZZNS1_9scan_implILNS1_25lookback_scan_determinismE0ELb0ELb0ES3_PKfPffZZZN2at6native31launch_logcumsumexp_cuda_kernelERKNSB_10TensorBaseESF_lENKUlvE_clEvENKUlvE0_clEvEUlffE_fEEDaPvRmT3_T4_T5_mT6_P12ihipStream_tbENKUlT_T0_E_clISt17integral_constantIbLb0EESV_IbLb1EEEEDaSR_SS_EUlSR_E0_NS1_11comp_targetILNS1_3genE4ELNS1_11target_archE910ELNS1_3gpuE8ELNS1_3repE0EEENS1_30default_config_static_selectorELNS0_4arch9wavefront6targetE1EEEvT1_.num_agpr, 0
	.set _ZN7rocprim17ROCPRIM_400000_NS6detail17trampoline_kernelINS0_14default_configENS1_20scan_config_selectorIfEEZZNS1_9scan_implILNS1_25lookback_scan_determinismE0ELb0ELb0ES3_PKfPffZZZN2at6native31launch_logcumsumexp_cuda_kernelERKNSB_10TensorBaseESF_lENKUlvE_clEvENKUlvE0_clEvEUlffE_fEEDaPvRmT3_T4_T5_mT6_P12ihipStream_tbENKUlT_T0_E_clISt17integral_constantIbLb0EESV_IbLb1EEEEDaSR_SS_EUlSR_E0_NS1_11comp_targetILNS1_3genE4ELNS1_11target_archE910ELNS1_3gpuE8ELNS1_3repE0EEENS1_30default_config_static_selectorELNS0_4arch9wavefront6targetE1EEEvT1_.numbered_sgpr, 0
	.set _ZN7rocprim17ROCPRIM_400000_NS6detail17trampoline_kernelINS0_14default_configENS1_20scan_config_selectorIfEEZZNS1_9scan_implILNS1_25lookback_scan_determinismE0ELb0ELb0ES3_PKfPffZZZN2at6native31launch_logcumsumexp_cuda_kernelERKNSB_10TensorBaseESF_lENKUlvE_clEvENKUlvE0_clEvEUlffE_fEEDaPvRmT3_T4_T5_mT6_P12ihipStream_tbENKUlT_T0_E_clISt17integral_constantIbLb0EESV_IbLb1EEEEDaSR_SS_EUlSR_E0_NS1_11comp_targetILNS1_3genE4ELNS1_11target_archE910ELNS1_3gpuE8ELNS1_3repE0EEENS1_30default_config_static_selectorELNS0_4arch9wavefront6targetE1EEEvT1_.num_named_barrier, 0
	.set _ZN7rocprim17ROCPRIM_400000_NS6detail17trampoline_kernelINS0_14default_configENS1_20scan_config_selectorIfEEZZNS1_9scan_implILNS1_25lookback_scan_determinismE0ELb0ELb0ES3_PKfPffZZZN2at6native31launch_logcumsumexp_cuda_kernelERKNSB_10TensorBaseESF_lENKUlvE_clEvENKUlvE0_clEvEUlffE_fEEDaPvRmT3_T4_T5_mT6_P12ihipStream_tbENKUlT_T0_E_clISt17integral_constantIbLb0EESV_IbLb1EEEEDaSR_SS_EUlSR_E0_NS1_11comp_targetILNS1_3genE4ELNS1_11target_archE910ELNS1_3gpuE8ELNS1_3repE0EEENS1_30default_config_static_selectorELNS0_4arch9wavefront6targetE1EEEvT1_.private_seg_size, 0
	.set _ZN7rocprim17ROCPRIM_400000_NS6detail17trampoline_kernelINS0_14default_configENS1_20scan_config_selectorIfEEZZNS1_9scan_implILNS1_25lookback_scan_determinismE0ELb0ELb0ES3_PKfPffZZZN2at6native31launch_logcumsumexp_cuda_kernelERKNSB_10TensorBaseESF_lENKUlvE_clEvENKUlvE0_clEvEUlffE_fEEDaPvRmT3_T4_T5_mT6_P12ihipStream_tbENKUlT_T0_E_clISt17integral_constantIbLb0EESV_IbLb1EEEEDaSR_SS_EUlSR_E0_NS1_11comp_targetILNS1_3genE4ELNS1_11target_archE910ELNS1_3gpuE8ELNS1_3repE0EEENS1_30default_config_static_selectorELNS0_4arch9wavefront6targetE1EEEvT1_.uses_vcc, 0
	.set _ZN7rocprim17ROCPRIM_400000_NS6detail17trampoline_kernelINS0_14default_configENS1_20scan_config_selectorIfEEZZNS1_9scan_implILNS1_25lookback_scan_determinismE0ELb0ELb0ES3_PKfPffZZZN2at6native31launch_logcumsumexp_cuda_kernelERKNSB_10TensorBaseESF_lENKUlvE_clEvENKUlvE0_clEvEUlffE_fEEDaPvRmT3_T4_T5_mT6_P12ihipStream_tbENKUlT_T0_E_clISt17integral_constantIbLb0EESV_IbLb1EEEEDaSR_SS_EUlSR_E0_NS1_11comp_targetILNS1_3genE4ELNS1_11target_archE910ELNS1_3gpuE8ELNS1_3repE0EEENS1_30default_config_static_selectorELNS0_4arch9wavefront6targetE1EEEvT1_.uses_flat_scratch, 0
	.set _ZN7rocprim17ROCPRIM_400000_NS6detail17trampoline_kernelINS0_14default_configENS1_20scan_config_selectorIfEEZZNS1_9scan_implILNS1_25lookback_scan_determinismE0ELb0ELb0ES3_PKfPffZZZN2at6native31launch_logcumsumexp_cuda_kernelERKNSB_10TensorBaseESF_lENKUlvE_clEvENKUlvE0_clEvEUlffE_fEEDaPvRmT3_T4_T5_mT6_P12ihipStream_tbENKUlT_T0_E_clISt17integral_constantIbLb0EESV_IbLb1EEEEDaSR_SS_EUlSR_E0_NS1_11comp_targetILNS1_3genE4ELNS1_11target_archE910ELNS1_3gpuE8ELNS1_3repE0EEENS1_30default_config_static_selectorELNS0_4arch9wavefront6targetE1EEEvT1_.has_dyn_sized_stack, 0
	.set _ZN7rocprim17ROCPRIM_400000_NS6detail17trampoline_kernelINS0_14default_configENS1_20scan_config_selectorIfEEZZNS1_9scan_implILNS1_25lookback_scan_determinismE0ELb0ELb0ES3_PKfPffZZZN2at6native31launch_logcumsumexp_cuda_kernelERKNSB_10TensorBaseESF_lENKUlvE_clEvENKUlvE0_clEvEUlffE_fEEDaPvRmT3_T4_T5_mT6_P12ihipStream_tbENKUlT_T0_E_clISt17integral_constantIbLb0EESV_IbLb1EEEEDaSR_SS_EUlSR_E0_NS1_11comp_targetILNS1_3genE4ELNS1_11target_archE910ELNS1_3gpuE8ELNS1_3repE0EEENS1_30default_config_static_selectorELNS0_4arch9wavefront6targetE1EEEvT1_.has_recursion, 0
	.set _ZN7rocprim17ROCPRIM_400000_NS6detail17trampoline_kernelINS0_14default_configENS1_20scan_config_selectorIfEEZZNS1_9scan_implILNS1_25lookback_scan_determinismE0ELb0ELb0ES3_PKfPffZZZN2at6native31launch_logcumsumexp_cuda_kernelERKNSB_10TensorBaseESF_lENKUlvE_clEvENKUlvE0_clEvEUlffE_fEEDaPvRmT3_T4_T5_mT6_P12ihipStream_tbENKUlT_T0_E_clISt17integral_constantIbLb0EESV_IbLb1EEEEDaSR_SS_EUlSR_E0_NS1_11comp_targetILNS1_3genE4ELNS1_11target_archE910ELNS1_3gpuE8ELNS1_3repE0EEENS1_30default_config_static_selectorELNS0_4arch9wavefront6targetE1EEEvT1_.has_indirect_call, 0
	.section	.AMDGPU.csdata,"",@progbits
; Kernel info:
; codeLenInByte = 0
; TotalNumSgprs: 4
; NumVgprs: 0
; ScratchSize: 0
; MemoryBound: 0
; FloatMode: 240
; IeeeMode: 1
; LDSByteSize: 0 bytes/workgroup (compile time only)
; SGPRBlocks: 0
; VGPRBlocks: 0
; NumSGPRsForWavesPerEU: 4
; NumVGPRsForWavesPerEU: 1
; Occupancy: 10
; WaveLimiterHint : 0
; COMPUTE_PGM_RSRC2:SCRATCH_EN: 0
; COMPUTE_PGM_RSRC2:USER_SGPR: 6
; COMPUTE_PGM_RSRC2:TRAP_HANDLER: 0
; COMPUTE_PGM_RSRC2:TGID_X_EN: 1
; COMPUTE_PGM_RSRC2:TGID_Y_EN: 0
; COMPUTE_PGM_RSRC2:TGID_Z_EN: 0
; COMPUTE_PGM_RSRC2:TIDIG_COMP_CNT: 0
	.section	.text._ZN7rocprim17ROCPRIM_400000_NS6detail17trampoline_kernelINS0_14default_configENS1_20scan_config_selectorIfEEZZNS1_9scan_implILNS1_25lookback_scan_determinismE0ELb0ELb0ES3_PKfPffZZZN2at6native31launch_logcumsumexp_cuda_kernelERKNSB_10TensorBaseESF_lENKUlvE_clEvENKUlvE0_clEvEUlffE_fEEDaPvRmT3_T4_T5_mT6_P12ihipStream_tbENKUlT_T0_E_clISt17integral_constantIbLb0EESV_IbLb1EEEEDaSR_SS_EUlSR_E0_NS1_11comp_targetILNS1_3genE3ELNS1_11target_archE908ELNS1_3gpuE7ELNS1_3repE0EEENS1_30default_config_static_selectorELNS0_4arch9wavefront6targetE1EEEvT1_,"axG",@progbits,_ZN7rocprim17ROCPRIM_400000_NS6detail17trampoline_kernelINS0_14default_configENS1_20scan_config_selectorIfEEZZNS1_9scan_implILNS1_25lookback_scan_determinismE0ELb0ELb0ES3_PKfPffZZZN2at6native31launch_logcumsumexp_cuda_kernelERKNSB_10TensorBaseESF_lENKUlvE_clEvENKUlvE0_clEvEUlffE_fEEDaPvRmT3_T4_T5_mT6_P12ihipStream_tbENKUlT_T0_E_clISt17integral_constantIbLb0EESV_IbLb1EEEEDaSR_SS_EUlSR_E0_NS1_11comp_targetILNS1_3genE3ELNS1_11target_archE908ELNS1_3gpuE7ELNS1_3repE0EEENS1_30default_config_static_selectorELNS0_4arch9wavefront6targetE1EEEvT1_,comdat
	.globl	_ZN7rocprim17ROCPRIM_400000_NS6detail17trampoline_kernelINS0_14default_configENS1_20scan_config_selectorIfEEZZNS1_9scan_implILNS1_25lookback_scan_determinismE0ELb0ELb0ES3_PKfPffZZZN2at6native31launch_logcumsumexp_cuda_kernelERKNSB_10TensorBaseESF_lENKUlvE_clEvENKUlvE0_clEvEUlffE_fEEDaPvRmT3_T4_T5_mT6_P12ihipStream_tbENKUlT_T0_E_clISt17integral_constantIbLb0EESV_IbLb1EEEEDaSR_SS_EUlSR_E0_NS1_11comp_targetILNS1_3genE3ELNS1_11target_archE908ELNS1_3gpuE7ELNS1_3repE0EEENS1_30default_config_static_selectorELNS0_4arch9wavefront6targetE1EEEvT1_ ; -- Begin function _ZN7rocprim17ROCPRIM_400000_NS6detail17trampoline_kernelINS0_14default_configENS1_20scan_config_selectorIfEEZZNS1_9scan_implILNS1_25lookback_scan_determinismE0ELb0ELb0ES3_PKfPffZZZN2at6native31launch_logcumsumexp_cuda_kernelERKNSB_10TensorBaseESF_lENKUlvE_clEvENKUlvE0_clEvEUlffE_fEEDaPvRmT3_T4_T5_mT6_P12ihipStream_tbENKUlT_T0_E_clISt17integral_constantIbLb0EESV_IbLb1EEEEDaSR_SS_EUlSR_E0_NS1_11comp_targetILNS1_3genE3ELNS1_11target_archE908ELNS1_3gpuE7ELNS1_3repE0EEENS1_30default_config_static_selectorELNS0_4arch9wavefront6targetE1EEEvT1_
	.p2align	8
	.type	_ZN7rocprim17ROCPRIM_400000_NS6detail17trampoline_kernelINS0_14default_configENS1_20scan_config_selectorIfEEZZNS1_9scan_implILNS1_25lookback_scan_determinismE0ELb0ELb0ES3_PKfPffZZZN2at6native31launch_logcumsumexp_cuda_kernelERKNSB_10TensorBaseESF_lENKUlvE_clEvENKUlvE0_clEvEUlffE_fEEDaPvRmT3_T4_T5_mT6_P12ihipStream_tbENKUlT_T0_E_clISt17integral_constantIbLb0EESV_IbLb1EEEEDaSR_SS_EUlSR_E0_NS1_11comp_targetILNS1_3genE3ELNS1_11target_archE908ELNS1_3gpuE7ELNS1_3repE0EEENS1_30default_config_static_selectorELNS0_4arch9wavefront6targetE1EEEvT1_,@function
_ZN7rocprim17ROCPRIM_400000_NS6detail17trampoline_kernelINS0_14default_configENS1_20scan_config_selectorIfEEZZNS1_9scan_implILNS1_25lookback_scan_determinismE0ELb0ELb0ES3_PKfPffZZZN2at6native31launch_logcumsumexp_cuda_kernelERKNSB_10TensorBaseESF_lENKUlvE_clEvENKUlvE0_clEvEUlffE_fEEDaPvRmT3_T4_T5_mT6_P12ihipStream_tbENKUlT_T0_E_clISt17integral_constantIbLb0EESV_IbLb1EEEEDaSR_SS_EUlSR_E0_NS1_11comp_targetILNS1_3genE3ELNS1_11target_archE908ELNS1_3gpuE7ELNS1_3repE0EEENS1_30default_config_static_selectorELNS0_4arch9wavefront6targetE1EEEvT1_: ; @_ZN7rocprim17ROCPRIM_400000_NS6detail17trampoline_kernelINS0_14default_configENS1_20scan_config_selectorIfEEZZNS1_9scan_implILNS1_25lookback_scan_determinismE0ELb0ELb0ES3_PKfPffZZZN2at6native31launch_logcumsumexp_cuda_kernelERKNSB_10TensorBaseESF_lENKUlvE_clEvENKUlvE0_clEvEUlffE_fEEDaPvRmT3_T4_T5_mT6_P12ihipStream_tbENKUlT_T0_E_clISt17integral_constantIbLb0EESV_IbLb1EEEEDaSR_SS_EUlSR_E0_NS1_11comp_targetILNS1_3genE3ELNS1_11target_archE908ELNS1_3gpuE7ELNS1_3repE0EEENS1_30default_config_static_selectorELNS0_4arch9wavefront6targetE1EEEvT1_
; %bb.0:
	.section	.rodata,"a",@progbits
	.p2align	6, 0x0
	.amdhsa_kernel _ZN7rocprim17ROCPRIM_400000_NS6detail17trampoline_kernelINS0_14default_configENS1_20scan_config_selectorIfEEZZNS1_9scan_implILNS1_25lookback_scan_determinismE0ELb0ELb0ES3_PKfPffZZZN2at6native31launch_logcumsumexp_cuda_kernelERKNSB_10TensorBaseESF_lENKUlvE_clEvENKUlvE0_clEvEUlffE_fEEDaPvRmT3_T4_T5_mT6_P12ihipStream_tbENKUlT_T0_E_clISt17integral_constantIbLb0EESV_IbLb1EEEEDaSR_SS_EUlSR_E0_NS1_11comp_targetILNS1_3genE3ELNS1_11target_archE908ELNS1_3gpuE7ELNS1_3repE0EEENS1_30default_config_static_selectorELNS0_4arch9wavefront6targetE1EEEvT1_
		.amdhsa_group_segment_fixed_size 0
		.amdhsa_private_segment_fixed_size 0
		.amdhsa_kernarg_size 32
		.amdhsa_user_sgpr_count 6
		.amdhsa_user_sgpr_private_segment_buffer 1
		.amdhsa_user_sgpr_dispatch_ptr 0
		.amdhsa_user_sgpr_queue_ptr 0
		.amdhsa_user_sgpr_kernarg_segment_ptr 1
		.amdhsa_user_sgpr_dispatch_id 0
		.amdhsa_user_sgpr_flat_scratch_init 0
		.amdhsa_user_sgpr_private_segment_size 0
		.amdhsa_uses_dynamic_stack 0
		.amdhsa_system_sgpr_private_segment_wavefront_offset 0
		.amdhsa_system_sgpr_workgroup_id_x 1
		.amdhsa_system_sgpr_workgroup_id_y 0
		.amdhsa_system_sgpr_workgroup_id_z 0
		.amdhsa_system_sgpr_workgroup_info 0
		.amdhsa_system_vgpr_workitem_id 0
		.amdhsa_next_free_vgpr 1
		.amdhsa_next_free_sgpr 0
		.amdhsa_reserve_vcc 0
		.amdhsa_reserve_flat_scratch 0
		.amdhsa_float_round_mode_32 0
		.amdhsa_float_round_mode_16_64 0
		.amdhsa_float_denorm_mode_32 3
		.amdhsa_float_denorm_mode_16_64 3
		.amdhsa_dx10_clamp 1
		.amdhsa_ieee_mode 1
		.amdhsa_fp16_overflow 0
		.amdhsa_exception_fp_ieee_invalid_op 0
		.amdhsa_exception_fp_denorm_src 0
		.amdhsa_exception_fp_ieee_div_zero 0
		.amdhsa_exception_fp_ieee_overflow 0
		.amdhsa_exception_fp_ieee_underflow 0
		.amdhsa_exception_fp_ieee_inexact 0
		.amdhsa_exception_int_div_zero 0
	.end_amdhsa_kernel
	.section	.text._ZN7rocprim17ROCPRIM_400000_NS6detail17trampoline_kernelINS0_14default_configENS1_20scan_config_selectorIfEEZZNS1_9scan_implILNS1_25lookback_scan_determinismE0ELb0ELb0ES3_PKfPffZZZN2at6native31launch_logcumsumexp_cuda_kernelERKNSB_10TensorBaseESF_lENKUlvE_clEvENKUlvE0_clEvEUlffE_fEEDaPvRmT3_T4_T5_mT6_P12ihipStream_tbENKUlT_T0_E_clISt17integral_constantIbLb0EESV_IbLb1EEEEDaSR_SS_EUlSR_E0_NS1_11comp_targetILNS1_3genE3ELNS1_11target_archE908ELNS1_3gpuE7ELNS1_3repE0EEENS1_30default_config_static_selectorELNS0_4arch9wavefront6targetE1EEEvT1_,"axG",@progbits,_ZN7rocprim17ROCPRIM_400000_NS6detail17trampoline_kernelINS0_14default_configENS1_20scan_config_selectorIfEEZZNS1_9scan_implILNS1_25lookback_scan_determinismE0ELb0ELb0ES3_PKfPffZZZN2at6native31launch_logcumsumexp_cuda_kernelERKNSB_10TensorBaseESF_lENKUlvE_clEvENKUlvE0_clEvEUlffE_fEEDaPvRmT3_T4_T5_mT6_P12ihipStream_tbENKUlT_T0_E_clISt17integral_constantIbLb0EESV_IbLb1EEEEDaSR_SS_EUlSR_E0_NS1_11comp_targetILNS1_3genE3ELNS1_11target_archE908ELNS1_3gpuE7ELNS1_3repE0EEENS1_30default_config_static_selectorELNS0_4arch9wavefront6targetE1EEEvT1_,comdat
.Lfunc_end165:
	.size	_ZN7rocprim17ROCPRIM_400000_NS6detail17trampoline_kernelINS0_14default_configENS1_20scan_config_selectorIfEEZZNS1_9scan_implILNS1_25lookback_scan_determinismE0ELb0ELb0ES3_PKfPffZZZN2at6native31launch_logcumsumexp_cuda_kernelERKNSB_10TensorBaseESF_lENKUlvE_clEvENKUlvE0_clEvEUlffE_fEEDaPvRmT3_T4_T5_mT6_P12ihipStream_tbENKUlT_T0_E_clISt17integral_constantIbLb0EESV_IbLb1EEEEDaSR_SS_EUlSR_E0_NS1_11comp_targetILNS1_3genE3ELNS1_11target_archE908ELNS1_3gpuE7ELNS1_3repE0EEENS1_30default_config_static_selectorELNS0_4arch9wavefront6targetE1EEEvT1_, .Lfunc_end165-_ZN7rocprim17ROCPRIM_400000_NS6detail17trampoline_kernelINS0_14default_configENS1_20scan_config_selectorIfEEZZNS1_9scan_implILNS1_25lookback_scan_determinismE0ELb0ELb0ES3_PKfPffZZZN2at6native31launch_logcumsumexp_cuda_kernelERKNSB_10TensorBaseESF_lENKUlvE_clEvENKUlvE0_clEvEUlffE_fEEDaPvRmT3_T4_T5_mT6_P12ihipStream_tbENKUlT_T0_E_clISt17integral_constantIbLb0EESV_IbLb1EEEEDaSR_SS_EUlSR_E0_NS1_11comp_targetILNS1_3genE3ELNS1_11target_archE908ELNS1_3gpuE7ELNS1_3repE0EEENS1_30default_config_static_selectorELNS0_4arch9wavefront6targetE1EEEvT1_
                                        ; -- End function
	.set _ZN7rocprim17ROCPRIM_400000_NS6detail17trampoline_kernelINS0_14default_configENS1_20scan_config_selectorIfEEZZNS1_9scan_implILNS1_25lookback_scan_determinismE0ELb0ELb0ES3_PKfPffZZZN2at6native31launch_logcumsumexp_cuda_kernelERKNSB_10TensorBaseESF_lENKUlvE_clEvENKUlvE0_clEvEUlffE_fEEDaPvRmT3_T4_T5_mT6_P12ihipStream_tbENKUlT_T0_E_clISt17integral_constantIbLb0EESV_IbLb1EEEEDaSR_SS_EUlSR_E0_NS1_11comp_targetILNS1_3genE3ELNS1_11target_archE908ELNS1_3gpuE7ELNS1_3repE0EEENS1_30default_config_static_selectorELNS0_4arch9wavefront6targetE1EEEvT1_.num_vgpr, 0
	.set _ZN7rocprim17ROCPRIM_400000_NS6detail17trampoline_kernelINS0_14default_configENS1_20scan_config_selectorIfEEZZNS1_9scan_implILNS1_25lookback_scan_determinismE0ELb0ELb0ES3_PKfPffZZZN2at6native31launch_logcumsumexp_cuda_kernelERKNSB_10TensorBaseESF_lENKUlvE_clEvENKUlvE0_clEvEUlffE_fEEDaPvRmT3_T4_T5_mT6_P12ihipStream_tbENKUlT_T0_E_clISt17integral_constantIbLb0EESV_IbLb1EEEEDaSR_SS_EUlSR_E0_NS1_11comp_targetILNS1_3genE3ELNS1_11target_archE908ELNS1_3gpuE7ELNS1_3repE0EEENS1_30default_config_static_selectorELNS0_4arch9wavefront6targetE1EEEvT1_.num_agpr, 0
	.set _ZN7rocprim17ROCPRIM_400000_NS6detail17trampoline_kernelINS0_14default_configENS1_20scan_config_selectorIfEEZZNS1_9scan_implILNS1_25lookback_scan_determinismE0ELb0ELb0ES3_PKfPffZZZN2at6native31launch_logcumsumexp_cuda_kernelERKNSB_10TensorBaseESF_lENKUlvE_clEvENKUlvE0_clEvEUlffE_fEEDaPvRmT3_T4_T5_mT6_P12ihipStream_tbENKUlT_T0_E_clISt17integral_constantIbLb0EESV_IbLb1EEEEDaSR_SS_EUlSR_E0_NS1_11comp_targetILNS1_3genE3ELNS1_11target_archE908ELNS1_3gpuE7ELNS1_3repE0EEENS1_30default_config_static_selectorELNS0_4arch9wavefront6targetE1EEEvT1_.numbered_sgpr, 0
	.set _ZN7rocprim17ROCPRIM_400000_NS6detail17trampoline_kernelINS0_14default_configENS1_20scan_config_selectorIfEEZZNS1_9scan_implILNS1_25lookback_scan_determinismE0ELb0ELb0ES3_PKfPffZZZN2at6native31launch_logcumsumexp_cuda_kernelERKNSB_10TensorBaseESF_lENKUlvE_clEvENKUlvE0_clEvEUlffE_fEEDaPvRmT3_T4_T5_mT6_P12ihipStream_tbENKUlT_T0_E_clISt17integral_constantIbLb0EESV_IbLb1EEEEDaSR_SS_EUlSR_E0_NS1_11comp_targetILNS1_3genE3ELNS1_11target_archE908ELNS1_3gpuE7ELNS1_3repE0EEENS1_30default_config_static_selectorELNS0_4arch9wavefront6targetE1EEEvT1_.num_named_barrier, 0
	.set _ZN7rocprim17ROCPRIM_400000_NS6detail17trampoline_kernelINS0_14default_configENS1_20scan_config_selectorIfEEZZNS1_9scan_implILNS1_25lookback_scan_determinismE0ELb0ELb0ES3_PKfPffZZZN2at6native31launch_logcumsumexp_cuda_kernelERKNSB_10TensorBaseESF_lENKUlvE_clEvENKUlvE0_clEvEUlffE_fEEDaPvRmT3_T4_T5_mT6_P12ihipStream_tbENKUlT_T0_E_clISt17integral_constantIbLb0EESV_IbLb1EEEEDaSR_SS_EUlSR_E0_NS1_11comp_targetILNS1_3genE3ELNS1_11target_archE908ELNS1_3gpuE7ELNS1_3repE0EEENS1_30default_config_static_selectorELNS0_4arch9wavefront6targetE1EEEvT1_.private_seg_size, 0
	.set _ZN7rocprim17ROCPRIM_400000_NS6detail17trampoline_kernelINS0_14default_configENS1_20scan_config_selectorIfEEZZNS1_9scan_implILNS1_25lookback_scan_determinismE0ELb0ELb0ES3_PKfPffZZZN2at6native31launch_logcumsumexp_cuda_kernelERKNSB_10TensorBaseESF_lENKUlvE_clEvENKUlvE0_clEvEUlffE_fEEDaPvRmT3_T4_T5_mT6_P12ihipStream_tbENKUlT_T0_E_clISt17integral_constantIbLb0EESV_IbLb1EEEEDaSR_SS_EUlSR_E0_NS1_11comp_targetILNS1_3genE3ELNS1_11target_archE908ELNS1_3gpuE7ELNS1_3repE0EEENS1_30default_config_static_selectorELNS0_4arch9wavefront6targetE1EEEvT1_.uses_vcc, 0
	.set _ZN7rocprim17ROCPRIM_400000_NS6detail17trampoline_kernelINS0_14default_configENS1_20scan_config_selectorIfEEZZNS1_9scan_implILNS1_25lookback_scan_determinismE0ELb0ELb0ES3_PKfPffZZZN2at6native31launch_logcumsumexp_cuda_kernelERKNSB_10TensorBaseESF_lENKUlvE_clEvENKUlvE0_clEvEUlffE_fEEDaPvRmT3_T4_T5_mT6_P12ihipStream_tbENKUlT_T0_E_clISt17integral_constantIbLb0EESV_IbLb1EEEEDaSR_SS_EUlSR_E0_NS1_11comp_targetILNS1_3genE3ELNS1_11target_archE908ELNS1_3gpuE7ELNS1_3repE0EEENS1_30default_config_static_selectorELNS0_4arch9wavefront6targetE1EEEvT1_.uses_flat_scratch, 0
	.set _ZN7rocprim17ROCPRIM_400000_NS6detail17trampoline_kernelINS0_14default_configENS1_20scan_config_selectorIfEEZZNS1_9scan_implILNS1_25lookback_scan_determinismE0ELb0ELb0ES3_PKfPffZZZN2at6native31launch_logcumsumexp_cuda_kernelERKNSB_10TensorBaseESF_lENKUlvE_clEvENKUlvE0_clEvEUlffE_fEEDaPvRmT3_T4_T5_mT6_P12ihipStream_tbENKUlT_T0_E_clISt17integral_constantIbLb0EESV_IbLb1EEEEDaSR_SS_EUlSR_E0_NS1_11comp_targetILNS1_3genE3ELNS1_11target_archE908ELNS1_3gpuE7ELNS1_3repE0EEENS1_30default_config_static_selectorELNS0_4arch9wavefront6targetE1EEEvT1_.has_dyn_sized_stack, 0
	.set _ZN7rocprim17ROCPRIM_400000_NS6detail17trampoline_kernelINS0_14default_configENS1_20scan_config_selectorIfEEZZNS1_9scan_implILNS1_25lookback_scan_determinismE0ELb0ELb0ES3_PKfPffZZZN2at6native31launch_logcumsumexp_cuda_kernelERKNSB_10TensorBaseESF_lENKUlvE_clEvENKUlvE0_clEvEUlffE_fEEDaPvRmT3_T4_T5_mT6_P12ihipStream_tbENKUlT_T0_E_clISt17integral_constantIbLb0EESV_IbLb1EEEEDaSR_SS_EUlSR_E0_NS1_11comp_targetILNS1_3genE3ELNS1_11target_archE908ELNS1_3gpuE7ELNS1_3repE0EEENS1_30default_config_static_selectorELNS0_4arch9wavefront6targetE1EEEvT1_.has_recursion, 0
	.set _ZN7rocprim17ROCPRIM_400000_NS6detail17trampoline_kernelINS0_14default_configENS1_20scan_config_selectorIfEEZZNS1_9scan_implILNS1_25lookback_scan_determinismE0ELb0ELb0ES3_PKfPffZZZN2at6native31launch_logcumsumexp_cuda_kernelERKNSB_10TensorBaseESF_lENKUlvE_clEvENKUlvE0_clEvEUlffE_fEEDaPvRmT3_T4_T5_mT6_P12ihipStream_tbENKUlT_T0_E_clISt17integral_constantIbLb0EESV_IbLb1EEEEDaSR_SS_EUlSR_E0_NS1_11comp_targetILNS1_3genE3ELNS1_11target_archE908ELNS1_3gpuE7ELNS1_3repE0EEENS1_30default_config_static_selectorELNS0_4arch9wavefront6targetE1EEEvT1_.has_indirect_call, 0
	.section	.AMDGPU.csdata,"",@progbits
; Kernel info:
; codeLenInByte = 0
; TotalNumSgprs: 4
; NumVgprs: 0
; ScratchSize: 0
; MemoryBound: 0
; FloatMode: 240
; IeeeMode: 1
; LDSByteSize: 0 bytes/workgroup (compile time only)
; SGPRBlocks: 0
; VGPRBlocks: 0
; NumSGPRsForWavesPerEU: 4
; NumVGPRsForWavesPerEU: 1
; Occupancy: 10
; WaveLimiterHint : 0
; COMPUTE_PGM_RSRC2:SCRATCH_EN: 0
; COMPUTE_PGM_RSRC2:USER_SGPR: 6
; COMPUTE_PGM_RSRC2:TRAP_HANDLER: 0
; COMPUTE_PGM_RSRC2:TGID_X_EN: 1
; COMPUTE_PGM_RSRC2:TGID_Y_EN: 0
; COMPUTE_PGM_RSRC2:TGID_Z_EN: 0
; COMPUTE_PGM_RSRC2:TIDIG_COMP_CNT: 0
	.section	.text._ZN7rocprim17ROCPRIM_400000_NS6detail17trampoline_kernelINS0_14default_configENS1_20scan_config_selectorIfEEZZNS1_9scan_implILNS1_25lookback_scan_determinismE0ELb0ELb0ES3_PKfPffZZZN2at6native31launch_logcumsumexp_cuda_kernelERKNSB_10TensorBaseESF_lENKUlvE_clEvENKUlvE0_clEvEUlffE_fEEDaPvRmT3_T4_T5_mT6_P12ihipStream_tbENKUlT_T0_E_clISt17integral_constantIbLb0EESV_IbLb1EEEEDaSR_SS_EUlSR_E0_NS1_11comp_targetILNS1_3genE2ELNS1_11target_archE906ELNS1_3gpuE6ELNS1_3repE0EEENS1_30default_config_static_selectorELNS0_4arch9wavefront6targetE1EEEvT1_,"axG",@progbits,_ZN7rocprim17ROCPRIM_400000_NS6detail17trampoline_kernelINS0_14default_configENS1_20scan_config_selectorIfEEZZNS1_9scan_implILNS1_25lookback_scan_determinismE0ELb0ELb0ES3_PKfPffZZZN2at6native31launch_logcumsumexp_cuda_kernelERKNSB_10TensorBaseESF_lENKUlvE_clEvENKUlvE0_clEvEUlffE_fEEDaPvRmT3_T4_T5_mT6_P12ihipStream_tbENKUlT_T0_E_clISt17integral_constantIbLb0EESV_IbLb1EEEEDaSR_SS_EUlSR_E0_NS1_11comp_targetILNS1_3genE2ELNS1_11target_archE906ELNS1_3gpuE6ELNS1_3repE0EEENS1_30default_config_static_selectorELNS0_4arch9wavefront6targetE1EEEvT1_,comdat
	.globl	_ZN7rocprim17ROCPRIM_400000_NS6detail17trampoline_kernelINS0_14default_configENS1_20scan_config_selectorIfEEZZNS1_9scan_implILNS1_25lookback_scan_determinismE0ELb0ELb0ES3_PKfPffZZZN2at6native31launch_logcumsumexp_cuda_kernelERKNSB_10TensorBaseESF_lENKUlvE_clEvENKUlvE0_clEvEUlffE_fEEDaPvRmT3_T4_T5_mT6_P12ihipStream_tbENKUlT_T0_E_clISt17integral_constantIbLb0EESV_IbLb1EEEEDaSR_SS_EUlSR_E0_NS1_11comp_targetILNS1_3genE2ELNS1_11target_archE906ELNS1_3gpuE6ELNS1_3repE0EEENS1_30default_config_static_selectorELNS0_4arch9wavefront6targetE1EEEvT1_ ; -- Begin function _ZN7rocprim17ROCPRIM_400000_NS6detail17trampoline_kernelINS0_14default_configENS1_20scan_config_selectorIfEEZZNS1_9scan_implILNS1_25lookback_scan_determinismE0ELb0ELb0ES3_PKfPffZZZN2at6native31launch_logcumsumexp_cuda_kernelERKNSB_10TensorBaseESF_lENKUlvE_clEvENKUlvE0_clEvEUlffE_fEEDaPvRmT3_T4_T5_mT6_P12ihipStream_tbENKUlT_T0_E_clISt17integral_constantIbLb0EESV_IbLb1EEEEDaSR_SS_EUlSR_E0_NS1_11comp_targetILNS1_3genE2ELNS1_11target_archE906ELNS1_3gpuE6ELNS1_3repE0EEENS1_30default_config_static_selectorELNS0_4arch9wavefront6targetE1EEEvT1_
	.p2align	8
	.type	_ZN7rocprim17ROCPRIM_400000_NS6detail17trampoline_kernelINS0_14default_configENS1_20scan_config_selectorIfEEZZNS1_9scan_implILNS1_25lookback_scan_determinismE0ELb0ELb0ES3_PKfPffZZZN2at6native31launch_logcumsumexp_cuda_kernelERKNSB_10TensorBaseESF_lENKUlvE_clEvENKUlvE0_clEvEUlffE_fEEDaPvRmT3_T4_T5_mT6_P12ihipStream_tbENKUlT_T0_E_clISt17integral_constantIbLb0EESV_IbLb1EEEEDaSR_SS_EUlSR_E0_NS1_11comp_targetILNS1_3genE2ELNS1_11target_archE906ELNS1_3gpuE6ELNS1_3repE0EEENS1_30default_config_static_selectorELNS0_4arch9wavefront6targetE1EEEvT1_,@function
_ZN7rocprim17ROCPRIM_400000_NS6detail17trampoline_kernelINS0_14default_configENS1_20scan_config_selectorIfEEZZNS1_9scan_implILNS1_25lookback_scan_determinismE0ELb0ELb0ES3_PKfPffZZZN2at6native31launch_logcumsumexp_cuda_kernelERKNSB_10TensorBaseESF_lENKUlvE_clEvENKUlvE0_clEvEUlffE_fEEDaPvRmT3_T4_T5_mT6_P12ihipStream_tbENKUlT_T0_E_clISt17integral_constantIbLb0EESV_IbLb1EEEEDaSR_SS_EUlSR_E0_NS1_11comp_targetILNS1_3genE2ELNS1_11target_archE906ELNS1_3gpuE6ELNS1_3repE0EEENS1_30default_config_static_selectorELNS0_4arch9wavefront6targetE1EEEvT1_: ; @_ZN7rocprim17ROCPRIM_400000_NS6detail17trampoline_kernelINS0_14default_configENS1_20scan_config_selectorIfEEZZNS1_9scan_implILNS1_25lookback_scan_determinismE0ELb0ELb0ES3_PKfPffZZZN2at6native31launch_logcumsumexp_cuda_kernelERKNSB_10TensorBaseESF_lENKUlvE_clEvENKUlvE0_clEvEUlffE_fEEDaPvRmT3_T4_T5_mT6_P12ihipStream_tbENKUlT_T0_E_clISt17integral_constantIbLb0EESV_IbLb1EEEEDaSR_SS_EUlSR_E0_NS1_11comp_targetILNS1_3genE2ELNS1_11target_archE906ELNS1_3gpuE6ELNS1_3repE0EEENS1_30default_config_static_selectorELNS0_4arch9wavefront6targetE1EEEvT1_
; %bb.0:
	s_load_dwordx4 s[28:31], s[4:5], 0x0
	v_lshlrev_b32_e32 v16, 2, v0
	s_waitcnt lgkmcnt(0)
	s_load_dword s31, s[28:29], 0x0
	v_cmp_gt_u32_e32 vcc, s30, v0
	s_waitcnt lgkmcnt(0)
	v_mov_b32_e32 v1, s31
	s_and_saveexec_b64 s[0:1], vcc
	s_cbranch_execz .LBB166_2
; %bb.1:
	global_load_dword v1, v16, s[28:29]
.LBB166_2:
	s_or_b64 exec, exec, s[0:1]
	v_or_b32_e32 v2, 0x100, v0
	v_cmp_gt_u32_e64 s[0:1], s30, v2
	v_mov_b32_e32 v2, s31
	s_and_saveexec_b64 s[2:3], s[0:1]
	s_cbranch_execz .LBB166_4
; %bb.3:
	global_load_dword v2, v16, s[28:29] offset:1024
.LBB166_4:
	s_or_b64 exec, exec, s[2:3]
	v_or_b32_e32 v3, 0x200, v0
	v_cmp_gt_u32_e64 s[2:3], s30, v3
	v_mov_b32_e32 v3, s31
	s_and_saveexec_b64 s[6:7], s[2:3]
	s_cbranch_execz .LBB166_6
; %bb.5:
	global_load_dword v3, v16, s[28:29] offset:2048
.LBB166_6:
	;; [unrolled: 9-line block ×3, first 2 shown]
	s_or_b64 exec, exec, s[6:7]
	v_or_b32_e32 v6, 0x400, v0
	v_cmp_gt_u32_e64 s[6:7], s30, v6
	v_mov_b32_e32 v5, s31
	s_and_saveexec_b64 s[8:9], s[6:7]
	s_cbranch_execz .LBB166_10
; %bb.9:
	v_lshlrev_b32_e32 v5, 2, v6
	global_load_dword v5, v5, s[28:29]
.LBB166_10:
	s_or_b64 exec, exec, s[8:9]
	v_or_b32_e32 v7, 0x500, v0
	v_cmp_gt_u32_e64 s[8:9], s30, v7
	v_mov_b32_e32 v6, s31
	s_and_saveexec_b64 s[10:11], s[8:9]
	s_cbranch_execz .LBB166_12
; %bb.11:
	v_lshlrev_b32_e32 v6, 2, v7
	global_load_dword v6, v6, s[28:29]
.LBB166_12:
	;; [unrolled: 10-line block ×11, first 2 shown]
	s_or_b64 exec, exec, s[30:31]
	s_waitcnt vmcnt(0)
	ds_write2st64_b32 v16, v1, v2 offset1:4
	ds_write2st64_b32 v16, v3, v4 offset0:8 offset1:12
	ds_write2st64_b32 v16, v5, v6 offset0:16 offset1:20
	;; [unrolled: 1-line block ×6, first 2 shown]
	ds_write_b32 v16, v15 offset:14336
	v_mad_u32_u24 v15, v0, 56, v16
	s_waitcnt lgkmcnt(0)
	s_barrier
	ds_read2_b32 v[1:2], v15 offset1:1
	ds_read2_b32 v[13:14], v15 offset0:2 offset1:3
	ds_read2_b32 v[11:12], v15 offset0:4 offset1:5
	;; [unrolled: 1-line block ×6, first 2 shown]
	ds_read_b32 v15, v15 offset:56
	s_waitcnt lgkmcnt(7)
	v_max_f32_e32 v23, v2, v2
	v_max_f32_e32 v32, v1, v1
	v_min_f32_e32 v31, v32, v23
	v_cmp_u_f32_e64 s[58:59], v1, v1
	v_cndmask_b32_e64 v17, v31, v1, s[58:59]
	v_cmp_u_f32_e64 s[28:29], v2, v2
	v_max_f32_e32 v33, v32, v23
	v_cndmask_b32_e64 v18, v17, v2, s[28:29]
	v_cndmask_b32_e64 v17, v33, v1, s[58:59]
	;; [unrolled: 1-line block ×3, first 2 shown]
	s_movk_i32 s33, 0x1f8
	v_cmp_neq_f32_e64 s[30:31], v18, v17
	v_cmp_class_f32_e64 s[34:35], v18, s33
	s_or_b64 s[30:31], s[30:31], s[34:35]
	v_mov_b32_e32 v36, v1
	s_waitcnt lgkmcnt(0)
	s_barrier
	s_and_saveexec_b64 s[34:35], s[30:31]
	s_cbranch_execz .LBB166_32
; %bb.31:
	v_sub_f32_e32 v18, v18, v17
	s_mov_b32 s30, 0x3fb8aa3b
	v_mul_f32_e32 v19, 0x3fb8aa3b, v18
	v_fma_f32 v20, v18, s30, -v19
	v_rndne_f32_e32 v21, v19
	v_fmac_f32_e32 v20, 0x32a5705f, v18
	v_sub_f32_e32 v19, v19, v21
	v_add_f32_e32 v19, v19, v20
	v_exp_f32_e32 v19, v19
	v_cvt_i32_f32_e32 v20, v21
	s_mov_b32 s30, 0xc2ce8ed0
	v_cmp_ngt_f32_e64 s[30:31], s30, v18
	s_mov_b32 s36, 0x7f800000
	v_ldexp_f32 v19, v19, v20
	v_cndmask_b32_e64 v19, 0, v19, s[30:31]
	s_mov_b32 s30, 0x42b17218
	v_mov_b32_e32 v20, 0x7f800000
	v_cmp_nlt_f32_e64 s[30:31], s30, v18
	v_cndmask_b32_e64 v21, v20, v19, s[30:31]
	v_add_f32_e32 v22, 1.0, v21
	v_cvt_f64_f32_e32 v[18:19], v22
	v_add_f32_e32 v24, -1.0, v22
	v_sub_f32_e32 v25, v24, v22
	v_sub_f32_e32 v24, v21, v24
	v_frexp_exp_i32_f64_e32 v18, v[18:19]
	v_add_f32_e32 v19, 1.0, v25
	v_add_f32_e32 v19, v24, v19
	v_frexp_mant_f32_e32 v24, v22
	s_mov_b32 s30, 0x3f2aaaab
	v_cmp_gt_f32_e64 s[30:31], s30, v24
	v_subbrev_co_u32_e64 v18, s[30:31], 0, v18, s[30:31]
	v_sub_u32_e32 v24, 0, v18
	v_ldexp_f32 v22, v22, v24
	v_ldexp_f32 v19, v19, v24
	v_add_f32_e32 v24, -1.0, v22
	v_add_f32_e32 v27, 1.0, v22
	v_add_f32_e32 v25, 1.0, v24
	v_add_f32_e32 v28, -1.0, v27
	v_sub_f32_e32 v25, v22, v25
	v_sub_f32_e32 v22, v22, v28
	v_add_f32_e32 v25, v19, v25
	v_add_f32_e32 v19, v19, v22
	;; [unrolled: 1-line block ×3, first 2 shown]
	v_rcp_f32_e32 v28, v22
	v_add_f32_e32 v26, v24, v25
	v_sub_f32_e32 v24, v24, v26
	v_add_f32_e32 v24, v25, v24
	v_sub_f32_e32 v25, v27, v22
	v_add_f32_e32 v19, v19, v25
	v_mul_f32_e32 v25, v26, v28
	v_mul_f32_e32 v27, v22, v25
	v_fma_f32 v29, v25, v22, -v27
	v_fmac_f32_e32 v29, v25, v19
	v_add_f32_e32 v30, v27, v29
	v_sub_f32_e32 v34, v26, v30
	v_sub_f32_e32 v26, v26, v34
	;; [unrolled: 1-line block ×4, first 2 shown]
	v_add_f32_e32 v24, v24, v26
	v_sub_f32_e32 v26, v27, v29
	v_add_f32_e32 v24, v26, v24
	v_add_f32_e32 v26, v34, v24
	v_mul_f32_e32 v27, v28, v26
	v_mul_f32_e32 v29, v22, v27
	v_fma_f32 v22, v27, v22, -v29
	v_fmac_f32_e32 v22, v27, v19
	v_sub_f32_e32 v19, v34, v26
	v_add_f32_e32 v19, v24, v19
	v_add_f32_e32 v24, v29, v22
	v_sub_f32_e32 v30, v26, v24
	v_sub_f32_e32 v26, v26, v30
	v_sub_f32_e32 v29, v24, v29
	v_sub_f32_e32 v24, v26, v24
	v_add_f32_e32 v19, v19, v24
	v_sub_f32_e32 v22, v29, v22
	v_add_f32_e32 v19, v22, v19
	v_add_f32_e32 v22, v25, v27
	;; [unrolled: 1-line block ×3, first 2 shown]
	v_sub_f32_e32 v24, v22, v25
	v_mul_f32_e32 v19, v28, v19
	v_sub_f32_e32 v24, v27, v24
	v_add_f32_e32 v19, v24, v19
	v_cvt_f32_i32_e32 v18, v18
	v_add_f32_e32 v24, v22, v19
	v_mul_f32_e32 v25, v24, v24
	v_mov_b32_e32 v26, 0x3ecc95a3
	v_fmac_f32_e32 v26, 0x3e9b6dac, v25
	v_mov_b32_e32 v27, 0x3f2aaada
	v_fmac_f32_e32 v27, v25, v26
	s_mov_b32 s30, 0x3f317218
	v_mul_f32_e32 v26, 0x3f317218, v18
	v_fma_f32 v28, v18, s30, -v26
	v_fmac_f32_e32 v28, 0xb102e308, v18
	v_sub_f32_e32 v18, v24, v22
	v_sub_f32_e32 v18, v19, v18
	v_add_f32_e32 v19, v26, v28
	v_sub_f32_e32 v22, v19, v26
	v_ldexp_f32 v26, v24, 1
	v_mul_f32_e32 v24, v24, v25
	v_mul_f32_e32 v24, v24, v27
	v_add_f32_e32 v25, v26, v24
	v_sub_f32_e32 v26, v25, v26
	v_ldexp_f32 v18, v18, 1
	v_sub_f32_e32 v24, v24, v26
	v_add_f32_e32 v18, v18, v24
	v_add_f32_e32 v24, v25, v18
	v_sub_f32_e32 v25, v24, v25
	v_sub_f32_e32 v18, v18, v25
	v_add_f32_e32 v25, v19, v24
	v_sub_f32_e32 v26, v25, v19
	v_sub_f32_e32 v27, v25, v26
	;; [unrolled: 1-line block ×5, first 2 shown]
	v_add_f32_e32 v19, v24, v19
	v_add_f32_e32 v24, v22, v18
	v_sub_f32_e32 v26, v24, v22
	v_sub_f32_e32 v27, v24, v26
	;; [unrolled: 1-line block ×4, first 2 shown]
	v_add_f32_e32 v19, v24, v19
	v_add_f32_e32 v18, v18, v22
	v_add_f32_e32 v22, v25, v19
	v_sub_f32_e32 v24, v22, v25
	v_sub_f32_e32 v19, v19, v24
	v_add_f32_e32 v18, v18, v19
	v_add_f32_e32 v18, v22, v18
	v_cmp_neq_f32_e64 s[30:31], s36, v21
	v_cndmask_b32_e64 v18, v20, v18, s[30:31]
	s_mov_b32 s30, 0x33800000
	v_cmp_lt_f32_e64 s[30:31], |v21|, s30
	v_cndmask_b32_e64 v18, v18, v21, s[30:31]
	v_add_f32_e32 v36, v17, v18
.LBB166_32:
	s_or_b64 exec, exec, s[34:35]
	v_max_f32_e32 v18, v36, v36
	v_max_f32_e32 v17, v13, v13
	v_min_f32_e32 v19, v18, v17
	v_cmp_u_f32_e64 s[34:35], v36, v36
	v_max_f32_e32 v18, v18, v17
	v_cndmask_b32_e64 v19, v19, v36, s[34:35]
	v_cmp_u_f32_e64 s[30:31], v13, v13
	v_cndmask_b32_e64 v18, v18, v36, s[34:35]
	v_cndmask_b32_e64 v19, v19, v13, s[30:31]
	;; [unrolled: 1-line block ×3, first 2 shown]
	v_cmp_neq_f32_e64 s[34:35], v19, v18
	v_cmp_class_f32_e64 s[36:37], v19, s33
	s_or_b64 s[34:35], s[34:35], s[36:37]
	s_and_saveexec_b64 s[36:37], s[34:35]
	s_cbranch_execz .LBB166_34
; %bb.33:
	v_sub_f32_e32 v19, v19, v18
	s_mov_b32 s33, 0x3fb8aa3b
	v_mul_f32_e32 v20, 0x3fb8aa3b, v19
	v_fma_f32 v21, v19, s33, -v20
	v_rndne_f32_e32 v22, v20
	v_fmac_f32_e32 v21, 0x32a5705f, v19
	v_sub_f32_e32 v20, v20, v22
	v_add_f32_e32 v20, v20, v21
	v_exp_f32_e32 v20, v20
	v_cvt_i32_f32_e32 v21, v22
	s_mov_b32 s33, 0xc2ce8ed0
	v_cmp_ngt_f32_e64 s[34:35], s33, v19
	s_mov_b32 s33, 0x42b17218
	v_ldexp_f32 v20, v20, v21
	v_cndmask_b32_e64 v20, 0, v20, s[34:35]
	v_mov_b32_e32 v21, 0x7f800000
	v_cmp_nlt_f32_e64 s[34:35], s33, v19
	v_cndmask_b32_e64 v22, v21, v20, s[34:35]
	v_add_f32_e32 v24, 1.0, v22
	v_cvt_f64_f32_e32 v[19:20], v24
	v_add_f32_e32 v25, -1.0, v24
	v_sub_f32_e32 v26, v25, v24
	v_sub_f32_e32 v25, v22, v25
	v_frexp_exp_i32_f64_e32 v19, v[19:20]
	v_add_f32_e32 v20, 1.0, v26
	v_add_f32_e32 v20, v25, v20
	v_frexp_mant_f32_e32 v25, v24
	s_mov_b32 s34, 0x3f2aaaab
	v_cmp_gt_f32_e64 s[34:35], s34, v25
	s_mov_b32 s33, 0x7f800000
	v_subbrev_co_u32_e64 v19, s[34:35], 0, v19, s[34:35]
	v_sub_u32_e32 v25, 0, v19
	v_ldexp_f32 v24, v24, v25
	v_ldexp_f32 v20, v20, v25
	v_add_f32_e32 v25, -1.0, v24
	v_add_f32_e32 v28, 1.0, v24
	v_add_f32_e32 v26, 1.0, v25
	v_add_f32_e32 v29, -1.0, v28
	v_sub_f32_e32 v26, v24, v26
	v_sub_f32_e32 v24, v24, v29
	v_add_f32_e32 v26, v20, v26
	v_add_f32_e32 v20, v20, v24
	;; [unrolled: 1-line block ×3, first 2 shown]
	v_rcp_f32_e32 v29, v24
	v_add_f32_e32 v27, v25, v26
	v_sub_f32_e32 v25, v25, v27
	v_add_f32_e32 v25, v26, v25
	v_sub_f32_e32 v26, v28, v24
	v_add_f32_e32 v20, v20, v26
	v_mul_f32_e32 v26, v27, v29
	v_mul_f32_e32 v28, v24, v26
	v_fma_f32 v30, v26, v24, -v28
	v_fmac_f32_e32 v30, v26, v20
	v_add_f32_e32 v34, v28, v30
	v_sub_f32_e32 v35, v27, v34
	v_sub_f32_e32 v27, v27, v35
	;; [unrolled: 1-line block ×4, first 2 shown]
	v_add_f32_e32 v25, v25, v27
	v_sub_f32_e32 v27, v28, v30
	v_add_f32_e32 v25, v27, v25
	v_add_f32_e32 v27, v35, v25
	v_mul_f32_e32 v28, v29, v27
	v_mul_f32_e32 v30, v24, v28
	v_fma_f32 v24, v28, v24, -v30
	v_fmac_f32_e32 v24, v28, v20
	v_sub_f32_e32 v20, v35, v27
	v_add_f32_e32 v20, v25, v20
	v_add_f32_e32 v25, v30, v24
	v_sub_f32_e32 v34, v27, v25
	v_sub_f32_e32 v27, v27, v34
	;; [unrolled: 1-line block ×4, first 2 shown]
	v_add_f32_e32 v20, v20, v25
	v_sub_f32_e32 v24, v30, v24
	v_add_f32_e32 v20, v24, v20
	v_add_f32_e32 v24, v26, v28
	;; [unrolled: 1-line block ×3, first 2 shown]
	v_sub_f32_e32 v25, v24, v26
	v_mul_f32_e32 v20, v29, v20
	v_sub_f32_e32 v25, v28, v25
	v_add_f32_e32 v20, v25, v20
	v_cvt_f32_i32_e32 v19, v19
	v_add_f32_e32 v25, v24, v20
	v_mul_f32_e32 v26, v25, v25
	v_mov_b32_e32 v27, 0x3ecc95a3
	v_fmac_f32_e32 v27, 0x3e9b6dac, v26
	v_mov_b32_e32 v28, 0x3f2aaada
	v_fmac_f32_e32 v28, v26, v27
	s_mov_b32 s34, 0x3f317218
	v_mul_f32_e32 v27, 0x3f317218, v19
	v_fma_f32 v29, v19, s34, -v27
	v_fmac_f32_e32 v29, 0xb102e308, v19
	v_sub_f32_e32 v19, v25, v24
	v_sub_f32_e32 v19, v20, v19
	v_add_f32_e32 v20, v27, v29
	v_sub_f32_e32 v24, v20, v27
	v_ldexp_f32 v27, v25, 1
	v_mul_f32_e32 v25, v25, v26
	v_mul_f32_e32 v25, v25, v28
	v_add_f32_e32 v26, v27, v25
	v_sub_f32_e32 v27, v26, v27
	v_ldexp_f32 v19, v19, 1
	v_sub_f32_e32 v25, v25, v27
	v_add_f32_e32 v19, v19, v25
	v_add_f32_e32 v25, v26, v19
	v_sub_f32_e32 v26, v25, v26
	v_sub_f32_e32 v19, v19, v26
	v_add_f32_e32 v26, v20, v25
	v_sub_f32_e32 v27, v26, v20
	v_sub_f32_e32 v28, v26, v27
	;; [unrolled: 1-line block ×5, first 2 shown]
	v_add_f32_e32 v20, v25, v20
	v_add_f32_e32 v25, v24, v19
	v_sub_f32_e32 v27, v25, v24
	v_sub_f32_e32 v28, v25, v27
	v_sub_f32_e32 v24, v24, v28
	v_sub_f32_e32 v19, v19, v27
	v_add_f32_e32 v20, v25, v20
	v_add_f32_e32 v19, v19, v24
	;; [unrolled: 1-line block ×3, first 2 shown]
	v_sub_f32_e32 v25, v24, v26
	v_sub_f32_e32 v20, v20, v25
	v_add_f32_e32 v19, v19, v20
	v_add_f32_e32 v19, v24, v19
	v_cmp_neq_f32_e64 s[34:35], s33, v22
	s_mov_b32 s33, 0x33800000
	v_cndmask_b32_e64 v19, v21, v19, s[34:35]
	v_cmp_lt_f32_e64 s[34:35], |v22|, s33
	v_cndmask_b32_e64 v19, v19, v22, s[34:35]
	v_add_f32_e32 v36, v18, v19
.LBB166_34:
	s_or_b64 exec, exec, s[36:37]
	v_max_f32_e32 v19, v36, v36
	v_max_f32_e32 v18, v14, v14
	v_min_f32_e32 v20, v19, v18
	v_cmp_u_f32_e64 s[36:37], v36, v36
	v_max_f32_e32 v19, v19, v18
	v_cndmask_b32_e64 v20, v20, v36, s[36:37]
	v_cmp_u_f32_e64 s[34:35], v14, v14
	v_cndmask_b32_e64 v19, v19, v36, s[36:37]
	v_cndmask_b32_e64 v20, v20, v14, s[34:35]
	;; [unrolled: 1-line block ×3, first 2 shown]
	s_movk_i32 s33, 0x1f8
	v_cmp_neq_f32_e64 s[36:37], v20, v19
	v_cmp_class_f32_e64 s[38:39], v20, s33
	s_or_b64 s[36:37], s[36:37], s[38:39]
	s_and_saveexec_b64 s[38:39], s[36:37]
	s_cbranch_execz .LBB166_36
; %bb.35:
	v_sub_f32_e32 v20, v20, v19
	s_mov_b32 s36, 0x3fb8aa3b
	v_mul_f32_e32 v21, 0x3fb8aa3b, v20
	v_fma_f32 v22, v20, s36, -v21
	v_rndne_f32_e32 v24, v21
	v_fmac_f32_e32 v22, 0x32a5705f, v20
	v_sub_f32_e32 v21, v21, v24
	v_add_f32_e32 v21, v21, v22
	v_exp_f32_e32 v21, v21
	v_cvt_i32_f32_e32 v22, v24
	s_mov_b32 s36, 0xc2ce8ed0
	v_cmp_ngt_f32_e64 s[36:37], s36, v20
	s_mov_b32 s40, 0x7f800000
	v_ldexp_f32 v21, v21, v22
	v_cndmask_b32_e64 v21, 0, v21, s[36:37]
	s_mov_b32 s36, 0x42b17218
	v_mov_b32_e32 v22, 0x7f800000
	v_cmp_nlt_f32_e64 s[36:37], s36, v20
	v_cndmask_b32_e64 v24, v22, v21, s[36:37]
	v_add_f32_e32 v25, 1.0, v24
	v_cvt_f64_f32_e32 v[20:21], v25
	v_add_f32_e32 v26, -1.0, v25
	v_sub_f32_e32 v27, v26, v25
	v_sub_f32_e32 v26, v24, v26
	v_frexp_exp_i32_f64_e32 v20, v[20:21]
	v_add_f32_e32 v21, 1.0, v27
	v_add_f32_e32 v21, v26, v21
	v_frexp_mant_f32_e32 v26, v25
	s_mov_b32 s36, 0x3f2aaaab
	v_cmp_gt_f32_e64 s[36:37], s36, v26
	v_subbrev_co_u32_e64 v20, s[36:37], 0, v20, s[36:37]
	v_sub_u32_e32 v26, 0, v20
	v_ldexp_f32 v25, v25, v26
	v_ldexp_f32 v21, v21, v26
	v_add_f32_e32 v26, -1.0, v25
	v_add_f32_e32 v29, 1.0, v25
	v_add_f32_e32 v27, 1.0, v26
	v_add_f32_e32 v30, -1.0, v29
	v_sub_f32_e32 v27, v25, v27
	v_sub_f32_e32 v25, v25, v30
	v_add_f32_e32 v27, v21, v27
	v_add_f32_e32 v21, v21, v25
	;; [unrolled: 1-line block ×3, first 2 shown]
	v_rcp_f32_e32 v30, v25
	v_add_f32_e32 v28, v26, v27
	v_sub_f32_e32 v26, v26, v28
	v_add_f32_e32 v26, v27, v26
	v_sub_f32_e32 v27, v29, v25
	v_add_f32_e32 v21, v21, v27
	v_mul_f32_e32 v27, v28, v30
	v_mul_f32_e32 v29, v25, v27
	v_fma_f32 v34, v27, v25, -v29
	v_fmac_f32_e32 v34, v27, v21
	v_add_f32_e32 v35, v29, v34
	v_sub_f32_e32 v36, v28, v35
	v_sub_f32_e32 v28, v28, v36
	;; [unrolled: 1-line block ×4, first 2 shown]
	v_add_f32_e32 v26, v26, v28
	v_sub_f32_e32 v28, v29, v34
	v_add_f32_e32 v26, v28, v26
	v_add_f32_e32 v28, v36, v26
	v_mul_f32_e32 v29, v30, v28
	v_mul_f32_e32 v34, v25, v29
	v_fma_f32 v25, v29, v25, -v34
	v_fmac_f32_e32 v25, v29, v21
	v_sub_f32_e32 v21, v36, v28
	v_add_f32_e32 v21, v26, v21
	v_add_f32_e32 v26, v34, v25
	v_sub_f32_e32 v35, v28, v26
	v_sub_f32_e32 v28, v28, v35
	;; [unrolled: 1-line block ×4, first 2 shown]
	v_add_f32_e32 v21, v21, v26
	v_sub_f32_e32 v25, v34, v25
	v_add_f32_e32 v21, v25, v21
	v_add_f32_e32 v25, v27, v29
	;; [unrolled: 1-line block ×3, first 2 shown]
	v_sub_f32_e32 v26, v25, v27
	v_mul_f32_e32 v21, v30, v21
	v_sub_f32_e32 v26, v29, v26
	v_add_f32_e32 v21, v26, v21
	v_cvt_f32_i32_e32 v20, v20
	v_add_f32_e32 v26, v25, v21
	v_mul_f32_e32 v27, v26, v26
	v_mov_b32_e32 v28, 0x3ecc95a3
	v_fmac_f32_e32 v28, 0x3e9b6dac, v27
	v_mov_b32_e32 v29, 0x3f2aaada
	v_fmac_f32_e32 v29, v27, v28
	s_mov_b32 s36, 0x3f317218
	v_mul_f32_e32 v28, 0x3f317218, v20
	v_fma_f32 v30, v20, s36, -v28
	v_fmac_f32_e32 v30, 0xb102e308, v20
	v_sub_f32_e32 v20, v26, v25
	v_sub_f32_e32 v20, v21, v20
	v_add_f32_e32 v21, v28, v30
	v_sub_f32_e32 v25, v21, v28
	v_ldexp_f32 v28, v26, 1
	v_mul_f32_e32 v26, v26, v27
	v_mul_f32_e32 v26, v26, v29
	v_add_f32_e32 v27, v28, v26
	v_sub_f32_e32 v28, v27, v28
	v_ldexp_f32 v20, v20, 1
	v_sub_f32_e32 v26, v26, v28
	v_add_f32_e32 v20, v20, v26
	v_add_f32_e32 v26, v27, v20
	v_sub_f32_e32 v27, v26, v27
	v_sub_f32_e32 v20, v20, v27
	v_add_f32_e32 v27, v21, v26
	v_sub_f32_e32 v28, v27, v21
	v_sub_f32_e32 v29, v27, v28
	v_sub_f32_e32 v25, v30, v25
	v_sub_f32_e32 v21, v21, v29
	v_sub_f32_e32 v26, v26, v28
	v_add_f32_e32 v21, v26, v21
	v_add_f32_e32 v26, v25, v20
	v_sub_f32_e32 v28, v26, v25
	v_sub_f32_e32 v29, v26, v28
	;; [unrolled: 1-line block ×4, first 2 shown]
	v_add_f32_e32 v21, v26, v21
	v_add_f32_e32 v20, v20, v25
	;; [unrolled: 1-line block ×3, first 2 shown]
	v_sub_f32_e32 v26, v25, v27
	v_sub_f32_e32 v21, v21, v26
	v_add_f32_e32 v20, v20, v21
	v_add_f32_e32 v20, v25, v20
	v_cmp_neq_f32_e64 s[36:37], s40, v24
	v_cndmask_b32_e64 v20, v22, v20, s[36:37]
	s_mov_b32 s36, 0x33800000
	v_cmp_lt_f32_e64 s[36:37], |v24|, s36
	v_cndmask_b32_e64 v20, v20, v24, s[36:37]
	v_add_f32_e32 v36, v19, v20
.LBB166_36:
	s_or_b64 exec, exec, s[38:39]
	v_max_f32_e32 v20, v36, v36
	v_max_f32_e32 v19, v11, v11
	v_min_f32_e32 v21, v20, v19
	v_cmp_u_f32_e64 s[38:39], v36, v36
	v_max_f32_e32 v20, v20, v19
	v_cndmask_b32_e64 v21, v21, v36, s[38:39]
	v_cmp_u_f32_e64 s[36:37], v11, v11
	v_cndmask_b32_e64 v20, v20, v36, s[38:39]
	v_cndmask_b32_e64 v21, v21, v11, s[36:37]
	;; [unrolled: 1-line block ×3, first 2 shown]
	v_cmp_neq_f32_e64 s[38:39], v21, v20
	v_cmp_class_f32_e64 s[40:41], v21, s33
	s_or_b64 s[38:39], s[38:39], s[40:41]
	s_and_saveexec_b64 s[40:41], s[38:39]
	s_cbranch_execz .LBB166_38
; %bb.37:
	v_sub_f32_e32 v21, v21, v20
	s_mov_b32 s33, 0x3fb8aa3b
	v_mul_f32_e32 v22, 0x3fb8aa3b, v21
	v_fma_f32 v24, v21, s33, -v22
	v_rndne_f32_e32 v25, v22
	v_fmac_f32_e32 v24, 0x32a5705f, v21
	v_sub_f32_e32 v22, v22, v25
	v_add_f32_e32 v22, v22, v24
	v_exp_f32_e32 v22, v22
	v_cvt_i32_f32_e32 v24, v25
	s_mov_b32 s33, 0xc2ce8ed0
	v_cmp_ngt_f32_e64 s[38:39], s33, v21
	s_mov_b32 s33, 0x42b17218
	v_ldexp_f32 v22, v22, v24
	v_cndmask_b32_e64 v22, 0, v22, s[38:39]
	v_mov_b32_e32 v24, 0x7f800000
	v_cmp_nlt_f32_e64 s[38:39], s33, v21
	v_cndmask_b32_e64 v25, v24, v22, s[38:39]
	v_add_f32_e32 v26, 1.0, v25
	v_cvt_f64_f32_e32 v[21:22], v26
	v_add_f32_e32 v27, -1.0, v26
	v_sub_f32_e32 v28, v27, v26
	v_sub_f32_e32 v27, v25, v27
	v_frexp_exp_i32_f64_e32 v21, v[21:22]
	v_add_f32_e32 v22, 1.0, v28
	v_add_f32_e32 v22, v27, v22
	v_frexp_mant_f32_e32 v27, v26
	s_mov_b32 s38, 0x3f2aaaab
	v_cmp_gt_f32_e64 s[38:39], s38, v27
	s_mov_b32 s33, 0x7f800000
	v_subbrev_co_u32_e64 v21, s[38:39], 0, v21, s[38:39]
	v_sub_u32_e32 v27, 0, v21
	v_ldexp_f32 v26, v26, v27
	v_ldexp_f32 v22, v22, v27
	v_add_f32_e32 v27, -1.0, v26
	v_add_f32_e32 v30, 1.0, v26
	v_add_f32_e32 v28, 1.0, v27
	v_add_f32_e32 v34, -1.0, v30
	v_sub_f32_e32 v28, v26, v28
	v_sub_f32_e32 v26, v26, v34
	v_add_f32_e32 v28, v22, v28
	v_add_f32_e32 v22, v22, v26
	;; [unrolled: 1-line block ×3, first 2 shown]
	v_rcp_f32_e32 v34, v26
	v_add_f32_e32 v29, v27, v28
	v_sub_f32_e32 v27, v27, v29
	v_add_f32_e32 v27, v28, v27
	v_sub_f32_e32 v28, v30, v26
	v_add_f32_e32 v22, v22, v28
	v_mul_f32_e32 v28, v29, v34
	v_mul_f32_e32 v30, v26, v28
	v_fma_f32 v35, v28, v26, -v30
	v_fmac_f32_e32 v35, v28, v22
	v_add_f32_e32 v36, v30, v35
	v_sub_f32_e32 v37, v29, v36
	v_sub_f32_e32 v29, v29, v37
	;; [unrolled: 1-line block ×4, first 2 shown]
	v_add_f32_e32 v27, v27, v29
	v_sub_f32_e32 v29, v30, v35
	v_add_f32_e32 v27, v29, v27
	v_add_f32_e32 v29, v37, v27
	v_mul_f32_e32 v30, v34, v29
	v_mul_f32_e32 v35, v26, v30
	v_fma_f32 v26, v30, v26, -v35
	v_fmac_f32_e32 v26, v30, v22
	v_sub_f32_e32 v22, v37, v29
	v_add_f32_e32 v22, v27, v22
	v_add_f32_e32 v27, v35, v26
	v_sub_f32_e32 v36, v29, v27
	v_sub_f32_e32 v29, v29, v36
	;; [unrolled: 1-line block ×4, first 2 shown]
	v_add_f32_e32 v22, v22, v27
	v_sub_f32_e32 v26, v35, v26
	v_add_f32_e32 v22, v26, v22
	v_add_f32_e32 v26, v28, v30
	;; [unrolled: 1-line block ×3, first 2 shown]
	v_sub_f32_e32 v27, v26, v28
	v_mul_f32_e32 v22, v34, v22
	v_sub_f32_e32 v27, v30, v27
	v_add_f32_e32 v22, v27, v22
	v_cvt_f32_i32_e32 v21, v21
	v_add_f32_e32 v27, v26, v22
	v_mul_f32_e32 v28, v27, v27
	v_mov_b32_e32 v29, 0x3ecc95a3
	v_fmac_f32_e32 v29, 0x3e9b6dac, v28
	v_mov_b32_e32 v30, 0x3f2aaada
	v_fmac_f32_e32 v30, v28, v29
	s_mov_b32 s38, 0x3f317218
	v_mul_f32_e32 v29, 0x3f317218, v21
	v_fma_f32 v34, v21, s38, -v29
	v_fmac_f32_e32 v34, 0xb102e308, v21
	v_sub_f32_e32 v21, v27, v26
	v_sub_f32_e32 v21, v22, v21
	v_add_f32_e32 v22, v29, v34
	v_sub_f32_e32 v26, v22, v29
	v_ldexp_f32 v29, v27, 1
	v_mul_f32_e32 v27, v27, v28
	v_mul_f32_e32 v27, v27, v30
	v_add_f32_e32 v28, v29, v27
	v_sub_f32_e32 v29, v28, v29
	v_ldexp_f32 v21, v21, 1
	v_sub_f32_e32 v27, v27, v29
	v_add_f32_e32 v21, v21, v27
	v_add_f32_e32 v27, v28, v21
	v_sub_f32_e32 v28, v27, v28
	v_sub_f32_e32 v21, v21, v28
	v_add_f32_e32 v28, v22, v27
	v_sub_f32_e32 v29, v28, v22
	v_sub_f32_e32 v30, v28, v29
	;; [unrolled: 1-line block ×5, first 2 shown]
	v_add_f32_e32 v22, v27, v22
	v_add_f32_e32 v27, v26, v21
	v_sub_f32_e32 v29, v27, v26
	v_sub_f32_e32 v30, v27, v29
	;; [unrolled: 1-line block ×4, first 2 shown]
	v_add_f32_e32 v22, v27, v22
	v_add_f32_e32 v21, v21, v26
	;; [unrolled: 1-line block ×3, first 2 shown]
	v_sub_f32_e32 v27, v26, v28
	v_sub_f32_e32 v22, v22, v27
	v_add_f32_e32 v21, v21, v22
	v_add_f32_e32 v21, v26, v21
	v_cmp_neq_f32_e64 s[38:39], s33, v25
	s_mov_b32 s33, 0x33800000
	v_cndmask_b32_e64 v21, v24, v21, s[38:39]
	v_cmp_lt_f32_e64 s[38:39], |v25|, s33
	v_cndmask_b32_e64 v21, v21, v25, s[38:39]
	v_add_f32_e32 v36, v20, v21
.LBB166_38:
	s_or_b64 exec, exec, s[40:41]
	v_max_f32_e32 v21, v36, v36
	v_max_f32_e32 v20, v12, v12
	v_min_f32_e32 v22, v21, v20
	v_cmp_u_f32_e64 s[40:41], v36, v36
	v_max_f32_e32 v21, v21, v20
	v_cndmask_b32_e64 v22, v22, v36, s[40:41]
	v_cmp_u_f32_e64 s[38:39], v12, v12
	v_cndmask_b32_e64 v21, v21, v36, s[40:41]
	v_cndmask_b32_e64 v22, v22, v12, s[38:39]
	;; [unrolled: 1-line block ×3, first 2 shown]
	s_movk_i32 s33, 0x1f8
	v_cmp_neq_f32_e64 s[40:41], v22, v21
	v_cmp_class_f32_e64 s[42:43], v22, s33
	s_or_b64 s[40:41], s[40:41], s[42:43]
	s_and_saveexec_b64 s[42:43], s[40:41]
	s_cbranch_execz .LBB166_40
; %bb.39:
	v_sub_f32_e32 v22, v22, v21
	s_mov_b32 s40, 0x3fb8aa3b
	v_mul_f32_e32 v24, 0x3fb8aa3b, v22
	v_fma_f32 v25, v22, s40, -v24
	v_rndne_f32_e32 v26, v24
	v_fmac_f32_e32 v25, 0x32a5705f, v22
	v_sub_f32_e32 v24, v24, v26
	v_add_f32_e32 v24, v24, v25
	v_exp_f32_e32 v24, v24
	v_cvt_i32_f32_e32 v25, v26
	s_mov_b32 s40, 0xc2ce8ed0
	v_cmp_ngt_f32_e64 s[40:41], s40, v22
	v_mov_b32_e32 v26, 0x7f800000
	v_ldexp_f32 v24, v24, v25
	v_cndmask_b32_e64 v24, 0, v24, s[40:41]
	s_mov_b32 s40, 0x42b17218
	v_cmp_nlt_f32_e64 s[40:41], s40, v22
	v_cndmask_b32_e64 v22, v26, v24, s[40:41]
	v_add_f32_e32 v27, 1.0, v22
	v_cvt_f64_f32_e32 v[24:25], v27
	v_add_f32_e32 v28, -1.0, v27
	v_sub_f32_e32 v29, v28, v27
	v_sub_f32_e32 v28, v22, v28
	v_frexp_exp_i32_f64_e32 v24, v[24:25]
	v_add_f32_e32 v25, 1.0, v29
	v_add_f32_e32 v25, v28, v25
	v_frexp_mant_f32_e32 v28, v27
	s_mov_b32 s40, 0x3f2aaaab
	v_cmp_gt_f32_e64 s[40:41], s40, v28
	s_mov_b32 s44, 0x7f800000
	v_subbrev_co_u32_e64 v24, s[40:41], 0, v24, s[40:41]
	v_sub_u32_e32 v28, 0, v24
	v_ldexp_f32 v27, v27, v28
	v_ldexp_f32 v25, v25, v28
	v_add_f32_e32 v28, -1.0, v27
	v_add_f32_e32 v34, 1.0, v27
	v_add_f32_e32 v29, 1.0, v28
	v_add_f32_e32 v35, -1.0, v34
	v_sub_f32_e32 v29, v27, v29
	v_sub_f32_e32 v27, v27, v35
	v_add_f32_e32 v29, v25, v29
	v_add_f32_e32 v25, v25, v27
	;; [unrolled: 1-line block ×3, first 2 shown]
	v_rcp_f32_e32 v35, v27
	v_add_f32_e32 v30, v28, v29
	v_sub_f32_e32 v28, v28, v30
	v_add_f32_e32 v28, v29, v28
	v_sub_f32_e32 v29, v34, v27
	v_add_f32_e32 v25, v25, v29
	v_mul_f32_e32 v29, v30, v35
	v_mul_f32_e32 v34, v27, v29
	v_fma_f32 v36, v29, v27, -v34
	v_fmac_f32_e32 v36, v29, v25
	v_add_f32_e32 v37, v34, v36
	v_sub_f32_e32 v38, v30, v37
	v_sub_f32_e32 v30, v30, v38
	;; [unrolled: 1-line block ×4, first 2 shown]
	v_add_f32_e32 v28, v28, v30
	v_sub_f32_e32 v30, v34, v36
	v_add_f32_e32 v28, v30, v28
	v_add_f32_e32 v30, v38, v28
	v_mul_f32_e32 v34, v35, v30
	v_mul_f32_e32 v36, v27, v34
	v_fma_f32 v27, v34, v27, -v36
	v_fmac_f32_e32 v27, v34, v25
	v_sub_f32_e32 v25, v38, v30
	v_add_f32_e32 v25, v28, v25
	v_add_f32_e32 v28, v36, v27
	v_sub_f32_e32 v37, v30, v28
	v_sub_f32_e32 v30, v30, v37
	;; [unrolled: 1-line block ×4, first 2 shown]
	v_add_f32_e32 v25, v25, v28
	v_sub_f32_e32 v27, v36, v27
	v_add_f32_e32 v25, v27, v25
	v_add_f32_e32 v27, v29, v34
	v_add_f32_e32 v25, v37, v25
	v_sub_f32_e32 v28, v27, v29
	v_mul_f32_e32 v25, v35, v25
	v_sub_f32_e32 v28, v34, v28
	v_add_f32_e32 v25, v28, v25
	v_cvt_f32_i32_e32 v24, v24
	v_add_f32_e32 v28, v27, v25
	v_mul_f32_e32 v29, v28, v28
	v_mov_b32_e32 v30, 0x3ecc95a3
	v_fmac_f32_e32 v30, 0x3e9b6dac, v29
	v_mov_b32_e32 v34, 0x3f2aaada
	v_fmac_f32_e32 v34, v29, v30
	s_mov_b32 s40, 0x3f317218
	v_mul_f32_e32 v30, 0x3f317218, v24
	v_fma_f32 v35, v24, s40, -v30
	v_fmac_f32_e32 v35, 0xb102e308, v24
	v_sub_f32_e32 v24, v28, v27
	v_sub_f32_e32 v24, v25, v24
	v_add_f32_e32 v25, v30, v35
	v_sub_f32_e32 v27, v25, v30
	v_ldexp_f32 v30, v28, 1
	v_mul_f32_e32 v28, v28, v29
	v_mul_f32_e32 v28, v28, v34
	v_add_f32_e32 v29, v30, v28
	v_sub_f32_e32 v30, v29, v30
	v_ldexp_f32 v24, v24, 1
	v_sub_f32_e32 v28, v28, v30
	v_add_f32_e32 v24, v24, v28
	v_add_f32_e32 v28, v29, v24
	v_sub_f32_e32 v29, v28, v29
	v_sub_f32_e32 v24, v24, v29
	v_add_f32_e32 v29, v25, v28
	v_sub_f32_e32 v30, v29, v25
	v_sub_f32_e32 v34, v29, v30
	v_sub_f32_e32 v27, v35, v27
	v_sub_f32_e32 v25, v25, v34
	v_sub_f32_e32 v28, v28, v30
	v_add_f32_e32 v25, v28, v25
	v_add_f32_e32 v28, v27, v24
	v_sub_f32_e32 v30, v28, v27
	v_sub_f32_e32 v34, v28, v30
	;; [unrolled: 1-line block ×4, first 2 shown]
	v_add_f32_e32 v25, v28, v25
	v_add_f32_e32 v24, v24, v27
	;; [unrolled: 1-line block ×3, first 2 shown]
	v_sub_f32_e32 v28, v27, v29
	v_sub_f32_e32 v25, v25, v28
	v_add_f32_e32 v24, v24, v25
	v_add_f32_e32 v24, v27, v24
	v_cmp_neq_f32_e64 s[40:41], s44, v22
	v_cndmask_b32_e64 v24, v26, v24, s[40:41]
	s_mov_b32 s40, 0x33800000
	v_cmp_lt_f32_e64 s[40:41], |v22|, s40
	v_cndmask_b32_e64 v22, v24, v22, s[40:41]
	v_add_f32_e32 v36, v21, v22
.LBB166_40:
	s_or_b64 exec, exec, s[42:43]
	v_max_f32_e32 v22, v36, v36
	v_max_f32_e32 v21, v9, v9
	v_min_f32_e32 v24, v22, v21
	v_cmp_u_f32_e64 s[42:43], v36, v36
	v_max_f32_e32 v22, v22, v21
	v_cndmask_b32_e64 v24, v24, v36, s[42:43]
	v_cmp_u_f32_e64 s[40:41], v9, v9
	v_cndmask_b32_e64 v22, v22, v36, s[42:43]
	v_cndmask_b32_e64 v24, v24, v9, s[40:41]
	;; [unrolled: 1-line block ×3, first 2 shown]
	v_cmp_neq_f32_e64 s[42:43], v24, v22
	v_cmp_class_f32_e64 s[44:45], v24, s33
	s_or_b64 s[42:43], s[42:43], s[44:45]
	s_and_saveexec_b64 s[44:45], s[42:43]
	s_cbranch_execz .LBB166_42
; %bb.41:
	v_sub_f32_e32 v24, v24, v22
	s_mov_b32 s33, 0x3fb8aa3b
	v_mul_f32_e32 v25, 0x3fb8aa3b, v24
	v_fma_f32 v26, v24, s33, -v25
	v_rndne_f32_e32 v27, v25
	v_fmac_f32_e32 v26, 0x32a5705f, v24
	v_sub_f32_e32 v25, v25, v27
	v_add_f32_e32 v25, v25, v26
	v_exp_f32_e32 v25, v25
	v_cvt_i32_f32_e32 v26, v27
	s_mov_b32 s33, 0xc2ce8ed0
	v_cmp_ngt_f32_e64 s[42:43], s33, v24
	s_mov_b32 s33, 0x42b17218
	v_ldexp_f32 v25, v25, v26
	v_cndmask_b32_e64 v25, 0, v25, s[42:43]
	v_mov_b32_e32 v26, 0x7f800000
	v_cmp_nlt_f32_e64 s[42:43], s33, v24
	v_cndmask_b32_e64 v27, v26, v25, s[42:43]
	v_add_f32_e32 v28, 1.0, v27
	v_cvt_f64_f32_e32 v[24:25], v28
	v_add_f32_e32 v29, -1.0, v28
	v_sub_f32_e32 v30, v29, v28
	v_sub_f32_e32 v29, v27, v29
	v_frexp_exp_i32_f64_e32 v24, v[24:25]
	v_add_f32_e32 v25, 1.0, v30
	v_add_f32_e32 v25, v29, v25
	v_frexp_mant_f32_e32 v29, v28
	s_mov_b32 s42, 0x3f2aaaab
	v_cmp_gt_f32_e64 s[42:43], s42, v29
	s_mov_b32 s33, 0x7f800000
	v_subbrev_co_u32_e64 v24, s[42:43], 0, v24, s[42:43]
	v_sub_u32_e32 v29, 0, v24
	v_ldexp_f32 v28, v28, v29
	v_ldexp_f32 v25, v25, v29
	v_add_f32_e32 v29, -1.0, v28
	v_add_f32_e32 v35, 1.0, v28
	v_add_f32_e32 v30, 1.0, v29
	v_add_f32_e32 v36, -1.0, v35
	v_sub_f32_e32 v30, v28, v30
	v_sub_f32_e32 v28, v28, v36
	v_add_f32_e32 v30, v25, v30
	v_add_f32_e32 v25, v25, v28
	;; [unrolled: 1-line block ×3, first 2 shown]
	v_rcp_f32_e32 v36, v28
	v_add_f32_e32 v34, v29, v30
	v_sub_f32_e32 v29, v29, v34
	v_add_f32_e32 v29, v30, v29
	v_sub_f32_e32 v30, v35, v28
	v_add_f32_e32 v25, v25, v30
	v_mul_f32_e32 v30, v34, v36
	v_mul_f32_e32 v35, v28, v30
	v_fma_f32 v37, v30, v28, -v35
	v_fmac_f32_e32 v37, v30, v25
	v_add_f32_e32 v38, v35, v37
	v_sub_f32_e32 v39, v34, v38
	v_sub_f32_e32 v34, v34, v39
	;; [unrolled: 1-line block ×4, first 2 shown]
	v_add_f32_e32 v29, v29, v34
	v_sub_f32_e32 v34, v35, v37
	v_add_f32_e32 v29, v34, v29
	v_add_f32_e32 v34, v39, v29
	v_mul_f32_e32 v35, v36, v34
	v_mul_f32_e32 v37, v28, v35
	v_fma_f32 v28, v35, v28, -v37
	v_fmac_f32_e32 v28, v35, v25
	v_sub_f32_e32 v25, v39, v34
	v_add_f32_e32 v25, v29, v25
	v_add_f32_e32 v29, v37, v28
	v_sub_f32_e32 v38, v34, v29
	v_sub_f32_e32 v34, v34, v38
	;; [unrolled: 1-line block ×4, first 2 shown]
	v_add_f32_e32 v25, v25, v29
	v_sub_f32_e32 v28, v37, v28
	v_add_f32_e32 v25, v28, v25
	v_add_f32_e32 v28, v30, v35
	;; [unrolled: 1-line block ×3, first 2 shown]
	v_sub_f32_e32 v29, v28, v30
	v_mul_f32_e32 v25, v36, v25
	v_sub_f32_e32 v29, v35, v29
	v_add_f32_e32 v25, v29, v25
	v_cvt_f32_i32_e32 v24, v24
	v_add_f32_e32 v29, v28, v25
	v_mul_f32_e32 v30, v29, v29
	v_mov_b32_e32 v34, 0x3ecc95a3
	v_fmac_f32_e32 v34, 0x3e9b6dac, v30
	v_mov_b32_e32 v35, 0x3f2aaada
	v_fmac_f32_e32 v35, v30, v34
	s_mov_b32 s42, 0x3f317218
	v_mul_f32_e32 v34, 0x3f317218, v24
	v_fma_f32 v36, v24, s42, -v34
	v_fmac_f32_e32 v36, 0xb102e308, v24
	v_sub_f32_e32 v24, v29, v28
	v_sub_f32_e32 v24, v25, v24
	v_add_f32_e32 v25, v34, v36
	v_sub_f32_e32 v28, v25, v34
	v_ldexp_f32 v34, v29, 1
	v_mul_f32_e32 v29, v29, v30
	v_mul_f32_e32 v29, v29, v35
	v_add_f32_e32 v30, v34, v29
	v_sub_f32_e32 v34, v30, v34
	v_ldexp_f32 v24, v24, 1
	v_sub_f32_e32 v29, v29, v34
	v_add_f32_e32 v24, v24, v29
	v_add_f32_e32 v29, v30, v24
	v_sub_f32_e32 v30, v29, v30
	v_sub_f32_e32 v24, v24, v30
	v_add_f32_e32 v30, v25, v29
	v_sub_f32_e32 v34, v30, v25
	v_sub_f32_e32 v35, v30, v34
	v_sub_f32_e32 v28, v36, v28
	v_sub_f32_e32 v25, v25, v35
	v_sub_f32_e32 v29, v29, v34
	v_add_f32_e32 v25, v29, v25
	v_add_f32_e32 v29, v28, v24
	v_sub_f32_e32 v34, v29, v28
	v_sub_f32_e32 v35, v29, v34
	;; [unrolled: 1-line block ×4, first 2 shown]
	v_add_f32_e32 v25, v29, v25
	v_add_f32_e32 v24, v24, v28
	;; [unrolled: 1-line block ×3, first 2 shown]
	v_sub_f32_e32 v29, v28, v30
	v_sub_f32_e32 v25, v25, v29
	v_add_f32_e32 v24, v24, v25
	v_add_f32_e32 v24, v28, v24
	v_cmp_neq_f32_e64 s[42:43], s33, v27
	s_mov_b32 s33, 0x33800000
	v_cndmask_b32_e64 v24, v26, v24, s[42:43]
	v_cmp_lt_f32_e64 s[42:43], |v27|, s33
	v_cndmask_b32_e64 v24, v24, v27, s[42:43]
	v_add_f32_e32 v36, v22, v24
.LBB166_42:
	s_or_b64 exec, exec, s[44:45]
	v_max_f32_e32 v24, v36, v36
	v_max_f32_e32 v22, v10, v10
	v_min_f32_e32 v25, v24, v22
	v_cmp_u_f32_e64 s[44:45], v36, v36
	v_max_f32_e32 v24, v24, v22
	v_cndmask_b32_e64 v25, v25, v36, s[44:45]
	v_cmp_u_f32_e64 s[42:43], v10, v10
	v_cndmask_b32_e64 v24, v24, v36, s[44:45]
	v_cndmask_b32_e64 v25, v25, v10, s[42:43]
	;; [unrolled: 1-line block ×3, first 2 shown]
	s_movk_i32 s33, 0x1f8
	v_cmp_neq_f32_e64 s[44:45], v25, v24
	v_cmp_class_f32_e64 s[46:47], v25, s33
	s_or_b64 s[44:45], s[44:45], s[46:47]
	s_and_saveexec_b64 s[46:47], s[44:45]
	s_cbranch_execz .LBB166_44
; %bb.43:
	v_sub_f32_e32 v25, v25, v24
	s_mov_b32 s44, 0x3fb8aa3b
	v_mul_f32_e32 v26, 0x3fb8aa3b, v25
	v_fma_f32 v27, v25, s44, -v26
	v_rndne_f32_e32 v28, v26
	v_fmac_f32_e32 v27, 0x32a5705f, v25
	v_sub_f32_e32 v26, v26, v28
	v_add_f32_e32 v26, v26, v27
	v_exp_f32_e32 v26, v26
	v_cvt_i32_f32_e32 v27, v28
	s_mov_b32 s44, 0xc2ce8ed0
	v_cmp_ngt_f32_e64 s[44:45], s44, v25
	s_mov_b32 s48, 0x7f800000
	v_ldexp_f32 v26, v26, v27
	v_cndmask_b32_e64 v26, 0, v26, s[44:45]
	s_mov_b32 s44, 0x42b17218
	v_mov_b32_e32 v27, 0x7f800000
	v_cmp_nlt_f32_e64 s[44:45], s44, v25
	v_cndmask_b32_e64 v28, v27, v26, s[44:45]
	v_add_f32_e32 v29, 1.0, v28
	v_cvt_f64_f32_e32 v[25:26], v29
	v_add_f32_e32 v30, -1.0, v29
	v_sub_f32_e32 v34, v30, v29
	v_sub_f32_e32 v30, v28, v30
	v_frexp_exp_i32_f64_e32 v25, v[25:26]
	v_add_f32_e32 v26, 1.0, v34
	v_add_f32_e32 v26, v30, v26
	v_frexp_mant_f32_e32 v30, v29
	s_mov_b32 s44, 0x3f2aaaab
	v_cmp_gt_f32_e64 s[44:45], s44, v30
	v_subbrev_co_u32_e64 v25, s[44:45], 0, v25, s[44:45]
	v_sub_u32_e32 v30, 0, v25
	v_ldexp_f32 v29, v29, v30
	v_ldexp_f32 v26, v26, v30
	v_add_f32_e32 v30, -1.0, v29
	v_add_f32_e32 v36, 1.0, v29
	v_add_f32_e32 v34, 1.0, v30
	v_add_f32_e32 v37, -1.0, v36
	v_sub_f32_e32 v34, v29, v34
	v_sub_f32_e32 v29, v29, v37
	v_add_f32_e32 v34, v26, v34
	v_add_f32_e32 v26, v26, v29
	;; [unrolled: 1-line block ×3, first 2 shown]
	v_rcp_f32_e32 v37, v29
	v_add_f32_e32 v35, v30, v34
	v_sub_f32_e32 v30, v30, v35
	v_add_f32_e32 v30, v34, v30
	v_sub_f32_e32 v34, v36, v29
	v_add_f32_e32 v26, v26, v34
	v_mul_f32_e32 v34, v35, v37
	v_mul_f32_e32 v36, v29, v34
	v_fma_f32 v38, v34, v29, -v36
	v_fmac_f32_e32 v38, v34, v26
	v_add_f32_e32 v39, v36, v38
	v_sub_f32_e32 v40, v35, v39
	v_sub_f32_e32 v35, v35, v40
	;; [unrolled: 1-line block ×4, first 2 shown]
	v_add_f32_e32 v30, v30, v35
	v_sub_f32_e32 v35, v36, v38
	v_add_f32_e32 v30, v35, v30
	v_add_f32_e32 v35, v40, v30
	v_mul_f32_e32 v36, v37, v35
	v_mul_f32_e32 v38, v29, v36
	v_fma_f32 v29, v36, v29, -v38
	v_fmac_f32_e32 v29, v36, v26
	v_sub_f32_e32 v26, v40, v35
	v_add_f32_e32 v26, v30, v26
	v_add_f32_e32 v30, v38, v29
	v_sub_f32_e32 v39, v35, v30
	v_sub_f32_e32 v35, v35, v39
	;; [unrolled: 1-line block ×4, first 2 shown]
	v_add_f32_e32 v26, v26, v30
	v_sub_f32_e32 v29, v38, v29
	v_add_f32_e32 v26, v29, v26
	v_add_f32_e32 v29, v34, v36
	;; [unrolled: 1-line block ×3, first 2 shown]
	v_sub_f32_e32 v30, v29, v34
	v_mul_f32_e32 v26, v37, v26
	v_sub_f32_e32 v30, v36, v30
	v_add_f32_e32 v26, v30, v26
	v_cvt_f32_i32_e32 v25, v25
	v_add_f32_e32 v30, v29, v26
	v_mul_f32_e32 v34, v30, v30
	v_mov_b32_e32 v35, 0x3ecc95a3
	v_fmac_f32_e32 v35, 0x3e9b6dac, v34
	v_mov_b32_e32 v36, 0x3f2aaada
	v_fmac_f32_e32 v36, v34, v35
	s_mov_b32 s44, 0x3f317218
	v_mul_f32_e32 v35, 0x3f317218, v25
	v_fma_f32 v37, v25, s44, -v35
	v_fmac_f32_e32 v37, 0xb102e308, v25
	v_sub_f32_e32 v25, v30, v29
	v_sub_f32_e32 v25, v26, v25
	v_add_f32_e32 v26, v35, v37
	v_sub_f32_e32 v29, v26, v35
	v_ldexp_f32 v35, v30, 1
	v_mul_f32_e32 v30, v30, v34
	v_mul_f32_e32 v30, v30, v36
	v_add_f32_e32 v34, v35, v30
	v_sub_f32_e32 v35, v34, v35
	v_ldexp_f32 v25, v25, 1
	v_sub_f32_e32 v30, v30, v35
	v_add_f32_e32 v25, v25, v30
	v_add_f32_e32 v30, v34, v25
	v_sub_f32_e32 v34, v30, v34
	v_sub_f32_e32 v25, v25, v34
	v_add_f32_e32 v34, v26, v30
	v_sub_f32_e32 v35, v34, v26
	v_sub_f32_e32 v36, v34, v35
	;; [unrolled: 1-line block ×5, first 2 shown]
	v_add_f32_e32 v26, v30, v26
	v_add_f32_e32 v30, v29, v25
	v_sub_f32_e32 v35, v30, v29
	v_sub_f32_e32 v36, v30, v35
	;; [unrolled: 1-line block ×4, first 2 shown]
	v_add_f32_e32 v26, v30, v26
	v_add_f32_e32 v25, v25, v29
	;; [unrolled: 1-line block ×3, first 2 shown]
	v_sub_f32_e32 v30, v29, v34
	v_sub_f32_e32 v26, v26, v30
	v_add_f32_e32 v25, v25, v26
	v_add_f32_e32 v25, v29, v25
	v_cmp_neq_f32_e64 s[44:45], s48, v28
	v_cndmask_b32_e64 v25, v27, v25, s[44:45]
	s_mov_b32 s44, 0x33800000
	v_cmp_lt_f32_e64 s[44:45], |v28|, s44
	v_cndmask_b32_e64 v25, v25, v28, s[44:45]
	v_add_f32_e32 v36, v24, v25
.LBB166_44:
	s_or_b64 exec, exec, s[46:47]
	v_max_f32_e32 v25, v36, v36
	v_max_f32_e32 v24, v7, v7
	v_min_f32_e32 v26, v25, v24
	v_cmp_u_f32_e64 s[46:47], v36, v36
	v_max_f32_e32 v25, v25, v24
	v_cndmask_b32_e64 v26, v26, v36, s[46:47]
	v_cmp_u_f32_e64 s[44:45], v7, v7
	v_cndmask_b32_e64 v25, v25, v36, s[46:47]
	v_cndmask_b32_e64 v26, v26, v7, s[44:45]
	;; [unrolled: 1-line block ×3, first 2 shown]
	v_cmp_neq_f32_e64 s[46:47], v26, v25
	v_cmp_class_f32_e64 s[48:49], v26, s33
	s_or_b64 s[46:47], s[46:47], s[48:49]
	s_and_saveexec_b64 s[48:49], s[46:47]
	s_cbranch_execz .LBB166_46
; %bb.45:
	v_sub_f32_e32 v26, v26, v25
	s_mov_b32 s33, 0x3fb8aa3b
	v_mul_f32_e32 v27, 0x3fb8aa3b, v26
	v_fma_f32 v28, v26, s33, -v27
	v_rndne_f32_e32 v29, v27
	v_fmac_f32_e32 v28, 0x32a5705f, v26
	v_sub_f32_e32 v27, v27, v29
	v_add_f32_e32 v27, v27, v28
	v_exp_f32_e32 v27, v27
	v_cvt_i32_f32_e32 v28, v29
	s_mov_b32 s33, 0xc2ce8ed0
	v_cmp_ngt_f32_e64 s[46:47], s33, v26
	s_mov_b32 s33, 0x42b17218
	v_ldexp_f32 v27, v27, v28
	v_cndmask_b32_e64 v27, 0, v27, s[46:47]
	v_mov_b32_e32 v28, 0x7f800000
	v_cmp_nlt_f32_e64 s[46:47], s33, v26
	v_cndmask_b32_e64 v29, v28, v27, s[46:47]
	v_add_f32_e32 v30, 1.0, v29
	v_cvt_f64_f32_e32 v[26:27], v30
	v_add_f32_e32 v34, -1.0, v30
	v_sub_f32_e32 v35, v34, v30
	v_sub_f32_e32 v34, v29, v34
	v_frexp_exp_i32_f64_e32 v26, v[26:27]
	v_add_f32_e32 v27, 1.0, v35
	v_add_f32_e32 v27, v34, v27
	v_frexp_mant_f32_e32 v34, v30
	s_mov_b32 s46, 0x3f2aaaab
	v_cmp_gt_f32_e64 s[46:47], s46, v34
	s_mov_b32 s33, 0x7f800000
	v_subbrev_co_u32_e64 v26, s[46:47], 0, v26, s[46:47]
	v_sub_u32_e32 v34, 0, v26
	v_ldexp_f32 v30, v30, v34
	v_ldexp_f32 v27, v27, v34
	v_add_f32_e32 v34, -1.0, v30
	v_add_f32_e32 v37, 1.0, v30
	v_add_f32_e32 v35, 1.0, v34
	v_add_f32_e32 v38, -1.0, v37
	v_sub_f32_e32 v35, v30, v35
	v_sub_f32_e32 v30, v30, v38
	v_add_f32_e32 v35, v27, v35
	v_add_f32_e32 v27, v27, v30
	;; [unrolled: 1-line block ×3, first 2 shown]
	v_rcp_f32_e32 v38, v30
	v_add_f32_e32 v36, v34, v35
	v_sub_f32_e32 v34, v34, v36
	v_add_f32_e32 v34, v35, v34
	v_sub_f32_e32 v35, v37, v30
	v_add_f32_e32 v27, v27, v35
	v_mul_f32_e32 v35, v36, v38
	v_mul_f32_e32 v37, v30, v35
	v_fma_f32 v39, v35, v30, -v37
	v_fmac_f32_e32 v39, v35, v27
	v_add_f32_e32 v40, v37, v39
	v_sub_f32_e32 v41, v36, v40
	v_sub_f32_e32 v36, v36, v41
	v_sub_f32_e32 v37, v40, v37
	v_sub_f32_e32 v36, v36, v40
	v_add_f32_e32 v34, v34, v36
	v_sub_f32_e32 v36, v37, v39
	v_add_f32_e32 v34, v36, v34
	v_add_f32_e32 v36, v41, v34
	v_mul_f32_e32 v37, v38, v36
	v_mul_f32_e32 v39, v30, v37
	v_fma_f32 v30, v37, v30, -v39
	v_fmac_f32_e32 v30, v37, v27
	v_sub_f32_e32 v27, v41, v36
	v_add_f32_e32 v27, v34, v27
	v_add_f32_e32 v34, v39, v30
	v_sub_f32_e32 v40, v36, v34
	v_sub_f32_e32 v36, v36, v40
	;; [unrolled: 1-line block ×4, first 2 shown]
	v_add_f32_e32 v27, v27, v34
	v_sub_f32_e32 v30, v39, v30
	v_add_f32_e32 v27, v30, v27
	v_add_f32_e32 v30, v35, v37
	v_add_f32_e32 v27, v40, v27
	v_sub_f32_e32 v34, v30, v35
	v_mul_f32_e32 v27, v38, v27
	v_sub_f32_e32 v34, v37, v34
	v_add_f32_e32 v27, v34, v27
	v_cvt_f32_i32_e32 v26, v26
	v_add_f32_e32 v34, v30, v27
	v_mul_f32_e32 v35, v34, v34
	v_mov_b32_e32 v36, 0x3ecc95a3
	v_fmac_f32_e32 v36, 0x3e9b6dac, v35
	v_mov_b32_e32 v37, 0x3f2aaada
	v_fmac_f32_e32 v37, v35, v36
	s_mov_b32 s46, 0x3f317218
	v_mul_f32_e32 v36, 0x3f317218, v26
	v_fma_f32 v38, v26, s46, -v36
	v_fmac_f32_e32 v38, 0xb102e308, v26
	v_sub_f32_e32 v26, v34, v30
	v_sub_f32_e32 v26, v27, v26
	v_add_f32_e32 v27, v36, v38
	v_sub_f32_e32 v30, v27, v36
	v_ldexp_f32 v36, v34, 1
	v_mul_f32_e32 v34, v34, v35
	v_mul_f32_e32 v34, v34, v37
	v_add_f32_e32 v35, v36, v34
	v_sub_f32_e32 v36, v35, v36
	v_ldexp_f32 v26, v26, 1
	v_sub_f32_e32 v34, v34, v36
	v_add_f32_e32 v26, v26, v34
	v_add_f32_e32 v34, v35, v26
	v_sub_f32_e32 v35, v34, v35
	v_sub_f32_e32 v26, v26, v35
	v_add_f32_e32 v35, v27, v34
	v_sub_f32_e32 v36, v35, v27
	v_sub_f32_e32 v37, v35, v36
	;; [unrolled: 1-line block ×5, first 2 shown]
	v_add_f32_e32 v27, v34, v27
	v_add_f32_e32 v34, v30, v26
	v_sub_f32_e32 v36, v34, v30
	v_sub_f32_e32 v37, v34, v36
	;; [unrolled: 1-line block ×4, first 2 shown]
	v_add_f32_e32 v27, v34, v27
	v_add_f32_e32 v26, v26, v30
	;; [unrolled: 1-line block ×3, first 2 shown]
	v_sub_f32_e32 v34, v30, v35
	v_sub_f32_e32 v27, v27, v34
	v_add_f32_e32 v26, v26, v27
	v_add_f32_e32 v26, v30, v26
	v_cmp_neq_f32_e64 s[46:47], s33, v29
	s_mov_b32 s33, 0x33800000
	v_cndmask_b32_e64 v26, v28, v26, s[46:47]
	v_cmp_lt_f32_e64 s[46:47], |v29|, s33
	v_cndmask_b32_e64 v26, v26, v29, s[46:47]
	v_add_f32_e32 v36, v25, v26
.LBB166_46:
	s_or_b64 exec, exec, s[48:49]
	v_max_f32_e32 v26, v36, v36
	v_max_f32_e32 v25, v8, v8
	v_min_f32_e32 v27, v26, v25
	v_cmp_u_f32_e64 s[48:49], v36, v36
	v_max_f32_e32 v26, v26, v25
	v_cndmask_b32_e64 v27, v27, v36, s[48:49]
	v_cmp_u_f32_e64 s[46:47], v8, v8
	v_cndmask_b32_e64 v26, v26, v36, s[48:49]
	v_cndmask_b32_e64 v27, v27, v8, s[46:47]
	;; [unrolled: 1-line block ×3, first 2 shown]
	s_movk_i32 s33, 0x1f8
	v_cmp_neq_f32_e64 s[48:49], v27, v26
	v_cmp_class_f32_e64 s[50:51], v27, s33
	s_or_b64 s[48:49], s[48:49], s[50:51]
	s_and_saveexec_b64 s[50:51], s[48:49]
	s_cbranch_execz .LBB166_48
; %bb.47:
	v_sub_f32_e32 v27, v27, v26
	s_mov_b32 s48, 0x3fb8aa3b
	v_mul_f32_e32 v28, 0x3fb8aa3b, v27
	v_fma_f32 v29, v27, s48, -v28
	v_rndne_f32_e32 v30, v28
	v_fmac_f32_e32 v29, 0x32a5705f, v27
	v_sub_f32_e32 v28, v28, v30
	v_add_f32_e32 v28, v28, v29
	v_exp_f32_e32 v28, v28
	v_cvt_i32_f32_e32 v29, v30
	s_mov_b32 s48, 0xc2ce8ed0
	v_cmp_ngt_f32_e64 s[48:49], s48, v27
	s_mov_b32 s52, 0x7f800000
	v_ldexp_f32 v28, v28, v29
	v_cndmask_b32_e64 v28, 0, v28, s[48:49]
	s_mov_b32 s48, 0x42b17218
	v_mov_b32_e32 v29, 0x7f800000
	v_cmp_nlt_f32_e64 s[48:49], s48, v27
	v_cndmask_b32_e64 v30, v29, v28, s[48:49]
	v_add_f32_e32 v34, 1.0, v30
	v_cvt_f64_f32_e32 v[27:28], v34
	v_add_f32_e32 v35, -1.0, v34
	v_sub_f32_e32 v36, v35, v34
	v_sub_f32_e32 v35, v30, v35
	v_frexp_exp_i32_f64_e32 v27, v[27:28]
	v_add_f32_e32 v28, 1.0, v36
	v_add_f32_e32 v28, v35, v28
	v_frexp_mant_f32_e32 v35, v34
	s_mov_b32 s48, 0x3f2aaaab
	v_cmp_gt_f32_e64 s[48:49], s48, v35
	v_subbrev_co_u32_e64 v27, s[48:49], 0, v27, s[48:49]
	v_sub_u32_e32 v35, 0, v27
	v_ldexp_f32 v34, v34, v35
	v_ldexp_f32 v28, v28, v35
	v_add_f32_e32 v35, -1.0, v34
	v_add_f32_e32 v38, 1.0, v34
	v_add_f32_e32 v36, 1.0, v35
	v_add_f32_e32 v39, -1.0, v38
	v_sub_f32_e32 v36, v34, v36
	v_sub_f32_e32 v34, v34, v39
	v_add_f32_e32 v36, v28, v36
	v_add_f32_e32 v28, v28, v34
	v_add_f32_e32 v34, v38, v28
	v_rcp_f32_e32 v39, v34
	v_add_f32_e32 v37, v35, v36
	v_sub_f32_e32 v35, v35, v37
	v_add_f32_e32 v35, v36, v35
	v_sub_f32_e32 v36, v38, v34
	v_add_f32_e32 v28, v28, v36
	v_mul_f32_e32 v36, v37, v39
	v_mul_f32_e32 v38, v34, v36
	v_fma_f32 v40, v36, v34, -v38
	v_fmac_f32_e32 v40, v36, v28
	v_add_f32_e32 v41, v38, v40
	v_sub_f32_e32 v42, v37, v41
	v_sub_f32_e32 v37, v37, v42
	;; [unrolled: 1-line block ×4, first 2 shown]
	v_add_f32_e32 v35, v35, v37
	v_sub_f32_e32 v37, v38, v40
	v_add_f32_e32 v35, v37, v35
	v_add_f32_e32 v37, v42, v35
	v_mul_f32_e32 v38, v39, v37
	v_mul_f32_e32 v40, v34, v38
	v_fma_f32 v34, v38, v34, -v40
	v_fmac_f32_e32 v34, v38, v28
	v_sub_f32_e32 v28, v42, v37
	v_add_f32_e32 v28, v35, v28
	v_add_f32_e32 v35, v40, v34
	v_sub_f32_e32 v41, v37, v35
	v_sub_f32_e32 v37, v37, v41
	v_sub_f32_e32 v40, v35, v40
	v_sub_f32_e32 v35, v37, v35
	v_add_f32_e32 v28, v28, v35
	v_sub_f32_e32 v34, v40, v34
	v_add_f32_e32 v28, v34, v28
	v_add_f32_e32 v34, v36, v38
	;; [unrolled: 1-line block ×3, first 2 shown]
	v_sub_f32_e32 v35, v34, v36
	v_mul_f32_e32 v28, v39, v28
	v_sub_f32_e32 v35, v38, v35
	v_add_f32_e32 v28, v35, v28
	v_cvt_f32_i32_e32 v27, v27
	v_add_f32_e32 v35, v34, v28
	v_mul_f32_e32 v36, v35, v35
	v_mov_b32_e32 v37, 0x3ecc95a3
	v_fmac_f32_e32 v37, 0x3e9b6dac, v36
	v_mov_b32_e32 v38, 0x3f2aaada
	v_fmac_f32_e32 v38, v36, v37
	s_mov_b32 s48, 0x3f317218
	v_mul_f32_e32 v37, 0x3f317218, v27
	v_fma_f32 v39, v27, s48, -v37
	v_fmac_f32_e32 v39, 0xb102e308, v27
	v_sub_f32_e32 v27, v35, v34
	v_sub_f32_e32 v27, v28, v27
	v_add_f32_e32 v28, v37, v39
	v_sub_f32_e32 v34, v28, v37
	v_ldexp_f32 v37, v35, 1
	v_mul_f32_e32 v35, v35, v36
	v_mul_f32_e32 v35, v35, v38
	v_add_f32_e32 v36, v37, v35
	v_sub_f32_e32 v37, v36, v37
	v_ldexp_f32 v27, v27, 1
	v_sub_f32_e32 v35, v35, v37
	v_add_f32_e32 v27, v27, v35
	v_add_f32_e32 v35, v36, v27
	v_sub_f32_e32 v36, v35, v36
	v_sub_f32_e32 v27, v27, v36
	v_add_f32_e32 v36, v28, v35
	v_sub_f32_e32 v37, v36, v28
	v_sub_f32_e32 v38, v36, v37
	;; [unrolled: 1-line block ×5, first 2 shown]
	v_add_f32_e32 v28, v35, v28
	v_add_f32_e32 v35, v34, v27
	v_sub_f32_e32 v37, v35, v34
	v_sub_f32_e32 v38, v35, v37
	;; [unrolled: 1-line block ×4, first 2 shown]
	v_add_f32_e32 v28, v35, v28
	v_add_f32_e32 v27, v27, v34
	;; [unrolled: 1-line block ×3, first 2 shown]
	v_sub_f32_e32 v35, v34, v36
	v_sub_f32_e32 v28, v28, v35
	v_add_f32_e32 v27, v27, v28
	v_add_f32_e32 v27, v34, v27
	v_cmp_neq_f32_e64 s[48:49], s52, v30
	v_cndmask_b32_e64 v27, v29, v27, s[48:49]
	s_mov_b32 s48, 0x33800000
	v_cmp_lt_f32_e64 s[48:49], |v30|, s48
	v_cndmask_b32_e64 v27, v27, v30, s[48:49]
	v_add_f32_e32 v36, v26, v27
.LBB166_48:
	s_or_b64 exec, exec, s[50:51]
	v_max_f32_e32 v27, v36, v36
	v_max_f32_e32 v26, v5, v5
	v_min_f32_e32 v28, v27, v26
	v_cmp_u_f32_e64 s[50:51], v36, v36
	v_max_f32_e32 v27, v27, v26
	v_cndmask_b32_e64 v28, v28, v36, s[50:51]
	v_cmp_u_f32_e64 s[48:49], v5, v5
	v_cndmask_b32_e64 v27, v27, v36, s[50:51]
	v_cndmask_b32_e64 v28, v28, v5, s[48:49]
	;; [unrolled: 1-line block ×3, first 2 shown]
	v_cmp_neq_f32_e64 s[50:51], v28, v27
	v_cmp_class_f32_e64 s[52:53], v28, s33
	s_or_b64 s[50:51], s[50:51], s[52:53]
	s_and_saveexec_b64 s[52:53], s[50:51]
	s_cbranch_execz .LBB166_50
; %bb.49:
	v_sub_f32_e32 v28, v28, v27
	s_mov_b32 s33, 0x3fb8aa3b
	v_mul_f32_e32 v29, 0x3fb8aa3b, v28
	v_fma_f32 v30, v28, s33, -v29
	v_rndne_f32_e32 v34, v29
	v_fmac_f32_e32 v30, 0x32a5705f, v28
	v_sub_f32_e32 v29, v29, v34
	v_add_f32_e32 v29, v29, v30
	v_exp_f32_e32 v29, v29
	v_cvt_i32_f32_e32 v30, v34
	s_mov_b32 s33, 0xc2ce8ed0
	v_cmp_ngt_f32_e64 s[50:51], s33, v28
	s_mov_b32 s33, 0x42b17218
	v_ldexp_f32 v29, v29, v30
	v_cndmask_b32_e64 v29, 0, v29, s[50:51]
	v_mov_b32_e32 v30, 0x7f800000
	v_cmp_nlt_f32_e64 s[50:51], s33, v28
	v_cndmask_b32_e64 v34, v30, v29, s[50:51]
	v_add_f32_e32 v35, 1.0, v34
	v_cvt_f64_f32_e32 v[28:29], v35
	v_add_f32_e32 v36, -1.0, v35
	v_sub_f32_e32 v37, v36, v35
	v_sub_f32_e32 v36, v34, v36
	v_frexp_exp_i32_f64_e32 v28, v[28:29]
	v_add_f32_e32 v29, 1.0, v37
	v_add_f32_e32 v29, v36, v29
	v_frexp_mant_f32_e32 v36, v35
	s_mov_b32 s50, 0x3f2aaaab
	v_cmp_gt_f32_e64 s[50:51], s50, v36
	s_mov_b32 s33, 0x7f800000
	v_subbrev_co_u32_e64 v28, s[50:51], 0, v28, s[50:51]
	v_sub_u32_e32 v36, 0, v28
	v_ldexp_f32 v35, v35, v36
	v_ldexp_f32 v29, v29, v36
	v_add_f32_e32 v36, -1.0, v35
	v_add_f32_e32 v39, 1.0, v35
	v_add_f32_e32 v37, 1.0, v36
	v_add_f32_e32 v40, -1.0, v39
	v_sub_f32_e32 v37, v35, v37
	v_sub_f32_e32 v35, v35, v40
	v_add_f32_e32 v37, v29, v37
	v_add_f32_e32 v29, v29, v35
	;; [unrolled: 1-line block ×3, first 2 shown]
	v_rcp_f32_e32 v40, v35
	v_add_f32_e32 v38, v36, v37
	v_sub_f32_e32 v36, v36, v38
	v_add_f32_e32 v36, v37, v36
	v_sub_f32_e32 v37, v39, v35
	v_add_f32_e32 v29, v29, v37
	v_mul_f32_e32 v37, v38, v40
	v_mul_f32_e32 v39, v35, v37
	v_fma_f32 v41, v37, v35, -v39
	v_fmac_f32_e32 v41, v37, v29
	v_add_f32_e32 v42, v39, v41
	v_sub_f32_e32 v43, v38, v42
	v_sub_f32_e32 v38, v38, v43
	;; [unrolled: 1-line block ×4, first 2 shown]
	v_add_f32_e32 v36, v36, v38
	v_sub_f32_e32 v38, v39, v41
	v_add_f32_e32 v36, v38, v36
	v_add_f32_e32 v38, v43, v36
	v_mul_f32_e32 v39, v40, v38
	v_mul_f32_e32 v41, v35, v39
	v_fma_f32 v35, v39, v35, -v41
	v_fmac_f32_e32 v35, v39, v29
	v_sub_f32_e32 v29, v43, v38
	v_add_f32_e32 v29, v36, v29
	v_add_f32_e32 v36, v41, v35
	v_sub_f32_e32 v42, v38, v36
	v_sub_f32_e32 v38, v38, v42
	;; [unrolled: 1-line block ×4, first 2 shown]
	v_add_f32_e32 v29, v29, v36
	v_sub_f32_e32 v35, v41, v35
	v_add_f32_e32 v29, v35, v29
	v_add_f32_e32 v35, v37, v39
	;; [unrolled: 1-line block ×3, first 2 shown]
	v_sub_f32_e32 v36, v35, v37
	v_mul_f32_e32 v29, v40, v29
	v_sub_f32_e32 v36, v39, v36
	v_add_f32_e32 v29, v36, v29
	v_cvt_f32_i32_e32 v28, v28
	v_add_f32_e32 v36, v35, v29
	v_mul_f32_e32 v37, v36, v36
	v_mov_b32_e32 v38, 0x3ecc95a3
	v_fmac_f32_e32 v38, 0x3e9b6dac, v37
	v_mov_b32_e32 v39, 0x3f2aaada
	v_fmac_f32_e32 v39, v37, v38
	s_mov_b32 s50, 0x3f317218
	v_mul_f32_e32 v38, 0x3f317218, v28
	v_fma_f32 v40, v28, s50, -v38
	v_fmac_f32_e32 v40, 0xb102e308, v28
	v_sub_f32_e32 v28, v36, v35
	v_sub_f32_e32 v28, v29, v28
	v_add_f32_e32 v29, v38, v40
	v_sub_f32_e32 v35, v29, v38
	v_ldexp_f32 v38, v36, 1
	v_mul_f32_e32 v36, v36, v37
	v_mul_f32_e32 v36, v36, v39
	v_add_f32_e32 v37, v38, v36
	v_sub_f32_e32 v38, v37, v38
	v_ldexp_f32 v28, v28, 1
	v_sub_f32_e32 v36, v36, v38
	v_add_f32_e32 v28, v28, v36
	v_add_f32_e32 v36, v37, v28
	v_sub_f32_e32 v37, v36, v37
	v_sub_f32_e32 v28, v28, v37
	v_add_f32_e32 v37, v29, v36
	v_sub_f32_e32 v38, v37, v29
	v_sub_f32_e32 v39, v37, v38
	;; [unrolled: 1-line block ×5, first 2 shown]
	v_add_f32_e32 v29, v36, v29
	v_add_f32_e32 v36, v35, v28
	v_sub_f32_e32 v38, v36, v35
	v_sub_f32_e32 v39, v36, v38
	;; [unrolled: 1-line block ×4, first 2 shown]
	v_add_f32_e32 v29, v36, v29
	v_add_f32_e32 v28, v28, v35
	;; [unrolled: 1-line block ×3, first 2 shown]
	v_sub_f32_e32 v36, v35, v37
	v_sub_f32_e32 v29, v29, v36
	v_add_f32_e32 v28, v28, v29
	v_add_f32_e32 v28, v35, v28
	v_cmp_neq_f32_e64 s[50:51], s33, v34
	s_mov_b32 s33, 0x33800000
	v_cndmask_b32_e64 v28, v30, v28, s[50:51]
	v_cmp_lt_f32_e64 s[50:51], |v34|, s33
	v_cndmask_b32_e64 v28, v28, v34, s[50:51]
	v_add_f32_e32 v36, v27, v28
.LBB166_50:
	s_or_b64 exec, exec, s[52:53]
	v_max_f32_e32 v28, v36, v36
	v_max_f32_e32 v27, v6, v6
	v_min_f32_e32 v29, v28, v27
	v_cmp_u_f32_e64 s[52:53], v36, v36
	v_max_f32_e32 v28, v28, v27
	v_cndmask_b32_e64 v29, v29, v36, s[52:53]
	v_cmp_u_f32_e64 s[50:51], v6, v6
	v_cndmask_b32_e64 v28, v28, v36, s[52:53]
	v_cndmask_b32_e64 v29, v29, v6, s[50:51]
	;; [unrolled: 1-line block ×3, first 2 shown]
	s_movk_i32 s33, 0x1f8
	v_cmp_neq_f32_e64 s[52:53], v29, v28
	v_cmp_class_f32_e64 s[54:55], v29, s33
	s_or_b64 s[52:53], s[52:53], s[54:55]
	s_and_saveexec_b64 s[54:55], s[52:53]
	s_cbranch_execz .LBB166_52
; %bb.51:
	v_sub_f32_e32 v29, v29, v28
	s_mov_b32 s52, 0x3fb8aa3b
	v_mul_f32_e32 v30, 0x3fb8aa3b, v29
	v_fma_f32 v34, v29, s52, -v30
	v_rndne_f32_e32 v35, v30
	v_fmac_f32_e32 v34, 0x32a5705f, v29
	v_sub_f32_e32 v30, v30, v35
	v_add_f32_e32 v30, v30, v34
	v_exp_f32_e32 v30, v30
	v_cvt_i32_f32_e32 v34, v35
	s_mov_b32 s52, 0xc2ce8ed0
	v_cmp_ngt_f32_e64 s[52:53], s52, v29
	s_mov_b32 s56, 0x7f800000
	v_ldexp_f32 v30, v30, v34
	v_cndmask_b32_e64 v30, 0, v30, s[52:53]
	s_mov_b32 s52, 0x42b17218
	v_mov_b32_e32 v34, 0x7f800000
	v_cmp_nlt_f32_e64 s[52:53], s52, v29
	v_cndmask_b32_e64 v35, v34, v30, s[52:53]
	v_add_f32_e32 v36, 1.0, v35
	v_cvt_f64_f32_e32 v[29:30], v36
	v_add_f32_e32 v37, -1.0, v36
	v_sub_f32_e32 v38, v37, v36
	v_sub_f32_e32 v37, v35, v37
	v_frexp_exp_i32_f64_e32 v29, v[29:30]
	v_add_f32_e32 v30, 1.0, v38
	v_add_f32_e32 v30, v37, v30
	v_frexp_mant_f32_e32 v37, v36
	s_mov_b32 s52, 0x3f2aaaab
	v_cmp_gt_f32_e64 s[52:53], s52, v37
	v_subbrev_co_u32_e64 v29, s[52:53], 0, v29, s[52:53]
	v_sub_u32_e32 v37, 0, v29
	v_ldexp_f32 v36, v36, v37
	v_ldexp_f32 v30, v30, v37
	v_add_f32_e32 v37, -1.0, v36
	v_add_f32_e32 v40, 1.0, v36
	v_add_f32_e32 v38, 1.0, v37
	v_add_f32_e32 v41, -1.0, v40
	v_sub_f32_e32 v38, v36, v38
	v_sub_f32_e32 v36, v36, v41
	v_add_f32_e32 v38, v30, v38
	v_add_f32_e32 v30, v30, v36
	;; [unrolled: 1-line block ×3, first 2 shown]
	v_rcp_f32_e32 v41, v36
	v_add_f32_e32 v39, v37, v38
	v_sub_f32_e32 v37, v37, v39
	v_add_f32_e32 v37, v38, v37
	v_sub_f32_e32 v38, v40, v36
	v_add_f32_e32 v30, v30, v38
	v_mul_f32_e32 v38, v39, v41
	v_mul_f32_e32 v40, v36, v38
	v_fma_f32 v42, v38, v36, -v40
	v_fmac_f32_e32 v42, v38, v30
	v_add_f32_e32 v43, v40, v42
	v_sub_f32_e32 v44, v39, v43
	v_sub_f32_e32 v39, v39, v44
	;; [unrolled: 1-line block ×4, first 2 shown]
	v_add_f32_e32 v37, v37, v39
	v_sub_f32_e32 v39, v40, v42
	v_add_f32_e32 v37, v39, v37
	v_add_f32_e32 v39, v44, v37
	v_mul_f32_e32 v40, v41, v39
	v_mul_f32_e32 v42, v36, v40
	v_fma_f32 v36, v40, v36, -v42
	v_fmac_f32_e32 v36, v40, v30
	v_sub_f32_e32 v30, v44, v39
	v_add_f32_e32 v30, v37, v30
	v_add_f32_e32 v37, v42, v36
	v_sub_f32_e32 v43, v39, v37
	v_sub_f32_e32 v39, v39, v43
	;; [unrolled: 1-line block ×4, first 2 shown]
	v_add_f32_e32 v30, v30, v37
	v_sub_f32_e32 v36, v42, v36
	v_add_f32_e32 v30, v36, v30
	v_add_f32_e32 v36, v38, v40
	;; [unrolled: 1-line block ×3, first 2 shown]
	v_sub_f32_e32 v37, v36, v38
	v_mul_f32_e32 v30, v41, v30
	v_sub_f32_e32 v37, v40, v37
	v_add_f32_e32 v30, v37, v30
	v_cvt_f32_i32_e32 v29, v29
	v_add_f32_e32 v37, v36, v30
	v_mul_f32_e32 v38, v37, v37
	v_mov_b32_e32 v39, 0x3ecc95a3
	v_fmac_f32_e32 v39, 0x3e9b6dac, v38
	v_mov_b32_e32 v40, 0x3f2aaada
	v_fmac_f32_e32 v40, v38, v39
	s_mov_b32 s52, 0x3f317218
	v_mul_f32_e32 v39, 0x3f317218, v29
	v_fma_f32 v41, v29, s52, -v39
	v_fmac_f32_e32 v41, 0xb102e308, v29
	v_sub_f32_e32 v29, v37, v36
	v_sub_f32_e32 v29, v30, v29
	v_add_f32_e32 v30, v39, v41
	v_sub_f32_e32 v36, v30, v39
	v_ldexp_f32 v39, v37, 1
	v_mul_f32_e32 v37, v37, v38
	v_mul_f32_e32 v37, v37, v40
	v_add_f32_e32 v38, v39, v37
	v_sub_f32_e32 v39, v38, v39
	v_ldexp_f32 v29, v29, 1
	v_sub_f32_e32 v37, v37, v39
	v_add_f32_e32 v29, v29, v37
	v_add_f32_e32 v37, v38, v29
	v_sub_f32_e32 v38, v37, v38
	v_sub_f32_e32 v29, v29, v38
	v_add_f32_e32 v38, v30, v37
	v_sub_f32_e32 v39, v38, v30
	v_sub_f32_e32 v40, v38, v39
	;; [unrolled: 1-line block ×5, first 2 shown]
	v_add_f32_e32 v30, v37, v30
	v_add_f32_e32 v37, v36, v29
	v_sub_f32_e32 v39, v37, v36
	v_sub_f32_e32 v40, v37, v39
	;; [unrolled: 1-line block ×4, first 2 shown]
	v_add_f32_e32 v30, v37, v30
	v_add_f32_e32 v29, v29, v36
	;; [unrolled: 1-line block ×3, first 2 shown]
	v_sub_f32_e32 v37, v36, v38
	v_sub_f32_e32 v30, v30, v37
	v_add_f32_e32 v29, v29, v30
	v_add_f32_e32 v29, v36, v29
	v_cmp_neq_f32_e64 s[52:53], s56, v35
	v_cndmask_b32_e64 v29, v34, v29, s[52:53]
	s_mov_b32 s52, 0x33800000
	v_cmp_lt_f32_e64 s[52:53], |v35|, s52
	v_cndmask_b32_e64 v29, v29, v35, s[52:53]
	v_add_f32_e32 v36, v28, v29
.LBB166_52:
	s_or_b64 exec, exec, s[54:55]
	v_max_f32_e32 v29, v36, v36
	v_max_f32_e32 v28, v3, v3
	v_min_f32_e32 v30, v29, v28
	v_cmp_u_f32_e64 s[54:55], v36, v36
	v_max_f32_e32 v29, v29, v28
	v_cndmask_b32_e64 v30, v30, v36, s[54:55]
	v_cmp_u_f32_e64 s[52:53], v3, v3
	v_cndmask_b32_e64 v29, v29, v36, s[54:55]
	v_cndmask_b32_e64 v30, v30, v3, s[52:53]
	;; [unrolled: 1-line block ×3, first 2 shown]
	v_cmp_neq_f32_e64 s[54:55], v30, v29
	v_cmp_class_f32_e64 s[56:57], v30, s33
	s_or_b64 s[54:55], s[54:55], s[56:57]
	s_and_saveexec_b64 s[56:57], s[54:55]
	s_cbranch_execz .LBB166_54
; %bb.53:
	v_sub_f32_e32 v30, v30, v29
	s_mov_b32 s33, 0x3fb8aa3b
	v_mul_f32_e32 v34, 0x3fb8aa3b, v30
	v_fma_f32 v35, v30, s33, -v34
	v_rndne_f32_e32 v36, v34
	v_fmac_f32_e32 v35, 0x32a5705f, v30
	v_sub_f32_e32 v34, v34, v36
	v_add_f32_e32 v34, v34, v35
	v_exp_f32_e32 v34, v34
	v_cvt_i32_f32_e32 v35, v36
	s_mov_b32 s33, 0xc2ce8ed0
	v_cmp_ngt_f32_e64 s[54:55], s33, v30
	s_mov_b32 s33, 0x42b17218
	v_ldexp_f32 v34, v34, v35
	v_cndmask_b32_e64 v34, 0, v34, s[54:55]
	v_mov_b32_e32 v36, 0x7f800000
	v_cmp_nlt_f32_e64 s[54:55], s33, v30
	v_cndmask_b32_e64 v30, v36, v34, s[54:55]
	v_add_f32_e32 v37, 1.0, v30
	v_cvt_f64_f32_e32 v[34:35], v37
	v_add_f32_e32 v38, -1.0, v37
	v_sub_f32_e32 v39, v38, v37
	v_sub_f32_e32 v38, v30, v38
	v_frexp_exp_i32_f64_e32 v34, v[34:35]
	v_add_f32_e32 v35, 1.0, v39
	v_add_f32_e32 v35, v38, v35
	v_frexp_mant_f32_e32 v38, v37
	s_mov_b32 s54, 0x3f2aaaab
	v_cmp_gt_f32_e64 s[54:55], s54, v38
	s_mov_b32 s33, 0x7f800000
	v_subbrev_co_u32_e64 v34, s[54:55], 0, v34, s[54:55]
	v_sub_u32_e32 v38, 0, v34
	v_ldexp_f32 v37, v37, v38
	v_ldexp_f32 v35, v35, v38
	v_add_f32_e32 v38, -1.0, v37
	v_add_f32_e32 v41, 1.0, v37
	v_add_f32_e32 v39, 1.0, v38
	v_add_f32_e32 v42, -1.0, v41
	v_sub_f32_e32 v39, v37, v39
	v_sub_f32_e32 v37, v37, v42
	v_add_f32_e32 v39, v35, v39
	v_add_f32_e32 v35, v35, v37
	v_add_f32_e32 v37, v41, v35
	v_rcp_f32_e32 v42, v37
	v_add_f32_e32 v40, v38, v39
	v_sub_f32_e32 v38, v38, v40
	v_add_f32_e32 v38, v39, v38
	v_sub_f32_e32 v39, v41, v37
	v_add_f32_e32 v35, v35, v39
	v_mul_f32_e32 v39, v40, v42
	v_mul_f32_e32 v41, v37, v39
	v_fma_f32 v43, v39, v37, -v41
	v_fmac_f32_e32 v43, v39, v35
	v_add_f32_e32 v44, v41, v43
	v_sub_f32_e32 v45, v40, v44
	v_sub_f32_e32 v40, v40, v45
	;; [unrolled: 1-line block ×4, first 2 shown]
	v_add_f32_e32 v38, v38, v40
	v_sub_f32_e32 v40, v41, v43
	v_add_f32_e32 v38, v40, v38
	v_add_f32_e32 v40, v45, v38
	v_mul_f32_e32 v41, v42, v40
	v_mul_f32_e32 v43, v37, v41
	v_fma_f32 v37, v41, v37, -v43
	v_fmac_f32_e32 v37, v41, v35
	v_sub_f32_e32 v35, v45, v40
	v_add_f32_e32 v35, v38, v35
	v_add_f32_e32 v38, v43, v37
	v_sub_f32_e32 v44, v40, v38
	v_sub_f32_e32 v40, v40, v44
	;; [unrolled: 1-line block ×4, first 2 shown]
	v_add_f32_e32 v35, v35, v38
	v_sub_f32_e32 v37, v43, v37
	v_add_f32_e32 v35, v37, v35
	v_add_f32_e32 v37, v39, v41
	;; [unrolled: 1-line block ×3, first 2 shown]
	v_sub_f32_e32 v38, v37, v39
	v_mul_f32_e32 v35, v42, v35
	v_sub_f32_e32 v38, v41, v38
	v_add_f32_e32 v35, v38, v35
	v_cvt_f32_i32_e32 v34, v34
	v_add_f32_e32 v38, v37, v35
	v_mul_f32_e32 v39, v38, v38
	v_mov_b32_e32 v40, 0x3ecc95a3
	v_fmac_f32_e32 v40, 0x3e9b6dac, v39
	v_mov_b32_e32 v41, 0x3f2aaada
	v_fmac_f32_e32 v41, v39, v40
	s_mov_b32 s54, 0x3f317218
	v_mul_f32_e32 v40, 0x3f317218, v34
	v_fma_f32 v42, v34, s54, -v40
	v_fmac_f32_e32 v42, 0xb102e308, v34
	v_sub_f32_e32 v34, v38, v37
	v_sub_f32_e32 v34, v35, v34
	v_add_f32_e32 v35, v40, v42
	v_sub_f32_e32 v37, v35, v40
	v_ldexp_f32 v40, v38, 1
	v_mul_f32_e32 v38, v38, v39
	v_mul_f32_e32 v38, v38, v41
	v_add_f32_e32 v39, v40, v38
	v_sub_f32_e32 v40, v39, v40
	v_ldexp_f32 v34, v34, 1
	v_sub_f32_e32 v38, v38, v40
	v_add_f32_e32 v34, v34, v38
	v_add_f32_e32 v38, v39, v34
	v_sub_f32_e32 v39, v38, v39
	v_sub_f32_e32 v34, v34, v39
	v_add_f32_e32 v39, v35, v38
	v_sub_f32_e32 v40, v39, v35
	v_sub_f32_e32 v41, v39, v40
	;; [unrolled: 1-line block ×5, first 2 shown]
	v_add_f32_e32 v35, v38, v35
	v_add_f32_e32 v38, v37, v34
	v_sub_f32_e32 v40, v38, v37
	v_sub_f32_e32 v41, v38, v40
	;; [unrolled: 1-line block ×4, first 2 shown]
	v_add_f32_e32 v35, v38, v35
	v_add_f32_e32 v34, v34, v37
	;; [unrolled: 1-line block ×3, first 2 shown]
	v_sub_f32_e32 v38, v37, v39
	v_sub_f32_e32 v35, v35, v38
	v_add_f32_e32 v34, v34, v35
	v_add_f32_e32 v34, v37, v34
	v_cmp_neq_f32_e64 s[54:55], s33, v30
	s_mov_b32 s33, 0x33800000
	v_cndmask_b32_e64 v34, v36, v34, s[54:55]
	v_cmp_lt_f32_e64 s[54:55], |v30|, s33
	v_cndmask_b32_e64 v30, v34, v30, s[54:55]
	v_add_f32_e32 v36, v29, v30
.LBB166_54:
	s_or_b64 exec, exec, s[56:57]
	v_max_f32_e32 v30, v36, v36
	v_max_f32_e32 v29, v4, v4
	v_min_f32_e32 v34, v30, v29
	v_cmp_u_f32_e64 s[56:57], v36, v36
	v_max_f32_e32 v30, v30, v29
	v_cndmask_b32_e64 v34, v34, v36, s[56:57]
	v_cmp_u_f32_e64 s[54:55], v4, v4
	v_cndmask_b32_e64 v30, v30, v36, s[56:57]
	v_cndmask_b32_e64 v34, v34, v4, s[54:55]
	;; [unrolled: 1-line block ×3, first 2 shown]
	s_movk_i32 s33, 0x1f8
	v_cmp_neq_f32_e64 s[56:57], v34, v30
	v_cmp_class_f32_e64 s[62:63], v34, s33
	s_or_b64 s[56:57], s[56:57], s[62:63]
	s_and_saveexec_b64 s[62:63], s[56:57]
	s_cbranch_execz .LBB166_56
; %bb.55:
	v_sub_f32_e32 v34, v34, v30
	s_mov_b32 s56, 0x3fb8aa3b
	v_mul_f32_e32 v35, 0x3fb8aa3b, v34
	v_fma_f32 v36, v34, s56, -v35
	v_rndne_f32_e32 v37, v35
	v_fmac_f32_e32 v36, 0x32a5705f, v34
	v_sub_f32_e32 v35, v35, v37
	v_add_f32_e32 v35, v35, v36
	v_exp_f32_e32 v35, v35
	v_cvt_i32_f32_e32 v36, v37
	s_mov_b32 s56, 0xc2ce8ed0
	v_cmp_ngt_f32_e64 s[56:57], s56, v34
	s_mov_b32 s64, 0x7f800000
	v_ldexp_f32 v35, v35, v36
	v_cndmask_b32_e64 v35, 0, v35, s[56:57]
	s_mov_b32 s56, 0x42b17218
	v_mov_b32_e32 v36, 0x7f800000
	v_cmp_nlt_f32_e64 s[56:57], s56, v34
	v_cndmask_b32_e64 v37, v36, v35, s[56:57]
	v_add_f32_e32 v38, 1.0, v37
	v_cvt_f64_f32_e32 v[34:35], v38
	v_add_f32_e32 v39, -1.0, v38
	v_sub_f32_e32 v40, v39, v38
	v_sub_f32_e32 v39, v37, v39
	v_frexp_exp_i32_f64_e32 v34, v[34:35]
	v_add_f32_e32 v35, 1.0, v40
	v_add_f32_e32 v35, v39, v35
	v_frexp_mant_f32_e32 v39, v38
	s_mov_b32 s56, 0x3f2aaaab
	v_cmp_gt_f32_e64 s[56:57], s56, v39
	v_subbrev_co_u32_e64 v34, s[56:57], 0, v34, s[56:57]
	v_sub_u32_e32 v39, 0, v34
	v_ldexp_f32 v38, v38, v39
	v_ldexp_f32 v35, v35, v39
	v_add_f32_e32 v39, -1.0, v38
	v_add_f32_e32 v42, 1.0, v38
	v_add_f32_e32 v40, 1.0, v39
	v_add_f32_e32 v43, -1.0, v42
	v_sub_f32_e32 v40, v38, v40
	v_sub_f32_e32 v38, v38, v43
	v_add_f32_e32 v40, v35, v40
	v_add_f32_e32 v35, v35, v38
	;; [unrolled: 1-line block ×3, first 2 shown]
	v_rcp_f32_e32 v43, v38
	v_add_f32_e32 v41, v39, v40
	v_sub_f32_e32 v39, v39, v41
	v_add_f32_e32 v39, v40, v39
	v_sub_f32_e32 v40, v42, v38
	v_add_f32_e32 v35, v35, v40
	v_mul_f32_e32 v40, v41, v43
	v_mul_f32_e32 v42, v38, v40
	v_fma_f32 v44, v40, v38, -v42
	v_fmac_f32_e32 v44, v40, v35
	v_add_f32_e32 v45, v42, v44
	v_sub_f32_e32 v46, v41, v45
	v_sub_f32_e32 v41, v41, v46
	v_sub_f32_e32 v42, v45, v42
	v_sub_f32_e32 v41, v41, v45
	v_add_f32_e32 v39, v39, v41
	v_sub_f32_e32 v41, v42, v44
	v_add_f32_e32 v39, v41, v39
	v_add_f32_e32 v41, v46, v39
	v_mul_f32_e32 v42, v43, v41
	v_mul_f32_e32 v44, v38, v42
	v_fma_f32 v38, v42, v38, -v44
	v_fmac_f32_e32 v38, v42, v35
	v_sub_f32_e32 v35, v46, v41
	v_add_f32_e32 v35, v39, v35
	v_add_f32_e32 v39, v44, v38
	v_sub_f32_e32 v45, v41, v39
	v_sub_f32_e32 v41, v41, v45
	;; [unrolled: 1-line block ×4, first 2 shown]
	v_add_f32_e32 v35, v35, v39
	v_sub_f32_e32 v38, v44, v38
	v_add_f32_e32 v35, v38, v35
	v_add_f32_e32 v38, v40, v42
	;; [unrolled: 1-line block ×3, first 2 shown]
	v_sub_f32_e32 v39, v38, v40
	v_mul_f32_e32 v35, v43, v35
	v_sub_f32_e32 v39, v42, v39
	v_add_f32_e32 v35, v39, v35
	v_cvt_f32_i32_e32 v34, v34
	v_add_f32_e32 v39, v38, v35
	v_mul_f32_e32 v40, v39, v39
	v_mov_b32_e32 v41, 0x3ecc95a3
	v_fmac_f32_e32 v41, 0x3e9b6dac, v40
	v_mov_b32_e32 v42, 0x3f2aaada
	v_fmac_f32_e32 v42, v40, v41
	s_mov_b32 s56, 0x3f317218
	v_mul_f32_e32 v41, 0x3f317218, v34
	v_fma_f32 v43, v34, s56, -v41
	v_fmac_f32_e32 v43, 0xb102e308, v34
	v_sub_f32_e32 v34, v39, v38
	v_sub_f32_e32 v34, v35, v34
	v_add_f32_e32 v35, v41, v43
	v_sub_f32_e32 v38, v35, v41
	v_ldexp_f32 v41, v39, 1
	v_mul_f32_e32 v39, v39, v40
	v_mul_f32_e32 v39, v39, v42
	v_add_f32_e32 v40, v41, v39
	v_sub_f32_e32 v41, v40, v41
	v_ldexp_f32 v34, v34, 1
	v_sub_f32_e32 v39, v39, v41
	v_add_f32_e32 v34, v34, v39
	v_add_f32_e32 v39, v40, v34
	v_sub_f32_e32 v40, v39, v40
	v_sub_f32_e32 v34, v34, v40
	v_add_f32_e32 v40, v35, v39
	v_sub_f32_e32 v41, v40, v35
	v_sub_f32_e32 v42, v40, v41
	;; [unrolled: 1-line block ×5, first 2 shown]
	v_add_f32_e32 v35, v39, v35
	v_add_f32_e32 v39, v38, v34
	v_sub_f32_e32 v41, v39, v38
	v_sub_f32_e32 v42, v39, v41
	;; [unrolled: 1-line block ×4, first 2 shown]
	v_add_f32_e32 v35, v39, v35
	v_add_f32_e32 v34, v34, v38
	;; [unrolled: 1-line block ×3, first 2 shown]
	v_sub_f32_e32 v39, v38, v40
	v_sub_f32_e32 v35, v35, v39
	v_add_f32_e32 v34, v34, v35
	v_add_f32_e32 v34, v38, v34
	v_cmp_neq_f32_e64 s[56:57], s64, v37
	v_cndmask_b32_e64 v34, v36, v34, s[56:57]
	s_mov_b32 s56, 0x33800000
	v_cmp_lt_f32_e64 s[56:57], |v37|, s56
	v_cndmask_b32_e64 v34, v34, v37, s[56:57]
	v_add_f32_e32 v36, v30, v34
.LBB166_56:
	s_or_b64 exec, exec, s[62:63]
	v_max_f32_e32 v30, v15, v15
	v_max_f32_e32 v34, v36, v36
	v_min_f32_e32 v35, v34, v30
	v_cmp_u_f32_e64 s[62:63], v36, v36
	v_max_f32_e32 v34, v34, v30
	v_cndmask_b32_e64 v35, v35, v36, s[62:63]
	v_cmp_u_f32_e64 s[56:57], v15, v15
	v_cndmask_b32_e64 v34, v34, v36, s[62:63]
	v_cndmask_b32_e64 v35, v35, v15, s[56:57]
	;; [unrolled: 1-line block ×3, first 2 shown]
	v_cmp_neq_f32_e64 s[62:63], v35, v34
	v_cmp_class_f32_e64 s[64:65], v35, s33
	s_or_b64 s[62:63], s[62:63], s[64:65]
	s_and_saveexec_b64 s[64:65], s[62:63]
	s_cbranch_execz .LBB166_58
; %bb.57:
	v_sub_f32_e32 v35, v35, v34
	s_mov_b32 s33, 0x3fb8aa3b
	v_mul_f32_e32 v36, 0x3fb8aa3b, v35
	v_fma_f32 v37, v35, s33, -v36
	v_rndne_f32_e32 v38, v36
	v_fmac_f32_e32 v37, 0x32a5705f, v35
	v_sub_f32_e32 v36, v36, v38
	v_add_f32_e32 v36, v36, v37
	v_exp_f32_e32 v36, v36
	v_cvt_i32_f32_e32 v37, v38
	s_mov_b32 s33, 0xc2ce8ed0
	v_cmp_ngt_f32_e64 s[62:63], s33, v35
	s_mov_b32 s33, 0x42b17218
	v_ldexp_f32 v36, v36, v37
	v_cndmask_b32_e64 v36, 0, v36, s[62:63]
	v_mov_b32_e32 v37, 0x7f800000
	v_cmp_nlt_f32_e64 s[62:63], s33, v35
	v_cndmask_b32_e64 v38, v37, v36, s[62:63]
	v_add_f32_e32 v39, 1.0, v38
	v_cvt_f64_f32_e32 v[35:36], v39
	v_add_f32_e32 v40, -1.0, v39
	v_sub_f32_e32 v41, v40, v39
	v_sub_f32_e32 v40, v38, v40
	v_frexp_exp_i32_f64_e32 v35, v[35:36]
	v_add_f32_e32 v36, 1.0, v41
	v_add_f32_e32 v36, v40, v36
	v_frexp_mant_f32_e32 v40, v39
	s_mov_b32 s62, 0x3f2aaaab
	v_cmp_gt_f32_e64 s[62:63], s62, v40
	s_mov_b32 s33, 0x7f800000
	v_subbrev_co_u32_e64 v35, s[62:63], 0, v35, s[62:63]
	v_sub_u32_e32 v40, 0, v35
	v_ldexp_f32 v39, v39, v40
	v_ldexp_f32 v36, v36, v40
	v_add_f32_e32 v40, -1.0, v39
	v_add_f32_e32 v43, 1.0, v39
	v_add_f32_e32 v41, 1.0, v40
	v_add_f32_e32 v44, -1.0, v43
	v_sub_f32_e32 v41, v39, v41
	v_sub_f32_e32 v39, v39, v44
	v_add_f32_e32 v41, v36, v41
	v_add_f32_e32 v36, v36, v39
	;; [unrolled: 1-line block ×3, first 2 shown]
	v_rcp_f32_e32 v44, v39
	v_add_f32_e32 v42, v40, v41
	v_sub_f32_e32 v40, v40, v42
	v_add_f32_e32 v40, v41, v40
	v_sub_f32_e32 v41, v43, v39
	v_add_f32_e32 v36, v36, v41
	v_mul_f32_e32 v41, v42, v44
	v_mul_f32_e32 v43, v39, v41
	v_fma_f32 v45, v41, v39, -v43
	v_fmac_f32_e32 v45, v41, v36
	v_add_f32_e32 v46, v43, v45
	v_sub_f32_e32 v47, v42, v46
	v_sub_f32_e32 v42, v42, v47
	v_sub_f32_e32 v43, v46, v43
	v_sub_f32_e32 v42, v42, v46
	v_add_f32_e32 v40, v40, v42
	v_sub_f32_e32 v42, v43, v45
	v_add_f32_e32 v40, v42, v40
	v_add_f32_e32 v42, v47, v40
	v_mul_f32_e32 v43, v44, v42
	v_mul_f32_e32 v45, v39, v43
	v_fma_f32 v39, v43, v39, -v45
	v_fmac_f32_e32 v39, v43, v36
	v_sub_f32_e32 v36, v47, v42
	v_add_f32_e32 v36, v40, v36
	v_add_f32_e32 v40, v45, v39
	v_sub_f32_e32 v46, v42, v40
	v_sub_f32_e32 v42, v42, v46
	;; [unrolled: 1-line block ×4, first 2 shown]
	v_add_f32_e32 v36, v36, v40
	v_sub_f32_e32 v39, v45, v39
	v_add_f32_e32 v36, v39, v36
	v_add_f32_e32 v39, v41, v43
	;; [unrolled: 1-line block ×3, first 2 shown]
	v_sub_f32_e32 v40, v39, v41
	v_mul_f32_e32 v36, v44, v36
	v_sub_f32_e32 v40, v43, v40
	v_add_f32_e32 v36, v40, v36
	v_cvt_f32_i32_e32 v35, v35
	v_add_f32_e32 v40, v39, v36
	v_mul_f32_e32 v41, v40, v40
	v_mov_b32_e32 v42, 0x3ecc95a3
	v_fmac_f32_e32 v42, 0x3e9b6dac, v41
	v_mov_b32_e32 v43, 0x3f2aaada
	v_fmac_f32_e32 v43, v41, v42
	s_mov_b32 s62, 0x3f317218
	v_mul_f32_e32 v42, 0x3f317218, v35
	v_fma_f32 v44, v35, s62, -v42
	v_fmac_f32_e32 v44, 0xb102e308, v35
	v_sub_f32_e32 v35, v40, v39
	v_sub_f32_e32 v35, v36, v35
	v_add_f32_e32 v36, v42, v44
	v_sub_f32_e32 v39, v36, v42
	v_ldexp_f32 v42, v40, 1
	v_mul_f32_e32 v40, v40, v41
	v_mul_f32_e32 v40, v40, v43
	v_add_f32_e32 v41, v42, v40
	v_sub_f32_e32 v42, v41, v42
	v_ldexp_f32 v35, v35, 1
	v_sub_f32_e32 v40, v40, v42
	v_add_f32_e32 v35, v35, v40
	v_add_f32_e32 v40, v41, v35
	v_sub_f32_e32 v41, v40, v41
	v_sub_f32_e32 v35, v35, v41
	v_add_f32_e32 v41, v36, v40
	v_sub_f32_e32 v42, v41, v36
	v_sub_f32_e32 v43, v41, v42
	;; [unrolled: 1-line block ×5, first 2 shown]
	v_add_f32_e32 v36, v40, v36
	v_add_f32_e32 v40, v39, v35
	v_sub_f32_e32 v42, v40, v39
	v_sub_f32_e32 v43, v40, v42
	;; [unrolled: 1-line block ×4, first 2 shown]
	v_add_f32_e32 v36, v40, v36
	v_add_f32_e32 v35, v35, v39
	;; [unrolled: 1-line block ×3, first 2 shown]
	v_sub_f32_e32 v40, v39, v41
	v_sub_f32_e32 v36, v36, v40
	v_add_f32_e32 v35, v35, v36
	v_add_f32_e32 v35, v39, v35
	v_cmp_neq_f32_e64 s[62:63], s33, v38
	s_mov_b32 s33, 0x33800000
	v_cndmask_b32_e64 v35, v37, v35, s[62:63]
	v_cmp_lt_f32_e64 s[62:63], |v38|, s33
	v_cndmask_b32_e64 v35, v35, v38, s[62:63]
	v_add_f32_e32 v36, v34, v35
.LBB166_58:
	s_or_b64 exec, exec, s[64:65]
	s_load_dwordx2 s[64:65], s[4:5], 0x18
	v_mbcnt_lo_u32_b32 v34, -1, 0
	v_mbcnt_hi_u32_b32 v35, -1, v34
	v_and_b32_e32 v37, 15, v35
	v_mov_b32_dpp v38, v36 row_shr:1 row_mask:0xf bank_mask:0xf
	v_cmp_ne_u32_e64 s[4:5], 0, v37
	s_and_saveexec_b64 s[66:67], s[4:5]
	s_cbranch_execz .LBB166_62
; %bb.59:
	v_max_f32_e32 v34, v36, v36
	v_max_f32_e32 v40, v38, v38
	v_min_f32_e32 v39, v40, v34
	v_cmp_u_f32_e64 s[4:5], v38, v38
	v_max_f32_e32 v34, v40, v34
	v_cndmask_b32_e64 v39, v39, v38, s[4:5]
	v_cmp_u_f32_e64 s[62:63], v36, v36
	v_cndmask_b32_e64 v34, v34, v38, s[4:5]
	v_cndmask_b32_e64 v39, v39, v36, s[62:63]
	;; [unrolled: 1-line block ×3, first 2 shown]
	s_movk_i32 s33, 0x1f8
	v_cmp_neq_f32_e64 s[4:5], v39, v34
	v_cmp_class_f32_e64 s[62:63], v39, s33
	s_or_b64 s[4:5], s[4:5], s[62:63]
	s_and_saveexec_b64 s[62:63], s[4:5]
	s_cbranch_execz .LBB166_61
; %bb.60:
	v_sub_f32_e32 v36, v39, v34
	s_mov_b32 s4, 0x3fb8aa3b
	v_mul_f32_e32 v38, 0x3fb8aa3b, v36
	v_fma_f32 v39, v36, s4, -v38
	v_rndne_f32_e32 v40, v38
	v_fmac_f32_e32 v39, 0x32a5705f, v36
	v_sub_f32_e32 v38, v38, v40
	v_add_f32_e32 v38, v38, v39
	v_exp_f32_e32 v38, v38
	v_cvt_i32_f32_e32 v39, v40
	s_mov_b32 s4, 0xc2ce8ed0
	v_cmp_ngt_f32_e64 s[4:5], s4, v36
	v_mov_b32_e32 v40, 0x7f800000
	v_ldexp_f32 v38, v38, v39
	v_cndmask_b32_e64 v38, 0, v38, s[4:5]
	s_mov_b32 s4, 0x42b17218
	v_cmp_nlt_f32_e64 s[4:5], s4, v36
	v_cndmask_b32_e64 v36, v40, v38, s[4:5]
	v_add_f32_e32 v41, 1.0, v36
	v_cvt_f64_f32_e32 v[38:39], v41
	v_add_f32_e32 v42, -1.0, v41
	v_sub_f32_e32 v43, v42, v41
	v_sub_f32_e32 v42, v36, v42
	v_frexp_exp_i32_f64_e32 v38, v[38:39]
	v_add_f32_e32 v39, 1.0, v43
	v_add_f32_e32 v39, v42, v39
	v_frexp_mant_f32_e32 v42, v41
	s_mov_b32 s4, 0x3f2aaaab
	v_cmp_gt_f32_e64 s[4:5], s4, v42
	s_mov_b32 s33, 0x7f800000
	v_subbrev_co_u32_e64 v38, s[4:5], 0, v38, s[4:5]
	v_sub_u32_e32 v42, 0, v38
	v_ldexp_f32 v41, v41, v42
	v_ldexp_f32 v39, v39, v42
	v_add_f32_e32 v42, -1.0, v41
	v_add_f32_e32 v45, 1.0, v41
	v_add_f32_e32 v43, 1.0, v42
	v_add_f32_e32 v46, -1.0, v45
	v_sub_f32_e32 v43, v41, v43
	v_sub_f32_e32 v41, v41, v46
	v_add_f32_e32 v43, v39, v43
	v_add_f32_e32 v39, v39, v41
	;; [unrolled: 1-line block ×3, first 2 shown]
	v_rcp_f32_e32 v46, v41
	v_add_f32_e32 v44, v42, v43
	v_sub_f32_e32 v42, v42, v44
	v_add_f32_e32 v42, v43, v42
	v_sub_f32_e32 v43, v45, v41
	v_add_f32_e32 v39, v39, v43
	v_mul_f32_e32 v43, v44, v46
	v_mul_f32_e32 v45, v41, v43
	v_fma_f32 v47, v43, v41, -v45
	v_fmac_f32_e32 v47, v43, v39
	v_add_f32_e32 v48, v45, v47
	v_sub_f32_e32 v49, v44, v48
	v_sub_f32_e32 v44, v44, v49
	;; [unrolled: 1-line block ×4, first 2 shown]
	v_add_f32_e32 v42, v42, v44
	v_sub_f32_e32 v44, v45, v47
	v_add_f32_e32 v42, v44, v42
	v_add_f32_e32 v44, v49, v42
	v_mul_f32_e32 v45, v46, v44
	v_mul_f32_e32 v47, v41, v45
	v_fma_f32 v41, v45, v41, -v47
	v_fmac_f32_e32 v41, v45, v39
	v_sub_f32_e32 v39, v49, v44
	v_add_f32_e32 v39, v42, v39
	v_add_f32_e32 v42, v47, v41
	v_sub_f32_e32 v48, v44, v42
	v_sub_f32_e32 v44, v44, v48
	;; [unrolled: 1-line block ×4, first 2 shown]
	v_add_f32_e32 v39, v39, v42
	v_sub_f32_e32 v41, v47, v41
	v_add_f32_e32 v39, v41, v39
	v_add_f32_e32 v41, v43, v45
	;; [unrolled: 1-line block ×3, first 2 shown]
	v_sub_f32_e32 v42, v41, v43
	v_mul_f32_e32 v39, v46, v39
	v_sub_f32_e32 v42, v45, v42
	v_add_f32_e32 v39, v42, v39
	v_cvt_f32_i32_e32 v38, v38
	v_add_f32_e32 v42, v41, v39
	v_mul_f32_e32 v43, v42, v42
	v_mov_b32_e32 v44, 0x3ecc95a3
	v_fmac_f32_e32 v44, 0x3e9b6dac, v43
	v_mov_b32_e32 v45, 0x3f2aaada
	v_fmac_f32_e32 v45, v43, v44
	s_mov_b32 s4, 0x3f317218
	v_mul_f32_e32 v44, 0x3f317218, v38
	v_fma_f32 v46, v38, s4, -v44
	v_fmac_f32_e32 v46, 0xb102e308, v38
	v_sub_f32_e32 v38, v42, v41
	v_sub_f32_e32 v38, v39, v38
	v_add_f32_e32 v39, v44, v46
	v_sub_f32_e32 v41, v39, v44
	v_ldexp_f32 v44, v42, 1
	v_mul_f32_e32 v42, v42, v43
	v_mul_f32_e32 v42, v42, v45
	v_add_f32_e32 v43, v44, v42
	v_sub_f32_e32 v44, v43, v44
	v_ldexp_f32 v38, v38, 1
	v_sub_f32_e32 v42, v42, v44
	v_add_f32_e32 v38, v38, v42
	v_add_f32_e32 v42, v43, v38
	v_sub_f32_e32 v43, v42, v43
	v_sub_f32_e32 v38, v38, v43
	v_add_f32_e32 v43, v39, v42
	v_sub_f32_e32 v44, v43, v39
	v_sub_f32_e32 v45, v43, v44
	;; [unrolled: 1-line block ×5, first 2 shown]
	v_add_f32_e32 v39, v42, v39
	v_add_f32_e32 v42, v41, v38
	v_sub_f32_e32 v44, v42, v41
	v_sub_f32_e32 v45, v42, v44
	;; [unrolled: 1-line block ×4, first 2 shown]
	v_add_f32_e32 v39, v42, v39
	v_add_f32_e32 v38, v38, v41
	;; [unrolled: 1-line block ×3, first 2 shown]
	v_sub_f32_e32 v42, v41, v43
	v_sub_f32_e32 v39, v39, v42
	v_add_f32_e32 v38, v38, v39
	v_add_f32_e32 v38, v41, v38
	v_cmp_neq_f32_e64 s[4:5], s33, v36
	v_cndmask_b32_e64 v38, v40, v38, s[4:5]
	s_mov_b32 s4, 0x33800000
	v_cmp_lt_f32_e64 s[4:5], |v36|, s4
	v_cndmask_b32_e64 v36, v38, v36, s[4:5]
	v_add_f32_e32 v38, v34, v36
.LBB166_61:
	s_or_b64 exec, exec, s[62:63]
	v_mov_b32_e32 v36, v38
.LBB166_62:
	s_or_b64 exec, exec, s[66:67]
	v_mul_u32_u24_e32 v34, 56, v0
	v_mov_b32_dpp v38, v36 row_shr:2 row_mask:0xf bank_mask:0xf
	v_cmp_lt_u32_e64 s[4:5], 1, v37
	s_and_saveexec_b64 s[66:67], s[4:5]
	s_cbranch_execz .LBB166_66
; %bb.63:
	v_max_f32_e32 v40, v36, v36
	v_max_f32_e32 v41, v38, v38
	v_min_f32_e32 v39, v41, v40
	v_cmp_u_f32_e64 s[4:5], v38, v38
	v_max_f32_e32 v40, v41, v40
	v_cndmask_b32_e64 v39, v39, v38, s[4:5]
	v_cmp_u_f32_e64 s[62:63], v36, v36
	v_cndmask_b32_e64 v40, v40, v38, s[4:5]
	v_cndmask_b32_e64 v39, v39, v36, s[62:63]
	;; [unrolled: 1-line block ×3, first 2 shown]
	s_movk_i32 s33, 0x1f8
	v_cmp_neq_f32_e64 s[4:5], v39, v36
	v_cmp_class_f32_e64 s[62:63], v39, s33
	s_or_b64 s[4:5], s[4:5], s[62:63]
	s_and_saveexec_b64 s[62:63], s[4:5]
	s_cbranch_execz .LBB166_65
; %bb.64:
	v_sub_f32_e32 v38, v39, v36
	s_mov_b32 s4, 0x3fb8aa3b
	v_mul_f32_e32 v39, 0x3fb8aa3b, v38
	v_fma_f32 v40, v38, s4, -v39
	v_rndne_f32_e32 v41, v39
	v_fmac_f32_e32 v40, 0x32a5705f, v38
	v_sub_f32_e32 v39, v39, v41
	v_add_f32_e32 v39, v39, v40
	v_exp_f32_e32 v39, v39
	v_cvt_i32_f32_e32 v40, v41
	s_mov_b32 s4, 0xc2ce8ed0
	v_cmp_ngt_f32_e64 s[4:5], s4, v38
	s_mov_b32 s33, 0x7f800000
	v_ldexp_f32 v39, v39, v40
	v_cndmask_b32_e64 v39, 0, v39, s[4:5]
	s_mov_b32 s4, 0x42b17218
	v_mov_b32_e32 v40, 0x7f800000
	v_cmp_nlt_f32_e64 s[4:5], s4, v38
	v_cndmask_b32_e64 v41, v40, v39, s[4:5]
	v_add_f32_e32 v42, 1.0, v41
	v_cvt_f64_f32_e32 v[38:39], v42
	v_add_f32_e32 v43, -1.0, v42
	v_sub_f32_e32 v44, v43, v42
	v_sub_f32_e32 v43, v41, v43
	v_frexp_exp_i32_f64_e32 v38, v[38:39]
	v_add_f32_e32 v39, 1.0, v44
	v_add_f32_e32 v39, v43, v39
	v_frexp_mant_f32_e32 v43, v42
	s_mov_b32 s4, 0x3f2aaaab
	v_cmp_gt_f32_e64 s[4:5], s4, v43
	v_subbrev_co_u32_e64 v38, s[4:5], 0, v38, s[4:5]
	v_sub_u32_e32 v43, 0, v38
	v_ldexp_f32 v42, v42, v43
	v_ldexp_f32 v39, v39, v43
	v_add_f32_e32 v43, -1.0, v42
	v_add_f32_e32 v46, 1.0, v42
	v_add_f32_e32 v44, 1.0, v43
	v_add_f32_e32 v47, -1.0, v46
	v_sub_f32_e32 v44, v42, v44
	v_sub_f32_e32 v42, v42, v47
	v_add_f32_e32 v44, v39, v44
	v_add_f32_e32 v39, v39, v42
	v_add_f32_e32 v42, v46, v39
	v_rcp_f32_e32 v47, v42
	v_add_f32_e32 v45, v43, v44
	v_sub_f32_e32 v43, v43, v45
	v_add_f32_e32 v43, v44, v43
	v_sub_f32_e32 v44, v46, v42
	v_add_f32_e32 v39, v39, v44
	v_mul_f32_e32 v44, v45, v47
	v_mul_f32_e32 v46, v42, v44
	v_fma_f32 v48, v44, v42, -v46
	v_fmac_f32_e32 v48, v44, v39
	v_add_f32_e32 v49, v46, v48
	v_sub_f32_e32 v50, v45, v49
	v_sub_f32_e32 v45, v45, v50
	;; [unrolled: 1-line block ×4, first 2 shown]
	v_add_f32_e32 v43, v43, v45
	v_sub_f32_e32 v45, v46, v48
	v_add_f32_e32 v43, v45, v43
	v_add_f32_e32 v45, v50, v43
	v_mul_f32_e32 v46, v47, v45
	v_mul_f32_e32 v48, v42, v46
	v_fma_f32 v42, v46, v42, -v48
	v_fmac_f32_e32 v42, v46, v39
	v_sub_f32_e32 v39, v50, v45
	v_add_f32_e32 v39, v43, v39
	v_add_f32_e32 v43, v48, v42
	v_sub_f32_e32 v49, v45, v43
	v_sub_f32_e32 v45, v45, v49
	;; [unrolled: 1-line block ×4, first 2 shown]
	v_add_f32_e32 v39, v39, v43
	v_sub_f32_e32 v42, v48, v42
	v_add_f32_e32 v39, v42, v39
	v_add_f32_e32 v42, v44, v46
	;; [unrolled: 1-line block ×3, first 2 shown]
	v_sub_f32_e32 v43, v42, v44
	v_mul_f32_e32 v39, v47, v39
	v_sub_f32_e32 v43, v46, v43
	v_add_f32_e32 v39, v43, v39
	v_cvt_f32_i32_e32 v38, v38
	v_add_f32_e32 v43, v42, v39
	v_mul_f32_e32 v44, v43, v43
	v_mov_b32_e32 v45, 0x3ecc95a3
	v_fmac_f32_e32 v45, 0x3e9b6dac, v44
	v_mov_b32_e32 v46, 0x3f2aaada
	v_fmac_f32_e32 v46, v44, v45
	s_mov_b32 s4, 0x3f317218
	v_mul_f32_e32 v45, 0x3f317218, v38
	v_fma_f32 v47, v38, s4, -v45
	v_fmac_f32_e32 v47, 0xb102e308, v38
	v_sub_f32_e32 v38, v43, v42
	v_sub_f32_e32 v38, v39, v38
	v_add_f32_e32 v39, v45, v47
	v_sub_f32_e32 v42, v39, v45
	v_ldexp_f32 v45, v43, 1
	v_mul_f32_e32 v43, v43, v44
	v_mul_f32_e32 v43, v43, v46
	v_add_f32_e32 v44, v45, v43
	v_sub_f32_e32 v45, v44, v45
	v_ldexp_f32 v38, v38, 1
	v_sub_f32_e32 v43, v43, v45
	v_add_f32_e32 v38, v38, v43
	v_add_f32_e32 v43, v44, v38
	v_sub_f32_e32 v44, v43, v44
	v_sub_f32_e32 v38, v38, v44
	v_add_f32_e32 v44, v39, v43
	v_sub_f32_e32 v45, v44, v39
	v_sub_f32_e32 v46, v44, v45
	;; [unrolled: 1-line block ×5, first 2 shown]
	v_add_f32_e32 v39, v43, v39
	v_add_f32_e32 v43, v42, v38
	v_sub_f32_e32 v45, v43, v42
	v_sub_f32_e32 v46, v43, v45
	;; [unrolled: 1-line block ×4, first 2 shown]
	v_add_f32_e32 v39, v43, v39
	v_add_f32_e32 v38, v38, v42
	;; [unrolled: 1-line block ×3, first 2 shown]
	v_sub_f32_e32 v43, v42, v44
	v_sub_f32_e32 v39, v39, v43
	v_add_f32_e32 v38, v38, v39
	v_add_f32_e32 v38, v42, v38
	v_cmp_neq_f32_e64 s[4:5], s33, v41
	v_cndmask_b32_e64 v38, v40, v38, s[4:5]
	s_mov_b32 s4, 0x33800000
	v_cmp_lt_f32_e64 s[4:5], |v41|, s4
	v_cndmask_b32_e64 v38, v38, v41, s[4:5]
	v_add_f32_e32 v38, v36, v38
.LBB166_65:
	s_or_b64 exec, exec, s[62:63]
	v_mov_b32_e32 v36, v38
.LBB166_66:
	s_or_b64 exec, exec, s[66:67]
	s_nop 0
	v_mov_b32_dpp v38, v36 row_shr:4 row_mask:0xf bank_mask:0xf
	v_cmp_lt_u32_e64 s[4:5], 3, v37
	s_and_saveexec_b64 s[66:67], s[4:5]
	s_cbranch_execz .LBB166_70
; %bb.67:
	v_max_f32_e32 v40, v36, v36
	v_max_f32_e32 v41, v38, v38
	v_min_f32_e32 v39, v41, v40
	v_cmp_u_f32_e64 s[4:5], v38, v38
	v_max_f32_e32 v40, v41, v40
	v_cndmask_b32_e64 v39, v39, v38, s[4:5]
	v_cmp_u_f32_e64 s[62:63], v36, v36
	v_cndmask_b32_e64 v40, v40, v38, s[4:5]
	v_cndmask_b32_e64 v39, v39, v36, s[62:63]
	;; [unrolled: 1-line block ×3, first 2 shown]
	s_movk_i32 s33, 0x1f8
	v_cmp_neq_f32_e64 s[4:5], v39, v36
	v_cmp_class_f32_e64 s[62:63], v39, s33
	s_or_b64 s[4:5], s[4:5], s[62:63]
	s_and_saveexec_b64 s[62:63], s[4:5]
	s_cbranch_execz .LBB166_69
; %bb.68:
	v_sub_f32_e32 v38, v39, v36
	s_mov_b32 s4, 0x3fb8aa3b
	v_mul_f32_e32 v39, 0x3fb8aa3b, v38
	v_fma_f32 v40, v38, s4, -v39
	v_rndne_f32_e32 v41, v39
	v_fmac_f32_e32 v40, 0x32a5705f, v38
	v_sub_f32_e32 v39, v39, v41
	v_add_f32_e32 v39, v39, v40
	v_exp_f32_e32 v39, v39
	v_cvt_i32_f32_e32 v40, v41
	s_mov_b32 s4, 0xc2ce8ed0
	v_cmp_ngt_f32_e64 s[4:5], s4, v38
	s_mov_b32 s33, 0x7f800000
	v_ldexp_f32 v39, v39, v40
	v_cndmask_b32_e64 v39, 0, v39, s[4:5]
	s_mov_b32 s4, 0x42b17218
	v_mov_b32_e32 v40, 0x7f800000
	v_cmp_nlt_f32_e64 s[4:5], s4, v38
	v_cndmask_b32_e64 v41, v40, v39, s[4:5]
	v_add_f32_e32 v42, 1.0, v41
	v_cvt_f64_f32_e32 v[38:39], v42
	v_add_f32_e32 v43, -1.0, v42
	v_sub_f32_e32 v44, v43, v42
	v_sub_f32_e32 v43, v41, v43
	v_frexp_exp_i32_f64_e32 v38, v[38:39]
	v_add_f32_e32 v39, 1.0, v44
	v_add_f32_e32 v39, v43, v39
	v_frexp_mant_f32_e32 v43, v42
	s_mov_b32 s4, 0x3f2aaaab
	v_cmp_gt_f32_e64 s[4:5], s4, v43
	v_subbrev_co_u32_e64 v38, s[4:5], 0, v38, s[4:5]
	v_sub_u32_e32 v43, 0, v38
	v_ldexp_f32 v42, v42, v43
	v_ldexp_f32 v39, v39, v43
	v_add_f32_e32 v43, -1.0, v42
	v_add_f32_e32 v46, 1.0, v42
	v_add_f32_e32 v44, 1.0, v43
	v_add_f32_e32 v47, -1.0, v46
	v_sub_f32_e32 v44, v42, v44
	v_sub_f32_e32 v42, v42, v47
	v_add_f32_e32 v44, v39, v44
	v_add_f32_e32 v39, v39, v42
	;; [unrolled: 1-line block ×3, first 2 shown]
	v_rcp_f32_e32 v47, v42
	v_add_f32_e32 v45, v43, v44
	v_sub_f32_e32 v43, v43, v45
	v_add_f32_e32 v43, v44, v43
	v_sub_f32_e32 v44, v46, v42
	v_add_f32_e32 v39, v39, v44
	v_mul_f32_e32 v44, v45, v47
	v_mul_f32_e32 v46, v42, v44
	v_fma_f32 v48, v44, v42, -v46
	v_fmac_f32_e32 v48, v44, v39
	v_add_f32_e32 v49, v46, v48
	v_sub_f32_e32 v50, v45, v49
	v_sub_f32_e32 v45, v45, v50
	;; [unrolled: 1-line block ×4, first 2 shown]
	v_add_f32_e32 v43, v43, v45
	v_sub_f32_e32 v45, v46, v48
	v_add_f32_e32 v43, v45, v43
	v_add_f32_e32 v45, v50, v43
	v_mul_f32_e32 v46, v47, v45
	v_mul_f32_e32 v48, v42, v46
	v_fma_f32 v42, v46, v42, -v48
	v_fmac_f32_e32 v42, v46, v39
	v_sub_f32_e32 v39, v50, v45
	v_add_f32_e32 v39, v43, v39
	v_add_f32_e32 v43, v48, v42
	v_sub_f32_e32 v49, v45, v43
	v_sub_f32_e32 v45, v45, v49
	;; [unrolled: 1-line block ×4, first 2 shown]
	v_add_f32_e32 v39, v39, v43
	v_sub_f32_e32 v42, v48, v42
	v_add_f32_e32 v39, v42, v39
	v_add_f32_e32 v42, v44, v46
	;; [unrolled: 1-line block ×3, first 2 shown]
	v_sub_f32_e32 v43, v42, v44
	v_mul_f32_e32 v39, v47, v39
	v_sub_f32_e32 v43, v46, v43
	v_add_f32_e32 v39, v43, v39
	v_cvt_f32_i32_e32 v38, v38
	v_add_f32_e32 v43, v42, v39
	v_mul_f32_e32 v44, v43, v43
	v_mov_b32_e32 v45, 0x3ecc95a3
	v_fmac_f32_e32 v45, 0x3e9b6dac, v44
	v_mov_b32_e32 v46, 0x3f2aaada
	v_fmac_f32_e32 v46, v44, v45
	s_mov_b32 s4, 0x3f317218
	v_mul_f32_e32 v45, 0x3f317218, v38
	v_fma_f32 v47, v38, s4, -v45
	v_fmac_f32_e32 v47, 0xb102e308, v38
	v_sub_f32_e32 v38, v43, v42
	v_sub_f32_e32 v38, v39, v38
	v_add_f32_e32 v39, v45, v47
	v_sub_f32_e32 v42, v39, v45
	v_ldexp_f32 v45, v43, 1
	v_mul_f32_e32 v43, v43, v44
	v_mul_f32_e32 v43, v43, v46
	v_add_f32_e32 v44, v45, v43
	v_sub_f32_e32 v45, v44, v45
	v_ldexp_f32 v38, v38, 1
	v_sub_f32_e32 v43, v43, v45
	v_add_f32_e32 v38, v38, v43
	v_add_f32_e32 v43, v44, v38
	v_sub_f32_e32 v44, v43, v44
	v_sub_f32_e32 v38, v38, v44
	v_add_f32_e32 v44, v39, v43
	v_sub_f32_e32 v45, v44, v39
	v_sub_f32_e32 v46, v44, v45
	v_sub_f32_e32 v42, v47, v42
	v_sub_f32_e32 v39, v39, v46
	v_sub_f32_e32 v43, v43, v45
	v_add_f32_e32 v39, v43, v39
	v_add_f32_e32 v43, v42, v38
	v_sub_f32_e32 v45, v43, v42
	v_sub_f32_e32 v46, v43, v45
	;; [unrolled: 1-line block ×4, first 2 shown]
	v_add_f32_e32 v39, v43, v39
	v_add_f32_e32 v38, v38, v42
	v_add_f32_e32 v42, v44, v39
	v_sub_f32_e32 v43, v42, v44
	v_sub_f32_e32 v39, v39, v43
	v_add_f32_e32 v38, v38, v39
	v_add_f32_e32 v38, v42, v38
	v_cmp_neq_f32_e64 s[4:5], s33, v41
	v_cndmask_b32_e64 v38, v40, v38, s[4:5]
	s_mov_b32 s4, 0x33800000
	v_cmp_lt_f32_e64 s[4:5], |v41|, s4
	v_cndmask_b32_e64 v38, v38, v41, s[4:5]
	v_add_f32_e32 v38, v36, v38
.LBB166_69:
	s_or_b64 exec, exec, s[62:63]
	v_mov_b32_e32 v36, v38
.LBB166_70:
	s_or_b64 exec, exec, s[66:67]
	s_nop 0
	v_mov_b32_dpp v38, v36 row_shr:8 row_mask:0xf bank_mask:0xf
	v_cmp_lt_u32_e64 s[4:5], 7, v37
	s_and_saveexec_b64 s[66:67], s[4:5]
	s_cbranch_execz .LBB166_74
; %bb.71:
	v_max_f32_e32 v39, v36, v36
	v_max_f32_e32 v40, v38, v38
	v_min_f32_e32 v37, v40, v39
	v_cmp_u_f32_e64 s[4:5], v38, v38
	v_max_f32_e32 v39, v40, v39
	v_cndmask_b32_e64 v37, v37, v38, s[4:5]
	v_cmp_u_f32_e64 s[62:63], v36, v36
	v_cndmask_b32_e64 v39, v39, v38, s[4:5]
	v_cndmask_b32_e64 v37, v37, v36, s[62:63]
	;; [unrolled: 1-line block ×3, first 2 shown]
	s_movk_i32 s33, 0x1f8
	v_cmp_neq_f32_e64 s[4:5], v37, v36
	v_cmp_class_f32_e64 s[62:63], v37, s33
	s_or_b64 s[4:5], s[4:5], s[62:63]
	s_and_saveexec_b64 s[62:63], s[4:5]
	s_cbranch_execz .LBB166_73
; %bb.72:
	v_sub_f32_e32 v37, v37, v36
	s_mov_b32 s4, 0x3fb8aa3b
	v_mul_f32_e32 v38, 0x3fb8aa3b, v37
	v_fma_f32 v39, v37, s4, -v38
	v_rndne_f32_e32 v40, v38
	v_fmac_f32_e32 v39, 0x32a5705f, v37
	v_sub_f32_e32 v38, v38, v40
	v_add_f32_e32 v38, v38, v39
	v_exp_f32_e32 v38, v38
	v_cvt_i32_f32_e32 v39, v40
	s_mov_b32 s4, 0xc2ce8ed0
	v_cmp_ngt_f32_e64 s[4:5], s4, v37
	s_mov_b32 s33, 0x7f800000
	v_ldexp_f32 v38, v38, v39
	v_cndmask_b32_e64 v38, 0, v38, s[4:5]
	s_mov_b32 s4, 0x42b17218
	v_mov_b32_e32 v39, 0x7f800000
	v_cmp_nlt_f32_e64 s[4:5], s4, v37
	v_cndmask_b32_e64 v40, v39, v38, s[4:5]
	v_add_f32_e32 v41, 1.0, v40
	v_cvt_f64_f32_e32 v[37:38], v41
	v_add_f32_e32 v42, -1.0, v41
	v_sub_f32_e32 v43, v42, v41
	v_sub_f32_e32 v42, v40, v42
	v_frexp_exp_i32_f64_e32 v37, v[37:38]
	v_add_f32_e32 v38, 1.0, v43
	v_add_f32_e32 v38, v42, v38
	v_frexp_mant_f32_e32 v42, v41
	s_mov_b32 s4, 0x3f2aaaab
	v_cmp_gt_f32_e64 s[4:5], s4, v42
	v_subbrev_co_u32_e64 v37, s[4:5], 0, v37, s[4:5]
	v_sub_u32_e32 v42, 0, v37
	v_ldexp_f32 v41, v41, v42
	v_ldexp_f32 v38, v38, v42
	v_add_f32_e32 v42, -1.0, v41
	v_add_f32_e32 v45, 1.0, v41
	v_add_f32_e32 v43, 1.0, v42
	v_add_f32_e32 v46, -1.0, v45
	v_sub_f32_e32 v43, v41, v43
	v_sub_f32_e32 v41, v41, v46
	v_add_f32_e32 v43, v38, v43
	v_add_f32_e32 v38, v38, v41
	;; [unrolled: 1-line block ×3, first 2 shown]
	v_rcp_f32_e32 v46, v41
	v_add_f32_e32 v44, v42, v43
	v_sub_f32_e32 v42, v42, v44
	v_add_f32_e32 v42, v43, v42
	v_sub_f32_e32 v43, v45, v41
	v_add_f32_e32 v38, v38, v43
	v_mul_f32_e32 v43, v44, v46
	v_mul_f32_e32 v45, v41, v43
	v_fma_f32 v47, v43, v41, -v45
	v_fmac_f32_e32 v47, v43, v38
	v_add_f32_e32 v48, v45, v47
	v_sub_f32_e32 v49, v44, v48
	v_sub_f32_e32 v44, v44, v49
	;; [unrolled: 1-line block ×4, first 2 shown]
	v_add_f32_e32 v42, v42, v44
	v_sub_f32_e32 v44, v45, v47
	v_add_f32_e32 v42, v44, v42
	v_add_f32_e32 v44, v49, v42
	v_mul_f32_e32 v45, v46, v44
	v_mul_f32_e32 v47, v41, v45
	v_fma_f32 v41, v45, v41, -v47
	v_fmac_f32_e32 v41, v45, v38
	v_sub_f32_e32 v38, v49, v44
	v_add_f32_e32 v38, v42, v38
	v_add_f32_e32 v42, v47, v41
	v_sub_f32_e32 v48, v44, v42
	v_sub_f32_e32 v44, v44, v48
	;; [unrolled: 1-line block ×4, first 2 shown]
	v_add_f32_e32 v38, v38, v42
	v_sub_f32_e32 v41, v47, v41
	v_add_f32_e32 v38, v41, v38
	v_add_f32_e32 v41, v43, v45
	;; [unrolled: 1-line block ×3, first 2 shown]
	v_sub_f32_e32 v42, v41, v43
	v_mul_f32_e32 v38, v46, v38
	v_sub_f32_e32 v42, v45, v42
	v_add_f32_e32 v38, v42, v38
	v_cvt_f32_i32_e32 v37, v37
	v_add_f32_e32 v42, v41, v38
	v_mul_f32_e32 v43, v42, v42
	v_mov_b32_e32 v44, 0x3ecc95a3
	v_fmac_f32_e32 v44, 0x3e9b6dac, v43
	v_mov_b32_e32 v45, 0x3f2aaada
	v_fmac_f32_e32 v45, v43, v44
	s_mov_b32 s4, 0x3f317218
	v_mul_f32_e32 v44, 0x3f317218, v37
	v_fma_f32 v46, v37, s4, -v44
	v_fmac_f32_e32 v46, 0xb102e308, v37
	v_sub_f32_e32 v37, v42, v41
	v_sub_f32_e32 v37, v38, v37
	v_add_f32_e32 v38, v44, v46
	v_sub_f32_e32 v41, v38, v44
	v_ldexp_f32 v44, v42, 1
	v_mul_f32_e32 v42, v42, v43
	v_mul_f32_e32 v42, v42, v45
	v_add_f32_e32 v43, v44, v42
	v_sub_f32_e32 v44, v43, v44
	v_ldexp_f32 v37, v37, 1
	v_sub_f32_e32 v42, v42, v44
	v_add_f32_e32 v37, v37, v42
	v_add_f32_e32 v42, v43, v37
	v_sub_f32_e32 v43, v42, v43
	v_sub_f32_e32 v37, v37, v43
	v_add_f32_e32 v43, v38, v42
	v_sub_f32_e32 v44, v43, v38
	v_sub_f32_e32 v45, v43, v44
	;; [unrolled: 1-line block ×5, first 2 shown]
	v_add_f32_e32 v38, v42, v38
	v_add_f32_e32 v42, v41, v37
	v_sub_f32_e32 v44, v42, v41
	v_sub_f32_e32 v45, v42, v44
	;; [unrolled: 1-line block ×4, first 2 shown]
	v_add_f32_e32 v38, v42, v38
	v_add_f32_e32 v37, v37, v41
	;; [unrolled: 1-line block ×3, first 2 shown]
	v_sub_f32_e32 v42, v41, v43
	v_sub_f32_e32 v38, v38, v42
	v_add_f32_e32 v37, v37, v38
	v_add_f32_e32 v37, v41, v37
	v_cmp_neq_f32_e64 s[4:5], s33, v40
	v_cndmask_b32_e64 v37, v39, v37, s[4:5]
	s_mov_b32 s4, 0x33800000
	v_cmp_lt_f32_e64 s[4:5], |v40|, s4
	v_cndmask_b32_e64 v37, v37, v40, s[4:5]
	v_add_f32_e32 v38, v36, v37
.LBB166_73:
	s_or_b64 exec, exec, s[62:63]
	v_mov_b32_e32 v36, v38
.LBB166_74:
	s_or_b64 exec, exec, s[66:67]
	v_and_b32_e32 v38, 16, v35
	v_mov_b32_dpp v37, v36 row_bcast:15 row_mask:0xf bank_mask:0xf
	v_cmp_ne_u32_e64 s[4:5], 0, v38
	s_and_saveexec_b64 s[66:67], s[4:5]
	s_cbranch_execz .LBB166_78
; %bb.75:
	v_max_f32_e32 v39, v36, v36
	v_max_f32_e32 v40, v37, v37
	v_min_f32_e32 v38, v40, v39
	v_cmp_u_f32_e64 s[4:5], v37, v37
	v_max_f32_e32 v39, v40, v39
	v_cndmask_b32_e64 v38, v38, v37, s[4:5]
	v_cmp_u_f32_e64 s[62:63], v36, v36
	v_cndmask_b32_e64 v39, v39, v37, s[4:5]
	v_cndmask_b32_e64 v38, v38, v36, s[62:63]
	v_cndmask_b32_e64 v36, v39, v36, s[62:63]
	s_movk_i32 s33, 0x1f8
	v_cmp_neq_f32_e64 s[4:5], v38, v36
	v_cmp_class_f32_e64 s[62:63], v38, s33
	s_or_b64 s[4:5], s[4:5], s[62:63]
	s_and_saveexec_b64 s[62:63], s[4:5]
	s_cbranch_execz .LBB166_77
; %bb.76:
	v_sub_f32_e32 v37, v38, v36
	s_mov_b32 s4, 0x3fb8aa3b
	v_mul_f32_e32 v38, 0x3fb8aa3b, v37
	v_fma_f32 v39, v37, s4, -v38
	v_rndne_f32_e32 v40, v38
	v_fmac_f32_e32 v39, 0x32a5705f, v37
	v_sub_f32_e32 v38, v38, v40
	v_add_f32_e32 v38, v38, v39
	v_exp_f32_e32 v38, v38
	v_cvt_i32_f32_e32 v39, v40
	s_mov_b32 s4, 0xc2ce8ed0
	v_cmp_ngt_f32_e64 s[4:5], s4, v37
	s_mov_b32 s33, 0x7f800000
	v_ldexp_f32 v38, v38, v39
	v_cndmask_b32_e64 v38, 0, v38, s[4:5]
	s_mov_b32 s4, 0x42b17218
	v_mov_b32_e32 v39, 0x7f800000
	v_cmp_nlt_f32_e64 s[4:5], s4, v37
	v_cndmask_b32_e64 v40, v39, v38, s[4:5]
	v_add_f32_e32 v41, 1.0, v40
	v_cvt_f64_f32_e32 v[37:38], v41
	v_add_f32_e32 v42, -1.0, v41
	v_sub_f32_e32 v43, v42, v41
	v_sub_f32_e32 v42, v40, v42
	v_frexp_exp_i32_f64_e32 v37, v[37:38]
	v_add_f32_e32 v38, 1.0, v43
	v_add_f32_e32 v38, v42, v38
	v_frexp_mant_f32_e32 v42, v41
	s_mov_b32 s4, 0x3f2aaaab
	v_cmp_gt_f32_e64 s[4:5], s4, v42
	v_subbrev_co_u32_e64 v37, s[4:5], 0, v37, s[4:5]
	v_sub_u32_e32 v42, 0, v37
	v_ldexp_f32 v41, v41, v42
	v_ldexp_f32 v38, v38, v42
	v_add_f32_e32 v42, -1.0, v41
	v_add_f32_e32 v45, 1.0, v41
	v_add_f32_e32 v43, 1.0, v42
	v_add_f32_e32 v46, -1.0, v45
	v_sub_f32_e32 v43, v41, v43
	v_sub_f32_e32 v41, v41, v46
	v_add_f32_e32 v43, v38, v43
	v_add_f32_e32 v38, v38, v41
	v_add_f32_e32 v41, v45, v38
	v_rcp_f32_e32 v46, v41
	v_add_f32_e32 v44, v42, v43
	v_sub_f32_e32 v42, v42, v44
	v_add_f32_e32 v42, v43, v42
	v_sub_f32_e32 v43, v45, v41
	v_add_f32_e32 v38, v38, v43
	v_mul_f32_e32 v43, v44, v46
	v_mul_f32_e32 v45, v41, v43
	v_fma_f32 v47, v43, v41, -v45
	v_fmac_f32_e32 v47, v43, v38
	v_add_f32_e32 v48, v45, v47
	v_sub_f32_e32 v49, v44, v48
	v_sub_f32_e32 v44, v44, v49
	;; [unrolled: 1-line block ×4, first 2 shown]
	v_add_f32_e32 v42, v42, v44
	v_sub_f32_e32 v44, v45, v47
	v_add_f32_e32 v42, v44, v42
	v_add_f32_e32 v44, v49, v42
	v_mul_f32_e32 v45, v46, v44
	v_mul_f32_e32 v47, v41, v45
	v_fma_f32 v41, v45, v41, -v47
	v_fmac_f32_e32 v41, v45, v38
	v_sub_f32_e32 v38, v49, v44
	v_add_f32_e32 v38, v42, v38
	v_add_f32_e32 v42, v47, v41
	v_sub_f32_e32 v48, v44, v42
	v_sub_f32_e32 v44, v44, v48
	;; [unrolled: 1-line block ×4, first 2 shown]
	v_add_f32_e32 v38, v38, v42
	v_sub_f32_e32 v41, v47, v41
	v_add_f32_e32 v38, v41, v38
	v_add_f32_e32 v41, v43, v45
	;; [unrolled: 1-line block ×3, first 2 shown]
	v_sub_f32_e32 v42, v41, v43
	v_mul_f32_e32 v38, v46, v38
	v_sub_f32_e32 v42, v45, v42
	v_add_f32_e32 v38, v42, v38
	v_cvt_f32_i32_e32 v37, v37
	v_add_f32_e32 v42, v41, v38
	v_mul_f32_e32 v43, v42, v42
	v_mov_b32_e32 v44, 0x3ecc95a3
	v_fmac_f32_e32 v44, 0x3e9b6dac, v43
	v_mov_b32_e32 v45, 0x3f2aaada
	v_fmac_f32_e32 v45, v43, v44
	s_mov_b32 s4, 0x3f317218
	v_mul_f32_e32 v44, 0x3f317218, v37
	v_fma_f32 v46, v37, s4, -v44
	v_fmac_f32_e32 v46, 0xb102e308, v37
	v_sub_f32_e32 v37, v42, v41
	v_sub_f32_e32 v37, v38, v37
	v_add_f32_e32 v38, v44, v46
	v_sub_f32_e32 v41, v38, v44
	v_ldexp_f32 v44, v42, 1
	v_mul_f32_e32 v42, v42, v43
	v_mul_f32_e32 v42, v42, v45
	v_add_f32_e32 v43, v44, v42
	v_sub_f32_e32 v44, v43, v44
	v_ldexp_f32 v37, v37, 1
	v_sub_f32_e32 v42, v42, v44
	v_add_f32_e32 v37, v37, v42
	v_add_f32_e32 v42, v43, v37
	v_sub_f32_e32 v43, v42, v43
	v_sub_f32_e32 v37, v37, v43
	v_add_f32_e32 v43, v38, v42
	v_sub_f32_e32 v44, v43, v38
	v_sub_f32_e32 v45, v43, v44
	;; [unrolled: 1-line block ×5, first 2 shown]
	v_add_f32_e32 v38, v42, v38
	v_add_f32_e32 v42, v41, v37
	v_sub_f32_e32 v44, v42, v41
	v_sub_f32_e32 v45, v42, v44
	;; [unrolled: 1-line block ×4, first 2 shown]
	v_add_f32_e32 v38, v42, v38
	v_add_f32_e32 v37, v37, v41
	;; [unrolled: 1-line block ×3, first 2 shown]
	v_sub_f32_e32 v42, v41, v43
	v_sub_f32_e32 v38, v38, v42
	v_add_f32_e32 v37, v37, v38
	v_add_f32_e32 v37, v41, v37
	v_cmp_neq_f32_e64 s[4:5], s33, v40
	v_cndmask_b32_e64 v37, v39, v37, s[4:5]
	s_mov_b32 s4, 0x33800000
	v_cmp_lt_f32_e64 s[4:5], |v40|, s4
	v_cndmask_b32_e64 v37, v37, v40, s[4:5]
	v_add_f32_e32 v37, v36, v37
.LBB166_77:
	s_or_b64 exec, exec, s[62:63]
	v_mov_b32_e32 v36, v37
.LBB166_78:
	s_or_b64 exec, exec, s[66:67]
	s_nop 0
	v_mov_b32_dpp v37, v36 row_bcast:31 row_mask:0xf bank_mask:0xf
	v_cmp_lt_u32_e64 s[4:5], 31, v35
	s_and_saveexec_b64 s[66:67], s[4:5]
	s_cbranch_execz .LBB166_82
; %bb.79:
	v_max_f32_e32 v39, v36, v36
	v_max_f32_e32 v40, v37, v37
	v_min_f32_e32 v38, v40, v39
	v_cmp_u_f32_e64 s[4:5], v37, v37
	v_max_f32_e32 v39, v40, v39
	v_cndmask_b32_e64 v38, v38, v37, s[4:5]
	v_cmp_u_f32_e64 s[62:63], v36, v36
	v_cndmask_b32_e64 v39, v39, v37, s[4:5]
	v_cndmask_b32_e64 v38, v38, v36, s[62:63]
	;; [unrolled: 1-line block ×3, first 2 shown]
	s_movk_i32 s33, 0x1f8
	v_cmp_neq_f32_e64 s[4:5], v38, v36
	v_cmp_class_f32_e64 s[62:63], v38, s33
	s_or_b64 s[4:5], s[4:5], s[62:63]
	s_and_saveexec_b64 s[62:63], s[4:5]
	s_cbranch_execz .LBB166_81
; %bb.80:
	v_sub_f32_e32 v37, v38, v36
	s_mov_b32 s4, 0x3fb8aa3b
	v_mul_f32_e32 v38, 0x3fb8aa3b, v37
	v_fma_f32 v39, v37, s4, -v38
	v_rndne_f32_e32 v40, v38
	v_fmac_f32_e32 v39, 0x32a5705f, v37
	v_sub_f32_e32 v38, v38, v40
	v_add_f32_e32 v38, v38, v39
	v_exp_f32_e32 v38, v38
	v_cvt_i32_f32_e32 v39, v40
	s_mov_b32 s4, 0xc2ce8ed0
	v_cmp_ngt_f32_e64 s[4:5], s4, v37
	s_mov_b32 s33, 0x7f800000
	v_ldexp_f32 v38, v38, v39
	v_cndmask_b32_e64 v38, 0, v38, s[4:5]
	s_mov_b32 s4, 0x42b17218
	v_mov_b32_e32 v39, 0x7f800000
	v_cmp_nlt_f32_e64 s[4:5], s4, v37
	v_cndmask_b32_e64 v40, v39, v38, s[4:5]
	v_add_f32_e32 v41, 1.0, v40
	v_cvt_f64_f32_e32 v[37:38], v41
	v_add_f32_e32 v42, -1.0, v41
	v_sub_f32_e32 v43, v42, v41
	v_sub_f32_e32 v42, v40, v42
	v_frexp_exp_i32_f64_e32 v37, v[37:38]
	v_add_f32_e32 v38, 1.0, v43
	v_add_f32_e32 v38, v42, v38
	v_frexp_mant_f32_e32 v42, v41
	s_mov_b32 s4, 0x3f2aaaab
	v_cmp_gt_f32_e64 s[4:5], s4, v42
	v_subbrev_co_u32_e64 v37, s[4:5], 0, v37, s[4:5]
	v_sub_u32_e32 v42, 0, v37
	v_ldexp_f32 v41, v41, v42
	v_ldexp_f32 v38, v38, v42
	v_add_f32_e32 v42, -1.0, v41
	v_add_f32_e32 v45, 1.0, v41
	v_add_f32_e32 v43, 1.0, v42
	v_add_f32_e32 v46, -1.0, v45
	v_sub_f32_e32 v43, v41, v43
	v_sub_f32_e32 v41, v41, v46
	v_add_f32_e32 v43, v38, v43
	v_add_f32_e32 v38, v38, v41
	;; [unrolled: 1-line block ×3, first 2 shown]
	v_rcp_f32_e32 v46, v41
	v_add_f32_e32 v44, v42, v43
	v_sub_f32_e32 v42, v42, v44
	v_add_f32_e32 v42, v43, v42
	v_sub_f32_e32 v43, v45, v41
	v_add_f32_e32 v38, v38, v43
	v_mul_f32_e32 v43, v44, v46
	v_mul_f32_e32 v45, v41, v43
	v_fma_f32 v47, v43, v41, -v45
	v_fmac_f32_e32 v47, v43, v38
	v_add_f32_e32 v48, v45, v47
	v_sub_f32_e32 v49, v44, v48
	v_sub_f32_e32 v44, v44, v49
	;; [unrolled: 1-line block ×4, first 2 shown]
	v_add_f32_e32 v42, v42, v44
	v_sub_f32_e32 v44, v45, v47
	v_add_f32_e32 v42, v44, v42
	v_add_f32_e32 v44, v49, v42
	v_mul_f32_e32 v45, v46, v44
	v_mul_f32_e32 v47, v41, v45
	v_fma_f32 v41, v45, v41, -v47
	v_fmac_f32_e32 v41, v45, v38
	v_sub_f32_e32 v38, v49, v44
	v_add_f32_e32 v38, v42, v38
	v_add_f32_e32 v42, v47, v41
	v_sub_f32_e32 v48, v44, v42
	v_sub_f32_e32 v44, v44, v48
	v_sub_f32_e32 v47, v42, v47
	v_sub_f32_e32 v42, v44, v42
	v_add_f32_e32 v38, v38, v42
	v_sub_f32_e32 v41, v47, v41
	v_add_f32_e32 v38, v41, v38
	v_add_f32_e32 v41, v43, v45
	;; [unrolled: 1-line block ×3, first 2 shown]
	v_sub_f32_e32 v42, v41, v43
	v_mul_f32_e32 v38, v46, v38
	v_sub_f32_e32 v42, v45, v42
	v_add_f32_e32 v38, v42, v38
	v_cvt_f32_i32_e32 v37, v37
	v_add_f32_e32 v42, v41, v38
	v_mul_f32_e32 v43, v42, v42
	v_mov_b32_e32 v44, 0x3ecc95a3
	v_fmac_f32_e32 v44, 0x3e9b6dac, v43
	v_mov_b32_e32 v45, 0x3f2aaada
	v_fmac_f32_e32 v45, v43, v44
	s_mov_b32 s4, 0x3f317218
	v_mul_f32_e32 v44, 0x3f317218, v37
	v_fma_f32 v46, v37, s4, -v44
	v_fmac_f32_e32 v46, 0xb102e308, v37
	v_sub_f32_e32 v37, v42, v41
	v_sub_f32_e32 v37, v38, v37
	v_add_f32_e32 v38, v44, v46
	v_sub_f32_e32 v41, v38, v44
	v_ldexp_f32 v44, v42, 1
	v_mul_f32_e32 v42, v42, v43
	v_mul_f32_e32 v42, v42, v45
	v_add_f32_e32 v43, v44, v42
	v_sub_f32_e32 v44, v43, v44
	v_ldexp_f32 v37, v37, 1
	v_sub_f32_e32 v42, v42, v44
	v_add_f32_e32 v37, v37, v42
	v_add_f32_e32 v42, v43, v37
	v_sub_f32_e32 v43, v42, v43
	v_sub_f32_e32 v37, v37, v43
	v_add_f32_e32 v43, v38, v42
	v_sub_f32_e32 v44, v43, v38
	v_sub_f32_e32 v45, v43, v44
	;; [unrolled: 1-line block ×5, first 2 shown]
	v_add_f32_e32 v38, v42, v38
	v_add_f32_e32 v42, v41, v37
	v_sub_f32_e32 v44, v42, v41
	v_sub_f32_e32 v45, v42, v44
	;; [unrolled: 1-line block ×4, first 2 shown]
	v_add_f32_e32 v38, v42, v38
	v_add_f32_e32 v37, v37, v41
	;; [unrolled: 1-line block ×3, first 2 shown]
	v_sub_f32_e32 v42, v41, v43
	v_sub_f32_e32 v38, v38, v42
	v_add_f32_e32 v37, v37, v38
	v_add_f32_e32 v37, v41, v37
	v_cmp_neq_f32_e64 s[4:5], s33, v40
	v_cndmask_b32_e64 v37, v39, v37, s[4:5]
	s_mov_b32 s4, 0x33800000
	v_cmp_lt_f32_e64 s[4:5], |v40|, s4
	v_cndmask_b32_e64 v37, v37, v40, s[4:5]
	v_add_f32_e32 v37, v36, v37
.LBB166_81:
	s_or_b64 exec, exec, s[62:63]
	v_mov_b32_e32 v36, v37
.LBB166_82:
	s_or_b64 exec, exec, s[66:67]
	v_or_b32_e32 v38, 63, v0
	v_lshrrev_b32_e32 v37, 6, v0
	v_cmp_eq_u32_e64 s[4:5], v0, v38
	s_and_saveexec_b64 s[62:63], s[4:5]
; %bb.83:
	v_lshlrev_b32_e32 v38, 2, v37
	ds_write_b32 v38, v36
; %bb.84:
	s_or_b64 exec, exec, s[62:63]
	v_cmp_gt_u32_e64 s[4:5], 4, v0
	s_waitcnt lgkmcnt(0)
	s_barrier
	s_and_saveexec_b64 s[66:67], s[4:5]
	s_cbranch_execz .LBB166_94
; %bb.85:
	ds_read_b32 v39, v16
	v_and_b32_e32 v38, 3, v35
	v_cmp_ne_u32_e64 s[4:5], 0, v38
	s_waitcnt lgkmcnt(0)
	v_mov_b32_dpp v40, v39 row_shr:1 row_mask:0xf bank_mask:0xf
	s_and_saveexec_b64 s[68:69], s[4:5]
	s_cbranch_execz .LBB166_89
; %bb.86:
	v_max_f32_e32 v42, v39, v39
	v_max_f32_e32 v43, v40, v40
	v_min_f32_e32 v41, v43, v42
	v_cmp_u_f32_e64 s[4:5], v40, v40
	v_max_f32_e32 v42, v43, v42
	v_cndmask_b32_e64 v41, v41, v40, s[4:5]
	v_cmp_u_f32_e64 s[62:63], v39, v39
	v_cndmask_b32_e64 v42, v42, v40, s[4:5]
	v_cndmask_b32_e64 v41, v41, v39, s[62:63]
	;; [unrolled: 1-line block ×3, first 2 shown]
	s_movk_i32 s33, 0x1f8
	v_cmp_neq_f32_e64 s[4:5], v41, v39
	v_cmp_class_f32_e64 s[62:63], v41, s33
	s_or_b64 s[4:5], s[4:5], s[62:63]
	s_and_saveexec_b64 s[62:63], s[4:5]
	s_cbranch_execz .LBB166_88
; %bb.87:
	v_sub_f32_e32 v40, v41, v39
	s_mov_b32 s4, 0x3fb8aa3b
	v_mul_f32_e32 v41, 0x3fb8aa3b, v40
	v_fma_f32 v42, v40, s4, -v41
	v_rndne_f32_e32 v43, v41
	v_fmac_f32_e32 v42, 0x32a5705f, v40
	v_sub_f32_e32 v41, v41, v43
	v_add_f32_e32 v41, v41, v42
	v_exp_f32_e32 v41, v41
	v_cvt_i32_f32_e32 v42, v43
	s_mov_b32 s4, 0xc2ce8ed0
	v_cmp_ngt_f32_e64 s[4:5], s4, v40
	s_mov_b32 s33, 0x7f800000
	v_ldexp_f32 v41, v41, v42
	v_cndmask_b32_e64 v41, 0, v41, s[4:5]
	s_mov_b32 s4, 0x42b17218
	v_mov_b32_e32 v42, 0x7f800000
	v_cmp_nlt_f32_e64 s[4:5], s4, v40
	v_cndmask_b32_e64 v43, v42, v41, s[4:5]
	v_add_f32_e32 v44, 1.0, v43
	v_cvt_f64_f32_e32 v[40:41], v44
	v_add_f32_e32 v45, -1.0, v44
	v_sub_f32_e32 v46, v45, v44
	v_sub_f32_e32 v45, v43, v45
	v_frexp_exp_i32_f64_e32 v40, v[40:41]
	v_add_f32_e32 v41, 1.0, v46
	v_add_f32_e32 v41, v45, v41
	v_frexp_mant_f32_e32 v45, v44
	s_mov_b32 s4, 0x3f2aaaab
	v_cmp_gt_f32_e64 s[4:5], s4, v45
	v_subbrev_co_u32_e64 v40, s[4:5], 0, v40, s[4:5]
	v_sub_u32_e32 v45, 0, v40
	v_ldexp_f32 v44, v44, v45
	v_ldexp_f32 v41, v41, v45
	v_add_f32_e32 v45, -1.0, v44
	v_add_f32_e32 v48, 1.0, v44
	v_add_f32_e32 v46, 1.0, v45
	v_add_f32_e32 v49, -1.0, v48
	v_sub_f32_e32 v46, v44, v46
	v_sub_f32_e32 v44, v44, v49
	v_add_f32_e32 v46, v41, v46
	v_add_f32_e32 v41, v41, v44
	v_add_f32_e32 v44, v48, v41
	v_rcp_f32_e32 v49, v44
	v_add_f32_e32 v47, v45, v46
	v_sub_f32_e32 v45, v45, v47
	v_add_f32_e32 v45, v46, v45
	v_sub_f32_e32 v46, v48, v44
	v_add_f32_e32 v41, v41, v46
	v_mul_f32_e32 v46, v47, v49
	v_mul_f32_e32 v48, v44, v46
	v_fma_f32 v50, v46, v44, -v48
	v_fmac_f32_e32 v50, v46, v41
	v_add_f32_e32 v51, v48, v50
	v_sub_f32_e32 v52, v47, v51
	v_sub_f32_e32 v47, v47, v52
	;; [unrolled: 1-line block ×4, first 2 shown]
	v_add_f32_e32 v45, v45, v47
	v_sub_f32_e32 v47, v48, v50
	v_add_f32_e32 v45, v47, v45
	v_add_f32_e32 v47, v52, v45
	v_mul_f32_e32 v48, v49, v47
	v_mul_f32_e32 v50, v44, v48
	v_fma_f32 v44, v48, v44, -v50
	v_fmac_f32_e32 v44, v48, v41
	v_sub_f32_e32 v41, v52, v47
	v_add_f32_e32 v41, v45, v41
	v_add_f32_e32 v45, v50, v44
	v_sub_f32_e32 v51, v47, v45
	v_sub_f32_e32 v47, v47, v51
	;; [unrolled: 1-line block ×4, first 2 shown]
	v_add_f32_e32 v41, v41, v45
	v_sub_f32_e32 v44, v50, v44
	v_add_f32_e32 v41, v44, v41
	v_add_f32_e32 v44, v46, v48
	;; [unrolled: 1-line block ×3, first 2 shown]
	v_sub_f32_e32 v45, v44, v46
	v_mul_f32_e32 v41, v49, v41
	v_sub_f32_e32 v45, v48, v45
	v_add_f32_e32 v41, v45, v41
	v_cvt_f32_i32_e32 v40, v40
	v_add_f32_e32 v45, v44, v41
	v_mul_f32_e32 v46, v45, v45
	v_mov_b32_e32 v47, 0x3ecc95a3
	v_fmac_f32_e32 v47, 0x3e9b6dac, v46
	v_mov_b32_e32 v48, 0x3f2aaada
	v_fmac_f32_e32 v48, v46, v47
	s_mov_b32 s4, 0x3f317218
	v_mul_f32_e32 v47, 0x3f317218, v40
	v_fma_f32 v49, v40, s4, -v47
	v_fmac_f32_e32 v49, 0xb102e308, v40
	v_sub_f32_e32 v40, v45, v44
	v_sub_f32_e32 v40, v41, v40
	v_add_f32_e32 v41, v47, v49
	v_sub_f32_e32 v44, v41, v47
	v_ldexp_f32 v47, v45, 1
	v_mul_f32_e32 v45, v45, v46
	v_mul_f32_e32 v45, v45, v48
	v_add_f32_e32 v46, v47, v45
	v_sub_f32_e32 v47, v46, v47
	v_ldexp_f32 v40, v40, 1
	v_sub_f32_e32 v45, v45, v47
	v_add_f32_e32 v40, v40, v45
	v_add_f32_e32 v45, v46, v40
	v_sub_f32_e32 v46, v45, v46
	v_sub_f32_e32 v40, v40, v46
	v_add_f32_e32 v46, v41, v45
	v_sub_f32_e32 v47, v46, v41
	v_sub_f32_e32 v48, v46, v47
	v_sub_f32_e32 v44, v49, v44
	v_sub_f32_e32 v41, v41, v48
	v_sub_f32_e32 v45, v45, v47
	v_add_f32_e32 v41, v45, v41
	v_add_f32_e32 v45, v44, v40
	v_sub_f32_e32 v47, v45, v44
	v_sub_f32_e32 v48, v45, v47
	;; [unrolled: 1-line block ×4, first 2 shown]
	v_add_f32_e32 v41, v45, v41
	v_add_f32_e32 v40, v40, v44
	;; [unrolled: 1-line block ×3, first 2 shown]
	v_sub_f32_e32 v45, v44, v46
	v_sub_f32_e32 v41, v41, v45
	v_add_f32_e32 v40, v40, v41
	v_add_f32_e32 v40, v44, v40
	v_cmp_neq_f32_e64 s[4:5], s33, v43
	v_cndmask_b32_e64 v40, v42, v40, s[4:5]
	s_mov_b32 s4, 0x33800000
	v_cmp_lt_f32_e64 s[4:5], |v43|, s4
	v_cndmask_b32_e64 v40, v40, v43, s[4:5]
	v_add_f32_e32 v40, v39, v40
.LBB166_88:
	s_or_b64 exec, exec, s[62:63]
	v_mov_b32_e32 v39, v40
.LBB166_89:
	s_or_b64 exec, exec, s[68:69]
	s_nop 0
	v_mov_b32_dpp v40, v39 row_shr:2 row_mask:0xf bank_mask:0xf
	v_cmp_lt_u32_e64 s[4:5], 1, v38
	s_and_saveexec_b64 s[68:69], s[4:5]
	s_cbranch_execz .LBB166_93
; %bb.90:
	v_max_f32_e32 v38, v39, v39
	v_max_f32_e32 v42, v40, v40
	v_min_f32_e32 v41, v42, v38
	v_cmp_u_f32_e64 s[4:5], v40, v40
	v_max_f32_e32 v38, v42, v38
	v_cndmask_b32_e64 v41, v41, v40, s[4:5]
	v_cmp_u_f32_e64 s[62:63], v39, v39
	v_cndmask_b32_e64 v38, v38, v40, s[4:5]
	v_cndmask_b32_e64 v41, v41, v39, s[62:63]
	;; [unrolled: 1-line block ×3, first 2 shown]
	s_movk_i32 s33, 0x1f8
	v_cmp_neq_f32_e64 s[4:5], v41, v38
	v_cmp_class_f32_e64 s[62:63], v41, s33
	s_or_b64 s[4:5], s[4:5], s[62:63]
	s_and_saveexec_b64 s[62:63], s[4:5]
	s_cbranch_execz .LBB166_92
; %bb.91:
	v_sub_f32_e32 v39, v41, v38
	s_mov_b32 s4, 0x3fb8aa3b
	v_mul_f32_e32 v40, 0x3fb8aa3b, v39
	v_fma_f32 v41, v39, s4, -v40
	v_rndne_f32_e32 v42, v40
	v_fmac_f32_e32 v41, 0x32a5705f, v39
	v_sub_f32_e32 v40, v40, v42
	v_add_f32_e32 v40, v40, v41
	v_exp_f32_e32 v40, v40
	v_cvt_i32_f32_e32 v41, v42
	s_mov_b32 s4, 0xc2ce8ed0
	v_cmp_ngt_f32_e64 s[4:5], s4, v39
	s_mov_b32 s33, 0x7f800000
	v_ldexp_f32 v40, v40, v41
	v_cndmask_b32_e64 v40, 0, v40, s[4:5]
	s_mov_b32 s4, 0x42b17218
	v_mov_b32_e32 v41, 0x7f800000
	v_cmp_nlt_f32_e64 s[4:5], s4, v39
	v_cndmask_b32_e64 v42, v41, v40, s[4:5]
	v_add_f32_e32 v43, 1.0, v42
	v_cvt_f64_f32_e32 v[39:40], v43
	v_add_f32_e32 v44, -1.0, v43
	v_sub_f32_e32 v45, v44, v43
	v_sub_f32_e32 v44, v42, v44
	v_frexp_exp_i32_f64_e32 v39, v[39:40]
	v_add_f32_e32 v40, 1.0, v45
	v_add_f32_e32 v40, v44, v40
	v_frexp_mant_f32_e32 v44, v43
	s_mov_b32 s4, 0x3f2aaaab
	v_cmp_gt_f32_e64 s[4:5], s4, v44
	v_subbrev_co_u32_e64 v39, s[4:5], 0, v39, s[4:5]
	v_sub_u32_e32 v44, 0, v39
	v_ldexp_f32 v43, v43, v44
	v_ldexp_f32 v40, v40, v44
	v_add_f32_e32 v44, -1.0, v43
	v_add_f32_e32 v47, 1.0, v43
	v_add_f32_e32 v45, 1.0, v44
	v_add_f32_e32 v48, -1.0, v47
	v_sub_f32_e32 v45, v43, v45
	v_sub_f32_e32 v43, v43, v48
	v_add_f32_e32 v45, v40, v45
	v_add_f32_e32 v40, v40, v43
	;; [unrolled: 1-line block ×3, first 2 shown]
	v_rcp_f32_e32 v48, v43
	v_add_f32_e32 v46, v44, v45
	v_sub_f32_e32 v44, v44, v46
	v_add_f32_e32 v44, v45, v44
	v_sub_f32_e32 v45, v47, v43
	v_add_f32_e32 v40, v40, v45
	v_mul_f32_e32 v45, v46, v48
	v_mul_f32_e32 v47, v43, v45
	v_fma_f32 v49, v45, v43, -v47
	v_fmac_f32_e32 v49, v45, v40
	v_add_f32_e32 v50, v47, v49
	v_sub_f32_e32 v51, v46, v50
	v_sub_f32_e32 v46, v46, v51
	;; [unrolled: 1-line block ×4, first 2 shown]
	v_add_f32_e32 v44, v44, v46
	v_sub_f32_e32 v46, v47, v49
	v_add_f32_e32 v44, v46, v44
	v_add_f32_e32 v46, v51, v44
	v_mul_f32_e32 v47, v48, v46
	v_mul_f32_e32 v49, v43, v47
	v_fma_f32 v43, v47, v43, -v49
	v_fmac_f32_e32 v43, v47, v40
	v_sub_f32_e32 v40, v51, v46
	v_add_f32_e32 v40, v44, v40
	v_add_f32_e32 v44, v49, v43
	v_sub_f32_e32 v50, v46, v44
	v_sub_f32_e32 v46, v46, v50
	;; [unrolled: 1-line block ×4, first 2 shown]
	v_add_f32_e32 v40, v40, v44
	v_sub_f32_e32 v43, v49, v43
	v_add_f32_e32 v40, v43, v40
	v_add_f32_e32 v43, v45, v47
	;; [unrolled: 1-line block ×3, first 2 shown]
	v_sub_f32_e32 v44, v43, v45
	v_mul_f32_e32 v40, v48, v40
	v_sub_f32_e32 v44, v47, v44
	v_add_f32_e32 v40, v44, v40
	v_cvt_f32_i32_e32 v39, v39
	v_add_f32_e32 v44, v43, v40
	v_mul_f32_e32 v45, v44, v44
	v_mov_b32_e32 v46, 0x3ecc95a3
	v_fmac_f32_e32 v46, 0x3e9b6dac, v45
	v_mov_b32_e32 v47, 0x3f2aaada
	v_fmac_f32_e32 v47, v45, v46
	s_mov_b32 s4, 0x3f317218
	v_mul_f32_e32 v46, 0x3f317218, v39
	v_fma_f32 v48, v39, s4, -v46
	v_fmac_f32_e32 v48, 0xb102e308, v39
	v_sub_f32_e32 v39, v44, v43
	v_sub_f32_e32 v39, v40, v39
	v_add_f32_e32 v40, v46, v48
	v_sub_f32_e32 v43, v40, v46
	v_ldexp_f32 v46, v44, 1
	v_mul_f32_e32 v44, v44, v45
	v_mul_f32_e32 v44, v44, v47
	v_add_f32_e32 v45, v46, v44
	v_sub_f32_e32 v46, v45, v46
	v_ldexp_f32 v39, v39, 1
	v_sub_f32_e32 v44, v44, v46
	v_add_f32_e32 v39, v39, v44
	v_add_f32_e32 v44, v45, v39
	v_sub_f32_e32 v45, v44, v45
	v_sub_f32_e32 v39, v39, v45
	v_add_f32_e32 v45, v40, v44
	v_sub_f32_e32 v46, v45, v40
	v_sub_f32_e32 v47, v45, v46
	v_sub_f32_e32 v43, v48, v43
	v_sub_f32_e32 v40, v40, v47
	v_sub_f32_e32 v44, v44, v46
	v_add_f32_e32 v40, v44, v40
	v_add_f32_e32 v44, v43, v39
	v_sub_f32_e32 v46, v44, v43
	v_sub_f32_e32 v47, v44, v46
	;; [unrolled: 1-line block ×4, first 2 shown]
	v_add_f32_e32 v40, v44, v40
	v_add_f32_e32 v39, v39, v43
	;; [unrolled: 1-line block ×3, first 2 shown]
	v_sub_f32_e32 v44, v43, v45
	v_sub_f32_e32 v40, v40, v44
	v_add_f32_e32 v39, v39, v40
	v_add_f32_e32 v39, v43, v39
	v_cmp_neq_f32_e64 s[4:5], s33, v42
	v_cndmask_b32_e64 v39, v41, v39, s[4:5]
	s_mov_b32 s4, 0x33800000
	v_cmp_lt_f32_e64 s[4:5], |v42|, s4
	v_cndmask_b32_e64 v39, v39, v42, s[4:5]
	v_add_f32_e32 v40, v38, v39
.LBB166_92:
	s_or_b64 exec, exec, s[62:63]
	v_mov_b32_e32 v39, v40
.LBB166_93:
	s_or_b64 exec, exec, s[68:69]
	ds_write_b32 v16, v39
.LBB166_94:
	s_or_b64 exec, exec, s[66:67]
	v_cmp_lt_u32_e64 s[4:5], 63, v0
	s_waitcnt lgkmcnt(0)
	s_barrier
                                        ; implicit-def: $vgpr38
	s_and_saveexec_b64 s[66:67], s[4:5]
	s_cbranch_execz .LBB166_98
; %bb.95:
	v_lshl_add_u32 v37, v37, 2, -4
	ds_read_b32 v38, v37
	v_max_f32_e32 v37, v36, v36
	v_cmp_u_f32_e64 s[62:63], v36, v36
	s_movk_i32 s33, 0x1f8
	s_waitcnt lgkmcnt(0)
	v_max_f32_e32 v39, v38, v38
	v_min_f32_e32 v40, v39, v37
	v_max_f32_e32 v37, v39, v37
	v_cmp_u_f32_e64 s[4:5], v38, v38
	v_cndmask_b32_e64 v39, v40, v38, s[4:5]
	v_cndmask_b32_e64 v37, v37, v38, s[4:5]
	;; [unrolled: 1-line block ×4, first 2 shown]
	v_cmp_neq_f32_e64 s[4:5], v39, v37
	v_cmp_class_f32_e64 s[62:63], v39, s33
	s_or_b64 s[4:5], s[4:5], s[62:63]
	v_mov_b32_e32 v36, v38
	s_and_saveexec_b64 s[62:63], s[4:5]
	s_cbranch_execz .LBB166_97
; %bb.96:
	v_sub_f32_e32 v36, v39, v37
	s_mov_b32 s4, 0x3fb8aa3b
	v_mul_f32_e32 v39, 0x3fb8aa3b, v36
	v_fma_f32 v40, v36, s4, -v39
	v_rndne_f32_e32 v41, v39
	v_fmac_f32_e32 v40, 0x32a5705f, v36
	v_sub_f32_e32 v39, v39, v41
	v_add_f32_e32 v39, v39, v40
	v_exp_f32_e32 v39, v39
	v_cvt_i32_f32_e32 v40, v41
	s_mov_b32 s4, 0xc2ce8ed0
	v_cmp_ngt_f32_e64 s[4:5], s4, v36
	v_mov_b32_e32 v41, 0x7f800000
	v_ldexp_f32 v39, v39, v40
	v_cndmask_b32_e64 v39, 0, v39, s[4:5]
	s_mov_b32 s4, 0x42b17218
	v_cmp_nlt_f32_e64 s[4:5], s4, v36
	v_cndmask_b32_e64 v36, v41, v39, s[4:5]
	v_add_f32_e32 v42, 1.0, v36
	v_cvt_f64_f32_e32 v[39:40], v42
	v_add_f32_e32 v43, -1.0, v42
	v_sub_f32_e32 v44, v43, v42
	v_sub_f32_e32 v43, v36, v43
	v_frexp_exp_i32_f64_e32 v39, v[39:40]
	v_add_f32_e32 v40, 1.0, v44
	v_add_f32_e32 v40, v43, v40
	v_frexp_mant_f32_e32 v43, v42
	s_mov_b32 s4, 0x3f2aaaab
	v_cmp_gt_f32_e64 s[4:5], s4, v43
	s_mov_b32 s33, 0x7f800000
	v_subbrev_co_u32_e64 v39, s[4:5], 0, v39, s[4:5]
	v_sub_u32_e32 v43, 0, v39
	v_ldexp_f32 v42, v42, v43
	v_ldexp_f32 v40, v40, v43
	v_add_f32_e32 v43, -1.0, v42
	v_add_f32_e32 v46, 1.0, v42
	v_add_f32_e32 v44, 1.0, v43
	v_add_f32_e32 v47, -1.0, v46
	v_sub_f32_e32 v44, v42, v44
	v_sub_f32_e32 v42, v42, v47
	v_add_f32_e32 v44, v40, v44
	v_add_f32_e32 v40, v40, v42
	;; [unrolled: 1-line block ×3, first 2 shown]
	v_rcp_f32_e32 v47, v42
	v_add_f32_e32 v45, v43, v44
	v_sub_f32_e32 v43, v43, v45
	v_add_f32_e32 v43, v44, v43
	v_sub_f32_e32 v44, v46, v42
	v_add_f32_e32 v40, v40, v44
	v_mul_f32_e32 v44, v45, v47
	v_mul_f32_e32 v46, v42, v44
	v_fma_f32 v48, v44, v42, -v46
	v_fmac_f32_e32 v48, v44, v40
	v_add_f32_e32 v49, v46, v48
	v_sub_f32_e32 v50, v45, v49
	v_sub_f32_e32 v45, v45, v50
	;; [unrolled: 1-line block ×4, first 2 shown]
	v_add_f32_e32 v43, v43, v45
	v_sub_f32_e32 v45, v46, v48
	v_add_f32_e32 v43, v45, v43
	v_add_f32_e32 v45, v50, v43
	v_mul_f32_e32 v46, v47, v45
	v_mul_f32_e32 v48, v42, v46
	v_fma_f32 v42, v46, v42, -v48
	v_fmac_f32_e32 v42, v46, v40
	v_sub_f32_e32 v40, v50, v45
	v_add_f32_e32 v40, v43, v40
	v_add_f32_e32 v43, v48, v42
	v_sub_f32_e32 v49, v45, v43
	v_sub_f32_e32 v45, v45, v49
	;; [unrolled: 1-line block ×4, first 2 shown]
	v_add_f32_e32 v40, v40, v43
	v_sub_f32_e32 v42, v48, v42
	v_add_f32_e32 v40, v42, v40
	v_add_f32_e32 v42, v44, v46
	;; [unrolled: 1-line block ×3, first 2 shown]
	v_sub_f32_e32 v43, v42, v44
	v_mul_f32_e32 v40, v47, v40
	v_sub_f32_e32 v43, v46, v43
	v_add_f32_e32 v40, v43, v40
	v_cvt_f32_i32_e32 v39, v39
	v_add_f32_e32 v43, v42, v40
	v_mul_f32_e32 v44, v43, v43
	v_mov_b32_e32 v45, 0x3ecc95a3
	v_fmac_f32_e32 v45, 0x3e9b6dac, v44
	v_mov_b32_e32 v46, 0x3f2aaada
	v_fmac_f32_e32 v46, v44, v45
	s_mov_b32 s4, 0x3f317218
	v_mul_f32_e32 v45, 0x3f317218, v39
	v_fma_f32 v47, v39, s4, -v45
	v_fmac_f32_e32 v47, 0xb102e308, v39
	v_sub_f32_e32 v39, v43, v42
	v_sub_f32_e32 v39, v40, v39
	v_add_f32_e32 v40, v45, v47
	v_sub_f32_e32 v42, v40, v45
	v_ldexp_f32 v45, v43, 1
	v_mul_f32_e32 v43, v43, v44
	v_mul_f32_e32 v43, v43, v46
	v_add_f32_e32 v44, v45, v43
	v_sub_f32_e32 v45, v44, v45
	v_ldexp_f32 v39, v39, 1
	v_sub_f32_e32 v43, v43, v45
	v_add_f32_e32 v39, v39, v43
	v_add_f32_e32 v43, v44, v39
	v_sub_f32_e32 v44, v43, v44
	v_sub_f32_e32 v39, v39, v44
	v_add_f32_e32 v44, v40, v43
	v_sub_f32_e32 v45, v44, v40
	v_sub_f32_e32 v46, v44, v45
	;; [unrolled: 1-line block ×5, first 2 shown]
	v_add_f32_e32 v40, v43, v40
	v_add_f32_e32 v43, v42, v39
	v_sub_f32_e32 v45, v43, v42
	v_sub_f32_e32 v46, v43, v45
	;; [unrolled: 1-line block ×4, first 2 shown]
	v_add_f32_e32 v40, v43, v40
	v_add_f32_e32 v39, v39, v42
	v_add_f32_e32 v42, v44, v40
	v_sub_f32_e32 v43, v42, v44
	v_sub_f32_e32 v40, v40, v43
	v_add_f32_e32 v39, v39, v40
	v_add_f32_e32 v39, v42, v39
	v_cmp_neq_f32_e64 s[4:5], s33, v36
	v_cndmask_b32_e64 v39, v41, v39, s[4:5]
	s_mov_b32 s4, 0x33800000
	v_cmp_lt_f32_e64 s[4:5], |v36|, s4
	v_cndmask_b32_e64 v36, v39, v36, s[4:5]
	v_add_f32_e32 v36, v37, v36
.LBB166_97:
	s_or_b64 exec, exec, s[62:63]
.LBB166_98:
	s_or_b64 exec, exec, s[66:67]
	v_add_u32_e32 v37, -1, v35
	v_and_b32_e32 v39, 64, v35
	v_cmp_lt_i32_e64 s[4:5], v37, v39
	v_cndmask_b32_e64 v37, v37, v35, s[4:5]
	v_lshlrev_b32_e32 v37, 2, v37
	ds_bpermute_b32 v36, v37, v36
	v_cmp_ne_u32_e64 s[4:5], 0, v0
	s_and_saveexec_b64 s[62:63], s[4:5]
	s_cbranch_execz .LBB166_102
; %bb.99:
	v_cmp_eq_u32_e64 s[4:5], 0, v35
	s_waitcnt lgkmcnt(0)
	v_cndmask_b32_e64 v35, v36, v38, s[4:5]
	v_max_f32_e32 v0, v35, v35
	v_min_f32_e32 v31, v0, v32
	v_cmp_u_f32_e64 s[4:5], v35, v35
	v_max_f32_e32 v0, v0, v32
	v_cndmask_b32_e64 v31, v31, v35, s[4:5]
	v_cndmask_b32_e64 v0, v0, v35, s[4:5]
	v_cndmask_b32_e64 v31, v31, v1, s[58:59]
	v_cndmask_b32_e64 v0, v0, v1, s[58:59]
	s_movk_i32 s33, 0x1f8
	v_cmp_neq_f32_e64 s[4:5], v31, v0
	v_cmp_class_f32_e64 s[58:59], v31, s33
	s_or_b64 s[4:5], s[4:5], s[58:59]
	s_and_saveexec_b64 s[58:59], s[4:5]
	s_cbranch_execz .LBB166_101
; %bb.100:
	v_sub_f32_e32 v1, v31, v0
	s_mov_b32 s4, 0x3fb8aa3b
	v_mul_f32_e32 v31, 0x3fb8aa3b, v1
	v_fma_f32 v32, v1, s4, -v31
	v_rndne_f32_e32 v33, v31
	v_fmac_f32_e32 v32, 0x32a5705f, v1
	v_sub_f32_e32 v31, v31, v33
	v_add_f32_e32 v31, v31, v32
	v_exp_f32_e32 v31, v31
	v_cvt_i32_f32_e32 v32, v33
	s_mov_b32 s4, 0xc2ce8ed0
	v_cmp_ngt_f32_e64 s[4:5], s4, v1
	v_mov_b32_e32 v33, 0x7f800000
	v_ldexp_f32 v31, v31, v32
	v_cndmask_b32_e64 v31, 0, v31, s[4:5]
	s_mov_b32 s4, 0x42b17218
	v_cmp_nlt_f32_e64 s[4:5], s4, v1
	v_cndmask_b32_e64 v1, v33, v31, s[4:5]
	v_add_f32_e32 v35, 1.0, v1
	v_cvt_f64_f32_e32 v[31:32], v35
	v_add_f32_e32 v36, -1.0, v35
	v_sub_f32_e32 v37, v36, v35
	v_sub_f32_e32 v36, v1, v36
	v_frexp_exp_i32_f64_e32 v31, v[31:32]
	v_add_f32_e32 v32, 1.0, v37
	v_add_f32_e32 v32, v36, v32
	v_frexp_mant_f32_e32 v36, v35
	s_mov_b32 s4, 0x3f2aaaab
	v_cmp_gt_f32_e64 s[4:5], s4, v36
	s_mov_b32 s33, 0x7f800000
	v_subbrev_co_u32_e64 v31, s[4:5], 0, v31, s[4:5]
	v_sub_u32_e32 v36, 0, v31
	v_ldexp_f32 v35, v35, v36
	v_ldexp_f32 v32, v32, v36
	v_add_f32_e32 v36, -1.0, v35
	v_add_f32_e32 v39, 1.0, v35
	v_add_f32_e32 v37, 1.0, v36
	v_add_f32_e32 v40, -1.0, v39
	v_sub_f32_e32 v37, v35, v37
	v_sub_f32_e32 v35, v35, v40
	v_add_f32_e32 v37, v32, v37
	v_add_f32_e32 v32, v32, v35
	v_add_f32_e32 v35, v39, v32
	v_rcp_f32_e32 v40, v35
	v_add_f32_e32 v38, v36, v37
	v_sub_f32_e32 v36, v36, v38
	v_add_f32_e32 v36, v37, v36
	v_sub_f32_e32 v37, v39, v35
	v_add_f32_e32 v32, v32, v37
	v_mul_f32_e32 v37, v38, v40
	v_mul_f32_e32 v39, v35, v37
	v_fma_f32 v41, v37, v35, -v39
	v_fmac_f32_e32 v41, v37, v32
	v_add_f32_e32 v42, v39, v41
	v_sub_f32_e32 v43, v38, v42
	v_sub_f32_e32 v38, v38, v43
	;; [unrolled: 1-line block ×4, first 2 shown]
	v_add_f32_e32 v36, v36, v38
	v_sub_f32_e32 v38, v39, v41
	v_add_f32_e32 v36, v38, v36
	v_add_f32_e32 v38, v43, v36
	v_mul_f32_e32 v39, v40, v38
	v_mul_f32_e32 v41, v35, v39
	v_fma_f32 v35, v39, v35, -v41
	v_fmac_f32_e32 v35, v39, v32
	v_sub_f32_e32 v32, v43, v38
	v_add_f32_e32 v32, v36, v32
	v_add_f32_e32 v36, v41, v35
	v_sub_f32_e32 v42, v38, v36
	v_sub_f32_e32 v38, v38, v42
	;; [unrolled: 1-line block ×4, first 2 shown]
	v_add_f32_e32 v32, v32, v36
	v_sub_f32_e32 v35, v41, v35
	v_add_f32_e32 v32, v35, v32
	v_add_f32_e32 v35, v37, v39
	v_add_f32_e32 v32, v42, v32
	v_sub_f32_e32 v36, v35, v37
	v_mul_f32_e32 v32, v40, v32
	v_sub_f32_e32 v36, v39, v36
	v_add_f32_e32 v32, v36, v32
	v_cvt_f32_i32_e32 v31, v31
	v_add_f32_e32 v36, v35, v32
	v_mul_f32_e32 v37, v36, v36
	v_mov_b32_e32 v38, 0x3ecc95a3
	v_fmac_f32_e32 v38, 0x3e9b6dac, v37
	v_mov_b32_e32 v39, 0x3f2aaada
	v_fmac_f32_e32 v39, v37, v38
	s_mov_b32 s4, 0x3f317218
	v_mul_f32_e32 v38, 0x3f317218, v31
	v_fma_f32 v40, v31, s4, -v38
	v_fmac_f32_e32 v40, 0xb102e308, v31
	v_sub_f32_e32 v31, v36, v35
	v_sub_f32_e32 v31, v32, v31
	v_add_f32_e32 v32, v38, v40
	v_sub_f32_e32 v35, v32, v38
	v_ldexp_f32 v38, v36, 1
	v_mul_f32_e32 v36, v36, v37
	v_mul_f32_e32 v36, v36, v39
	v_add_f32_e32 v37, v38, v36
	v_sub_f32_e32 v38, v37, v38
	v_ldexp_f32 v31, v31, 1
	v_sub_f32_e32 v36, v36, v38
	v_add_f32_e32 v31, v31, v36
	v_add_f32_e32 v36, v37, v31
	v_sub_f32_e32 v37, v36, v37
	v_sub_f32_e32 v31, v31, v37
	v_add_f32_e32 v37, v32, v36
	v_sub_f32_e32 v38, v37, v32
	v_sub_f32_e32 v39, v37, v38
	;; [unrolled: 1-line block ×5, first 2 shown]
	v_add_f32_e32 v32, v36, v32
	v_add_f32_e32 v36, v35, v31
	v_sub_f32_e32 v38, v36, v35
	v_sub_f32_e32 v39, v36, v38
	;; [unrolled: 1-line block ×4, first 2 shown]
	v_add_f32_e32 v32, v36, v32
	v_add_f32_e32 v31, v31, v35
	;; [unrolled: 1-line block ×3, first 2 shown]
	v_sub_f32_e32 v36, v35, v37
	v_sub_f32_e32 v32, v32, v36
	v_add_f32_e32 v31, v31, v32
	v_add_f32_e32 v31, v35, v31
	v_cmp_neq_f32_e64 s[4:5], s33, v1
	v_cndmask_b32_e64 v31, v33, v31, s[4:5]
	s_mov_b32 s4, 0x33800000
	v_cmp_lt_f32_e64 s[4:5], |v1|, s4
	v_cndmask_b32_e64 v1, v31, v1, s[4:5]
	v_add_f32_e32 v35, v0, v1
.LBB166_101:
	s_or_b64 exec, exec, s[58:59]
	v_max_f32_e32 v0, v35, v35
	v_min_f32_e32 v31, v0, v23
	v_max_f32_e32 v33, v0, v23
	v_mov_b32_e32 v1, v35
	;;#ASMSTART
	;;#ASMEND
.LBB166_102:
	s_or_b64 exec, exec, s[62:63]
	v_cmp_u_f32_e64 s[4:5], v1, v1
	v_cndmask_b32_e64 v0, v31, v1, s[4:5]
	v_cndmask_b32_e64 v23, v0, v2, s[28:29]
	;; [unrolled: 1-line block ×4, first 2 shown]
	s_movk_i32 s33, 0x1f8
	v_cmp_neq_f32_e64 s[4:5], v23, v2
	v_cmp_class_f32_e64 s[28:29], v23, s33
	s_or_b64 s[4:5], s[4:5], s[28:29]
	v_mov_b32_e32 v0, v1
	s_and_saveexec_b64 s[28:29], s[4:5]
	s_cbranch_execz .LBB166_104
; %bb.103:
	v_sub_f32_e32 v0, v23, v2
	s_mov_b32 s4, 0x3fb8aa3b
	v_mul_f32_e32 v23, 0x3fb8aa3b, v0
	v_fma_f32 v31, v0, s4, -v23
	v_rndne_f32_e32 v32, v23
	v_fmac_f32_e32 v31, 0x32a5705f, v0
	v_sub_f32_e32 v23, v23, v32
	v_add_f32_e32 v23, v23, v31
	v_exp_f32_e32 v23, v23
	v_cvt_i32_f32_e32 v31, v32
	s_mov_b32 s4, 0xc2ce8ed0
	v_cmp_ngt_f32_e64 s[4:5], s4, v0
	v_mov_b32_e32 v33, 0x7f800000
	v_ldexp_f32 v23, v23, v31
	v_cndmask_b32_e64 v23, 0, v23, s[4:5]
	s_mov_b32 s4, 0x42b17218
	v_cmp_nlt_f32_e64 s[4:5], s4, v0
	v_cndmask_b32_e64 v0, v33, v23, s[4:5]
	v_add_f32_e32 v23, 1.0, v0
	v_cvt_f64_f32_e32 v[31:32], v23
	v_add_f32_e32 v35, -1.0, v23
	s_waitcnt lgkmcnt(0)
	v_sub_f32_e32 v36, v35, v23
	v_sub_f32_e32 v35, v0, v35
	v_frexp_exp_i32_f64_e32 v31, v[31:32]
	v_add_f32_e32 v32, 1.0, v36
	v_add_f32_e32 v32, v35, v32
	v_frexp_mant_f32_e32 v35, v23
	s_mov_b32 s4, 0x3f2aaaab
	v_cmp_gt_f32_e64 s[4:5], s4, v35
	s_mov_b32 s58, 0x7f800000
	v_subbrev_co_u32_e64 v31, s[4:5], 0, v31, s[4:5]
	v_sub_u32_e32 v35, 0, v31
	v_ldexp_f32 v23, v23, v35
	v_ldexp_f32 v32, v32, v35
	v_add_f32_e32 v35, -1.0, v23
	v_add_f32_e32 v38, 1.0, v23
	v_add_f32_e32 v36, 1.0, v35
	v_add_f32_e32 v39, -1.0, v38
	v_sub_f32_e32 v36, v23, v36
	v_sub_f32_e32 v23, v23, v39
	v_add_f32_e32 v23, v32, v23
	v_add_f32_e32 v36, v32, v36
	;; [unrolled: 1-line block ×3, first 2 shown]
	v_rcp_f32_e32 v39, v32
	v_add_f32_e32 v37, v35, v36
	v_sub_f32_e32 v35, v35, v37
	v_add_f32_e32 v35, v36, v35
	v_sub_f32_e32 v36, v38, v32
	v_add_f32_e32 v23, v23, v36
	v_mul_f32_e32 v36, v37, v39
	v_mul_f32_e32 v38, v32, v36
	v_fma_f32 v40, v36, v32, -v38
	v_fmac_f32_e32 v40, v36, v23
	v_add_f32_e32 v41, v38, v40
	v_sub_f32_e32 v42, v37, v41
	v_sub_f32_e32 v37, v37, v42
	;; [unrolled: 1-line block ×4, first 2 shown]
	v_add_f32_e32 v35, v35, v37
	v_sub_f32_e32 v37, v38, v40
	v_add_f32_e32 v35, v37, v35
	v_add_f32_e32 v37, v42, v35
	v_mul_f32_e32 v38, v39, v37
	v_mul_f32_e32 v40, v32, v38
	v_fma_f32 v32, v38, v32, -v40
	v_fmac_f32_e32 v32, v38, v23
	v_sub_f32_e32 v23, v42, v37
	v_add_f32_e32 v23, v35, v23
	v_add_f32_e32 v35, v40, v32
	v_sub_f32_e32 v41, v37, v35
	v_sub_f32_e32 v37, v37, v41
	v_sub_f32_e32 v40, v35, v40
	v_sub_f32_e32 v35, v37, v35
	v_add_f32_e32 v23, v23, v35
	v_sub_f32_e32 v32, v40, v32
	v_add_f32_e32 v23, v32, v23
	v_add_f32_e32 v32, v36, v38
	;; [unrolled: 1-line block ×3, first 2 shown]
	v_sub_f32_e32 v35, v32, v36
	v_mul_f32_e32 v23, v39, v23
	v_sub_f32_e32 v35, v38, v35
	v_add_f32_e32 v23, v35, v23
	v_cvt_f32_i32_e32 v31, v31
	v_add_f32_e32 v35, v32, v23
	v_mul_f32_e32 v36, v35, v35
	v_mov_b32_e32 v37, 0x3ecc95a3
	v_fmac_f32_e32 v37, 0x3e9b6dac, v36
	v_mov_b32_e32 v38, 0x3f2aaada
	v_fmac_f32_e32 v38, v36, v37
	s_mov_b32 s4, 0x3f317218
	v_mul_f32_e32 v37, 0x3f317218, v31
	v_fma_f32 v39, v31, s4, -v37
	v_fmac_f32_e32 v39, 0xb102e308, v31
	v_sub_f32_e32 v31, v35, v32
	v_sub_f32_e32 v23, v23, v31
	v_add_f32_e32 v31, v37, v39
	v_sub_f32_e32 v32, v31, v37
	v_ldexp_f32 v37, v35, 1
	v_mul_f32_e32 v35, v35, v36
	v_mul_f32_e32 v35, v35, v38
	v_add_f32_e32 v36, v37, v35
	v_sub_f32_e32 v37, v36, v37
	v_ldexp_f32 v23, v23, 1
	v_sub_f32_e32 v35, v35, v37
	v_add_f32_e32 v23, v23, v35
	v_add_f32_e32 v35, v36, v23
	v_sub_f32_e32 v36, v35, v36
	v_sub_f32_e32 v23, v23, v36
	v_add_f32_e32 v36, v31, v35
	v_sub_f32_e32 v37, v36, v31
	v_sub_f32_e32 v38, v36, v37
	;; [unrolled: 1-line block ×5, first 2 shown]
	v_add_f32_e32 v31, v35, v31
	v_add_f32_e32 v35, v32, v23
	v_sub_f32_e32 v37, v35, v32
	v_sub_f32_e32 v38, v35, v37
	;; [unrolled: 1-line block ×4, first 2 shown]
	v_add_f32_e32 v31, v35, v31
	v_add_f32_e32 v23, v23, v32
	;; [unrolled: 1-line block ×3, first 2 shown]
	v_sub_f32_e32 v35, v32, v36
	v_sub_f32_e32 v31, v31, v35
	v_add_f32_e32 v23, v23, v31
	v_add_f32_e32 v23, v32, v23
	v_cmp_neq_f32_e64 s[4:5], s58, v0
	v_cndmask_b32_e64 v23, v33, v23, s[4:5]
	s_mov_b32 s4, 0x33800000
	v_cmp_lt_f32_e64 s[4:5], |v0|, s4
	v_cndmask_b32_e64 v0, v23, v0, s[4:5]
	v_add_f32_e32 v0, v2, v0
.LBB166_104:
	s_or_b64 exec, exec, s[28:29]
	v_max_f32_e32 v2, v0, v0
	v_min_f32_e32 v23, v2, v17
	v_cmp_u_f32_e64 s[4:5], v0, v0
	v_max_f32_e32 v2, v2, v17
	v_cndmask_b32_e64 v23, v23, v0, s[4:5]
	v_cndmask_b32_e64 v2, v2, v0, s[4:5]
	;; [unrolled: 1-line block ×4, first 2 shown]
	v_cmp_neq_f32_e64 s[4:5], v23, v13
	v_cmp_class_f32_e64 s[28:29], v23, s33
	s_or_b64 s[4:5], s[4:5], s[28:29]
	v_mov_b32_e32 v2, v0
	s_and_saveexec_b64 s[28:29], s[4:5]
	s_cbranch_execz .LBB166_106
; %bb.105:
	v_sub_f32_e32 v2, v23, v13
	s_mov_b32 s4, 0x3fb8aa3b
	v_mul_f32_e32 v17, 0x3fb8aa3b, v2
	v_fma_f32 v23, v2, s4, -v17
	v_rndne_f32_e32 v31, v17
	v_fmac_f32_e32 v23, 0x32a5705f, v2
	v_sub_f32_e32 v17, v17, v31
	v_add_f32_e32 v17, v17, v23
	v_exp_f32_e32 v17, v17
	v_cvt_i32_f32_e32 v23, v31
	s_mov_b32 s4, 0xc2ce8ed0
	v_cmp_ngt_f32_e64 s[4:5], s4, v2
	s_mov_b32 s30, 0x7f800000
	v_ldexp_f32 v17, v17, v23
	v_cndmask_b32_e64 v17, 0, v17, s[4:5]
	s_mov_b32 s4, 0x42b17218
	v_mov_b32_e32 v23, 0x7f800000
	v_cmp_nlt_f32_e64 s[4:5], s4, v2
	v_cndmask_b32_e64 v2, v23, v17, s[4:5]
	v_add_f32_e32 v17, 1.0, v2
	v_cvt_f64_f32_e32 v[31:32], v17
	v_add_f32_e32 v33, -1.0, v17
	v_sub_f32_e32 v35, v33, v17
	v_sub_f32_e32 v33, v2, v33
	v_frexp_exp_i32_f64_e32 v31, v[31:32]
	v_add_f32_e32 v32, 1.0, v35
	v_add_f32_e32 v32, v33, v32
	v_frexp_mant_f32_e32 v33, v17
	s_mov_b32 s4, 0x3f2aaaab
	v_cmp_gt_f32_e64 s[4:5], s4, v33
	v_subbrev_co_u32_e64 v31, s[4:5], 0, v31, s[4:5]
	v_sub_u32_e32 v33, 0, v31
	v_ldexp_f32 v17, v17, v33
	v_ldexp_f32 v32, v32, v33
	v_add_f32_e32 v33, -1.0, v17
	v_add_f32_e32 v37, 1.0, v17
	v_add_f32_e32 v35, 1.0, v33
	v_add_f32_e32 v38, -1.0, v37
	v_sub_f32_e32 v35, v17, v35
	v_sub_f32_e32 v17, v17, v38
	v_add_f32_e32 v17, v32, v17
	v_add_f32_e32 v35, v32, v35
	;; [unrolled: 1-line block ×3, first 2 shown]
	v_rcp_f32_e32 v38, v32
	s_waitcnt lgkmcnt(0)
	v_add_f32_e32 v36, v33, v35
	v_sub_f32_e32 v33, v33, v36
	v_add_f32_e32 v33, v35, v33
	v_sub_f32_e32 v35, v37, v32
	v_add_f32_e32 v17, v17, v35
	v_mul_f32_e32 v35, v36, v38
	v_mul_f32_e32 v37, v32, v35
	v_fma_f32 v39, v35, v32, -v37
	v_fmac_f32_e32 v39, v35, v17
	v_add_f32_e32 v40, v37, v39
	v_sub_f32_e32 v41, v36, v40
	v_sub_f32_e32 v36, v36, v41
	;; [unrolled: 1-line block ×4, first 2 shown]
	v_add_f32_e32 v33, v33, v36
	v_sub_f32_e32 v36, v37, v39
	v_add_f32_e32 v33, v36, v33
	v_add_f32_e32 v36, v41, v33
	v_mul_f32_e32 v37, v38, v36
	v_mul_f32_e32 v39, v32, v37
	v_fma_f32 v32, v37, v32, -v39
	v_fmac_f32_e32 v32, v37, v17
	v_sub_f32_e32 v17, v41, v36
	v_add_f32_e32 v17, v33, v17
	v_add_f32_e32 v33, v39, v32
	v_sub_f32_e32 v40, v36, v33
	v_sub_f32_e32 v36, v36, v40
	;; [unrolled: 1-line block ×4, first 2 shown]
	v_add_f32_e32 v17, v17, v33
	v_sub_f32_e32 v32, v39, v32
	v_add_f32_e32 v17, v32, v17
	v_add_f32_e32 v32, v35, v37
	;; [unrolled: 1-line block ×3, first 2 shown]
	v_sub_f32_e32 v33, v32, v35
	v_mul_f32_e32 v17, v38, v17
	v_sub_f32_e32 v33, v37, v33
	v_add_f32_e32 v17, v33, v17
	v_cvt_f32_i32_e32 v31, v31
	v_add_f32_e32 v33, v32, v17
	v_mul_f32_e32 v35, v33, v33
	v_mov_b32_e32 v36, 0x3ecc95a3
	v_fmac_f32_e32 v36, 0x3e9b6dac, v35
	v_mov_b32_e32 v37, 0x3f2aaada
	v_fmac_f32_e32 v37, v35, v36
	s_mov_b32 s4, 0x3f317218
	v_mul_f32_e32 v36, 0x3f317218, v31
	v_fma_f32 v38, v31, s4, -v36
	v_fmac_f32_e32 v38, 0xb102e308, v31
	v_sub_f32_e32 v31, v33, v32
	v_sub_f32_e32 v17, v17, v31
	v_add_f32_e32 v31, v36, v38
	v_sub_f32_e32 v32, v31, v36
	v_ldexp_f32 v36, v33, 1
	v_mul_f32_e32 v33, v33, v35
	v_mul_f32_e32 v33, v33, v37
	v_add_f32_e32 v35, v36, v33
	v_sub_f32_e32 v36, v35, v36
	v_ldexp_f32 v17, v17, 1
	v_sub_f32_e32 v33, v33, v36
	v_add_f32_e32 v17, v17, v33
	v_add_f32_e32 v33, v35, v17
	v_sub_f32_e32 v35, v33, v35
	v_sub_f32_e32 v17, v17, v35
	v_add_f32_e32 v35, v31, v33
	v_sub_f32_e32 v36, v35, v31
	v_sub_f32_e32 v37, v35, v36
	;; [unrolled: 1-line block ×5, first 2 shown]
	v_add_f32_e32 v31, v33, v31
	v_add_f32_e32 v33, v32, v17
	v_sub_f32_e32 v36, v33, v32
	v_sub_f32_e32 v37, v33, v36
	;; [unrolled: 1-line block ×4, first 2 shown]
	v_add_f32_e32 v31, v33, v31
	v_add_f32_e32 v17, v17, v32
	v_add_f32_e32 v32, v35, v31
	v_sub_f32_e32 v33, v32, v35
	v_sub_f32_e32 v31, v31, v33
	v_add_f32_e32 v17, v17, v31
	v_add_f32_e32 v17, v32, v17
	v_cmp_neq_f32_e64 s[4:5], s30, v2
	v_cndmask_b32_e64 v17, v23, v17, s[4:5]
	s_mov_b32 s4, 0x33800000
	v_cmp_lt_f32_e64 s[4:5], |v2|, s4
	v_cndmask_b32_e64 v2, v17, v2, s[4:5]
	v_add_f32_e32 v2, v13, v2
.LBB166_106:
	s_or_b64 exec, exec, s[28:29]
	v_max_f32_e32 v13, v2, v2
	v_min_f32_e32 v17, v13, v18
	v_cmp_u_f32_e64 s[4:5], v2, v2
	v_max_f32_e32 v13, v13, v18
	v_cndmask_b32_e64 v17, v17, v2, s[4:5]
	v_cndmask_b32_e64 v13, v13, v2, s[4:5]
	;; [unrolled: 1-line block ×4, first 2 shown]
	s_movk_i32 s30, 0x1f8
	v_cmp_neq_f32_e64 s[4:5], v17, v14
	v_cmp_class_f32_e64 s[28:29], v17, s30
	s_or_b64 s[4:5], s[4:5], s[28:29]
	v_mov_b32_e32 v13, v2
	s_and_saveexec_b64 s[28:29], s[4:5]
	s_cbranch_execz .LBB166_108
; %bb.107:
	v_sub_f32_e32 v13, v17, v14
	s_mov_b32 s4, 0x3fb8aa3b
	v_mul_f32_e32 v17, 0x3fb8aa3b, v13
	v_fma_f32 v18, v13, s4, -v17
	v_rndne_f32_e32 v23, v17
	v_fmac_f32_e32 v18, 0x32a5705f, v13
	v_sub_f32_e32 v17, v17, v23
	v_add_f32_e32 v17, v17, v18
	v_exp_f32_e32 v17, v17
	v_cvt_i32_f32_e32 v18, v23
	s_mov_b32 s4, 0xc2ce8ed0
	v_cmp_ngt_f32_e64 s[4:5], s4, v13
	v_mov_b32_e32 v23, 0x7f800000
	v_ldexp_f32 v17, v17, v18
	v_cndmask_b32_e64 v17, 0, v17, s[4:5]
	s_mov_b32 s4, 0x42b17218
	v_cmp_nlt_f32_e64 s[4:5], s4, v13
	v_cndmask_b32_e64 v13, v23, v17, s[4:5]
	v_add_f32_e32 v31, 1.0, v13
	v_cvt_f64_f32_e32 v[17:18], v31
	v_add_f32_e32 v32, -1.0, v31
	v_sub_f32_e32 v33, v32, v31
	v_sub_f32_e32 v32, v13, v32
	v_frexp_exp_i32_f64_e32 v17, v[17:18]
	v_add_f32_e32 v18, 1.0, v33
	v_add_f32_e32 v18, v32, v18
	v_frexp_mant_f32_e32 v32, v31
	s_mov_b32 s4, 0x3f2aaaab
	v_cmp_gt_f32_e64 s[4:5], s4, v32
	s_mov_b32 s31, 0x7f800000
	v_subbrev_co_u32_e64 v17, s[4:5], 0, v17, s[4:5]
	v_sub_u32_e32 v32, 0, v17
	v_ldexp_f32 v31, v31, v32
	v_ldexp_f32 v18, v18, v32
	v_add_f32_e32 v32, -1.0, v31
	s_waitcnt lgkmcnt(0)
	v_add_f32_e32 v36, 1.0, v31
	v_add_f32_e32 v33, 1.0, v32
	v_add_f32_e32 v37, -1.0, v36
	v_sub_f32_e32 v33, v31, v33
	v_sub_f32_e32 v31, v31, v37
	v_add_f32_e32 v33, v18, v33
	v_add_f32_e32 v18, v18, v31
	;; [unrolled: 1-line block ×3, first 2 shown]
	v_rcp_f32_e32 v37, v31
	v_add_f32_e32 v35, v32, v33
	v_sub_f32_e32 v32, v32, v35
	v_add_f32_e32 v32, v33, v32
	v_sub_f32_e32 v33, v36, v31
	v_add_f32_e32 v18, v18, v33
	v_mul_f32_e32 v33, v35, v37
	v_mul_f32_e32 v36, v31, v33
	v_fma_f32 v38, v33, v31, -v36
	v_fmac_f32_e32 v38, v33, v18
	v_add_f32_e32 v39, v36, v38
	v_sub_f32_e32 v40, v35, v39
	v_sub_f32_e32 v35, v35, v40
	;; [unrolled: 1-line block ×4, first 2 shown]
	v_add_f32_e32 v32, v32, v35
	v_sub_f32_e32 v35, v36, v38
	v_add_f32_e32 v32, v35, v32
	v_add_f32_e32 v35, v40, v32
	v_mul_f32_e32 v36, v37, v35
	v_mul_f32_e32 v38, v31, v36
	v_fma_f32 v31, v36, v31, -v38
	v_fmac_f32_e32 v31, v36, v18
	v_sub_f32_e32 v18, v40, v35
	v_add_f32_e32 v18, v32, v18
	v_add_f32_e32 v32, v38, v31
	v_sub_f32_e32 v39, v35, v32
	v_sub_f32_e32 v35, v35, v39
	;; [unrolled: 1-line block ×4, first 2 shown]
	v_add_f32_e32 v18, v18, v32
	v_sub_f32_e32 v31, v38, v31
	v_add_f32_e32 v18, v31, v18
	v_add_f32_e32 v31, v33, v36
	;; [unrolled: 1-line block ×3, first 2 shown]
	v_sub_f32_e32 v32, v31, v33
	v_mul_f32_e32 v18, v37, v18
	v_sub_f32_e32 v32, v36, v32
	v_add_f32_e32 v18, v32, v18
	v_cvt_f32_i32_e32 v17, v17
	v_add_f32_e32 v32, v31, v18
	v_mul_f32_e32 v33, v32, v32
	v_mov_b32_e32 v35, 0x3ecc95a3
	v_fmac_f32_e32 v35, 0x3e9b6dac, v33
	v_mov_b32_e32 v36, 0x3f2aaada
	v_fmac_f32_e32 v36, v33, v35
	s_mov_b32 s4, 0x3f317218
	v_mul_f32_e32 v35, 0x3f317218, v17
	v_fma_f32 v37, v17, s4, -v35
	v_fmac_f32_e32 v37, 0xb102e308, v17
	v_sub_f32_e32 v17, v32, v31
	v_sub_f32_e32 v17, v18, v17
	v_add_f32_e32 v18, v35, v37
	v_sub_f32_e32 v31, v18, v35
	v_ldexp_f32 v35, v32, 1
	v_mul_f32_e32 v32, v32, v33
	v_mul_f32_e32 v32, v32, v36
	v_add_f32_e32 v33, v35, v32
	v_sub_f32_e32 v35, v33, v35
	v_ldexp_f32 v17, v17, 1
	v_sub_f32_e32 v32, v32, v35
	v_add_f32_e32 v17, v17, v32
	v_add_f32_e32 v32, v33, v17
	v_sub_f32_e32 v33, v32, v33
	v_sub_f32_e32 v17, v17, v33
	v_add_f32_e32 v33, v18, v32
	v_sub_f32_e32 v35, v33, v18
	v_sub_f32_e32 v36, v33, v35
	;; [unrolled: 1-line block ×5, first 2 shown]
	v_add_f32_e32 v18, v32, v18
	v_add_f32_e32 v32, v31, v17
	v_sub_f32_e32 v35, v32, v31
	v_sub_f32_e32 v36, v32, v35
	;; [unrolled: 1-line block ×4, first 2 shown]
	v_add_f32_e32 v18, v32, v18
	v_add_f32_e32 v17, v17, v31
	;; [unrolled: 1-line block ×3, first 2 shown]
	v_sub_f32_e32 v32, v31, v33
	v_sub_f32_e32 v18, v18, v32
	v_add_f32_e32 v17, v17, v18
	v_add_f32_e32 v17, v31, v17
	v_cmp_neq_f32_e64 s[4:5], s31, v13
	v_cndmask_b32_e64 v17, v23, v17, s[4:5]
	s_mov_b32 s4, 0x33800000
	v_cmp_lt_f32_e64 s[4:5], |v13|, s4
	v_cndmask_b32_e64 v13, v17, v13, s[4:5]
	v_add_f32_e32 v13, v14, v13
.LBB166_108:
	s_or_b64 exec, exec, s[28:29]
	v_max_f32_e32 v14, v13, v13
	v_min_f32_e32 v17, v14, v19
	v_cmp_u_f32_e64 s[4:5], v13, v13
	v_max_f32_e32 v14, v14, v19
	v_cndmask_b32_e64 v17, v17, v13, s[4:5]
	v_cndmask_b32_e64 v14, v14, v13, s[4:5]
	;; [unrolled: 1-line block ×4, first 2 shown]
	v_cmp_neq_f32_e64 s[4:5], v17, v14
	v_cmp_class_f32_e64 s[28:29], v17, s30
	s_or_b64 s[4:5], s[4:5], s[28:29]
	v_mov_b32_e32 v11, v13
	s_and_saveexec_b64 s[28:29], s[4:5]
	s_cbranch_execz .LBB166_110
; %bb.109:
	v_sub_f32_e32 v11, v17, v14
	s_mov_b32 s4, 0x3fb8aa3b
	v_mul_f32_e32 v17, 0x3fb8aa3b, v11
	v_fma_f32 v18, v11, s4, -v17
	v_rndne_f32_e32 v19, v17
	v_fmac_f32_e32 v18, 0x32a5705f, v11
	v_sub_f32_e32 v17, v17, v19
	v_add_f32_e32 v17, v17, v18
	v_exp_f32_e32 v17, v17
	v_cvt_i32_f32_e32 v18, v19
	s_mov_b32 s4, 0xc2ce8ed0
	v_cmp_ngt_f32_e64 s[4:5], s4, v11
	v_mov_b32_e32 v19, 0x7f800000
	v_ldexp_f32 v17, v17, v18
	v_cndmask_b32_e64 v17, 0, v17, s[4:5]
	s_mov_b32 s4, 0x42b17218
	v_cmp_nlt_f32_e64 s[4:5], s4, v11
	v_cndmask_b32_e64 v11, v19, v17, s[4:5]
	v_add_f32_e32 v23, 1.0, v11
	v_cvt_f64_f32_e32 v[17:18], v23
	v_add_f32_e32 v31, -1.0, v23
	v_sub_f32_e32 v32, v31, v23
	v_sub_f32_e32 v31, v11, v31
	v_frexp_exp_i32_f64_e32 v17, v[17:18]
	v_add_f32_e32 v18, 1.0, v32
	v_add_f32_e32 v18, v31, v18
	v_frexp_mant_f32_e32 v31, v23
	s_mov_b32 s4, 0x3f2aaaab
	v_cmp_gt_f32_e64 s[4:5], s4, v31
	s_mov_b32 s30, 0x7f800000
	v_subbrev_co_u32_e64 v17, s[4:5], 0, v17, s[4:5]
	v_sub_u32_e32 v31, 0, v17
	v_ldexp_f32 v23, v23, v31
	v_ldexp_f32 v18, v18, v31
	v_add_f32_e32 v31, -1.0, v23
	v_add_f32_e32 v35, 1.0, v23
	v_add_f32_e32 v32, 1.0, v31
	s_waitcnt lgkmcnt(0)
	v_add_f32_e32 v36, -1.0, v35
	v_sub_f32_e32 v32, v23, v32
	v_sub_f32_e32 v23, v23, v36
	v_add_f32_e32 v32, v18, v32
	v_add_f32_e32 v18, v18, v23
	;; [unrolled: 1-line block ×3, first 2 shown]
	v_rcp_f32_e32 v36, v23
	v_add_f32_e32 v33, v31, v32
	v_sub_f32_e32 v31, v31, v33
	v_add_f32_e32 v31, v32, v31
	v_sub_f32_e32 v32, v35, v23
	v_add_f32_e32 v18, v18, v32
	v_mul_f32_e32 v32, v33, v36
	v_mul_f32_e32 v35, v23, v32
	v_fma_f32 v37, v32, v23, -v35
	v_fmac_f32_e32 v37, v32, v18
	v_add_f32_e32 v38, v35, v37
	v_sub_f32_e32 v39, v33, v38
	v_sub_f32_e32 v33, v33, v39
	;; [unrolled: 1-line block ×4, first 2 shown]
	v_add_f32_e32 v31, v31, v33
	v_sub_f32_e32 v33, v35, v37
	v_add_f32_e32 v31, v33, v31
	v_add_f32_e32 v33, v39, v31
	v_mul_f32_e32 v35, v36, v33
	v_mul_f32_e32 v37, v23, v35
	v_fma_f32 v23, v35, v23, -v37
	v_fmac_f32_e32 v23, v35, v18
	v_sub_f32_e32 v18, v39, v33
	v_add_f32_e32 v18, v31, v18
	v_add_f32_e32 v31, v37, v23
	v_sub_f32_e32 v38, v33, v31
	v_sub_f32_e32 v33, v33, v38
	v_sub_f32_e32 v37, v31, v37
	v_sub_f32_e32 v31, v33, v31
	v_add_f32_e32 v18, v18, v31
	v_sub_f32_e32 v23, v37, v23
	v_add_f32_e32 v18, v23, v18
	v_add_f32_e32 v23, v32, v35
	;; [unrolled: 1-line block ×3, first 2 shown]
	v_sub_f32_e32 v31, v23, v32
	v_mul_f32_e32 v18, v36, v18
	v_sub_f32_e32 v31, v35, v31
	v_add_f32_e32 v18, v31, v18
	v_cvt_f32_i32_e32 v17, v17
	v_add_f32_e32 v31, v23, v18
	v_mul_f32_e32 v32, v31, v31
	v_mov_b32_e32 v33, 0x3ecc95a3
	v_fmac_f32_e32 v33, 0x3e9b6dac, v32
	v_mov_b32_e32 v35, 0x3f2aaada
	v_fmac_f32_e32 v35, v32, v33
	s_mov_b32 s4, 0x3f317218
	v_mul_f32_e32 v33, 0x3f317218, v17
	v_fma_f32 v36, v17, s4, -v33
	v_fmac_f32_e32 v36, 0xb102e308, v17
	v_sub_f32_e32 v17, v31, v23
	v_sub_f32_e32 v17, v18, v17
	v_add_f32_e32 v18, v33, v36
	v_sub_f32_e32 v23, v18, v33
	v_ldexp_f32 v33, v31, 1
	v_mul_f32_e32 v31, v31, v32
	v_mul_f32_e32 v31, v31, v35
	v_add_f32_e32 v32, v33, v31
	v_sub_f32_e32 v33, v32, v33
	v_ldexp_f32 v17, v17, 1
	v_sub_f32_e32 v31, v31, v33
	v_add_f32_e32 v17, v17, v31
	v_add_f32_e32 v31, v32, v17
	v_sub_f32_e32 v32, v31, v32
	v_sub_f32_e32 v17, v17, v32
	v_add_f32_e32 v32, v18, v31
	v_sub_f32_e32 v33, v32, v18
	v_sub_f32_e32 v35, v32, v33
	;; [unrolled: 1-line block ×5, first 2 shown]
	v_add_f32_e32 v18, v31, v18
	v_add_f32_e32 v31, v23, v17
	v_sub_f32_e32 v33, v31, v23
	v_sub_f32_e32 v35, v31, v33
	;; [unrolled: 1-line block ×4, first 2 shown]
	v_add_f32_e32 v18, v31, v18
	v_add_f32_e32 v17, v17, v23
	;; [unrolled: 1-line block ×3, first 2 shown]
	v_sub_f32_e32 v31, v23, v32
	v_sub_f32_e32 v18, v18, v31
	v_add_f32_e32 v17, v17, v18
	v_add_f32_e32 v17, v23, v17
	v_cmp_neq_f32_e64 s[4:5], s30, v11
	v_cndmask_b32_e64 v17, v19, v17, s[4:5]
	s_mov_b32 s4, 0x33800000
	v_cmp_lt_f32_e64 s[4:5], |v11|, s4
	v_cndmask_b32_e64 v11, v17, v11, s[4:5]
	v_add_f32_e32 v11, v14, v11
.LBB166_110:
	s_or_b64 exec, exec, s[28:29]
	v_max_f32_e32 v14, v11, v11
	v_min_f32_e32 v17, v14, v20
	v_cmp_u_f32_e64 s[4:5], v11, v11
	v_max_f32_e32 v14, v14, v20
	v_cndmask_b32_e64 v17, v17, v11, s[4:5]
	v_cndmask_b32_e64 v14, v14, v11, s[4:5]
	v_cndmask_b32_e64 v17, v17, v12, s[38:39]
	v_cndmask_b32_e64 v14, v14, v12, s[38:39]
	s_movk_i32 s30, 0x1f8
	v_cmp_neq_f32_e64 s[4:5], v17, v14
	v_cmp_class_f32_e64 s[28:29], v17, s30
	s_or_b64 s[4:5], s[4:5], s[28:29]
	v_mov_b32_e32 v12, v11
	s_and_saveexec_b64 s[28:29], s[4:5]
	s_cbranch_execz .LBB166_112
; %bb.111:
	v_sub_f32_e32 v12, v17, v14
	s_mov_b32 s4, 0x3fb8aa3b
	v_mul_f32_e32 v17, 0x3fb8aa3b, v12
	v_fma_f32 v18, v12, s4, -v17
	v_rndne_f32_e32 v19, v17
	v_fmac_f32_e32 v18, 0x32a5705f, v12
	v_sub_f32_e32 v17, v17, v19
	v_add_f32_e32 v17, v17, v18
	v_exp_f32_e32 v17, v17
	v_cvt_i32_f32_e32 v18, v19
	s_mov_b32 s4, 0xc2ce8ed0
	v_cmp_ngt_f32_e64 s[4:5], s4, v12
	v_mov_b32_e32 v19, 0x7f800000
	v_ldexp_f32 v17, v17, v18
	v_cndmask_b32_e64 v17, 0, v17, s[4:5]
	s_mov_b32 s4, 0x42b17218
	v_cmp_nlt_f32_e64 s[4:5], s4, v12
	v_cndmask_b32_e64 v12, v19, v17, s[4:5]
	v_add_f32_e32 v20, 1.0, v12
	v_cvt_f64_f32_e32 v[17:18], v20
	v_add_f32_e32 v23, -1.0, v20
	v_sub_f32_e32 v31, v23, v20
	v_sub_f32_e32 v23, v12, v23
	v_frexp_exp_i32_f64_e32 v17, v[17:18]
	v_add_f32_e32 v18, 1.0, v31
	v_add_f32_e32 v18, v23, v18
	v_frexp_mant_f32_e32 v23, v20
	s_mov_b32 s4, 0x3f2aaaab
	v_cmp_gt_f32_e64 s[4:5], s4, v23
	s_mov_b32 s31, 0x7f800000
	v_subbrev_co_u32_e64 v17, s[4:5], 0, v17, s[4:5]
	v_sub_u32_e32 v23, 0, v17
	v_ldexp_f32 v20, v20, v23
	v_ldexp_f32 v18, v18, v23
	v_add_f32_e32 v23, -1.0, v20
	v_add_f32_e32 v33, 1.0, v20
	v_add_f32_e32 v31, 1.0, v23
	v_add_f32_e32 v35, -1.0, v33
	v_sub_f32_e32 v31, v20, v31
	v_sub_f32_e32 v20, v20, v35
	v_add_f32_e32 v31, v18, v31
	v_add_f32_e32 v18, v18, v20
	;; [unrolled: 1-line block ×3, first 2 shown]
	v_rcp_f32_e32 v35, v20
	v_add_f32_e32 v32, v23, v31
	v_sub_f32_e32 v23, v23, v32
	v_add_f32_e32 v23, v31, v23
	v_sub_f32_e32 v31, v33, v20
	v_add_f32_e32 v18, v18, v31
	v_mul_f32_e32 v31, v32, v35
	v_mul_f32_e32 v33, v20, v31
	s_waitcnt lgkmcnt(0)
	v_fma_f32 v36, v31, v20, -v33
	v_fmac_f32_e32 v36, v31, v18
	v_add_f32_e32 v37, v33, v36
	v_sub_f32_e32 v38, v32, v37
	v_sub_f32_e32 v32, v32, v38
	;; [unrolled: 1-line block ×4, first 2 shown]
	v_add_f32_e32 v23, v23, v32
	v_sub_f32_e32 v32, v33, v36
	v_add_f32_e32 v23, v32, v23
	v_add_f32_e32 v32, v38, v23
	v_mul_f32_e32 v33, v35, v32
	v_mul_f32_e32 v36, v20, v33
	v_fma_f32 v20, v33, v20, -v36
	v_fmac_f32_e32 v20, v33, v18
	v_sub_f32_e32 v18, v38, v32
	v_add_f32_e32 v18, v23, v18
	v_add_f32_e32 v23, v36, v20
	v_sub_f32_e32 v37, v32, v23
	v_sub_f32_e32 v32, v32, v37
	;; [unrolled: 1-line block ×4, first 2 shown]
	v_add_f32_e32 v18, v18, v23
	v_sub_f32_e32 v20, v36, v20
	v_add_f32_e32 v18, v20, v18
	v_add_f32_e32 v20, v31, v33
	;; [unrolled: 1-line block ×3, first 2 shown]
	v_sub_f32_e32 v23, v20, v31
	v_mul_f32_e32 v18, v35, v18
	v_sub_f32_e32 v23, v33, v23
	v_add_f32_e32 v18, v23, v18
	v_cvt_f32_i32_e32 v17, v17
	v_add_f32_e32 v23, v20, v18
	v_mul_f32_e32 v31, v23, v23
	v_mov_b32_e32 v32, 0x3ecc95a3
	v_fmac_f32_e32 v32, 0x3e9b6dac, v31
	v_mov_b32_e32 v33, 0x3f2aaada
	v_fmac_f32_e32 v33, v31, v32
	s_mov_b32 s4, 0x3f317218
	v_mul_f32_e32 v32, 0x3f317218, v17
	v_fma_f32 v35, v17, s4, -v32
	v_fmac_f32_e32 v35, 0xb102e308, v17
	v_sub_f32_e32 v17, v23, v20
	v_sub_f32_e32 v17, v18, v17
	v_add_f32_e32 v18, v32, v35
	v_sub_f32_e32 v20, v18, v32
	v_ldexp_f32 v32, v23, 1
	v_mul_f32_e32 v23, v23, v31
	v_mul_f32_e32 v23, v23, v33
	v_add_f32_e32 v31, v32, v23
	v_sub_f32_e32 v32, v31, v32
	v_ldexp_f32 v17, v17, 1
	v_sub_f32_e32 v23, v23, v32
	v_add_f32_e32 v17, v17, v23
	v_add_f32_e32 v23, v31, v17
	v_sub_f32_e32 v31, v23, v31
	v_sub_f32_e32 v17, v17, v31
	v_add_f32_e32 v31, v18, v23
	v_sub_f32_e32 v32, v31, v18
	v_sub_f32_e32 v33, v31, v32
	;; [unrolled: 1-line block ×5, first 2 shown]
	v_add_f32_e32 v18, v23, v18
	v_add_f32_e32 v23, v20, v17
	v_sub_f32_e32 v32, v23, v20
	v_sub_f32_e32 v33, v23, v32
	;; [unrolled: 1-line block ×4, first 2 shown]
	v_add_f32_e32 v18, v23, v18
	v_add_f32_e32 v17, v17, v20
	;; [unrolled: 1-line block ×3, first 2 shown]
	v_sub_f32_e32 v23, v20, v31
	v_sub_f32_e32 v18, v18, v23
	v_add_f32_e32 v17, v17, v18
	v_add_f32_e32 v17, v20, v17
	v_cmp_neq_f32_e64 s[4:5], s31, v12
	v_cndmask_b32_e64 v17, v19, v17, s[4:5]
	s_mov_b32 s4, 0x33800000
	v_cmp_lt_f32_e64 s[4:5], |v12|, s4
	v_cndmask_b32_e64 v12, v17, v12, s[4:5]
	v_add_f32_e32 v12, v14, v12
.LBB166_112:
	s_or_b64 exec, exec, s[28:29]
	v_max_f32_e32 v14, v12, v12
	v_min_f32_e32 v17, v14, v21
	v_cmp_u_f32_e64 s[4:5], v12, v12
	v_max_f32_e32 v14, v14, v21
	v_cndmask_b32_e64 v17, v17, v12, s[4:5]
	v_cndmask_b32_e64 v14, v14, v12, s[4:5]
	;; [unrolled: 1-line block ×4, first 2 shown]
	v_cmp_neq_f32_e64 s[4:5], v17, v14
	v_cmp_class_f32_e64 s[28:29], v17, s30
	s_or_b64 s[4:5], s[4:5], s[28:29]
	v_mov_b32_e32 v9, v12
	s_and_saveexec_b64 s[28:29], s[4:5]
	s_cbranch_execz .LBB166_114
; %bb.113:
	v_sub_f32_e32 v9, v17, v14
	s_mov_b32 s4, 0x3fb8aa3b
	v_mul_f32_e32 v17, 0x3fb8aa3b, v9
	v_fma_f32 v18, v9, s4, -v17
	v_rndne_f32_e32 v19, v17
	v_fmac_f32_e32 v18, 0x32a5705f, v9
	v_sub_f32_e32 v17, v17, v19
	v_add_f32_e32 v17, v17, v18
	v_exp_f32_e32 v17, v17
	v_cvt_i32_f32_e32 v18, v19
	s_mov_b32 s4, 0xc2ce8ed0
	v_cmp_ngt_f32_e64 s[4:5], s4, v9
	v_mov_b32_e32 v19, 0x7f800000
	v_ldexp_f32 v17, v17, v18
	v_cndmask_b32_e64 v17, 0, v17, s[4:5]
	s_mov_b32 s4, 0x42b17218
	v_cmp_nlt_f32_e64 s[4:5], s4, v9
	v_cndmask_b32_e64 v9, v19, v17, s[4:5]
	v_add_f32_e32 v20, 1.0, v9
	v_cvt_f64_f32_e32 v[17:18], v20
	v_add_f32_e32 v21, -1.0, v20
	v_sub_f32_e32 v23, v21, v20
	v_sub_f32_e32 v21, v9, v21
	v_frexp_exp_i32_f64_e32 v17, v[17:18]
	v_add_f32_e32 v18, 1.0, v23
	v_add_f32_e32 v18, v21, v18
	v_frexp_mant_f32_e32 v21, v20
	s_mov_b32 s4, 0x3f2aaaab
	v_cmp_gt_f32_e64 s[4:5], s4, v21
	s_mov_b32 s30, 0x7f800000
	v_subbrev_co_u32_e64 v17, s[4:5], 0, v17, s[4:5]
	v_sub_u32_e32 v21, 0, v17
	v_ldexp_f32 v20, v20, v21
	v_ldexp_f32 v18, v18, v21
	v_add_f32_e32 v21, -1.0, v20
	v_add_f32_e32 v32, 1.0, v20
	v_add_f32_e32 v23, 1.0, v21
	v_add_f32_e32 v33, -1.0, v32
	v_sub_f32_e32 v23, v20, v23
	v_sub_f32_e32 v20, v20, v33
	v_add_f32_e32 v23, v18, v23
	v_add_f32_e32 v18, v18, v20
	;; [unrolled: 1-line block ×3, first 2 shown]
	v_rcp_f32_e32 v33, v20
	v_add_f32_e32 v31, v21, v23
	v_sub_f32_e32 v21, v21, v31
	v_add_f32_e32 v21, v23, v21
	v_sub_f32_e32 v23, v32, v20
	v_add_f32_e32 v18, v18, v23
	v_mul_f32_e32 v23, v31, v33
	v_mul_f32_e32 v32, v20, v23
	v_fma_f32 v35, v23, v20, -v32
	v_fmac_f32_e32 v35, v23, v18
	s_waitcnt lgkmcnt(0)
	v_add_f32_e32 v36, v32, v35
	v_sub_f32_e32 v37, v31, v36
	v_sub_f32_e32 v31, v31, v37
	;; [unrolled: 1-line block ×4, first 2 shown]
	v_add_f32_e32 v21, v21, v31
	v_sub_f32_e32 v31, v32, v35
	v_add_f32_e32 v21, v31, v21
	v_add_f32_e32 v31, v37, v21
	v_mul_f32_e32 v32, v33, v31
	v_mul_f32_e32 v35, v20, v32
	v_fma_f32 v20, v32, v20, -v35
	v_fmac_f32_e32 v20, v32, v18
	v_sub_f32_e32 v18, v37, v31
	v_add_f32_e32 v18, v21, v18
	v_add_f32_e32 v21, v35, v20
	v_sub_f32_e32 v36, v31, v21
	v_sub_f32_e32 v31, v31, v36
	;; [unrolled: 1-line block ×4, first 2 shown]
	v_add_f32_e32 v18, v18, v21
	v_sub_f32_e32 v20, v35, v20
	v_add_f32_e32 v18, v20, v18
	v_add_f32_e32 v20, v23, v32
	;; [unrolled: 1-line block ×3, first 2 shown]
	v_sub_f32_e32 v21, v20, v23
	v_mul_f32_e32 v18, v33, v18
	v_sub_f32_e32 v21, v32, v21
	v_add_f32_e32 v18, v21, v18
	v_cvt_f32_i32_e32 v17, v17
	v_add_f32_e32 v21, v20, v18
	v_mul_f32_e32 v23, v21, v21
	v_mov_b32_e32 v31, 0x3ecc95a3
	v_fmac_f32_e32 v31, 0x3e9b6dac, v23
	v_mov_b32_e32 v32, 0x3f2aaada
	v_fmac_f32_e32 v32, v23, v31
	s_mov_b32 s4, 0x3f317218
	v_mul_f32_e32 v31, 0x3f317218, v17
	v_fma_f32 v33, v17, s4, -v31
	v_fmac_f32_e32 v33, 0xb102e308, v17
	v_sub_f32_e32 v17, v21, v20
	v_sub_f32_e32 v17, v18, v17
	v_add_f32_e32 v18, v31, v33
	v_sub_f32_e32 v20, v18, v31
	v_ldexp_f32 v31, v21, 1
	v_mul_f32_e32 v21, v21, v23
	v_mul_f32_e32 v21, v21, v32
	v_add_f32_e32 v23, v31, v21
	v_sub_f32_e32 v31, v23, v31
	v_ldexp_f32 v17, v17, 1
	v_sub_f32_e32 v21, v21, v31
	v_add_f32_e32 v17, v17, v21
	v_add_f32_e32 v21, v23, v17
	v_sub_f32_e32 v23, v21, v23
	v_sub_f32_e32 v17, v17, v23
	v_add_f32_e32 v23, v18, v21
	v_sub_f32_e32 v31, v23, v18
	v_sub_f32_e32 v32, v23, v31
	;; [unrolled: 1-line block ×5, first 2 shown]
	v_add_f32_e32 v18, v21, v18
	v_add_f32_e32 v21, v20, v17
	v_sub_f32_e32 v31, v21, v20
	v_sub_f32_e32 v32, v21, v31
	;; [unrolled: 1-line block ×4, first 2 shown]
	v_add_f32_e32 v18, v21, v18
	v_add_f32_e32 v17, v17, v20
	;; [unrolled: 1-line block ×3, first 2 shown]
	v_sub_f32_e32 v21, v20, v23
	v_sub_f32_e32 v18, v18, v21
	v_add_f32_e32 v17, v17, v18
	v_add_f32_e32 v17, v20, v17
	v_cmp_neq_f32_e64 s[4:5], s30, v9
	v_cndmask_b32_e64 v17, v19, v17, s[4:5]
	s_mov_b32 s4, 0x33800000
	v_cmp_lt_f32_e64 s[4:5], |v9|, s4
	v_cndmask_b32_e64 v9, v17, v9, s[4:5]
	v_add_f32_e32 v9, v14, v9
.LBB166_114:
	s_or_b64 exec, exec, s[28:29]
	v_max_f32_e32 v14, v9, v9
	v_min_f32_e32 v17, v14, v22
	v_cmp_u_f32_e64 s[4:5], v9, v9
	v_max_f32_e32 v14, v14, v22
	v_cndmask_b32_e64 v17, v17, v9, s[4:5]
	v_cndmask_b32_e64 v14, v14, v9, s[4:5]
	;; [unrolled: 1-line block ×4, first 2 shown]
	s_movk_i32 s30, 0x1f8
	v_cmp_neq_f32_e64 s[4:5], v17, v14
	v_cmp_class_f32_e64 s[28:29], v17, s30
	s_or_b64 s[4:5], s[4:5], s[28:29]
	v_mov_b32_e32 v10, v9
	s_and_saveexec_b64 s[28:29], s[4:5]
	s_cbranch_execz .LBB166_116
; %bb.115:
	v_sub_f32_e32 v10, v17, v14
	s_mov_b32 s4, 0x3fb8aa3b
	v_mul_f32_e32 v17, 0x3fb8aa3b, v10
	v_fma_f32 v18, v10, s4, -v17
	v_rndne_f32_e32 v19, v17
	v_fmac_f32_e32 v18, 0x32a5705f, v10
	v_sub_f32_e32 v17, v17, v19
	v_add_f32_e32 v17, v17, v18
	v_exp_f32_e32 v17, v17
	v_cvt_i32_f32_e32 v18, v19
	s_mov_b32 s4, 0xc2ce8ed0
	v_cmp_ngt_f32_e64 s[4:5], s4, v10
	v_mov_b32_e32 v19, 0x7f800000
	v_ldexp_f32 v17, v17, v18
	v_cndmask_b32_e64 v17, 0, v17, s[4:5]
	s_mov_b32 s4, 0x42b17218
	v_cmp_nlt_f32_e64 s[4:5], s4, v10
	v_cndmask_b32_e64 v10, v19, v17, s[4:5]
	v_add_f32_e32 v20, 1.0, v10
	v_cvt_f64_f32_e32 v[17:18], v20
	v_add_f32_e32 v21, -1.0, v20
	v_sub_f32_e32 v22, v21, v20
	v_sub_f32_e32 v21, v10, v21
	v_frexp_exp_i32_f64_e32 v17, v[17:18]
	v_add_f32_e32 v18, 1.0, v22
	v_add_f32_e32 v18, v21, v18
	v_frexp_mant_f32_e32 v21, v20
	s_mov_b32 s4, 0x3f2aaaab
	v_cmp_gt_f32_e64 s[4:5], s4, v21
	s_mov_b32 s31, 0x7f800000
	v_subbrev_co_u32_e64 v17, s[4:5], 0, v17, s[4:5]
	v_sub_u32_e32 v21, 0, v17
	v_ldexp_f32 v20, v20, v21
	v_ldexp_f32 v18, v18, v21
	v_add_f32_e32 v21, -1.0, v20
	v_add_f32_e32 v31, 1.0, v20
	v_add_f32_e32 v22, 1.0, v21
	v_add_f32_e32 v32, -1.0, v31
	v_sub_f32_e32 v22, v20, v22
	v_sub_f32_e32 v20, v20, v32
	v_add_f32_e32 v22, v18, v22
	v_add_f32_e32 v18, v18, v20
	;; [unrolled: 1-line block ×3, first 2 shown]
	v_rcp_f32_e32 v32, v20
	v_add_f32_e32 v23, v21, v22
	v_sub_f32_e32 v21, v21, v23
	v_add_f32_e32 v21, v22, v21
	v_sub_f32_e32 v22, v31, v20
	v_add_f32_e32 v18, v18, v22
	v_mul_f32_e32 v22, v23, v32
	v_mul_f32_e32 v31, v20, v22
	v_fma_f32 v33, v22, v20, -v31
	v_fmac_f32_e32 v33, v22, v18
	v_add_f32_e32 v35, v31, v33
	s_waitcnt lgkmcnt(0)
	v_sub_f32_e32 v36, v23, v35
	v_sub_f32_e32 v23, v23, v36
	;; [unrolled: 1-line block ×4, first 2 shown]
	v_add_f32_e32 v21, v21, v23
	v_sub_f32_e32 v23, v31, v33
	v_add_f32_e32 v21, v23, v21
	v_add_f32_e32 v23, v36, v21
	v_mul_f32_e32 v31, v32, v23
	v_mul_f32_e32 v33, v20, v31
	v_fma_f32 v20, v31, v20, -v33
	v_fmac_f32_e32 v20, v31, v18
	v_sub_f32_e32 v18, v36, v23
	v_add_f32_e32 v18, v21, v18
	v_add_f32_e32 v21, v33, v20
	v_sub_f32_e32 v35, v23, v21
	v_sub_f32_e32 v23, v23, v35
	v_sub_f32_e32 v33, v21, v33
	v_sub_f32_e32 v21, v23, v21
	v_add_f32_e32 v18, v18, v21
	v_sub_f32_e32 v20, v33, v20
	v_add_f32_e32 v18, v20, v18
	v_add_f32_e32 v20, v22, v31
	;; [unrolled: 1-line block ×3, first 2 shown]
	v_sub_f32_e32 v21, v20, v22
	v_mul_f32_e32 v18, v32, v18
	v_sub_f32_e32 v21, v31, v21
	v_add_f32_e32 v18, v21, v18
	v_cvt_f32_i32_e32 v17, v17
	v_add_f32_e32 v21, v20, v18
	v_mul_f32_e32 v22, v21, v21
	v_mov_b32_e32 v23, 0x3ecc95a3
	v_fmac_f32_e32 v23, 0x3e9b6dac, v22
	v_mov_b32_e32 v31, 0x3f2aaada
	v_fmac_f32_e32 v31, v22, v23
	s_mov_b32 s4, 0x3f317218
	v_mul_f32_e32 v23, 0x3f317218, v17
	v_fma_f32 v32, v17, s4, -v23
	v_fmac_f32_e32 v32, 0xb102e308, v17
	v_sub_f32_e32 v17, v21, v20
	v_sub_f32_e32 v17, v18, v17
	v_add_f32_e32 v18, v23, v32
	v_sub_f32_e32 v20, v18, v23
	v_ldexp_f32 v23, v21, 1
	v_mul_f32_e32 v21, v21, v22
	v_mul_f32_e32 v21, v21, v31
	v_add_f32_e32 v22, v23, v21
	v_sub_f32_e32 v23, v22, v23
	v_ldexp_f32 v17, v17, 1
	v_sub_f32_e32 v21, v21, v23
	v_add_f32_e32 v17, v17, v21
	v_add_f32_e32 v21, v22, v17
	v_sub_f32_e32 v22, v21, v22
	v_sub_f32_e32 v17, v17, v22
	v_add_f32_e32 v22, v18, v21
	v_sub_f32_e32 v23, v22, v18
	v_sub_f32_e32 v31, v22, v23
	;; [unrolled: 1-line block ×5, first 2 shown]
	v_add_f32_e32 v18, v21, v18
	v_add_f32_e32 v21, v20, v17
	v_sub_f32_e32 v23, v21, v20
	v_sub_f32_e32 v31, v21, v23
	;; [unrolled: 1-line block ×4, first 2 shown]
	v_add_f32_e32 v18, v21, v18
	v_add_f32_e32 v17, v17, v20
	;; [unrolled: 1-line block ×3, first 2 shown]
	v_sub_f32_e32 v21, v20, v22
	v_sub_f32_e32 v18, v18, v21
	v_add_f32_e32 v17, v17, v18
	v_add_f32_e32 v17, v20, v17
	v_cmp_neq_f32_e64 s[4:5], s31, v10
	v_cndmask_b32_e64 v17, v19, v17, s[4:5]
	s_mov_b32 s4, 0x33800000
	v_cmp_lt_f32_e64 s[4:5], |v10|, s4
	v_cndmask_b32_e64 v10, v17, v10, s[4:5]
	v_add_f32_e32 v10, v14, v10
.LBB166_116:
	s_or_b64 exec, exec, s[28:29]
	v_max_f32_e32 v14, v10, v10
	v_min_f32_e32 v17, v14, v24
	v_cmp_u_f32_e64 s[4:5], v10, v10
	v_max_f32_e32 v14, v14, v24
	v_cndmask_b32_e64 v17, v17, v10, s[4:5]
	v_cndmask_b32_e64 v14, v14, v10, s[4:5]
	;; [unrolled: 1-line block ×4, first 2 shown]
	v_cmp_neq_f32_e64 s[4:5], v17, v14
	v_cmp_class_f32_e64 s[28:29], v17, s30
	s_or_b64 s[4:5], s[4:5], s[28:29]
	v_mov_b32_e32 v7, v10
	s_and_saveexec_b64 s[28:29], s[4:5]
	s_cbranch_execz .LBB166_118
; %bb.117:
	v_sub_f32_e32 v7, v17, v14
	s_mov_b32 s4, 0x3fb8aa3b
	v_mul_f32_e32 v17, 0x3fb8aa3b, v7
	v_fma_f32 v18, v7, s4, -v17
	v_rndne_f32_e32 v19, v17
	v_fmac_f32_e32 v18, 0x32a5705f, v7
	v_sub_f32_e32 v17, v17, v19
	v_add_f32_e32 v17, v17, v18
	v_exp_f32_e32 v17, v17
	v_cvt_i32_f32_e32 v18, v19
	s_mov_b32 s4, 0xc2ce8ed0
	v_cmp_ngt_f32_e64 s[4:5], s4, v7
	v_mov_b32_e32 v19, 0x7f800000
	v_ldexp_f32 v17, v17, v18
	v_cndmask_b32_e64 v17, 0, v17, s[4:5]
	s_mov_b32 s4, 0x42b17218
	v_cmp_nlt_f32_e64 s[4:5], s4, v7
	v_cndmask_b32_e64 v7, v19, v17, s[4:5]
	v_add_f32_e32 v20, 1.0, v7
	v_cvt_f64_f32_e32 v[17:18], v20
	v_add_f32_e32 v21, -1.0, v20
	v_sub_f32_e32 v22, v21, v20
	v_sub_f32_e32 v21, v7, v21
	v_frexp_exp_i32_f64_e32 v17, v[17:18]
	v_add_f32_e32 v18, 1.0, v22
	v_add_f32_e32 v18, v21, v18
	v_frexp_mant_f32_e32 v21, v20
	s_mov_b32 s4, 0x3f2aaaab
	v_cmp_gt_f32_e64 s[4:5], s4, v21
	s_mov_b32 s30, 0x7f800000
	v_subbrev_co_u32_e64 v17, s[4:5], 0, v17, s[4:5]
	v_sub_u32_e32 v21, 0, v17
	v_ldexp_f32 v20, v20, v21
	v_ldexp_f32 v18, v18, v21
	v_add_f32_e32 v21, -1.0, v20
	v_add_f32_e32 v24, 1.0, v20
	v_add_f32_e32 v22, 1.0, v21
	v_add_f32_e32 v31, -1.0, v24
	v_sub_f32_e32 v22, v20, v22
	v_sub_f32_e32 v20, v20, v31
	v_add_f32_e32 v22, v18, v22
	v_add_f32_e32 v18, v18, v20
	;; [unrolled: 1-line block ×3, first 2 shown]
	v_rcp_f32_e32 v31, v20
	v_add_f32_e32 v23, v21, v22
	v_sub_f32_e32 v21, v21, v23
	v_add_f32_e32 v21, v22, v21
	v_sub_f32_e32 v22, v24, v20
	v_add_f32_e32 v18, v18, v22
	v_mul_f32_e32 v22, v23, v31
	v_mul_f32_e32 v24, v20, v22
	v_fma_f32 v32, v22, v20, -v24
	v_fmac_f32_e32 v32, v22, v18
	v_add_f32_e32 v33, v24, v32
	v_sub_f32_e32 v35, v23, v33
	v_sub_f32_e32 v23, v23, v35
	;; [unrolled: 1-line block ×4, first 2 shown]
	v_add_f32_e32 v21, v21, v23
	v_sub_f32_e32 v23, v24, v32
	v_add_f32_e32 v21, v23, v21
	v_add_f32_e32 v23, v35, v21
	v_mul_f32_e32 v24, v31, v23
	v_mul_f32_e32 v32, v20, v24
	v_fma_f32 v20, v24, v20, -v32
	v_fmac_f32_e32 v20, v24, v18
	v_sub_f32_e32 v18, v35, v23
	v_add_f32_e32 v18, v21, v18
	v_add_f32_e32 v21, v32, v20
	v_sub_f32_e32 v33, v23, v21
	v_sub_f32_e32 v23, v23, v33
	;; [unrolled: 1-line block ×4, first 2 shown]
	v_add_f32_e32 v18, v18, v21
	v_sub_f32_e32 v20, v32, v20
	v_add_f32_e32 v18, v20, v18
	v_add_f32_e32 v20, v22, v24
	;; [unrolled: 1-line block ×3, first 2 shown]
	v_sub_f32_e32 v21, v20, v22
	v_mul_f32_e32 v18, v31, v18
	v_sub_f32_e32 v21, v24, v21
	v_add_f32_e32 v18, v21, v18
	v_cvt_f32_i32_e32 v17, v17
	v_add_f32_e32 v21, v20, v18
	v_mul_f32_e32 v22, v21, v21
	v_mov_b32_e32 v23, 0x3ecc95a3
	v_fmac_f32_e32 v23, 0x3e9b6dac, v22
	v_mov_b32_e32 v24, 0x3f2aaada
	v_fmac_f32_e32 v24, v22, v23
	s_mov_b32 s4, 0x3f317218
	v_mul_f32_e32 v23, 0x3f317218, v17
	v_fma_f32 v31, v17, s4, -v23
	v_fmac_f32_e32 v31, 0xb102e308, v17
	v_sub_f32_e32 v17, v21, v20
	v_sub_f32_e32 v17, v18, v17
	v_add_f32_e32 v18, v23, v31
	v_sub_f32_e32 v20, v18, v23
	v_ldexp_f32 v23, v21, 1
	v_mul_f32_e32 v21, v21, v22
	v_mul_f32_e32 v21, v21, v24
	v_add_f32_e32 v22, v23, v21
	v_sub_f32_e32 v23, v22, v23
	v_ldexp_f32 v17, v17, 1
	v_sub_f32_e32 v21, v21, v23
	v_add_f32_e32 v17, v17, v21
	v_add_f32_e32 v21, v22, v17
	v_sub_f32_e32 v22, v21, v22
	v_sub_f32_e32 v17, v17, v22
	v_add_f32_e32 v22, v18, v21
	v_sub_f32_e32 v23, v22, v18
	v_sub_f32_e32 v24, v22, v23
	;; [unrolled: 1-line block ×5, first 2 shown]
	v_add_f32_e32 v18, v21, v18
	v_add_f32_e32 v21, v20, v17
	v_sub_f32_e32 v23, v21, v20
	v_sub_f32_e32 v24, v21, v23
	;; [unrolled: 1-line block ×4, first 2 shown]
	v_add_f32_e32 v18, v21, v18
	v_add_f32_e32 v17, v17, v20
	;; [unrolled: 1-line block ×3, first 2 shown]
	v_sub_f32_e32 v21, v20, v22
	v_sub_f32_e32 v18, v18, v21
	v_add_f32_e32 v17, v17, v18
	v_add_f32_e32 v17, v20, v17
	v_cmp_neq_f32_e64 s[4:5], s30, v7
	v_cndmask_b32_e64 v17, v19, v17, s[4:5]
	s_mov_b32 s4, 0x33800000
	v_cmp_lt_f32_e64 s[4:5], |v7|, s4
	v_cndmask_b32_e64 v7, v17, v7, s[4:5]
	v_add_f32_e32 v7, v14, v7
.LBB166_118:
	s_or_b64 exec, exec, s[28:29]
	v_max_f32_e32 v14, v7, v7
	v_min_f32_e32 v17, v14, v25
	v_cmp_u_f32_e64 s[4:5], v7, v7
	v_max_f32_e32 v14, v14, v25
	v_cndmask_b32_e64 v17, v17, v7, s[4:5]
	v_cndmask_b32_e64 v14, v14, v7, s[4:5]
	;; [unrolled: 1-line block ×4, first 2 shown]
	s_movk_i32 s30, 0x1f8
	v_cmp_neq_f32_e64 s[4:5], v17, v14
	v_cmp_class_f32_e64 s[28:29], v17, s30
	s_or_b64 s[4:5], s[4:5], s[28:29]
	v_mov_b32_e32 v8, v7
	s_and_saveexec_b64 s[28:29], s[4:5]
	s_cbranch_execz .LBB166_120
; %bb.119:
	v_sub_f32_e32 v8, v17, v14
	s_mov_b32 s4, 0x3fb8aa3b
	v_mul_f32_e32 v17, 0x3fb8aa3b, v8
	v_fma_f32 v18, v8, s4, -v17
	v_rndne_f32_e32 v19, v17
	v_fmac_f32_e32 v18, 0x32a5705f, v8
	v_sub_f32_e32 v17, v17, v19
	v_add_f32_e32 v17, v17, v18
	v_exp_f32_e32 v17, v17
	v_cvt_i32_f32_e32 v18, v19
	s_mov_b32 s4, 0xc2ce8ed0
	v_cmp_ngt_f32_e64 s[4:5], s4, v8
	v_mov_b32_e32 v19, 0x7f800000
	v_ldexp_f32 v17, v17, v18
	v_cndmask_b32_e64 v17, 0, v17, s[4:5]
	s_mov_b32 s4, 0x42b17218
	v_cmp_nlt_f32_e64 s[4:5], s4, v8
	v_cndmask_b32_e64 v8, v19, v17, s[4:5]
	v_add_f32_e32 v20, 1.0, v8
	v_cvt_f64_f32_e32 v[17:18], v20
	v_add_f32_e32 v21, -1.0, v20
	v_sub_f32_e32 v22, v21, v20
	v_sub_f32_e32 v21, v8, v21
	v_frexp_exp_i32_f64_e32 v17, v[17:18]
	v_add_f32_e32 v18, 1.0, v22
	v_add_f32_e32 v18, v21, v18
	v_frexp_mant_f32_e32 v21, v20
	s_mov_b32 s4, 0x3f2aaaab
	v_cmp_gt_f32_e64 s[4:5], s4, v21
	s_mov_b32 s31, 0x7f800000
	v_subbrev_co_u32_e64 v17, s[4:5], 0, v17, s[4:5]
	v_sub_u32_e32 v21, 0, v17
	v_ldexp_f32 v20, v20, v21
	v_ldexp_f32 v18, v18, v21
	v_add_f32_e32 v21, -1.0, v20
	v_add_f32_e32 v24, 1.0, v20
	v_add_f32_e32 v22, 1.0, v21
	v_add_f32_e32 v25, -1.0, v24
	v_sub_f32_e32 v22, v20, v22
	v_sub_f32_e32 v20, v20, v25
	v_add_f32_e32 v22, v18, v22
	v_add_f32_e32 v18, v18, v20
	;; [unrolled: 1-line block ×3, first 2 shown]
	v_rcp_f32_e32 v25, v20
	v_add_f32_e32 v23, v21, v22
	v_sub_f32_e32 v21, v21, v23
	v_add_f32_e32 v21, v22, v21
	v_sub_f32_e32 v22, v24, v20
	v_add_f32_e32 v18, v18, v22
	v_mul_f32_e32 v22, v23, v25
	v_mul_f32_e32 v24, v20, v22
	v_fma_f32 v31, v22, v20, -v24
	v_fmac_f32_e32 v31, v22, v18
	v_add_f32_e32 v32, v24, v31
	v_sub_f32_e32 v33, v23, v32
	v_sub_f32_e32 v23, v23, v33
	;; [unrolled: 1-line block ×4, first 2 shown]
	v_add_f32_e32 v21, v21, v23
	v_sub_f32_e32 v23, v24, v31
	v_add_f32_e32 v21, v23, v21
	v_add_f32_e32 v23, v33, v21
	v_mul_f32_e32 v24, v25, v23
	v_mul_f32_e32 v31, v20, v24
	v_fma_f32 v20, v24, v20, -v31
	v_fmac_f32_e32 v20, v24, v18
	v_sub_f32_e32 v18, v33, v23
	v_add_f32_e32 v18, v21, v18
	v_add_f32_e32 v21, v31, v20
	v_sub_f32_e32 v32, v23, v21
	v_sub_f32_e32 v23, v23, v32
	;; [unrolled: 1-line block ×4, first 2 shown]
	v_add_f32_e32 v18, v18, v21
	v_sub_f32_e32 v20, v31, v20
	v_add_f32_e32 v18, v20, v18
	v_add_f32_e32 v20, v22, v24
	;; [unrolled: 1-line block ×3, first 2 shown]
	v_sub_f32_e32 v21, v20, v22
	v_mul_f32_e32 v18, v25, v18
	v_sub_f32_e32 v21, v24, v21
	v_add_f32_e32 v18, v21, v18
	v_cvt_f32_i32_e32 v17, v17
	v_add_f32_e32 v21, v20, v18
	v_mul_f32_e32 v22, v21, v21
	v_mov_b32_e32 v23, 0x3ecc95a3
	v_fmac_f32_e32 v23, 0x3e9b6dac, v22
	v_mov_b32_e32 v24, 0x3f2aaada
	v_fmac_f32_e32 v24, v22, v23
	s_mov_b32 s4, 0x3f317218
	v_mul_f32_e32 v23, 0x3f317218, v17
	v_fma_f32 v25, v17, s4, -v23
	v_fmac_f32_e32 v25, 0xb102e308, v17
	v_sub_f32_e32 v17, v21, v20
	v_sub_f32_e32 v17, v18, v17
	v_add_f32_e32 v18, v23, v25
	v_sub_f32_e32 v20, v18, v23
	v_ldexp_f32 v23, v21, 1
	v_mul_f32_e32 v21, v21, v22
	v_mul_f32_e32 v21, v21, v24
	v_add_f32_e32 v22, v23, v21
	v_sub_f32_e32 v23, v22, v23
	v_ldexp_f32 v17, v17, 1
	v_sub_f32_e32 v21, v21, v23
	v_add_f32_e32 v17, v17, v21
	v_add_f32_e32 v21, v22, v17
	v_sub_f32_e32 v22, v21, v22
	v_sub_f32_e32 v17, v17, v22
	v_add_f32_e32 v22, v18, v21
	v_sub_f32_e32 v23, v22, v18
	v_sub_f32_e32 v24, v22, v23
	;; [unrolled: 1-line block ×5, first 2 shown]
	v_add_f32_e32 v18, v21, v18
	v_add_f32_e32 v21, v20, v17
	v_sub_f32_e32 v23, v21, v20
	v_sub_f32_e32 v24, v21, v23
	;; [unrolled: 1-line block ×4, first 2 shown]
	v_add_f32_e32 v18, v21, v18
	v_add_f32_e32 v17, v17, v20
	;; [unrolled: 1-line block ×3, first 2 shown]
	v_sub_f32_e32 v21, v20, v22
	v_sub_f32_e32 v18, v18, v21
	v_add_f32_e32 v17, v17, v18
	v_add_f32_e32 v17, v20, v17
	v_cmp_neq_f32_e64 s[4:5], s31, v8
	v_cndmask_b32_e64 v17, v19, v17, s[4:5]
	s_mov_b32 s4, 0x33800000
	v_cmp_lt_f32_e64 s[4:5], |v8|, s4
	v_cndmask_b32_e64 v8, v17, v8, s[4:5]
	v_add_f32_e32 v8, v14, v8
.LBB166_120:
	s_or_b64 exec, exec, s[28:29]
	v_max_f32_e32 v14, v8, v8
	v_min_f32_e32 v17, v14, v26
	v_cmp_u_f32_e64 s[4:5], v8, v8
	v_max_f32_e32 v14, v14, v26
	v_cndmask_b32_e64 v17, v17, v8, s[4:5]
	v_cndmask_b32_e64 v14, v14, v8, s[4:5]
	;; [unrolled: 1-line block ×4, first 2 shown]
	v_cmp_neq_f32_e64 s[4:5], v17, v14
	v_cmp_class_f32_e64 s[28:29], v17, s30
	s_or_b64 s[4:5], s[4:5], s[28:29]
	v_mov_b32_e32 v5, v8
	s_and_saveexec_b64 s[28:29], s[4:5]
	s_cbranch_execz .LBB166_122
; %bb.121:
	v_sub_f32_e32 v5, v17, v14
	s_mov_b32 s4, 0x3fb8aa3b
	v_mul_f32_e32 v17, 0x3fb8aa3b, v5
	v_fma_f32 v18, v5, s4, -v17
	v_rndne_f32_e32 v19, v17
	v_fmac_f32_e32 v18, 0x32a5705f, v5
	v_sub_f32_e32 v17, v17, v19
	v_add_f32_e32 v17, v17, v18
	v_exp_f32_e32 v17, v17
	v_cvt_i32_f32_e32 v18, v19
	s_mov_b32 s4, 0xc2ce8ed0
	v_cmp_ngt_f32_e64 s[4:5], s4, v5
	v_mov_b32_e32 v19, 0x7f800000
	v_ldexp_f32 v17, v17, v18
	v_cndmask_b32_e64 v17, 0, v17, s[4:5]
	s_mov_b32 s4, 0x42b17218
	v_cmp_nlt_f32_e64 s[4:5], s4, v5
	v_cndmask_b32_e64 v5, v19, v17, s[4:5]
	v_add_f32_e32 v20, 1.0, v5
	v_cvt_f64_f32_e32 v[17:18], v20
	v_add_f32_e32 v21, -1.0, v20
	v_sub_f32_e32 v22, v21, v20
	v_sub_f32_e32 v21, v5, v21
	v_frexp_exp_i32_f64_e32 v17, v[17:18]
	v_add_f32_e32 v18, 1.0, v22
	v_add_f32_e32 v18, v21, v18
	v_frexp_mant_f32_e32 v21, v20
	s_mov_b32 s4, 0x3f2aaaab
	v_cmp_gt_f32_e64 s[4:5], s4, v21
	s_mov_b32 s30, 0x7f800000
	v_subbrev_co_u32_e64 v17, s[4:5], 0, v17, s[4:5]
	v_sub_u32_e32 v21, 0, v17
	v_ldexp_f32 v20, v20, v21
	v_ldexp_f32 v18, v18, v21
	v_add_f32_e32 v21, -1.0, v20
	v_add_f32_e32 v24, 1.0, v20
	v_add_f32_e32 v22, 1.0, v21
	v_add_f32_e32 v25, -1.0, v24
	v_sub_f32_e32 v22, v20, v22
	v_sub_f32_e32 v20, v20, v25
	v_add_f32_e32 v22, v18, v22
	v_add_f32_e32 v18, v18, v20
	;; [unrolled: 1-line block ×3, first 2 shown]
	v_rcp_f32_e32 v25, v20
	v_add_f32_e32 v23, v21, v22
	v_sub_f32_e32 v21, v21, v23
	v_add_f32_e32 v21, v22, v21
	v_sub_f32_e32 v22, v24, v20
	v_add_f32_e32 v18, v18, v22
	v_mul_f32_e32 v22, v23, v25
	v_mul_f32_e32 v24, v20, v22
	v_fma_f32 v26, v22, v20, -v24
	v_fmac_f32_e32 v26, v22, v18
	v_add_f32_e32 v31, v24, v26
	v_sub_f32_e32 v32, v23, v31
	v_sub_f32_e32 v23, v23, v32
	;; [unrolled: 1-line block ×4, first 2 shown]
	v_add_f32_e32 v21, v21, v23
	v_sub_f32_e32 v23, v24, v26
	v_add_f32_e32 v21, v23, v21
	v_add_f32_e32 v23, v32, v21
	v_mul_f32_e32 v24, v25, v23
	v_mul_f32_e32 v26, v20, v24
	v_fma_f32 v20, v24, v20, -v26
	v_fmac_f32_e32 v20, v24, v18
	v_sub_f32_e32 v18, v32, v23
	v_add_f32_e32 v18, v21, v18
	v_add_f32_e32 v21, v26, v20
	v_sub_f32_e32 v31, v23, v21
	v_sub_f32_e32 v23, v23, v31
	;; [unrolled: 1-line block ×4, first 2 shown]
	v_add_f32_e32 v18, v18, v21
	v_sub_f32_e32 v20, v26, v20
	v_add_f32_e32 v18, v20, v18
	v_add_f32_e32 v20, v22, v24
	;; [unrolled: 1-line block ×3, first 2 shown]
	v_sub_f32_e32 v21, v20, v22
	v_mul_f32_e32 v18, v25, v18
	v_sub_f32_e32 v21, v24, v21
	v_add_f32_e32 v18, v21, v18
	v_cvt_f32_i32_e32 v17, v17
	v_add_f32_e32 v21, v20, v18
	v_mul_f32_e32 v22, v21, v21
	v_mov_b32_e32 v23, 0x3ecc95a3
	v_fmac_f32_e32 v23, 0x3e9b6dac, v22
	v_mov_b32_e32 v24, 0x3f2aaada
	v_fmac_f32_e32 v24, v22, v23
	s_mov_b32 s4, 0x3f317218
	v_mul_f32_e32 v23, 0x3f317218, v17
	v_fma_f32 v25, v17, s4, -v23
	v_fmac_f32_e32 v25, 0xb102e308, v17
	v_sub_f32_e32 v17, v21, v20
	v_sub_f32_e32 v17, v18, v17
	v_add_f32_e32 v18, v23, v25
	v_sub_f32_e32 v20, v18, v23
	v_ldexp_f32 v23, v21, 1
	v_mul_f32_e32 v21, v21, v22
	v_mul_f32_e32 v21, v21, v24
	v_add_f32_e32 v22, v23, v21
	v_sub_f32_e32 v23, v22, v23
	v_ldexp_f32 v17, v17, 1
	v_sub_f32_e32 v21, v21, v23
	v_add_f32_e32 v17, v17, v21
	v_add_f32_e32 v21, v22, v17
	v_sub_f32_e32 v22, v21, v22
	v_sub_f32_e32 v17, v17, v22
	v_add_f32_e32 v22, v18, v21
	v_sub_f32_e32 v23, v22, v18
	v_sub_f32_e32 v24, v22, v23
	;; [unrolled: 1-line block ×5, first 2 shown]
	v_add_f32_e32 v18, v21, v18
	v_add_f32_e32 v21, v20, v17
	v_sub_f32_e32 v23, v21, v20
	v_sub_f32_e32 v24, v21, v23
	;; [unrolled: 1-line block ×4, first 2 shown]
	v_add_f32_e32 v18, v21, v18
	v_add_f32_e32 v17, v17, v20
	;; [unrolled: 1-line block ×3, first 2 shown]
	v_sub_f32_e32 v21, v20, v22
	v_sub_f32_e32 v18, v18, v21
	v_add_f32_e32 v17, v17, v18
	v_add_f32_e32 v17, v20, v17
	v_cmp_neq_f32_e64 s[4:5], s30, v5
	v_cndmask_b32_e64 v17, v19, v17, s[4:5]
	s_mov_b32 s4, 0x33800000
	v_cmp_lt_f32_e64 s[4:5], |v5|, s4
	v_cndmask_b32_e64 v5, v17, v5, s[4:5]
	v_add_f32_e32 v5, v14, v5
.LBB166_122:
	s_or_b64 exec, exec, s[28:29]
	v_max_f32_e32 v14, v5, v5
	v_min_f32_e32 v17, v14, v27
	v_cmp_u_f32_e64 s[4:5], v5, v5
	v_max_f32_e32 v14, v14, v27
	v_cndmask_b32_e64 v17, v17, v5, s[4:5]
	v_cndmask_b32_e64 v14, v14, v5, s[4:5]
	;; [unrolled: 1-line block ×4, first 2 shown]
	s_movk_i32 s30, 0x1f8
	v_cmp_neq_f32_e64 s[4:5], v17, v14
	v_cmp_class_f32_e64 s[28:29], v17, s30
	s_or_b64 s[4:5], s[4:5], s[28:29]
	v_mov_b32_e32 v6, v5
	s_and_saveexec_b64 s[28:29], s[4:5]
	s_cbranch_execz .LBB166_124
; %bb.123:
	v_sub_f32_e32 v6, v17, v14
	s_mov_b32 s4, 0x3fb8aa3b
	v_mul_f32_e32 v17, 0x3fb8aa3b, v6
	v_fma_f32 v18, v6, s4, -v17
	v_rndne_f32_e32 v19, v17
	v_fmac_f32_e32 v18, 0x32a5705f, v6
	v_sub_f32_e32 v17, v17, v19
	v_add_f32_e32 v17, v17, v18
	v_exp_f32_e32 v17, v17
	v_cvt_i32_f32_e32 v18, v19
	s_mov_b32 s4, 0xc2ce8ed0
	v_cmp_ngt_f32_e64 s[4:5], s4, v6
	v_mov_b32_e32 v19, 0x7f800000
	v_ldexp_f32 v17, v17, v18
	v_cndmask_b32_e64 v17, 0, v17, s[4:5]
	s_mov_b32 s4, 0x42b17218
	v_cmp_nlt_f32_e64 s[4:5], s4, v6
	v_cndmask_b32_e64 v6, v19, v17, s[4:5]
	v_add_f32_e32 v20, 1.0, v6
	v_cvt_f64_f32_e32 v[17:18], v20
	v_add_f32_e32 v21, -1.0, v20
	v_sub_f32_e32 v22, v21, v20
	v_sub_f32_e32 v21, v6, v21
	v_frexp_exp_i32_f64_e32 v17, v[17:18]
	v_add_f32_e32 v18, 1.0, v22
	v_add_f32_e32 v18, v21, v18
	v_frexp_mant_f32_e32 v21, v20
	s_mov_b32 s4, 0x3f2aaaab
	v_cmp_gt_f32_e64 s[4:5], s4, v21
	s_mov_b32 s31, 0x7f800000
	v_subbrev_co_u32_e64 v17, s[4:5], 0, v17, s[4:5]
	v_sub_u32_e32 v21, 0, v17
	v_ldexp_f32 v20, v20, v21
	v_ldexp_f32 v18, v18, v21
	v_add_f32_e32 v21, -1.0, v20
	v_add_f32_e32 v24, 1.0, v20
	v_add_f32_e32 v22, 1.0, v21
	v_add_f32_e32 v25, -1.0, v24
	v_sub_f32_e32 v22, v20, v22
	v_sub_f32_e32 v20, v20, v25
	v_add_f32_e32 v22, v18, v22
	v_add_f32_e32 v18, v18, v20
	;; [unrolled: 1-line block ×3, first 2 shown]
	v_rcp_f32_e32 v25, v20
	v_add_f32_e32 v23, v21, v22
	v_sub_f32_e32 v21, v21, v23
	v_add_f32_e32 v21, v22, v21
	v_sub_f32_e32 v22, v24, v20
	v_add_f32_e32 v18, v18, v22
	v_mul_f32_e32 v22, v23, v25
	v_mul_f32_e32 v24, v20, v22
	v_fma_f32 v26, v22, v20, -v24
	v_fmac_f32_e32 v26, v22, v18
	v_add_f32_e32 v27, v24, v26
	v_sub_f32_e32 v31, v23, v27
	v_sub_f32_e32 v23, v23, v31
	;; [unrolled: 1-line block ×4, first 2 shown]
	v_add_f32_e32 v21, v21, v23
	v_sub_f32_e32 v23, v24, v26
	v_add_f32_e32 v21, v23, v21
	v_add_f32_e32 v23, v31, v21
	v_mul_f32_e32 v24, v25, v23
	v_mul_f32_e32 v26, v20, v24
	v_fma_f32 v20, v24, v20, -v26
	v_fmac_f32_e32 v20, v24, v18
	v_sub_f32_e32 v18, v31, v23
	v_add_f32_e32 v18, v21, v18
	v_add_f32_e32 v21, v26, v20
	v_sub_f32_e32 v27, v23, v21
	v_sub_f32_e32 v23, v23, v27
	;; [unrolled: 1-line block ×4, first 2 shown]
	v_add_f32_e32 v18, v18, v21
	v_sub_f32_e32 v20, v26, v20
	v_add_f32_e32 v18, v20, v18
	v_add_f32_e32 v20, v22, v24
	;; [unrolled: 1-line block ×3, first 2 shown]
	v_sub_f32_e32 v21, v20, v22
	v_mul_f32_e32 v18, v25, v18
	v_sub_f32_e32 v21, v24, v21
	v_add_f32_e32 v18, v21, v18
	v_cvt_f32_i32_e32 v17, v17
	v_add_f32_e32 v21, v20, v18
	v_mul_f32_e32 v22, v21, v21
	v_mov_b32_e32 v23, 0x3ecc95a3
	v_fmac_f32_e32 v23, 0x3e9b6dac, v22
	v_mov_b32_e32 v24, 0x3f2aaada
	v_fmac_f32_e32 v24, v22, v23
	s_mov_b32 s4, 0x3f317218
	v_mul_f32_e32 v23, 0x3f317218, v17
	v_fma_f32 v25, v17, s4, -v23
	v_fmac_f32_e32 v25, 0xb102e308, v17
	v_sub_f32_e32 v17, v21, v20
	v_sub_f32_e32 v17, v18, v17
	v_add_f32_e32 v18, v23, v25
	v_sub_f32_e32 v20, v18, v23
	v_ldexp_f32 v23, v21, 1
	v_mul_f32_e32 v21, v21, v22
	v_mul_f32_e32 v21, v21, v24
	v_add_f32_e32 v22, v23, v21
	v_sub_f32_e32 v23, v22, v23
	v_ldexp_f32 v17, v17, 1
	v_sub_f32_e32 v21, v21, v23
	v_add_f32_e32 v17, v17, v21
	v_add_f32_e32 v21, v22, v17
	v_sub_f32_e32 v22, v21, v22
	v_sub_f32_e32 v17, v17, v22
	v_add_f32_e32 v22, v18, v21
	v_sub_f32_e32 v23, v22, v18
	v_sub_f32_e32 v24, v22, v23
	;; [unrolled: 1-line block ×5, first 2 shown]
	v_add_f32_e32 v18, v21, v18
	v_add_f32_e32 v21, v20, v17
	v_sub_f32_e32 v23, v21, v20
	v_sub_f32_e32 v24, v21, v23
	;; [unrolled: 1-line block ×4, first 2 shown]
	v_add_f32_e32 v18, v21, v18
	v_add_f32_e32 v17, v17, v20
	;; [unrolled: 1-line block ×3, first 2 shown]
	v_sub_f32_e32 v21, v20, v22
	v_sub_f32_e32 v18, v18, v21
	v_add_f32_e32 v17, v17, v18
	v_add_f32_e32 v17, v20, v17
	v_cmp_neq_f32_e64 s[4:5], s31, v6
	v_cndmask_b32_e64 v17, v19, v17, s[4:5]
	s_mov_b32 s4, 0x33800000
	v_cmp_lt_f32_e64 s[4:5], |v6|, s4
	v_cndmask_b32_e64 v6, v17, v6, s[4:5]
	v_add_f32_e32 v6, v14, v6
.LBB166_124:
	s_or_b64 exec, exec, s[28:29]
	v_max_f32_e32 v14, v6, v6
	v_min_f32_e32 v17, v14, v28
	v_cmp_u_f32_e64 s[4:5], v6, v6
	v_max_f32_e32 v14, v14, v28
	v_cndmask_b32_e64 v17, v17, v6, s[4:5]
	v_cndmask_b32_e64 v14, v14, v6, s[4:5]
	;; [unrolled: 1-line block ×4, first 2 shown]
	v_cmp_neq_f32_e64 s[4:5], v17, v14
	v_cmp_class_f32_e64 s[28:29], v17, s30
	s_or_b64 s[4:5], s[4:5], s[28:29]
	v_mov_b32_e32 v3, v6
	s_and_saveexec_b64 s[28:29], s[4:5]
	s_cbranch_execz .LBB166_126
; %bb.125:
	v_sub_f32_e32 v3, v17, v14
	s_mov_b32 s4, 0x3fb8aa3b
	v_mul_f32_e32 v17, 0x3fb8aa3b, v3
	v_fma_f32 v18, v3, s4, -v17
	v_rndne_f32_e32 v19, v17
	v_fmac_f32_e32 v18, 0x32a5705f, v3
	v_sub_f32_e32 v17, v17, v19
	v_add_f32_e32 v17, v17, v18
	v_exp_f32_e32 v17, v17
	v_cvt_i32_f32_e32 v18, v19
	s_mov_b32 s4, 0xc2ce8ed0
	v_cmp_ngt_f32_e64 s[4:5], s4, v3
	v_mov_b32_e32 v19, 0x7f800000
	v_ldexp_f32 v17, v17, v18
	v_cndmask_b32_e64 v17, 0, v17, s[4:5]
	s_mov_b32 s4, 0x42b17218
	v_cmp_nlt_f32_e64 s[4:5], s4, v3
	v_cndmask_b32_e64 v3, v19, v17, s[4:5]
	v_add_f32_e32 v20, 1.0, v3
	v_cvt_f64_f32_e32 v[17:18], v20
	v_add_f32_e32 v21, -1.0, v20
	v_sub_f32_e32 v22, v21, v20
	v_sub_f32_e32 v21, v3, v21
	v_frexp_exp_i32_f64_e32 v17, v[17:18]
	v_add_f32_e32 v18, 1.0, v22
	v_add_f32_e32 v18, v21, v18
	v_frexp_mant_f32_e32 v21, v20
	s_mov_b32 s4, 0x3f2aaaab
	v_cmp_gt_f32_e64 s[4:5], s4, v21
	s_mov_b32 s30, 0x7f800000
	v_subbrev_co_u32_e64 v17, s[4:5], 0, v17, s[4:5]
	v_sub_u32_e32 v21, 0, v17
	v_ldexp_f32 v20, v20, v21
	v_ldexp_f32 v18, v18, v21
	v_add_f32_e32 v21, -1.0, v20
	v_add_f32_e32 v24, 1.0, v20
	v_add_f32_e32 v22, 1.0, v21
	v_add_f32_e32 v25, -1.0, v24
	v_sub_f32_e32 v22, v20, v22
	v_sub_f32_e32 v20, v20, v25
	v_add_f32_e32 v22, v18, v22
	v_add_f32_e32 v18, v18, v20
	v_add_f32_e32 v20, v24, v18
	v_rcp_f32_e32 v25, v20
	v_add_f32_e32 v23, v21, v22
	v_sub_f32_e32 v21, v21, v23
	v_add_f32_e32 v21, v22, v21
	v_sub_f32_e32 v22, v24, v20
	v_add_f32_e32 v18, v18, v22
	v_mul_f32_e32 v22, v23, v25
	v_mul_f32_e32 v24, v20, v22
	v_fma_f32 v26, v22, v20, -v24
	v_fmac_f32_e32 v26, v22, v18
	v_add_f32_e32 v27, v24, v26
	v_sub_f32_e32 v28, v23, v27
	v_sub_f32_e32 v23, v23, v28
	;; [unrolled: 1-line block ×4, first 2 shown]
	v_add_f32_e32 v21, v21, v23
	v_sub_f32_e32 v23, v24, v26
	v_add_f32_e32 v21, v23, v21
	v_add_f32_e32 v23, v28, v21
	v_mul_f32_e32 v24, v25, v23
	v_mul_f32_e32 v26, v20, v24
	v_fma_f32 v20, v24, v20, -v26
	v_fmac_f32_e32 v20, v24, v18
	v_sub_f32_e32 v18, v28, v23
	v_add_f32_e32 v18, v21, v18
	v_add_f32_e32 v21, v26, v20
	v_sub_f32_e32 v27, v23, v21
	v_sub_f32_e32 v23, v23, v27
	;; [unrolled: 1-line block ×4, first 2 shown]
	v_add_f32_e32 v18, v18, v21
	v_sub_f32_e32 v20, v26, v20
	v_add_f32_e32 v18, v20, v18
	v_add_f32_e32 v20, v22, v24
	;; [unrolled: 1-line block ×3, first 2 shown]
	v_sub_f32_e32 v21, v20, v22
	v_mul_f32_e32 v18, v25, v18
	v_sub_f32_e32 v21, v24, v21
	v_add_f32_e32 v18, v21, v18
	v_cvt_f32_i32_e32 v17, v17
	v_add_f32_e32 v21, v20, v18
	v_mul_f32_e32 v22, v21, v21
	v_mov_b32_e32 v23, 0x3ecc95a3
	v_fmac_f32_e32 v23, 0x3e9b6dac, v22
	v_mov_b32_e32 v24, 0x3f2aaada
	v_fmac_f32_e32 v24, v22, v23
	s_mov_b32 s4, 0x3f317218
	v_mul_f32_e32 v23, 0x3f317218, v17
	v_fma_f32 v25, v17, s4, -v23
	v_fmac_f32_e32 v25, 0xb102e308, v17
	v_sub_f32_e32 v17, v21, v20
	v_sub_f32_e32 v17, v18, v17
	v_add_f32_e32 v18, v23, v25
	v_sub_f32_e32 v20, v18, v23
	v_ldexp_f32 v23, v21, 1
	v_mul_f32_e32 v21, v21, v22
	v_mul_f32_e32 v21, v21, v24
	v_add_f32_e32 v22, v23, v21
	v_sub_f32_e32 v23, v22, v23
	v_ldexp_f32 v17, v17, 1
	v_sub_f32_e32 v21, v21, v23
	v_add_f32_e32 v17, v17, v21
	v_add_f32_e32 v21, v22, v17
	v_sub_f32_e32 v22, v21, v22
	v_sub_f32_e32 v17, v17, v22
	v_add_f32_e32 v22, v18, v21
	v_sub_f32_e32 v23, v22, v18
	v_sub_f32_e32 v24, v22, v23
	;; [unrolled: 1-line block ×5, first 2 shown]
	v_add_f32_e32 v18, v21, v18
	v_add_f32_e32 v21, v20, v17
	v_sub_f32_e32 v23, v21, v20
	v_sub_f32_e32 v24, v21, v23
	;; [unrolled: 1-line block ×4, first 2 shown]
	v_add_f32_e32 v18, v21, v18
	v_add_f32_e32 v17, v17, v20
	;; [unrolled: 1-line block ×3, first 2 shown]
	v_sub_f32_e32 v21, v20, v22
	v_sub_f32_e32 v18, v18, v21
	v_add_f32_e32 v17, v17, v18
	v_add_f32_e32 v17, v20, v17
	v_cmp_neq_f32_e64 s[4:5], s30, v3
	v_cndmask_b32_e64 v17, v19, v17, s[4:5]
	s_mov_b32 s4, 0x33800000
	v_cmp_lt_f32_e64 s[4:5], |v3|, s4
	v_cndmask_b32_e64 v3, v17, v3, s[4:5]
	v_add_f32_e32 v3, v14, v3
.LBB166_126:
	s_or_b64 exec, exec, s[28:29]
	v_max_f32_e32 v14, v3, v3
	v_min_f32_e32 v17, v14, v29
	v_cmp_u_f32_e64 s[4:5], v3, v3
	v_max_f32_e32 v14, v14, v29
	v_cndmask_b32_e64 v17, v17, v3, s[4:5]
	v_cndmask_b32_e64 v14, v14, v3, s[4:5]
	;; [unrolled: 1-line block ×4, first 2 shown]
	s_movk_i32 s30, 0x1f8
	v_cmp_neq_f32_e64 s[4:5], v17, v14
	v_cmp_class_f32_e64 s[28:29], v17, s30
	s_or_b64 s[4:5], s[4:5], s[28:29]
	v_mov_b32_e32 v4, v3
	s_and_saveexec_b64 s[28:29], s[4:5]
	s_cbranch_execz .LBB166_128
; %bb.127:
	v_sub_f32_e32 v4, v17, v14
	s_mov_b32 s4, 0x3fb8aa3b
	v_mul_f32_e32 v17, 0x3fb8aa3b, v4
	v_fma_f32 v18, v4, s4, -v17
	v_rndne_f32_e32 v19, v17
	v_fmac_f32_e32 v18, 0x32a5705f, v4
	v_sub_f32_e32 v17, v17, v19
	v_add_f32_e32 v17, v17, v18
	v_exp_f32_e32 v17, v17
	v_cvt_i32_f32_e32 v18, v19
	s_mov_b32 s4, 0xc2ce8ed0
	v_cmp_ngt_f32_e64 s[4:5], s4, v4
	v_mov_b32_e32 v19, 0x7f800000
	v_ldexp_f32 v17, v17, v18
	v_cndmask_b32_e64 v17, 0, v17, s[4:5]
	s_mov_b32 s4, 0x42b17218
	v_cmp_nlt_f32_e64 s[4:5], s4, v4
	v_cndmask_b32_e64 v4, v19, v17, s[4:5]
	v_add_f32_e32 v20, 1.0, v4
	v_cvt_f64_f32_e32 v[17:18], v20
	v_add_f32_e32 v21, -1.0, v20
	v_sub_f32_e32 v22, v21, v20
	v_sub_f32_e32 v21, v4, v21
	v_frexp_exp_i32_f64_e32 v17, v[17:18]
	v_add_f32_e32 v18, 1.0, v22
	v_add_f32_e32 v18, v21, v18
	v_frexp_mant_f32_e32 v21, v20
	s_mov_b32 s4, 0x3f2aaaab
	v_cmp_gt_f32_e64 s[4:5], s4, v21
	s_mov_b32 s31, 0x7f800000
	v_subbrev_co_u32_e64 v17, s[4:5], 0, v17, s[4:5]
	v_sub_u32_e32 v21, 0, v17
	v_ldexp_f32 v20, v20, v21
	v_ldexp_f32 v18, v18, v21
	v_add_f32_e32 v21, -1.0, v20
	v_add_f32_e32 v24, 1.0, v20
	v_add_f32_e32 v22, 1.0, v21
	v_add_f32_e32 v25, -1.0, v24
	v_sub_f32_e32 v22, v20, v22
	v_sub_f32_e32 v20, v20, v25
	v_add_f32_e32 v22, v18, v22
	v_add_f32_e32 v18, v18, v20
	;; [unrolled: 1-line block ×3, first 2 shown]
	v_rcp_f32_e32 v25, v20
	v_add_f32_e32 v23, v21, v22
	v_sub_f32_e32 v21, v21, v23
	v_add_f32_e32 v21, v22, v21
	v_sub_f32_e32 v22, v24, v20
	v_add_f32_e32 v18, v18, v22
	v_mul_f32_e32 v22, v23, v25
	v_mul_f32_e32 v24, v20, v22
	v_fma_f32 v26, v22, v20, -v24
	v_fmac_f32_e32 v26, v22, v18
	v_add_f32_e32 v27, v24, v26
	v_sub_f32_e32 v28, v23, v27
	v_sub_f32_e32 v23, v23, v28
	;; [unrolled: 1-line block ×4, first 2 shown]
	v_add_f32_e32 v21, v21, v23
	v_sub_f32_e32 v23, v24, v26
	v_add_f32_e32 v21, v23, v21
	v_add_f32_e32 v23, v28, v21
	v_mul_f32_e32 v24, v25, v23
	v_mul_f32_e32 v26, v20, v24
	v_fma_f32 v20, v24, v20, -v26
	v_fmac_f32_e32 v20, v24, v18
	v_sub_f32_e32 v18, v28, v23
	v_add_f32_e32 v18, v21, v18
	v_add_f32_e32 v21, v26, v20
	v_sub_f32_e32 v27, v23, v21
	v_sub_f32_e32 v23, v23, v27
	;; [unrolled: 1-line block ×4, first 2 shown]
	v_add_f32_e32 v18, v18, v21
	v_sub_f32_e32 v20, v26, v20
	v_add_f32_e32 v18, v20, v18
	v_add_f32_e32 v20, v22, v24
	;; [unrolled: 1-line block ×3, first 2 shown]
	v_sub_f32_e32 v21, v20, v22
	v_mul_f32_e32 v18, v25, v18
	v_sub_f32_e32 v21, v24, v21
	v_add_f32_e32 v18, v21, v18
	v_cvt_f32_i32_e32 v17, v17
	v_add_f32_e32 v21, v20, v18
	v_mul_f32_e32 v22, v21, v21
	v_mov_b32_e32 v23, 0x3ecc95a3
	v_fmac_f32_e32 v23, 0x3e9b6dac, v22
	v_mov_b32_e32 v24, 0x3f2aaada
	v_fmac_f32_e32 v24, v22, v23
	s_mov_b32 s4, 0x3f317218
	v_mul_f32_e32 v23, 0x3f317218, v17
	v_fma_f32 v25, v17, s4, -v23
	v_fmac_f32_e32 v25, 0xb102e308, v17
	v_sub_f32_e32 v17, v21, v20
	v_sub_f32_e32 v17, v18, v17
	v_add_f32_e32 v18, v23, v25
	v_sub_f32_e32 v20, v18, v23
	v_ldexp_f32 v23, v21, 1
	v_mul_f32_e32 v21, v21, v22
	v_mul_f32_e32 v21, v21, v24
	v_add_f32_e32 v22, v23, v21
	v_sub_f32_e32 v23, v22, v23
	v_ldexp_f32 v17, v17, 1
	v_sub_f32_e32 v21, v21, v23
	v_add_f32_e32 v17, v17, v21
	v_add_f32_e32 v21, v22, v17
	v_sub_f32_e32 v22, v21, v22
	v_sub_f32_e32 v17, v17, v22
	v_add_f32_e32 v22, v18, v21
	v_sub_f32_e32 v23, v22, v18
	v_sub_f32_e32 v24, v22, v23
	;; [unrolled: 1-line block ×5, first 2 shown]
	v_add_f32_e32 v18, v21, v18
	v_add_f32_e32 v21, v20, v17
	v_sub_f32_e32 v23, v21, v20
	v_sub_f32_e32 v24, v21, v23
	;; [unrolled: 1-line block ×4, first 2 shown]
	v_add_f32_e32 v18, v21, v18
	v_add_f32_e32 v17, v17, v20
	;; [unrolled: 1-line block ×3, first 2 shown]
	v_sub_f32_e32 v21, v20, v22
	v_sub_f32_e32 v18, v18, v21
	v_add_f32_e32 v17, v17, v18
	v_add_f32_e32 v17, v20, v17
	v_cmp_neq_f32_e64 s[4:5], s31, v4
	v_cndmask_b32_e64 v17, v19, v17, s[4:5]
	s_mov_b32 s4, 0x33800000
	v_cmp_lt_f32_e64 s[4:5], |v4|, s4
	v_cndmask_b32_e64 v4, v17, v4, s[4:5]
	v_add_f32_e32 v4, v14, v4
.LBB166_128:
	s_or_b64 exec, exec, s[28:29]
	v_max_f32_e32 v14, v4, v4
	v_min_f32_e32 v17, v14, v30
	v_cmp_u_f32_e64 s[4:5], v4, v4
	v_max_f32_e32 v14, v14, v30
	v_cndmask_b32_e64 v17, v17, v4, s[4:5]
	v_cndmask_b32_e64 v14, v14, v4, s[4:5]
	;; [unrolled: 1-line block ×4, first 2 shown]
	v_cmp_neq_f32_e64 s[4:5], v17, v14
	v_cmp_class_f32_e64 s[28:29], v17, s30
	s_or_b64 s[4:5], s[4:5], s[28:29]
	v_mov_b32_e32 v15, v4
	s_and_saveexec_b64 s[28:29], s[4:5]
	s_cbranch_execz .LBB166_130
; %bb.129:
	v_sub_f32_e32 v15, v17, v14
	s_mov_b32 s4, 0x3fb8aa3b
	v_mul_f32_e32 v17, 0x3fb8aa3b, v15
	v_fma_f32 v18, v15, s4, -v17
	v_rndne_f32_e32 v19, v17
	v_fmac_f32_e32 v18, 0x32a5705f, v15
	v_sub_f32_e32 v17, v17, v19
	v_add_f32_e32 v17, v17, v18
	v_exp_f32_e32 v17, v17
	v_cvt_i32_f32_e32 v18, v19
	s_mov_b32 s4, 0xc2ce8ed0
	v_cmp_ngt_f32_e64 s[4:5], s4, v15
	v_mov_b32_e32 v19, 0x7f800000
	v_ldexp_f32 v17, v17, v18
	v_cndmask_b32_e64 v17, 0, v17, s[4:5]
	s_mov_b32 s4, 0x42b17218
	v_cmp_nlt_f32_e64 s[4:5], s4, v15
	v_cndmask_b32_e64 v15, v19, v17, s[4:5]
	v_add_f32_e32 v20, 1.0, v15
	v_cvt_f64_f32_e32 v[17:18], v20
	v_add_f32_e32 v21, -1.0, v20
	v_sub_f32_e32 v22, v21, v20
	v_sub_f32_e32 v21, v15, v21
	v_frexp_exp_i32_f64_e32 v17, v[17:18]
	v_add_f32_e32 v18, 1.0, v22
	v_add_f32_e32 v18, v21, v18
	v_frexp_mant_f32_e32 v21, v20
	s_mov_b32 s4, 0x3f2aaaab
	v_cmp_gt_f32_e64 s[4:5], s4, v21
	s_mov_b32 s30, 0x7f800000
	v_subbrev_co_u32_e64 v17, s[4:5], 0, v17, s[4:5]
	v_sub_u32_e32 v21, 0, v17
	v_ldexp_f32 v20, v20, v21
	v_ldexp_f32 v18, v18, v21
	v_add_f32_e32 v21, -1.0, v20
	v_add_f32_e32 v24, 1.0, v20
	v_add_f32_e32 v22, 1.0, v21
	v_add_f32_e32 v25, -1.0, v24
	v_sub_f32_e32 v22, v20, v22
	v_sub_f32_e32 v20, v20, v25
	v_add_f32_e32 v22, v18, v22
	v_add_f32_e32 v18, v18, v20
	;; [unrolled: 1-line block ×3, first 2 shown]
	v_rcp_f32_e32 v25, v20
	v_add_f32_e32 v23, v21, v22
	v_sub_f32_e32 v21, v21, v23
	v_add_f32_e32 v21, v22, v21
	v_sub_f32_e32 v22, v24, v20
	v_add_f32_e32 v18, v18, v22
	v_mul_f32_e32 v22, v23, v25
	v_mul_f32_e32 v24, v20, v22
	v_fma_f32 v26, v22, v20, -v24
	v_fmac_f32_e32 v26, v22, v18
	v_add_f32_e32 v27, v24, v26
	v_sub_f32_e32 v28, v23, v27
	v_sub_f32_e32 v23, v23, v28
	;; [unrolled: 1-line block ×4, first 2 shown]
	v_add_f32_e32 v21, v21, v23
	v_sub_f32_e32 v23, v24, v26
	v_add_f32_e32 v21, v23, v21
	v_add_f32_e32 v23, v28, v21
	v_mul_f32_e32 v24, v25, v23
	v_mul_f32_e32 v26, v20, v24
	v_fma_f32 v20, v24, v20, -v26
	v_fmac_f32_e32 v20, v24, v18
	v_sub_f32_e32 v18, v28, v23
	v_add_f32_e32 v18, v21, v18
	v_add_f32_e32 v21, v26, v20
	v_sub_f32_e32 v27, v23, v21
	v_sub_f32_e32 v23, v23, v27
	;; [unrolled: 1-line block ×4, first 2 shown]
	v_add_f32_e32 v18, v18, v21
	v_sub_f32_e32 v20, v26, v20
	v_add_f32_e32 v18, v20, v18
	v_add_f32_e32 v20, v22, v24
	;; [unrolled: 1-line block ×3, first 2 shown]
	v_sub_f32_e32 v21, v20, v22
	v_mul_f32_e32 v18, v25, v18
	v_sub_f32_e32 v21, v24, v21
	v_add_f32_e32 v18, v21, v18
	v_cvt_f32_i32_e32 v17, v17
	v_add_f32_e32 v21, v20, v18
	v_mul_f32_e32 v22, v21, v21
	v_mov_b32_e32 v23, 0x3ecc95a3
	v_fmac_f32_e32 v23, 0x3e9b6dac, v22
	v_mov_b32_e32 v24, 0x3f2aaada
	v_fmac_f32_e32 v24, v22, v23
	s_mov_b32 s4, 0x3f317218
	v_mul_f32_e32 v23, 0x3f317218, v17
	v_fma_f32 v25, v17, s4, -v23
	v_fmac_f32_e32 v25, 0xb102e308, v17
	v_sub_f32_e32 v17, v21, v20
	v_sub_f32_e32 v17, v18, v17
	v_add_f32_e32 v18, v23, v25
	v_sub_f32_e32 v20, v18, v23
	v_ldexp_f32 v23, v21, 1
	v_mul_f32_e32 v21, v21, v22
	v_mul_f32_e32 v21, v21, v24
	v_add_f32_e32 v22, v23, v21
	v_sub_f32_e32 v23, v22, v23
	v_ldexp_f32 v17, v17, 1
	v_sub_f32_e32 v21, v21, v23
	v_add_f32_e32 v17, v17, v21
	v_add_f32_e32 v21, v22, v17
	v_sub_f32_e32 v22, v21, v22
	v_sub_f32_e32 v17, v17, v22
	v_add_f32_e32 v22, v18, v21
	v_sub_f32_e32 v23, v22, v18
	v_sub_f32_e32 v24, v22, v23
	;; [unrolled: 1-line block ×5, first 2 shown]
	v_add_f32_e32 v18, v21, v18
	v_add_f32_e32 v21, v20, v17
	v_sub_f32_e32 v23, v21, v20
	v_sub_f32_e32 v24, v21, v23
	;; [unrolled: 1-line block ×4, first 2 shown]
	v_add_f32_e32 v18, v21, v18
	v_add_f32_e32 v17, v17, v20
	;; [unrolled: 1-line block ×3, first 2 shown]
	v_sub_f32_e32 v21, v20, v22
	v_sub_f32_e32 v18, v18, v21
	v_add_f32_e32 v17, v17, v18
	v_add_f32_e32 v17, v20, v17
	v_cmp_neq_f32_e64 s[4:5], s30, v15
	v_cndmask_b32_e64 v17, v19, v17, s[4:5]
	s_mov_b32 s4, 0x33800000
	v_cmp_lt_f32_e64 s[4:5], |v15|, s4
	v_cndmask_b32_e64 v15, v17, v15, s[4:5]
	v_add_f32_e32 v15, v14, v15
.LBB166_130:
	s_or_b64 exec, exec, s[28:29]
	v_add_u32_e32 v14, v16, v34
	s_waitcnt lgkmcnt(0)
	s_barrier
	ds_write2_b32 v14, v1, v0 offset1:1
	ds_write2_b32 v14, v2, v13 offset0:2 offset1:3
	ds_write2_b32 v14, v11, v12 offset0:4 offset1:5
	;; [unrolled: 1-line block ×6, first 2 shown]
	ds_write_b32 v14, v15 offset:56
	s_waitcnt lgkmcnt(0)
	s_barrier
	ds_read2st64_b32 v[14:15], v16 offset0:4 offset1:8
	ds_read2st64_b32 v[12:13], v16 offset0:12 offset1:16
	;; [unrolled: 1-line block ×7, first 2 shown]
	v_mov_b32_e32 v3, s65
	v_add_co_u32_e64 v2, s[4:5], s64, v16
	v_addc_co_u32_e64 v3, s[4:5], 0, v3, s[4:5]
	s_and_saveexec_b64 s[4:5], vcc
	s_cbranch_execnz .LBB166_146
; %bb.131:
	s_or_b64 exec, exec, s[4:5]
	s_and_saveexec_b64 s[4:5], s[0:1]
	s_cbranch_execnz .LBB166_147
.LBB166_132:
	s_or_b64 exec, exec, s[4:5]
	s_and_saveexec_b64 s[0:1], s[2:3]
	s_cbranch_execnz .LBB166_148
.LBB166_133:
	s_or_b64 exec, exec, s[0:1]
	s_and_saveexec_b64 s[0:1], s[60:61]
	s_cbranch_execnz .LBB166_149
.LBB166_134:
	s_or_b64 exec, exec, s[0:1]
	s_and_saveexec_b64 s[0:1], s[6:7]
	s_cbranch_execnz .LBB166_150
.LBB166_135:
	s_or_b64 exec, exec, s[0:1]
	s_and_saveexec_b64 s[0:1], s[8:9]
	s_cbranch_execnz .LBB166_151
.LBB166_136:
	s_or_b64 exec, exec, s[0:1]
	s_and_saveexec_b64 s[0:1], s[10:11]
	s_cbranch_execnz .LBB166_152
.LBB166_137:
	s_or_b64 exec, exec, s[0:1]
	s_and_saveexec_b64 s[0:1], s[12:13]
	s_cbranch_execnz .LBB166_153
.LBB166_138:
	s_or_b64 exec, exec, s[0:1]
	s_and_saveexec_b64 s[0:1], s[14:15]
	s_cbranch_execnz .LBB166_154
.LBB166_139:
	s_or_b64 exec, exec, s[0:1]
	s_and_saveexec_b64 s[0:1], s[16:17]
	s_cbranch_execnz .LBB166_155
.LBB166_140:
	s_or_b64 exec, exec, s[0:1]
	s_and_saveexec_b64 s[0:1], s[18:19]
	s_cbranch_execnz .LBB166_156
.LBB166_141:
	s_or_b64 exec, exec, s[0:1]
	s_and_saveexec_b64 s[0:1], s[20:21]
	s_cbranch_execnz .LBB166_157
.LBB166_142:
	s_or_b64 exec, exec, s[0:1]
	s_and_saveexec_b64 s[0:1], s[22:23]
	s_cbranch_execnz .LBB166_158
.LBB166_143:
	s_or_b64 exec, exec, s[0:1]
	s_and_saveexec_b64 s[0:1], s[24:25]
	s_cbranch_execnz .LBB166_159
.LBB166_144:
	s_or_b64 exec, exec, s[0:1]
	s_and_saveexec_b64 s[0:1], s[26:27]
	s_cbranch_execnz .LBB166_160
.LBB166_145:
	s_endpgm
.LBB166_146:
	ds_read_b32 v16, v16
	s_waitcnt lgkmcnt(0)
	global_store_dword v[2:3], v16, off
	s_or_b64 exec, exec, s[4:5]
	s_and_saveexec_b64 s[4:5], s[0:1]
	s_cbranch_execz .LBB166_132
.LBB166_147:
	s_waitcnt lgkmcnt(6)
	global_store_dword v[2:3], v14, off offset:1024
	s_or_b64 exec, exec, s[4:5]
	s_and_saveexec_b64 s[0:1], s[2:3]
	s_cbranch_execz .LBB166_133
.LBB166_148:
	s_waitcnt lgkmcnt(6)
	global_store_dword v[2:3], v15, off offset:2048
	s_or_b64 exec, exec, s[0:1]
	s_and_saveexec_b64 s[0:1], s[60:61]
	s_cbranch_execz .LBB166_134
.LBB166_149:
	s_waitcnt lgkmcnt(5)
	global_store_dword v[2:3], v12, off offset:3072
	s_or_b64 exec, exec, s[0:1]
	s_and_saveexec_b64 s[0:1], s[6:7]
	s_cbranch_execz .LBB166_135
.LBB166_150:
	s_waitcnt lgkmcnt(6)
	v_add_co_u32_e32 v14, vcc, 0x1000, v2
	v_addc_co_u32_e32 v15, vcc, 0, v3, vcc
	s_waitcnt lgkmcnt(5)
	global_store_dword v[14:15], v13, off
	s_or_b64 exec, exec, s[0:1]
	s_and_saveexec_b64 s[0:1], s[8:9]
	s_cbranch_execz .LBB166_136
.LBB166_151:
	s_waitcnt lgkmcnt(5)
	v_add_co_u32_e32 v12, vcc, 0x1000, v2
	v_addc_co_u32_e32 v13, vcc, 0, v3, vcc
	s_waitcnt lgkmcnt(4)
	global_store_dword v[12:13], v10, off offset:1024
	s_or_b64 exec, exec, s[0:1]
	s_and_saveexec_b64 s[0:1], s[10:11]
	s_cbranch_execz .LBB166_137
.LBB166_152:
	s_waitcnt lgkmcnt(5)
	v_add_co_u32_e32 v12, vcc, 0x1000, v2
	v_addc_co_u32_e32 v13, vcc, 0, v3, vcc
	s_waitcnt lgkmcnt(4)
	global_store_dword v[12:13], v11, off offset:2048
	s_or_b64 exec, exec, s[0:1]
	s_and_saveexec_b64 s[0:1], s[12:13]
	s_cbranch_execz .LBB166_138
.LBB166_153:
	s_waitcnt lgkmcnt(4)
	v_add_co_u32_e32 v10, vcc, 0x1000, v2
	v_addc_co_u32_e32 v11, vcc, 0, v3, vcc
	s_waitcnt lgkmcnt(3)
	global_store_dword v[10:11], v8, off offset:3072
	s_or_b64 exec, exec, s[0:1]
	s_and_saveexec_b64 s[0:1], s[14:15]
	s_cbranch_execz .LBB166_139
.LBB166_154:
	s_waitcnt lgkmcnt(4)
	v_add_co_u32_e32 v10, vcc, 0x2000, v2
	v_addc_co_u32_e32 v11, vcc, 0, v3, vcc
	s_waitcnt lgkmcnt(3)
	global_store_dword v[10:11], v9, off
	s_or_b64 exec, exec, s[0:1]
	s_and_saveexec_b64 s[0:1], s[16:17]
	s_cbranch_execz .LBB166_140
.LBB166_155:
	s_waitcnt lgkmcnt(3)
	v_add_co_u32_e32 v8, vcc, 0x2000, v2
	v_addc_co_u32_e32 v9, vcc, 0, v3, vcc
	s_waitcnt lgkmcnt(2)
	global_store_dword v[8:9], v6, off offset:1024
	s_or_b64 exec, exec, s[0:1]
	s_and_saveexec_b64 s[0:1], s[18:19]
	s_cbranch_execz .LBB166_141
.LBB166_156:
	s_waitcnt lgkmcnt(3)
	v_add_co_u32_e32 v8, vcc, 0x2000, v2
	v_addc_co_u32_e32 v9, vcc, 0, v3, vcc
	s_waitcnt lgkmcnt(2)
	global_store_dword v[8:9], v7, off offset:2048
	s_or_b64 exec, exec, s[0:1]
	s_and_saveexec_b64 s[0:1], s[20:21]
	s_cbranch_execz .LBB166_142
.LBB166_157:
	s_waitcnt lgkmcnt(2)
	v_add_co_u32_e32 v6, vcc, 0x2000, v2
	v_addc_co_u32_e32 v7, vcc, 0, v3, vcc
	s_waitcnt lgkmcnt(1)
	global_store_dword v[6:7], v4, off offset:3072
	s_or_b64 exec, exec, s[0:1]
	s_and_saveexec_b64 s[0:1], s[22:23]
	s_cbranch_execz .LBB166_143
.LBB166_158:
	s_waitcnt lgkmcnt(2)
	v_add_co_u32_e32 v6, vcc, 0x3000, v2
	v_addc_co_u32_e32 v7, vcc, 0, v3, vcc
	s_waitcnt lgkmcnt(1)
	global_store_dword v[6:7], v5, off
	s_or_b64 exec, exec, s[0:1]
	s_and_saveexec_b64 s[0:1], s[24:25]
	s_cbranch_execz .LBB166_144
.LBB166_159:
	s_waitcnt lgkmcnt(1)
	v_add_co_u32_e32 v4, vcc, 0x3000, v2
	v_addc_co_u32_e32 v5, vcc, 0, v3, vcc
	s_waitcnt lgkmcnt(0)
	global_store_dword v[4:5], v0, off offset:1024
	s_or_b64 exec, exec, s[0:1]
	s_and_saveexec_b64 s[0:1], s[26:27]
	s_cbranch_execz .LBB166_145
.LBB166_160:
	v_add_co_u32_e32 v2, vcc, 0x3000, v2
	v_addc_co_u32_e32 v3, vcc, 0, v3, vcc
	s_waitcnt lgkmcnt(0)
	global_store_dword v[2:3], v1, off offset:2048
	s_endpgm
	.section	.rodata,"a",@progbits
	.p2align	6, 0x0
	.amdhsa_kernel _ZN7rocprim17ROCPRIM_400000_NS6detail17trampoline_kernelINS0_14default_configENS1_20scan_config_selectorIfEEZZNS1_9scan_implILNS1_25lookback_scan_determinismE0ELb0ELb0ES3_PKfPffZZZN2at6native31launch_logcumsumexp_cuda_kernelERKNSB_10TensorBaseESF_lENKUlvE_clEvENKUlvE0_clEvEUlffE_fEEDaPvRmT3_T4_T5_mT6_P12ihipStream_tbENKUlT_T0_E_clISt17integral_constantIbLb0EESV_IbLb1EEEEDaSR_SS_EUlSR_E0_NS1_11comp_targetILNS1_3genE2ELNS1_11target_archE906ELNS1_3gpuE6ELNS1_3repE0EEENS1_30default_config_static_selectorELNS0_4arch9wavefront6targetE1EEEvT1_
		.amdhsa_group_segment_fixed_size 15360
		.amdhsa_private_segment_fixed_size 0
		.amdhsa_kernarg_size 32
		.amdhsa_user_sgpr_count 6
		.amdhsa_user_sgpr_private_segment_buffer 1
		.amdhsa_user_sgpr_dispatch_ptr 0
		.amdhsa_user_sgpr_queue_ptr 0
		.amdhsa_user_sgpr_kernarg_segment_ptr 1
		.amdhsa_user_sgpr_dispatch_id 0
		.amdhsa_user_sgpr_flat_scratch_init 0
		.amdhsa_user_sgpr_private_segment_size 0
		.amdhsa_uses_dynamic_stack 0
		.amdhsa_system_sgpr_private_segment_wavefront_offset 0
		.amdhsa_system_sgpr_workgroup_id_x 1
		.amdhsa_system_sgpr_workgroup_id_y 0
		.amdhsa_system_sgpr_workgroup_id_z 0
		.amdhsa_system_sgpr_workgroup_info 0
		.amdhsa_system_vgpr_workitem_id 0
		.amdhsa_next_free_vgpr 53
		.amdhsa_next_free_sgpr 98
		.amdhsa_reserve_vcc 1
		.amdhsa_reserve_flat_scratch 0
		.amdhsa_float_round_mode_32 0
		.amdhsa_float_round_mode_16_64 0
		.amdhsa_float_denorm_mode_32 3
		.amdhsa_float_denorm_mode_16_64 3
		.amdhsa_dx10_clamp 1
		.amdhsa_ieee_mode 1
		.amdhsa_fp16_overflow 0
		.amdhsa_exception_fp_ieee_invalid_op 0
		.amdhsa_exception_fp_denorm_src 0
		.amdhsa_exception_fp_ieee_div_zero 0
		.amdhsa_exception_fp_ieee_overflow 0
		.amdhsa_exception_fp_ieee_underflow 0
		.amdhsa_exception_fp_ieee_inexact 0
		.amdhsa_exception_int_div_zero 0
	.end_amdhsa_kernel
	.section	.text._ZN7rocprim17ROCPRIM_400000_NS6detail17trampoline_kernelINS0_14default_configENS1_20scan_config_selectorIfEEZZNS1_9scan_implILNS1_25lookback_scan_determinismE0ELb0ELb0ES3_PKfPffZZZN2at6native31launch_logcumsumexp_cuda_kernelERKNSB_10TensorBaseESF_lENKUlvE_clEvENKUlvE0_clEvEUlffE_fEEDaPvRmT3_T4_T5_mT6_P12ihipStream_tbENKUlT_T0_E_clISt17integral_constantIbLb0EESV_IbLb1EEEEDaSR_SS_EUlSR_E0_NS1_11comp_targetILNS1_3genE2ELNS1_11target_archE906ELNS1_3gpuE6ELNS1_3repE0EEENS1_30default_config_static_selectorELNS0_4arch9wavefront6targetE1EEEvT1_,"axG",@progbits,_ZN7rocprim17ROCPRIM_400000_NS6detail17trampoline_kernelINS0_14default_configENS1_20scan_config_selectorIfEEZZNS1_9scan_implILNS1_25lookback_scan_determinismE0ELb0ELb0ES3_PKfPffZZZN2at6native31launch_logcumsumexp_cuda_kernelERKNSB_10TensorBaseESF_lENKUlvE_clEvENKUlvE0_clEvEUlffE_fEEDaPvRmT3_T4_T5_mT6_P12ihipStream_tbENKUlT_T0_E_clISt17integral_constantIbLb0EESV_IbLb1EEEEDaSR_SS_EUlSR_E0_NS1_11comp_targetILNS1_3genE2ELNS1_11target_archE906ELNS1_3gpuE6ELNS1_3repE0EEENS1_30default_config_static_selectorELNS0_4arch9wavefront6targetE1EEEvT1_,comdat
.Lfunc_end166:
	.size	_ZN7rocprim17ROCPRIM_400000_NS6detail17trampoline_kernelINS0_14default_configENS1_20scan_config_selectorIfEEZZNS1_9scan_implILNS1_25lookback_scan_determinismE0ELb0ELb0ES3_PKfPffZZZN2at6native31launch_logcumsumexp_cuda_kernelERKNSB_10TensorBaseESF_lENKUlvE_clEvENKUlvE0_clEvEUlffE_fEEDaPvRmT3_T4_T5_mT6_P12ihipStream_tbENKUlT_T0_E_clISt17integral_constantIbLb0EESV_IbLb1EEEEDaSR_SS_EUlSR_E0_NS1_11comp_targetILNS1_3genE2ELNS1_11target_archE906ELNS1_3gpuE6ELNS1_3repE0EEENS1_30default_config_static_selectorELNS0_4arch9wavefront6targetE1EEEvT1_, .Lfunc_end166-_ZN7rocprim17ROCPRIM_400000_NS6detail17trampoline_kernelINS0_14default_configENS1_20scan_config_selectorIfEEZZNS1_9scan_implILNS1_25lookback_scan_determinismE0ELb0ELb0ES3_PKfPffZZZN2at6native31launch_logcumsumexp_cuda_kernelERKNSB_10TensorBaseESF_lENKUlvE_clEvENKUlvE0_clEvEUlffE_fEEDaPvRmT3_T4_T5_mT6_P12ihipStream_tbENKUlT_T0_E_clISt17integral_constantIbLb0EESV_IbLb1EEEEDaSR_SS_EUlSR_E0_NS1_11comp_targetILNS1_3genE2ELNS1_11target_archE906ELNS1_3gpuE6ELNS1_3repE0EEENS1_30default_config_static_selectorELNS0_4arch9wavefront6targetE1EEEvT1_
                                        ; -- End function
	.set _ZN7rocprim17ROCPRIM_400000_NS6detail17trampoline_kernelINS0_14default_configENS1_20scan_config_selectorIfEEZZNS1_9scan_implILNS1_25lookback_scan_determinismE0ELb0ELb0ES3_PKfPffZZZN2at6native31launch_logcumsumexp_cuda_kernelERKNSB_10TensorBaseESF_lENKUlvE_clEvENKUlvE0_clEvEUlffE_fEEDaPvRmT3_T4_T5_mT6_P12ihipStream_tbENKUlT_T0_E_clISt17integral_constantIbLb0EESV_IbLb1EEEEDaSR_SS_EUlSR_E0_NS1_11comp_targetILNS1_3genE2ELNS1_11target_archE906ELNS1_3gpuE6ELNS1_3repE0EEENS1_30default_config_static_selectorELNS0_4arch9wavefront6targetE1EEEvT1_.num_vgpr, 53
	.set _ZN7rocprim17ROCPRIM_400000_NS6detail17trampoline_kernelINS0_14default_configENS1_20scan_config_selectorIfEEZZNS1_9scan_implILNS1_25lookback_scan_determinismE0ELb0ELb0ES3_PKfPffZZZN2at6native31launch_logcumsumexp_cuda_kernelERKNSB_10TensorBaseESF_lENKUlvE_clEvENKUlvE0_clEvEUlffE_fEEDaPvRmT3_T4_T5_mT6_P12ihipStream_tbENKUlT_T0_E_clISt17integral_constantIbLb0EESV_IbLb1EEEEDaSR_SS_EUlSR_E0_NS1_11comp_targetILNS1_3genE2ELNS1_11target_archE906ELNS1_3gpuE6ELNS1_3repE0EEENS1_30default_config_static_selectorELNS0_4arch9wavefront6targetE1EEEvT1_.num_agpr, 0
	.set _ZN7rocprim17ROCPRIM_400000_NS6detail17trampoline_kernelINS0_14default_configENS1_20scan_config_selectorIfEEZZNS1_9scan_implILNS1_25lookback_scan_determinismE0ELb0ELb0ES3_PKfPffZZZN2at6native31launch_logcumsumexp_cuda_kernelERKNSB_10TensorBaseESF_lENKUlvE_clEvENKUlvE0_clEvEUlffE_fEEDaPvRmT3_T4_T5_mT6_P12ihipStream_tbENKUlT_T0_E_clISt17integral_constantIbLb0EESV_IbLb1EEEEDaSR_SS_EUlSR_E0_NS1_11comp_targetILNS1_3genE2ELNS1_11target_archE906ELNS1_3gpuE6ELNS1_3repE0EEENS1_30default_config_static_selectorELNS0_4arch9wavefront6targetE1EEEvT1_.numbered_sgpr, 70
	.set _ZN7rocprim17ROCPRIM_400000_NS6detail17trampoline_kernelINS0_14default_configENS1_20scan_config_selectorIfEEZZNS1_9scan_implILNS1_25lookback_scan_determinismE0ELb0ELb0ES3_PKfPffZZZN2at6native31launch_logcumsumexp_cuda_kernelERKNSB_10TensorBaseESF_lENKUlvE_clEvENKUlvE0_clEvEUlffE_fEEDaPvRmT3_T4_T5_mT6_P12ihipStream_tbENKUlT_T0_E_clISt17integral_constantIbLb0EESV_IbLb1EEEEDaSR_SS_EUlSR_E0_NS1_11comp_targetILNS1_3genE2ELNS1_11target_archE906ELNS1_3gpuE6ELNS1_3repE0EEENS1_30default_config_static_selectorELNS0_4arch9wavefront6targetE1EEEvT1_.num_named_barrier, 0
	.set _ZN7rocprim17ROCPRIM_400000_NS6detail17trampoline_kernelINS0_14default_configENS1_20scan_config_selectorIfEEZZNS1_9scan_implILNS1_25lookback_scan_determinismE0ELb0ELb0ES3_PKfPffZZZN2at6native31launch_logcumsumexp_cuda_kernelERKNSB_10TensorBaseESF_lENKUlvE_clEvENKUlvE0_clEvEUlffE_fEEDaPvRmT3_T4_T5_mT6_P12ihipStream_tbENKUlT_T0_E_clISt17integral_constantIbLb0EESV_IbLb1EEEEDaSR_SS_EUlSR_E0_NS1_11comp_targetILNS1_3genE2ELNS1_11target_archE906ELNS1_3gpuE6ELNS1_3repE0EEENS1_30default_config_static_selectorELNS0_4arch9wavefront6targetE1EEEvT1_.private_seg_size, 0
	.set _ZN7rocprim17ROCPRIM_400000_NS6detail17trampoline_kernelINS0_14default_configENS1_20scan_config_selectorIfEEZZNS1_9scan_implILNS1_25lookback_scan_determinismE0ELb0ELb0ES3_PKfPffZZZN2at6native31launch_logcumsumexp_cuda_kernelERKNSB_10TensorBaseESF_lENKUlvE_clEvENKUlvE0_clEvEUlffE_fEEDaPvRmT3_T4_T5_mT6_P12ihipStream_tbENKUlT_T0_E_clISt17integral_constantIbLb0EESV_IbLb1EEEEDaSR_SS_EUlSR_E0_NS1_11comp_targetILNS1_3genE2ELNS1_11target_archE906ELNS1_3gpuE6ELNS1_3repE0EEENS1_30default_config_static_selectorELNS0_4arch9wavefront6targetE1EEEvT1_.uses_vcc, 1
	.set _ZN7rocprim17ROCPRIM_400000_NS6detail17trampoline_kernelINS0_14default_configENS1_20scan_config_selectorIfEEZZNS1_9scan_implILNS1_25lookback_scan_determinismE0ELb0ELb0ES3_PKfPffZZZN2at6native31launch_logcumsumexp_cuda_kernelERKNSB_10TensorBaseESF_lENKUlvE_clEvENKUlvE0_clEvEUlffE_fEEDaPvRmT3_T4_T5_mT6_P12ihipStream_tbENKUlT_T0_E_clISt17integral_constantIbLb0EESV_IbLb1EEEEDaSR_SS_EUlSR_E0_NS1_11comp_targetILNS1_3genE2ELNS1_11target_archE906ELNS1_3gpuE6ELNS1_3repE0EEENS1_30default_config_static_selectorELNS0_4arch9wavefront6targetE1EEEvT1_.uses_flat_scratch, 0
	.set _ZN7rocprim17ROCPRIM_400000_NS6detail17trampoline_kernelINS0_14default_configENS1_20scan_config_selectorIfEEZZNS1_9scan_implILNS1_25lookback_scan_determinismE0ELb0ELb0ES3_PKfPffZZZN2at6native31launch_logcumsumexp_cuda_kernelERKNSB_10TensorBaseESF_lENKUlvE_clEvENKUlvE0_clEvEUlffE_fEEDaPvRmT3_T4_T5_mT6_P12ihipStream_tbENKUlT_T0_E_clISt17integral_constantIbLb0EESV_IbLb1EEEEDaSR_SS_EUlSR_E0_NS1_11comp_targetILNS1_3genE2ELNS1_11target_archE906ELNS1_3gpuE6ELNS1_3repE0EEENS1_30default_config_static_selectorELNS0_4arch9wavefront6targetE1EEEvT1_.has_dyn_sized_stack, 0
	.set _ZN7rocprim17ROCPRIM_400000_NS6detail17trampoline_kernelINS0_14default_configENS1_20scan_config_selectorIfEEZZNS1_9scan_implILNS1_25lookback_scan_determinismE0ELb0ELb0ES3_PKfPffZZZN2at6native31launch_logcumsumexp_cuda_kernelERKNSB_10TensorBaseESF_lENKUlvE_clEvENKUlvE0_clEvEUlffE_fEEDaPvRmT3_T4_T5_mT6_P12ihipStream_tbENKUlT_T0_E_clISt17integral_constantIbLb0EESV_IbLb1EEEEDaSR_SS_EUlSR_E0_NS1_11comp_targetILNS1_3genE2ELNS1_11target_archE906ELNS1_3gpuE6ELNS1_3repE0EEENS1_30default_config_static_selectorELNS0_4arch9wavefront6targetE1EEEvT1_.has_recursion, 0
	.set _ZN7rocprim17ROCPRIM_400000_NS6detail17trampoline_kernelINS0_14default_configENS1_20scan_config_selectorIfEEZZNS1_9scan_implILNS1_25lookback_scan_determinismE0ELb0ELb0ES3_PKfPffZZZN2at6native31launch_logcumsumexp_cuda_kernelERKNSB_10TensorBaseESF_lENKUlvE_clEvENKUlvE0_clEvEUlffE_fEEDaPvRmT3_T4_T5_mT6_P12ihipStream_tbENKUlT_T0_E_clISt17integral_constantIbLb0EESV_IbLb1EEEEDaSR_SS_EUlSR_E0_NS1_11comp_targetILNS1_3genE2ELNS1_11target_archE906ELNS1_3gpuE6ELNS1_3repE0EEENS1_30default_config_static_selectorELNS0_4arch9wavefront6targetE1EEEvT1_.has_indirect_call, 0
	.section	.AMDGPU.csdata,"",@progbits
; Kernel info:
; codeLenInByte = 31256
; TotalNumSgprs: 74
; NumVgprs: 53
; ScratchSize: 0
; MemoryBound: 0
; FloatMode: 240
; IeeeMode: 1
; LDSByteSize: 15360 bytes/workgroup (compile time only)
; SGPRBlocks: 12
; VGPRBlocks: 13
; NumSGPRsForWavesPerEU: 102
; NumVGPRsForWavesPerEU: 53
; Occupancy: 4
; WaveLimiterHint : 0
; COMPUTE_PGM_RSRC2:SCRATCH_EN: 0
; COMPUTE_PGM_RSRC2:USER_SGPR: 6
; COMPUTE_PGM_RSRC2:TRAP_HANDLER: 0
; COMPUTE_PGM_RSRC2:TGID_X_EN: 1
; COMPUTE_PGM_RSRC2:TGID_Y_EN: 0
; COMPUTE_PGM_RSRC2:TGID_Z_EN: 0
; COMPUTE_PGM_RSRC2:TIDIG_COMP_CNT: 0
	.section	.text._ZN7rocprim17ROCPRIM_400000_NS6detail17trampoline_kernelINS0_14default_configENS1_20scan_config_selectorIfEEZZNS1_9scan_implILNS1_25lookback_scan_determinismE0ELb0ELb0ES3_PKfPffZZZN2at6native31launch_logcumsumexp_cuda_kernelERKNSB_10TensorBaseESF_lENKUlvE_clEvENKUlvE0_clEvEUlffE_fEEDaPvRmT3_T4_T5_mT6_P12ihipStream_tbENKUlT_T0_E_clISt17integral_constantIbLb0EESV_IbLb1EEEEDaSR_SS_EUlSR_E0_NS1_11comp_targetILNS1_3genE10ELNS1_11target_archE1201ELNS1_3gpuE5ELNS1_3repE0EEENS1_30default_config_static_selectorELNS0_4arch9wavefront6targetE1EEEvT1_,"axG",@progbits,_ZN7rocprim17ROCPRIM_400000_NS6detail17trampoline_kernelINS0_14default_configENS1_20scan_config_selectorIfEEZZNS1_9scan_implILNS1_25lookback_scan_determinismE0ELb0ELb0ES3_PKfPffZZZN2at6native31launch_logcumsumexp_cuda_kernelERKNSB_10TensorBaseESF_lENKUlvE_clEvENKUlvE0_clEvEUlffE_fEEDaPvRmT3_T4_T5_mT6_P12ihipStream_tbENKUlT_T0_E_clISt17integral_constantIbLb0EESV_IbLb1EEEEDaSR_SS_EUlSR_E0_NS1_11comp_targetILNS1_3genE10ELNS1_11target_archE1201ELNS1_3gpuE5ELNS1_3repE0EEENS1_30default_config_static_selectorELNS0_4arch9wavefront6targetE1EEEvT1_,comdat
	.globl	_ZN7rocprim17ROCPRIM_400000_NS6detail17trampoline_kernelINS0_14default_configENS1_20scan_config_selectorIfEEZZNS1_9scan_implILNS1_25lookback_scan_determinismE0ELb0ELb0ES3_PKfPffZZZN2at6native31launch_logcumsumexp_cuda_kernelERKNSB_10TensorBaseESF_lENKUlvE_clEvENKUlvE0_clEvEUlffE_fEEDaPvRmT3_T4_T5_mT6_P12ihipStream_tbENKUlT_T0_E_clISt17integral_constantIbLb0EESV_IbLb1EEEEDaSR_SS_EUlSR_E0_NS1_11comp_targetILNS1_3genE10ELNS1_11target_archE1201ELNS1_3gpuE5ELNS1_3repE0EEENS1_30default_config_static_selectorELNS0_4arch9wavefront6targetE1EEEvT1_ ; -- Begin function _ZN7rocprim17ROCPRIM_400000_NS6detail17trampoline_kernelINS0_14default_configENS1_20scan_config_selectorIfEEZZNS1_9scan_implILNS1_25lookback_scan_determinismE0ELb0ELb0ES3_PKfPffZZZN2at6native31launch_logcumsumexp_cuda_kernelERKNSB_10TensorBaseESF_lENKUlvE_clEvENKUlvE0_clEvEUlffE_fEEDaPvRmT3_T4_T5_mT6_P12ihipStream_tbENKUlT_T0_E_clISt17integral_constantIbLb0EESV_IbLb1EEEEDaSR_SS_EUlSR_E0_NS1_11comp_targetILNS1_3genE10ELNS1_11target_archE1201ELNS1_3gpuE5ELNS1_3repE0EEENS1_30default_config_static_selectorELNS0_4arch9wavefront6targetE1EEEvT1_
	.p2align	8
	.type	_ZN7rocprim17ROCPRIM_400000_NS6detail17trampoline_kernelINS0_14default_configENS1_20scan_config_selectorIfEEZZNS1_9scan_implILNS1_25lookback_scan_determinismE0ELb0ELb0ES3_PKfPffZZZN2at6native31launch_logcumsumexp_cuda_kernelERKNSB_10TensorBaseESF_lENKUlvE_clEvENKUlvE0_clEvEUlffE_fEEDaPvRmT3_T4_T5_mT6_P12ihipStream_tbENKUlT_T0_E_clISt17integral_constantIbLb0EESV_IbLb1EEEEDaSR_SS_EUlSR_E0_NS1_11comp_targetILNS1_3genE10ELNS1_11target_archE1201ELNS1_3gpuE5ELNS1_3repE0EEENS1_30default_config_static_selectorELNS0_4arch9wavefront6targetE1EEEvT1_,@function
_ZN7rocprim17ROCPRIM_400000_NS6detail17trampoline_kernelINS0_14default_configENS1_20scan_config_selectorIfEEZZNS1_9scan_implILNS1_25lookback_scan_determinismE0ELb0ELb0ES3_PKfPffZZZN2at6native31launch_logcumsumexp_cuda_kernelERKNSB_10TensorBaseESF_lENKUlvE_clEvENKUlvE0_clEvEUlffE_fEEDaPvRmT3_T4_T5_mT6_P12ihipStream_tbENKUlT_T0_E_clISt17integral_constantIbLb0EESV_IbLb1EEEEDaSR_SS_EUlSR_E0_NS1_11comp_targetILNS1_3genE10ELNS1_11target_archE1201ELNS1_3gpuE5ELNS1_3repE0EEENS1_30default_config_static_selectorELNS0_4arch9wavefront6targetE1EEEvT1_: ; @_ZN7rocprim17ROCPRIM_400000_NS6detail17trampoline_kernelINS0_14default_configENS1_20scan_config_selectorIfEEZZNS1_9scan_implILNS1_25lookback_scan_determinismE0ELb0ELb0ES3_PKfPffZZZN2at6native31launch_logcumsumexp_cuda_kernelERKNSB_10TensorBaseESF_lENKUlvE_clEvENKUlvE0_clEvEUlffE_fEEDaPvRmT3_T4_T5_mT6_P12ihipStream_tbENKUlT_T0_E_clISt17integral_constantIbLb0EESV_IbLb1EEEEDaSR_SS_EUlSR_E0_NS1_11comp_targetILNS1_3genE10ELNS1_11target_archE1201ELNS1_3gpuE5ELNS1_3repE0EEENS1_30default_config_static_selectorELNS0_4arch9wavefront6targetE1EEEvT1_
; %bb.0:
	.section	.rodata,"a",@progbits
	.p2align	6, 0x0
	.amdhsa_kernel _ZN7rocprim17ROCPRIM_400000_NS6detail17trampoline_kernelINS0_14default_configENS1_20scan_config_selectorIfEEZZNS1_9scan_implILNS1_25lookback_scan_determinismE0ELb0ELb0ES3_PKfPffZZZN2at6native31launch_logcumsumexp_cuda_kernelERKNSB_10TensorBaseESF_lENKUlvE_clEvENKUlvE0_clEvEUlffE_fEEDaPvRmT3_T4_T5_mT6_P12ihipStream_tbENKUlT_T0_E_clISt17integral_constantIbLb0EESV_IbLb1EEEEDaSR_SS_EUlSR_E0_NS1_11comp_targetILNS1_3genE10ELNS1_11target_archE1201ELNS1_3gpuE5ELNS1_3repE0EEENS1_30default_config_static_selectorELNS0_4arch9wavefront6targetE1EEEvT1_
		.amdhsa_group_segment_fixed_size 0
		.amdhsa_private_segment_fixed_size 0
		.amdhsa_kernarg_size 32
		.amdhsa_user_sgpr_count 6
		.amdhsa_user_sgpr_private_segment_buffer 1
		.amdhsa_user_sgpr_dispatch_ptr 0
		.amdhsa_user_sgpr_queue_ptr 0
		.amdhsa_user_sgpr_kernarg_segment_ptr 1
		.amdhsa_user_sgpr_dispatch_id 0
		.amdhsa_user_sgpr_flat_scratch_init 0
		.amdhsa_user_sgpr_private_segment_size 0
		.amdhsa_uses_dynamic_stack 0
		.amdhsa_system_sgpr_private_segment_wavefront_offset 0
		.amdhsa_system_sgpr_workgroup_id_x 1
		.amdhsa_system_sgpr_workgroup_id_y 0
		.amdhsa_system_sgpr_workgroup_id_z 0
		.amdhsa_system_sgpr_workgroup_info 0
		.amdhsa_system_vgpr_workitem_id 0
		.amdhsa_next_free_vgpr 1
		.amdhsa_next_free_sgpr 0
		.amdhsa_reserve_vcc 0
		.amdhsa_reserve_flat_scratch 0
		.amdhsa_float_round_mode_32 0
		.amdhsa_float_round_mode_16_64 0
		.amdhsa_float_denorm_mode_32 3
		.amdhsa_float_denorm_mode_16_64 3
		.amdhsa_dx10_clamp 1
		.amdhsa_ieee_mode 1
		.amdhsa_fp16_overflow 0
		.amdhsa_exception_fp_ieee_invalid_op 0
		.amdhsa_exception_fp_denorm_src 0
		.amdhsa_exception_fp_ieee_div_zero 0
		.amdhsa_exception_fp_ieee_overflow 0
		.amdhsa_exception_fp_ieee_underflow 0
		.amdhsa_exception_fp_ieee_inexact 0
		.amdhsa_exception_int_div_zero 0
	.end_amdhsa_kernel
	.section	.text._ZN7rocprim17ROCPRIM_400000_NS6detail17trampoline_kernelINS0_14default_configENS1_20scan_config_selectorIfEEZZNS1_9scan_implILNS1_25lookback_scan_determinismE0ELb0ELb0ES3_PKfPffZZZN2at6native31launch_logcumsumexp_cuda_kernelERKNSB_10TensorBaseESF_lENKUlvE_clEvENKUlvE0_clEvEUlffE_fEEDaPvRmT3_T4_T5_mT6_P12ihipStream_tbENKUlT_T0_E_clISt17integral_constantIbLb0EESV_IbLb1EEEEDaSR_SS_EUlSR_E0_NS1_11comp_targetILNS1_3genE10ELNS1_11target_archE1201ELNS1_3gpuE5ELNS1_3repE0EEENS1_30default_config_static_selectorELNS0_4arch9wavefront6targetE1EEEvT1_,"axG",@progbits,_ZN7rocprim17ROCPRIM_400000_NS6detail17trampoline_kernelINS0_14default_configENS1_20scan_config_selectorIfEEZZNS1_9scan_implILNS1_25lookback_scan_determinismE0ELb0ELb0ES3_PKfPffZZZN2at6native31launch_logcumsumexp_cuda_kernelERKNSB_10TensorBaseESF_lENKUlvE_clEvENKUlvE0_clEvEUlffE_fEEDaPvRmT3_T4_T5_mT6_P12ihipStream_tbENKUlT_T0_E_clISt17integral_constantIbLb0EESV_IbLb1EEEEDaSR_SS_EUlSR_E0_NS1_11comp_targetILNS1_3genE10ELNS1_11target_archE1201ELNS1_3gpuE5ELNS1_3repE0EEENS1_30default_config_static_selectorELNS0_4arch9wavefront6targetE1EEEvT1_,comdat
.Lfunc_end167:
	.size	_ZN7rocprim17ROCPRIM_400000_NS6detail17trampoline_kernelINS0_14default_configENS1_20scan_config_selectorIfEEZZNS1_9scan_implILNS1_25lookback_scan_determinismE0ELb0ELb0ES3_PKfPffZZZN2at6native31launch_logcumsumexp_cuda_kernelERKNSB_10TensorBaseESF_lENKUlvE_clEvENKUlvE0_clEvEUlffE_fEEDaPvRmT3_T4_T5_mT6_P12ihipStream_tbENKUlT_T0_E_clISt17integral_constantIbLb0EESV_IbLb1EEEEDaSR_SS_EUlSR_E0_NS1_11comp_targetILNS1_3genE10ELNS1_11target_archE1201ELNS1_3gpuE5ELNS1_3repE0EEENS1_30default_config_static_selectorELNS0_4arch9wavefront6targetE1EEEvT1_, .Lfunc_end167-_ZN7rocprim17ROCPRIM_400000_NS6detail17trampoline_kernelINS0_14default_configENS1_20scan_config_selectorIfEEZZNS1_9scan_implILNS1_25lookback_scan_determinismE0ELb0ELb0ES3_PKfPffZZZN2at6native31launch_logcumsumexp_cuda_kernelERKNSB_10TensorBaseESF_lENKUlvE_clEvENKUlvE0_clEvEUlffE_fEEDaPvRmT3_T4_T5_mT6_P12ihipStream_tbENKUlT_T0_E_clISt17integral_constantIbLb0EESV_IbLb1EEEEDaSR_SS_EUlSR_E0_NS1_11comp_targetILNS1_3genE10ELNS1_11target_archE1201ELNS1_3gpuE5ELNS1_3repE0EEENS1_30default_config_static_selectorELNS0_4arch9wavefront6targetE1EEEvT1_
                                        ; -- End function
	.set _ZN7rocprim17ROCPRIM_400000_NS6detail17trampoline_kernelINS0_14default_configENS1_20scan_config_selectorIfEEZZNS1_9scan_implILNS1_25lookback_scan_determinismE0ELb0ELb0ES3_PKfPffZZZN2at6native31launch_logcumsumexp_cuda_kernelERKNSB_10TensorBaseESF_lENKUlvE_clEvENKUlvE0_clEvEUlffE_fEEDaPvRmT3_T4_T5_mT6_P12ihipStream_tbENKUlT_T0_E_clISt17integral_constantIbLb0EESV_IbLb1EEEEDaSR_SS_EUlSR_E0_NS1_11comp_targetILNS1_3genE10ELNS1_11target_archE1201ELNS1_3gpuE5ELNS1_3repE0EEENS1_30default_config_static_selectorELNS0_4arch9wavefront6targetE1EEEvT1_.num_vgpr, 0
	.set _ZN7rocprim17ROCPRIM_400000_NS6detail17trampoline_kernelINS0_14default_configENS1_20scan_config_selectorIfEEZZNS1_9scan_implILNS1_25lookback_scan_determinismE0ELb0ELb0ES3_PKfPffZZZN2at6native31launch_logcumsumexp_cuda_kernelERKNSB_10TensorBaseESF_lENKUlvE_clEvENKUlvE0_clEvEUlffE_fEEDaPvRmT3_T4_T5_mT6_P12ihipStream_tbENKUlT_T0_E_clISt17integral_constantIbLb0EESV_IbLb1EEEEDaSR_SS_EUlSR_E0_NS1_11comp_targetILNS1_3genE10ELNS1_11target_archE1201ELNS1_3gpuE5ELNS1_3repE0EEENS1_30default_config_static_selectorELNS0_4arch9wavefront6targetE1EEEvT1_.num_agpr, 0
	.set _ZN7rocprim17ROCPRIM_400000_NS6detail17trampoline_kernelINS0_14default_configENS1_20scan_config_selectorIfEEZZNS1_9scan_implILNS1_25lookback_scan_determinismE0ELb0ELb0ES3_PKfPffZZZN2at6native31launch_logcumsumexp_cuda_kernelERKNSB_10TensorBaseESF_lENKUlvE_clEvENKUlvE0_clEvEUlffE_fEEDaPvRmT3_T4_T5_mT6_P12ihipStream_tbENKUlT_T0_E_clISt17integral_constantIbLb0EESV_IbLb1EEEEDaSR_SS_EUlSR_E0_NS1_11comp_targetILNS1_3genE10ELNS1_11target_archE1201ELNS1_3gpuE5ELNS1_3repE0EEENS1_30default_config_static_selectorELNS0_4arch9wavefront6targetE1EEEvT1_.numbered_sgpr, 0
	.set _ZN7rocprim17ROCPRIM_400000_NS6detail17trampoline_kernelINS0_14default_configENS1_20scan_config_selectorIfEEZZNS1_9scan_implILNS1_25lookback_scan_determinismE0ELb0ELb0ES3_PKfPffZZZN2at6native31launch_logcumsumexp_cuda_kernelERKNSB_10TensorBaseESF_lENKUlvE_clEvENKUlvE0_clEvEUlffE_fEEDaPvRmT3_T4_T5_mT6_P12ihipStream_tbENKUlT_T0_E_clISt17integral_constantIbLb0EESV_IbLb1EEEEDaSR_SS_EUlSR_E0_NS1_11comp_targetILNS1_3genE10ELNS1_11target_archE1201ELNS1_3gpuE5ELNS1_3repE0EEENS1_30default_config_static_selectorELNS0_4arch9wavefront6targetE1EEEvT1_.num_named_barrier, 0
	.set _ZN7rocprim17ROCPRIM_400000_NS6detail17trampoline_kernelINS0_14default_configENS1_20scan_config_selectorIfEEZZNS1_9scan_implILNS1_25lookback_scan_determinismE0ELb0ELb0ES3_PKfPffZZZN2at6native31launch_logcumsumexp_cuda_kernelERKNSB_10TensorBaseESF_lENKUlvE_clEvENKUlvE0_clEvEUlffE_fEEDaPvRmT3_T4_T5_mT6_P12ihipStream_tbENKUlT_T0_E_clISt17integral_constantIbLb0EESV_IbLb1EEEEDaSR_SS_EUlSR_E0_NS1_11comp_targetILNS1_3genE10ELNS1_11target_archE1201ELNS1_3gpuE5ELNS1_3repE0EEENS1_30default_config_static_selectorELNS0_4arch9wavefront6targetE1EEEvT1_.private_seg_size, 0
	.set _ZN7rocprim17ROCPRIM_400000_NS6detail17trampoline_kernelINS0_14default_configENS1_20scan_config_selectorIfEEZZNS1_9scan_implILNS1_25lookback_scan_determinismE0ELb0ELb0ES3_PKfPffZZZN2at6native31launch_logcumsumexp_cuda_kernelERKNSB_10TensorBaseESF_lENKUlvE_clEvENKUlvE0_clEvEUlffE_fEEDaPvRmT3_T4_T5_mT6_P12ihipStream_tbENKUlT_T0_E_clISt17integral_constantIbLb0EESV_IbLb1EEEEDaSR_SS_EUlSR_E0_NS1_11comp_targetILNS1_3genE10ELNS1_11target_archE1201ELNS1_3gpuE5ELNS1_3repE0EEENS1_30default_config_static_selectorELNS0_4arch9wavefront6targetE1EEEvT1_.uses_vcc, 0
	.set _ZN7rocprim17ROCPRIM_400000_NS6detail17trampoline_kernelINS0_14default_configENS1_20scan_config_selectorIfEEZZNS1_9scan_implILNS1_25lookback_scan_determinismE0ELb0ELb0ES3_PKfPffZZZN2at6native31launch_logcumsumexp_cuda_kernelERKNSB_10TensorBaseESF_lENKUlvE_clEvENKUlvE0_clEvEUlffE_fEEDaPvRmT3_T4_T5_mT6_P12ihipStream_tbENKUlT_T0_E_clISt17integral_constantIbLb0EESV_IbLb1EEEEDaSR_SS_EUlSR_E0_NS1_11comp_targetILNS1_3genE10ELNS1_11target_archE1201ELNS1_3gpuE5ELNS1_3repE0EEENS1_30default_config_static_selectorELNS0_4arch9wavefront6targetE1EEEvT1_.uses_flat_scratch, 0
	.set _ZN7rocprim17ROCPRIM_400000_NS6detail17trampoline_kernelINS0_14default_configENS1_20scan_config_selectorIfEEZZNS1_9scan_implILNS1_25lookback_scan_determinismE0ELb0ELb0ES3_PKfPffZZZN2at6native31launch_logcumsumexp_cuda_kernelERKNSB_10TensorBaseESF_lENKUlvE_clEvENKUlvE0_clEvEUlffE_fEEDaPvRmT3_T4_T5_mT6_P12ihipStream_tbENKUlT_T0_E_clISt17integral_constantIbLb0EESV_IbLb1EEEEDaSR_SS_EUlSR_E0_NS1_11comp_targetILNS1_3genE10ELNS1_11target_archE1201ELNS1_3gpuE5ELNS1_3repE0EEENS1_30default_config_static_selectorELNS0_4arch9wavefront6targetE1EEEvT1_.has_dyn_sized_stack, 0
	.set _ZN7rocprim17ROCPRIM_400000_NS6detail17trampoline_kernelINS0_14default_configENS1_20scan_config_selectorIfEEZZNS1_9scan_implILNS1_25lookback_scan_determinismE0ELb0ELb0ES3_PKfPffZZZN2at6native31launch_logcumsumexp_cuda_kernelERKNSB_10TensorBaseESF_lENKUlvE_clEvENKUlvE0_clEvEUlffE_fEEDaPvRmT3_T4_T5_mT6_P12ihipStream_tbENKUlT_T0_E_clISt17integral_constantIbLb0EESV_IbLb1EEEEDaSR_SS_EUlSR_E0_NS1_11comp_targetILNS1_3genE10ELNS1_11target_archE1201ELNS1_3gpuE5ELNS1_3repE0EEENS1_30default_config_static_selectorELNS0_4arch9wavefront6targetE1EEEvT1_.has_recursion, 0
	.set _ZN7rocprim17ROCPRIM_400000_NS6detail17trampoline_kernelINS0_14default_configENS1_20scan_config_selectorIfEEZZNS1_9scan_implILNS1_25lookback_scan_determinismE0ELb0ELb0ES3_PKfPffZZZN2at6native31launch_logcumsumexp_cuda_kernelERKNSB_10TensorBaseESF_lENKUlvE_clEvENKUlvE0_clEvEUlffE_fEEDaPvRmT3_T4_T5_mT6_P12ihipStream_tbENKUlT_T0_E_clISt17integral_constantIbLb0EESV_IbLb1EEEEDaSR_SS_EUlSR_E0_NS1_11comp_targetILNS1_3genE10ELNS1_11target_archE1201ELNS1_3gpuE5ELNS1_3repE0EEENS1_30default_config_static_selectorELNS0_4arch9wavefront6targetE1EEEvT1_.has_indirect_call, 0
	.section	.AMDGPU.csdata,"",@progbits
; Kernel info:
; codeLenInByte = 0
; TotalNumSgprs: 4
; NumVgprs: 0
; ScratchSize: 0
; MemoryBound: 0
; FloatMode: 240
; IeeeMode: 1
; LDSByteSize: 0 bytes/workgroup (compile time only)
; SGPRBlocks: 0
; VGPRBlocks: 0
; NumSGPRsForWavesPerEU: 4
; NumVGPRsForWavesPerEU: 1
; Occupancy: 10
; WaveLimiterHint : 0
; COMPUTE_PGM_RSRC2:SCRATCH_EN: 0
; COMPUTE_PGM_RSRC2:USER_SGPR: 6
; COMPUTE_PGM_RSRC2:TRAP_HANDLER: 0
; COMPUTE_PGM_RSRC2:TGID_X_EN: 1
; COMPUTE_PGM_RSRC2:TGID_Y_EN: 0
; COMPUTE_PGM_RSRC2:TGID_Z_EN: 0
; COMPUTE_PGM_RSRC2:TIDIG_COMP_CNT: 0
	.section	.text._ZN7rocprim17ROCPRIM_400000_NS6detail17trampoline_kernelINS0_14default_configENS1_20scan_config_selectorIfEEZZNS1_9scan_implILNS1_25lookback_scan_determinismE0ELb0ELb0ES3_PKfPffZZZN2at6native31launch_logcumsumexp_cuda_kernelERKNSB_10TensorBaseESF_lENKUlvE_clEvENKUlvE0_clEvEUlffE_fEEDaPvRmT3_T4_T5_mT6_P12ihipStream_tbENKUlT_T0_E_clISt17integral_constantIbLb0EESV_IbLb1EEEEDaSR_SS_EUlSR_E0_NS1_11comp_targetILNS1_3genE10ELNS1_11target_archE1200ELNS1_3gpuE4ELNS1_3repE0EEENS1_30default_config_static_selectorELNS0_4arch9wavefront6targetE1EEEvT1_,"axG",@progbits,_ZN7rocprim17ROCPRIM_400000_NS6detail17trampoline_kernelINS0_14default_configENS1_20scan_config_selectorIfEEZZNS1_9scan_implILNS1_25lookback_scan_determinismE0ELb0ELb0ES3_PKfPffZZZN2at6native31launch_logcumsumexp_cuda_kernelERKNSB_10TensorBaseESF_lENKUlvE_clEvENKUlvE0_clEvEUlffE_fEEDaPvRmT3_T4_T5_mT6_P12ihipStream_tbENKUlT_T0_E_clISt17integral_constantIbLb0EESV_IbLb1EEEEDaSR_SS_EUlSR_E0_NS1_11comp_targetILNS1_3genE10ELNS1_11target_archE1200ELNS1_3gpuE4ELNS1_3repE0EEENS1_30default_config_static_selectorELNS0_4arch9wavefront6targetE1EEEvT1_,comdat
	.globl	_ZN7rocprim17ROCPRIM_400000_NS6detail17trampoline_kernelINS0_14default_configENS1_20scan_config_selectorIfEEZZNS1_9scan_implILNS1_25lookback_scan_determinismE0ELb0ELb0ES3_PKfPffZZZN2at6native31launch_logcumsumexp_cuda_kernelERKNSB_10TensorBaseESF_lENKUlvE_clEvENKUlvE0_clEvEUlffE_fEEDaPvRmT3_T4_T5_mT6_P12ihipStream_tbENKUlT_T0_E_clISt17integral_constantIbLb0EESV_IbLb1EEEEDaSR_SS_EUlSR_E0_NS1_11comp_targetILNS1_3genE10ELNS1_11target_archE1200ELNS1_3gpuE4ELNS1_3repE0EEENS1_30default_config_static_selectorELNS0_4arch9wavefront6targetE1EEEvT1_ ; -- Begin function _ZN7rocprim17ROCPRIM_400000_NS6detail17trampoline_kernelINS0_14default_configENS1_20scan_config_selectorIfEEZZNS1_9scan_implILNS1_25lookback_scan_determinismE0ELb0ELb0ES3_PKfPffZZZN2at6native31launch_logcumsumexp_cuda_kernelERKNSB_10TensorBaseESF_lENKUlvE_clEvENKUlvE0_clEvEUlffE_fEEDaPvRmT3_T4_T5_mT6_P12ihipStream_tbENKUlT_T0_E_clISt17integral_constantIbLb0EESV_IbLb1EEEEDaSR_SS_EUlSR_E0_NS1_11comp_targetILNS1_3genE10ELNS1_11target_archE1200ELNS1_3gpuE4ELNS1_3repE0EEENS1_30default_config_static_selectorELNS0_4arch9wavefront6targetE1EEEvT1_
	.p2align	8
	.type	_ZN7rocprim17ROCPRIM_400000_NS6detail17trampoline_kernelINS0_14default_configENS1_20scan_config_selectorIfEEZZNS1_9scan_implILNS1_25lookback_scan_determinismE0ELb0ELb0ES3_PKfPffZZZN2at6native31launch_logcumsumexp_cuda_kernelERKNSB_10TensorBaseESF_lENKUlvE_clEvENKUlvE0_clEvEUlffE_fEEDaPvRmT3_T4_T5_mT6_P12ihipStream_tbENKUlT_T0_E_clISt17integral_constantIbLb0EESV_IbLb1EEEEDaSR_SS_EUlSR_E0_NS1_11comp_targetILNS1_3genE10ELNS1_11target_archE1200ELNS1_3gpuE4ELNS1_3repE0EEENS1_30default_config_static_selectorELNS0_4arch9wavefront6targetE1EEEvT1_,@function
_ZN7rocprim17ROCPRIM_400000_NS6detail17trampoline_kernelINS0_14default_configENS1_20scan_config_selectorIfEEZZNS1_9scan_implILNS1_25lookback_scan_determinismE0ELb0ELb0ES3_PKfPffZZZN2at6native31launch_logcumsumexp_cuda_kernelERKNSB_10TensorBaseESF_lENKUlvE_clEvENKUlvE0_clEvEUlffE_fEEDaPvRmT3_T4_T5_mT6_P12ihipStream_tbENKUlT_T0_E_clISt17integral_constantIbLb0EESV_IbLb1EEEEDaSR_SS_EUlSR_E0_NS1_11comp_targetILNS1_3genE10ELNS1_11target_archE1200ELNS1_3gpuE4ELNS1_3repE0EEENS1_30default_config_static_selectorELNS0_4arch9wavefront6targetE1EEEvT1_: ; @_ZN7rocprim17ROCPRIM_400000_NS6detail17trampoline_kernelINS0_14default_configENS1_20scan_config_selectorIfEEZZNS1_9scan_implILNS1_25lookback_scan_determinismE0ELb0ELb0ES3_PKfPffZZZN2at6native31launch_logcumsumexp_cuda_kernelERKNSB_10TensorBaseESF_lENKUlvE_clEvENKUlvE0_clEvEUlffE_fEEDaPvRmT3_T4_T5_mT6_P12ihipStream_tbENKUlT_T0_E_clISt17integral_constantIbLb0EESV_IbLb1EEEEDaSR_SS_EUlSR_E0_NS1_11comp_targetILNS1_3genE10ELNS1_11target_archE1200ELNS1_3gpuE4ELNS1_3repE0EEENS1_30default_config_static_selectorELNS0_4arch9wavefront6targetE1EEEvT1_
; %bb.0:
	.section	.rodata,"a",@progbits
	.p2align	6, 0x0
	.amdhsa_kernel _ZN7rocprim17ROCPRIM_400000_NS6detail17trampoline_kernelINS0_14default_configENS1_20scan_config_selectorIfEEZZNS1_9scan_implILNS1_25lookback_scan_determinismE0ELb0ELb0ES3_PKfPffZZZN2at6native31launch_logcumsumexp_cuda_kernelERKNSB_10TensorBaseESF_lENKUlvE_clEvENKUlvE0_clEvEUlffE_fEEDaPvRmT3_T4_T5_mT6_P12ihipStream_tbENKUlT_T0_E_clISt17integral_constantIbLb0EESV_IbLb1EEEEDaSR_SS_EUlSR_E0_NS1_11comp_targetILNS1_3genE10ELNS1_11target_archE1200ELNS1_3gpuE4ELNS1_3repE0EEENS1_30default_config_static_selectorELNS0_4arch9wavefront6targetE1EEEvT1_
		.amdhsa_group_segment_fixed_size 0
		.amdhsa_private_segment_fixed_size 0
		.amdhsa_kernarg_size 32
		.amdhsa_user_sgpr_count 6
		.amdhsa_user_sgpr_private_segment_buffer 1
		.amdhsa_user_sgpr_dispatch_ptr 0
		.amdhsa_user_sgpr_queue_ptr 0
		.amdhsa_user_sgpr_kernarg_segment_ptr 1
		.amdhsa_user_sgpr_dispatch_id 0
		.amdhsa_user_sgpr_flat_scratch_init 0
		.amdhsa_user_sgpr_private_segment_size 0
		.amdhsa_uses_dynamic_stack 0
		.amdhsa_system_sgpr_private_segment_wavefront_offset 0
		.amdhsa_system_sgpr_workgroup_id_x 1
		.amdhsa_system_sgpr_workgroup_id_y 0
		.amdhsa_system_sgpr_workgroup_id_z 0
		.amdhsa_system_sgpr_workgroup_info 0
		.amdhsa_system_vgpr_workitem_id 0
		.amdhsa_next_free_vgpr 1
		.amdhsa_next_free_sgpr 0
		.amdhsa_reserve_vcc 0
		.amdhsa_reserve_flat_scratch 0
		.amdhsa_float_round_mode_32 0
		.amdhsa_float_round_mode_16_64 0
		.amdhsa_float_denorm_mode_32 3
		.amdhsa_float_denorm_mode_16_64 3
		.amdhsa_dx10_clamp 1
		.amdhsa_ieee_mode 1
		.amdhsa_fp16_overflow 0
		.amdhsa_exception_fp_ieee_invalid_op 0
		.amdhsa_exception_fp_denorm_src 0
		.amdhsa_exception_fp_ieee_div_zero 0
		.amdhsa_exception_fp_ieee_overflow 0
		.amdhsa_exception_fp_ieee_underflow 0
		.amdhsa_exception_fp_ieee_inexact 0
		.amdhsa_exception_int_div_zero 0
	.end_amdhsa_kernel
	.section	.text._ZN7rocprim17ROCPRIM_400000_NS6detail17trampoline_kernelINS0_14default_configENS1_20scan_config_selectorIfEEZZNS1_9scan_implILNS1_25lookback_scan_determinismE0ELb0ELb0ES3_PKfPffZZZN2at6native31launch_logcumsumexp_cuda_kernelERKNSB_10TensorBaseESF_lENKUlvE_clEvENKUlvE0_clEvEUlffE_fEEDaPvRmT3_T4_T5_mT6_P12ihipStream_tbENKUlT_T0_E_clISt17integral_constantIbLb0EESV_IbLb1EEEEDaSR_SS_EUlSR_E0_NS1_11comp_targetILNS1_3genE10ELNS1_11target_archE1200ELNS1_3gpuE4ELNS1_3repE0EEENS1_30default_config_static_selectorELNS0_4arch9wavefront6targetE1EEEvT1_,"axG",@progbits,_ZN7rocprim17ROCPRIM_400000_NS6detail17trampoline_kernelINS0_14default_configENS1_20scan_config_selectorIfEEZZNS1_9scan_implILNS1_25lookback_scan_determinismE0ELb0ELb0ES3_PKfPffZZZN2at6native31launch_logcumsumexp_cuda_kernelERKNSB_10TensorBaseESF_lENKUlvE_clEvENKUlvE0_clEvEUlffE_fEEDaPvRmT3_T4_T5_mT6_P12ihipStream_tbENKUlT_T0_E_clISt17integral_constantIbLb0EESV_IbLb1EEEEDaSR_SS_EUlSR_E0_NS1_11comp_targetILNS1_3genE10ELNS1_11target_archE1200ELNS1_3gpuE4ELNS1_3repE0EEENS1_30default_config_static_selectorELNS0_4arch9wavefront6targetE1EEEvT1_,comdat
.Lfunc_end168:
	.size	_ZN7rocprim17ROCPRIM_400000_NS6detail17trampoline_kernelINS0_14default_configENS1_20scan_config_selectorIfEEZZNS1_9scan_implILNS1_25lookback_scan_determinismE0ELb0ELb0ES3_PKfPffZZZN2at6native31launch_logcumsumexp_cuda_kernelERKNSB_10TensorBaseESF_lENKUlvE_clEvENKUlvE0_clEvEUlffE_fEEDaPvRmT3_T4_T5_mT6_P12ihipStream_tbENKUlT_T0_E_clISt17integral_constantIbLb0EESV_IbLb1EEEEDaSR_SS_EUlSR_E0_NS1_11comp_targetILNS1_3genE10ELNS1_11target_archE1200ELNS1_3gpuE4ELNS1_3repE0EEENS1_30default_config_static_selectorELNS0_4arch9wavefront6targetE1EEEvT1_, .Lfunc_end168-_ZN7rocprim17ROCPRIM_400000_NS6detail17trampoline_kernelINS0_14default_configENS1_20scan_config_selectorIfEEZZNS1_9scan_implILNS1_25lookback_scan_determinismE0ELb0ELb0ES3_PKfPffZZZN2at6native31launch_logcumsumexp_cuda_kernelERKNSB_10TensorBaseESF_lENKUlvE_clEvENKUlvE0_clEvEUlffE_fEEDaPvRmT3_T4_T5_mT6_P12ihipStream_tbENKUlT_T0_E_clISt17integral_constantIbLb0EESV_IbLb1EEEEDaSR_SS_EUlSR_E0_NS1_11comp_targetILNS1_3genE10ELNS1_11target_archE1200ELNS1_3gpuE4ELNS1_3repE0EEENS1_30default_config_static_selectorELNS0_4arch9wavefront6targetE1EEEvT1_
                                        ; -- End function
	.set _ZN7rocprim17ROCPRIM_400000_NS6detail17trampoline_kernelINS0_14default_configENS1_20scan_config_selectorIfEEZZNS1_9scan_implILNS1_25lookback_scan_determinismE0ELb0ELb0ES3_PKfPffZZZN2at6native31launch_logcumsumexp_cuda_kernelERKNSB_10TensorBaseESF_lENKUlvE_clEvENKUlvE0_clEvEUlffE_fEEDaPvRmT3_T4_T5_mT6_P12ihipStream_tbENKUlT_T0_E_clISt17integral_constantIbLb0EESV_IbLb1EEEEDaSR_SS_EUlSR_E0_NS1_11comp_targetILNS1_3genE10ELNS1_11target_archE1200ELNS1_3gpuE4ELNS1_3repE0EEENS1_30default_config_static_selectorELNS0_4arch9wavefront6targetE1EEEvT1_.num_vgpr, 0
	.set _ZN7rocprim17ROCPRIM_400000_NS6detail17trampoline_kernelINS0_14default_configENS1_20scan_config_selectorIfEEZZNS1_9scan_implILNS1_25lookback_scan_determinismE0ELb0ELb0ES3_PKfPffZZZN2at6native31launch_logcumsumexp_cuda_kernelERKNSB_10TensorBaseESF_lENKUlvE_clEvENKUlvE0_clEvEUlffE_fEEDaPvRmT3_T4_T5_mT6_P12ihipStream_tbENKUlT_T0_E_clISt17integral_constantIbLb0EESV_IbLb1EEEEDaSR_SS_EUlSR_E0_NS1_11comp_targetILNS1_3genE10ELNS1_11target_archE1200ELNS1_3gpuE4ELNS1_3repE0EEENS1_30default_config_static_selectorELNS0_4arch9wavefront6targetE1EEEvT1_.num_agpr, 0
	.set _ZN7rocprim17ROCPRIM_400000_NS6detail17trampoline_kernelINS0_14default_configENS1_20scan_config_selectorIfEEZZNS1_9scan_implILNS1_25lookback_scan_determinismE0ELb0ELb0ES3_PKfPffZZZN2at6native31launch_logcumsumexp_cuda_kernelERKNSB_10TensorBaseESF_lENKUlvE_clEvENKUlvE0_clEvEUlffE_fEEDaPvRmT3_T4_T5_mT6_P12ihipStream_tbENKUlT_T0_E_clISt17integral_constantIbLb0EESV_IbLb1EEEEDaSR_SS_EUlSR_E0_NS1_11comp_targetILNS1_3genE10ELNS1_11target_archE1200ELNS1_3gpuE4ELNS1_3repE0EEENS1_30default_config_static_selectorELNS0_4arch9wavefront6targetE1EEEvT1_.numbered_sgpr, 0
	.set _ZN7rocprim17ROCPRIM_400000_NS6detail17trampoline_kernelINS0_14default_configENS1_20scan_config_selectorIfEEZZNS1_9scan_implILNS1_25lookback_scan_determinismE0ELb0ELb0ES3_PKfPffZZZN2at6native31launch_logcumsumexp_cuda_kernelERKNSB_10TensorBaseESF_lENKUlvE_clEvENKUlvE0_clEvEUlffE_fEEDaPvRmT3_T4_T5_mT6_P12ihipStream_tbENKUlT_T0_E_clISt17integral_constantIbLb0EESV_IbLb1EEEEDaSR_SS_EUlSR_E0_NS1_11comp_targetILNS1_3genE10ELNS1_11target_archE1200ELNS1_3gpuE4ELNS1_3repE0EEENS1_30default_config_static_selectorELNS0_4arch9wavefront6targetE1EEEvT1_.num_named_barrier, 0
	.set _ZN7rocprim17ROCPRIM_400000_NS6detail17trampoline_kernelINS0_14default_configENS1_20scan_config_selectorIfEEZZNS1_9scan_implILNS1_25lookback_scan_determinismE0ELb0ELb0ES3_PKfPffZZZN2at6native31launch_logcumsumexp_cuda_kernelERKNSB_10TensorBaseESF_lENKUlvE_clEvENKUlvE0_clEvEUlffE_fEEDaPvRmT3_T4_T5_mT6_P12ihipStream_tbENKUlT_T0_E_clISt17integral_constantIbLb0EESV_IbLb1EEEEDaSR_SS_EUlSR_E0_NS1_11comp_targetILNS1_3genE10ELNS1_11target_archE1200ELNS1_3gpuE4ELNS1_3repE0EEENS1_30default_config_static_selectorELNS0_4arch9wavefront6targetE1EEEvT1_.private_seg_size, 0
	.set _ZN7rocprim17ROCPRIM_400000_NS6detail17trampoline_kernelINS0_14default_configENS1_20scan_config_selectorIfEEZZNS1_9scan_implILNS1_25lookback_scan_determinismE0ELb0ELb0ES3_PKfPffZZZN2at6native31launch_logcumsumexp_cuda_kernelERKNSB_10TensorBaseESF_lENKUlvE_clEvENKUlvE0_clEvEUlffE_fEEDaPvRmT3_T4_T5_mT6_P12ihipStream_tbENKUlT_T0_E_clISt17integral_constantIbLb0EESV_IbLb1EEEEDaSR_SS_EUlSR_E0_NS1_11comp_targetILNS1_3genE10ELNS1_11target_archE1200ELNS1_3gpuE4ELNS1_3repE0EEENS1_30default_config_static_selectorELNS0_4arch9wavefront6targetE1EEEvT1_.uses_vcc, 0
	.set _ZN7rocprim17ROCPRIM_400000_NS6detail17trampoline_kernelINS0_14default_configENS1_20scan_config_selectorIfEEZZNS1_9scan_implILNS1_25lookback_scan_determinismE0ELb0ELb0ES3_PKfPffZZZN2at6native31launch_logcumsumexp_cuda_kernelERKNSB_10TensorBaseESF_lENKUlvE_clEvENKUlvE0_clEvEUlffE_fEEDaPvRmT3_T4_T5_mT6_P12ihipStream_tbENKUlT_T0_E_clISt17integral_constantIbLb0EESV_IbLb1EEEEDaSR_SS_EUlSR_E0_NS1_11comp_targetILNS1_3genE10ELNS1_11target_archE1200ELNS1_3gpuE4ELNS1_3repE0EEENS1_30default_config_static_selectorELNS0_4arch9wavefront6targetE1EEEvT1_.uses_flat_scratch, 0
	.set _ZN7rocprim17ROCPRIM_400000_NS6detail17trampoline_kernelINS0_14default_configENS1_20scan_config_selectorIfEEZZNS1_9scan_implILNS1_25lookback_scan_determinismE0ELb0ELb0ES3_PKfPffZZZN2at6native31launch_logcumsumexp_cuda_kernelERKNSB_10TensorBaseESF_lENKUlvE_clEvENKUlvE0_clEvEUlffE_fEEDaPvRmT3_T4_T5_mT6_P12ihipStream_tbENKUlT_T0_E_clISt17integral_constantIbLb0EESV_IbLb1EEEEDaSR_SS_EUlSR_E0_NS1_11comp_targetILNS1_3genE10ELNS1_11target_archE1200ELNS1_3gpuE4ELNS1_3repE0EEENS1_30default_config_static_selectorELNS0_4arch9wavefront6targetE1EEEvT1_.has_dyn_sized_stack, 0
	.set _ZN7rocprim17ROCPRIM_400000_NS6detail17trampoline_kernelINS0_14default_configENS1_20scan_config_selectorIfEEZZNS1_9scan_implILNS1_25lookback_scan_determinismE0ELb0ELb0ES3_PKfPffZZZN2at6native31launch_logcumsumexp_cuda_kernelERKNSB_10TensorBaseESF_lENKUlvE_clEvENKUlvE0_clEvEUlffE_fEEDaPvRmT3_T4_T5_mT6_P12ihipStream_tbENKUlT_T0_E_clISt17integral_constantIbLb0EESV_IbLb1EEEEDaSR_SS_EUlSR_E0_NS1_11comp_targetILNS1_3genE10ELNS1_11target_archE1200ELNS1_3gpuE4ELNS1_3repE0EEENS1_30default_config_static_selectorELNS0_4arch9wavefront6targetE1EEEvT1_.has_recursion, 0
	.set _ZN7rocprim17ROCPRIM_400000_NS6detail17trampoline_kernelINS0_14default_configENS1_20scan_config_selectorIfEEZZNS1_9scan_implILNS1_25lookback_scan_determinismE0ELb0ELb0ES3_PKfPffZZZN2at6native31launch_logcumsumexp_cuda_kernelERKNSB_10TensorBaseESF_lENKUlvE_clEvENKUlvE0_clEvEUlffE_fEEDaPvRmT3_T4_T5_mT6_P12ihipStream_tbENKUlT_T0_E_clISt17integral_constantIbLb0EESV_IbLb1EEEEDaSR_SS_EUlSR_E0_NS1_11comp_targetILNS1_3genE10ELNS1_11target_archE1200ELNS1_3gpuE4ELNS1_3repE0EEENS1_30default_config_static_selectorELNS0_4arch9wavefront6targetE1EEEvT1_.has_indirect_call, 0
	.section	.AMDGPU.csdata,"",@progbits
; Kernel info:
; codeLenInByte = 0
; TotalNumSgprs: 4
; NumVgprs: 0
; ScratchSize: 0
; MemoryBound: 0
; FloatMode: 240
; IeeeMode: 1
; LDSByteSize: 0 bytes/workgroup (compile time only)
; SGPRBlocks: 0
; VGPRBlocks: 0
; NumSGPRsForWavesPerEU: 4
; NumVGPRsForWavesPerEU: 1
; Occupancy: 10
; WaveLimiterHint : 0
; COMPUTE_PGM_RSRC2:SCRATCH_EN: 0
; COMPUTE_PGM_RSRC2:USER_SGPR: 6
; COMPUTE_PGM_RSRC2:TRAP_HANDLER: 0
; COMPUTE_PGM_RSRC2:TGID_X_EN: 1
; COMPUTE_PGM_RSRC2:TGID_Y_EN: 0
; COMPUTE_PGM_RSRC2:TGID_Z_EN: 0
; COMPUTE_PGM_RSRC2:TIDIG_COMP_CNT: 0
	.section	.text._ZN7rocprim17ROCPRIM_400000_NS6detail17trampoline_kernelINS0_14default_configENS1_20scan_config_selectorIfEEZZNS1_9scan_implILNS1_25lookback_scan_determinismE0ELb0ELb0ES3_PKfPffZZZN2at6native31launch_logcumsumexp_cuda_kernelERKNSB_10TensorBaseESF_lENKUlvE_clEvENKUlvE0_clEvEUlffE_fEEDaPvRmT3_T4_T5_mT6_P12ihipStream_tbENKUlT_T0_E_clISt17integral_constantIbLb0EESV_IbLb1EEEEDaSR_SS_EUlSR_E0_NS1_11comp_targetILNS1_3genE9ELNS1_11target_archE1100ELNS1_3gpuE3ELNS1_3repE0EEENS1_30default_config_static_selectorELNS0_4arch9wavefront6targetE1EEEvT1_,"axG",@progbits,_ZN7rocprim17ROCPRIM_400000_NS6detail17trampoline_kernelINS0_14default_configENS1_20scan_config_selectorIfEEZZNS1_9scan_implILNS1_25lookback_scan_determinismE0ELb0ELb0ES3_PKfPffZZZN2at6native31launch_logcumsumexp_cuda_kernelERKNSB_10TensorBaseESF_lENKUlvE_clEvENKUlvE0_clEvEUlffE_fEEDaPvRmT3_T4_T5_mT6_P12ihipStream_tbENKUlT_T0_E_clISt17integral_constantIbLb0EESV_IbLb1EEEEDaSR_SS_EUlSR_E0_NS1_11comp_targetILNS1_3genE9ELNS1_11target_archE1100ELNS1_3gpuE3ELNS1_3repE0EEENS1_30default_config_static_selectorELNS0_4arch9wavefront6targetE1EEEvT1_,comdat
	.globl	_ZN7rocprim17ROCPRIM_400000_NS6detail17trampoline_kernelINS0_14default_configENS1_20scan_config_selectorIfEEZZNS1_9scan_implILNS1_25lookback_scan_determinismE0ELb0ELb0ES3_PKfPffZZZN2at6native31launch_logcumsumexp_cuda_kernelERKNSB_10TensorBaseESF_lENKUlvE_clEvENKUlvE0_clEvEUlffE_fEEDaPvRmT3_T4_T5_mT6_P12ihipStream_tbENKUlT_T0_E_clISt17integral_constantIbLb0EESV_IbLb1EEEEDaSR_SS_EUlSR_E0_NS1_11comp_targetILNS1_3genE9ELNS1_11target_archE1100ELNS1_3gpuE3ELNS1_3repE0EEENS1_30default_config_static_selectorELNS0_4arch9wavefront6targetE1EEEvT1_ ; -- Begin function _ZN7rocprim17ROCPRIM_400000_NS6detail17trampoline_kernelINS0_14default_configENS1_20scan_config_selectorIfEEZZNS1_9scan_implILNS1_25lookback_scan_determinismE0ELb0ELb0ES3_PKfPffZZZN2at6native31launch_logcumsumexp_cuda_kernelERKNSB_10TensorBaseESF_lENKUlvE_clEvENKUlvE0_clEvEUlffE_fEEDaPvRmT3_T4_T5_mT6_P12ihipStream_tbENKUlT_T0_E_clISt17integral_constantIbLb0EESV_IbLb1EEEEDaSR_SS_EUlSR_E0_NS1_11comp_targetILNS1_3genE9ELNS1_11target_archE1100ELNS1_3gpuE3ELNS1_3repE0EEENS1_30default_config_static_selectorELNS0_4arch9wavefront6targetE1EEEvT1_
	.p2align	8
	.type	_ZN7rocprim17ROCPRIM_400000_NS6detail17trampoline_kernelINS0_14default_configENS1_20scan_config_selectorIfEEZZNS1_9scan_implILNS1_25lookback_scan_determinismE0ELb0ELb0ES3_PKfPffZZZN2at6native31launch_logcumsumexp_cuda_kernelERKNSB_10TensorBaseESF_lENKUlvE_clEvENKUlvE0_clEvEUlffE_fEEDaPvRmT3_T4_T5_mT6_P12ihipStream_tbENKUlT_T0_E_clISt17integral_constantIbLb0EESV_IbLb1EEEEDaSR_SS_EUlSR_E0_NS1_11comp_targetILNS1_3genE9ELNS1_11target_archE1100ELNS1_3gpuE3ELNS1_3repE0EEENS1_30default_config_static_selectorELNS0_4arch9wavefront6targetE1EEEvT1_,@function
_ZN7rocprim17ROCPRIM_400000_NS6detail17trampoline_kernelINS0_14default_configENS1_20scan_config_selectorIfEEZZNS1_9scan_implILNS1_25lookback_scan_determinismE0ELb0ELb0ES3_PKfPffZZZN2at6native31launch_logcumsumexp_cuda_kernelERKNSB_10TensorBaseESF_lENKUlvE_clEvENKUlvE0_clEvEUlffE_fEEDaPvRmT3_T4_T5_mT6_P12ihipStream_tbENKUlT_T0_E_clISt17integral_constantIbLb0EESV_IbLb1EEEEDaSR_SS_EUlSR_E0_NS1_11comp_targetILNS1_3genE9ELNS1_11target_archE1100ELNS1_3gpuE3ELNS1_3repE0EEENS1_30default_config_static_selectorELNS0_4arch9wavefront6targetE1EEEvT1_: ; @_ZN7rocprim17ROCPRIM_400000_NS6detail17trampoline_kernelINS0_14default_configENS1_20scan_config_selectorIfEEZZNS1_9scan_implILNS1_25lookback_scan_determinismE0ELb0ELb0ES3_PKfPffZZZN2at6native31launch_logcumsumexp_cuda_kernelERKNSB_10TensorBaseESF_lENKUlvE_clEvENKUlvE0_clEvEUlffE_fEEDaPvRmT3_T4_T5_mT6_P12ihipStream_tbENKUlT_T0_E_clISt17integral_constantIbLb0EESV_IbLb1EEEEDaSR_SS_EUlSR_E0_NS1_11comp_targetILNS1_3genE9ELNS1_11target_archE1100ELNS1_3gpuE3ELNS1_3repE0EEENS1_30default_config_static_selectorELNS0_4arch9wavefront6targetE1EEEvT1_
; %bb.0:
	.section	.rodata,"a",@progbits
	.p2align	6, 0x0
	.amdhsa_kernel _ZN7rocprim17ROCPRIM_400000_NS6detail17trampoline_kernelINS0_14default_configENS1_20scan_config_selectorIfEEZZNS1_9scan_implILNS1_25lookback_scan_determinismE0ELb0ELb0ES3_PKfPffZZZN2at6native31launch_logcumsumexp_cuda_kernelERKNSB_10TensorBaseESF_lENKUlvE_clEvENKUlvE0_clEvEUlffE_fEEDaPvRmT3_T4_T5_mT6_P12ihipStream_tbENKUlT_T0_E_clISt17integral_constantIbLb0EESV_IbLb1EEEEDaSR_SS_EUlSR_E0_NS1_11comp_targetILNS1_3genE9ELNS1_11target_archE1100ELNS1_3gpuE3ELNS1_3repE0EEENS1_30default_config_static_selectorELNS0_4arch9wavefront6targetE1EEEvT1_
		.amdhsa_group_segment_fixed_size 0
		.amdhsa_private_segment_fixed_size 0
		.amdhsa_kernarg_size 32
		.amdhsa_user_sgpr_count 6
		.amdhsa_user_sgpr_private_segment_buffer 1
		.amdhsa_user_sgpr_dispatch_ptr 0
		.amdhsa_user_sgpr_queue_ptr 0
		.amdhsa_user_sgpr_kernarg_segment_ptr 1
		.amdhsa_user_sgpr_dispatch_id 0
		.amdhsa_user_sgpr_flat_scratch_init 0
		.amdhsa_user_sgpr_private_segment_size 0
		.amdhsa_uses_dynamic_stack 0
		.amdhsa_system_sgpr_private_segment_wavefront_offset 0
		.amdhsa_system_sgpr_workgroup_id_x 1
		.amdhsa_system_sgpr_workgroup_id_y 0
		.amdhsa_system_sgpr_workgroup_id_z 0
		.amdhsa_system_sgpr_workgroup_info 0
		.amdhsa_system_vgpr_workitem_id 0
		.amdhsa_next_free_vgpr 1
		.amdhsa_next_free_sgpr 0
		.amdhsa_reserve_vcc 0
		.amdhsa_reserve_flat_scratch 0
		.amdhsa_float_round_mode_32 0
		.amdhsa_float_round_mode_16_64 0
		.amdhsa_float_denorm_mode_32 3
		.amdhsa_float_denorm_mode_16_64 3
		.amdhsa_dx10_clamp 1
		.amdhsa_ieee_mode 1
		.amdhsa_fp16_overflow 0
		.amdhsa_exception_fp_ieee_invalid_op 0
		.amdhsa_exception_fp_denorm_src 0
		.amdhsa_exception_fp_ieee_div_zero 0
		.amdhsa_exception_fp_ieee_overflow 0
		.amdhsa_exception_fp_ieee_underflow 0
		.amdhsa_exception_fp_ieee_inexact 0
		.amdhsa_exception_int_div_zero 0
	.end_amdhsa_kernel
	.section	.text._ZN7rocprim17ROCPRIM_400000_NS6detail17trampoline_kernelINS0_14default_configENS1_20scan_config_selectorIfEEZZNS1_9scan_implILNS1_25lookback_scan_determinismE0ELb0ELb0ES3_PKfPffZZZN2at6native31launch_logcumsumexp_cuda_kernelERKNSB_10TensorBaseESF_lENKUlvE_clEvENKUlvE0_clEvEUlffE_fEEDaPvRmT3_T4_T5_mT6_P12ihipStream_tbENKUlT_T0_E_clISt17integral_constantIbLb0EESV_IbLb1EEEEDaSR_SS_EUlSR_E0_NS1_11comp_targetILNS1_3genE9ELNS1_11target_archE1100ELNS1_3gpuE3ELNS1_3repE0EEENS1_30default_config_static_selectorELNS0_4arch9wavefront6targetE1EEEvT1_,"axG",@progbits,_ZN7rocprim17ROCPRIM_400000_NS6detail17trampoline_kernelINS0_14default_configENS1_20scan_config_selectorIfEEZZNS1_9scan_implILNS1_25lookback_scan_determinismE0ELb0ELb0ES3_PKfPffZZZN2at6native31launch_logcumsumexp_cuda_kernelERKNSB_10TensorBaseESF_lENKUlvE_clEvENKUlvE0_clEvEUlffE_fEEDaPvRmT3_T4_T5_mT6_P12ihipStream_tbENKUlT_T0_E_clISt17integral_constantIbLb0EESV_IbLb1EEEEDaSR_SS_EUlSR_E0_NS1_11comp_targetILNS1_3genE9ELNS1_11target_archE1100ELNS1_3gpuE3ELNS1_3repE0EEENS1_30default_config_static_selectorELNS0_4arch9wavefront6targetE1EEEvT1_,comdat
.Lfunc_end169:
	.size	_ZN7rocprim17ROCPRIM_400000_NS6detail17trampoline_kernelINS0_14default_configENS1_20scan_config_selectorIfEEZZNS1_9scan_implILNS1_25lookback_scan_determinismE0ELb0ELb0ES3_PKfPffZZZN2at6native31launch_logcumsumexp_cuda_kernelERKNSB_10TensorBaseESF_lENKUlvE_clEvENKUlvE0_clEvEUlffE_fEEDaPvRmT3_T4_T5_mT6_P12ihipStream_tbENKUlT_T0_E_clISt17integral_constantIbLb0EESV_IbLb1EEEEDaSR_SS_EUlSR_E0_NS1_11comp_targetILNS1_3genE9ELNS1_11target_archE1100ELNS1_3gpuE3ELNS1_3repE0EEENS1_30default_config_static_selectorELNS0_4arch9wavefront6targetE1EEEvT1_, .Lfunc_end169-_ZN7rocprim17ROCPRIM_400000_NS6detail17trampoline_kernelINS0_14default_configENS1_20scan_config_selectorIfEEZZNS1_9scan_implILNS1_25lookback_scan_determinismE0ELb0ELb0ES3_PKfPffZZZN2at6native31launch_logcumsumexp_cuda_kernelERKNSB_10TensorBaseESF_lENKUlvE_clEvENKUlvE0_clEvEUlffE_fEEDaPvRmT3_T4_T5_mT6_P12ihipStream_tbENKUlT_T0_E_clISt17integral_constantIbLb0EESV_IbLb1EEEEDaSR_SS_EUlSR_E0_NS1_11comp_targetILNS1_3genE9ELNS1_11target_archE1100ELNS1_3gpuE3ELNS1_3repE0EEENS1_30default_config_static_selectorELNS0_4arch9wavefront6targetE1EEEvT1_
                                        ; -- End function
	.set _ZN7rocprim17ROCPRIM_400000_NS6detail17trampoline_kernelINS0_14default_configENS1_20scan_config_selectorIfEEZZNS1_9scan_implILNS1_25lookback_scan_determinismE0ELb0ELb0ES3_PKfPffZZZN2at6native31launch_logcumsumexp_cuda_kernelERKNSB_10TensorBaseESF_lENKUlvE_clEvENKUlvE0_clEvEUlffE_fEEDaPvRmT3_T4_T5_mT6_P12ihipStream_tbENKUlT_T0_E_clISt17integral_constantIbLb0EESV_IbLb1EEEEDaSR_SS_EUlSR_E0_NS1_11comp_targetILNS1_3genE9ELNS1_11target_archE1100ELNS1_3gpuE3ELNS1_3repE0EEENS1_30default_config_static_selectorELNS0_4arch9wavefront6targetE1EEEvT1_.num_vgpr, 0
	.set _ZN7rocprim17ROCPRIM_400000_NS6detail17trampoline_kernelINS0_14default_configENS1_20scan_config_selectorIfEEZZNS1_9scan_implILNS1_25lookback_scan_determinismE0ELb0ELb0ES3_PKfPffZZZN2at6native31launch_logcumsumexp_cuda_kernelERKNSB_10TensorBaseESF_lENKUlvE_clEvENKUlvE0_clEvEUlffE_fEEDaPvRmT3_T4_T5_mT6_P12ihipStream_tbENKUlT_T0_E_clISt17integral_constantIbLb0EESV_IbLb1EEEEDaSR_SS_EUlSR_E0_NS1_11comp_targetILNS1_3genE9ELNS1_11target_archE1100ELNS1_3gpuE3ELNS1_3repE0EEENS1_30default_config_static_selectorELNS0_4arch9wavefront6targetE1EEEvT1_.num_agpr, 0
	.set _ZN7rocprim17ROCPRIM_400000_NS6detail17trampoline_kernelINS0_14default_configENS1_20scan_config_selectorIfEEZZNS1_9scan_implILNS1_25lookback_scan_determinismE0ELb0ELb0ES3_PKfPffZZZN2at6native31launch_logcumsumexp_cuda_kernelERKNSB_10TensorBaseESF_lENKUlvE_clEvENKUlvE0_clEvEUlffE_fEEDaPvRmT3_T4_T5_mT6_P12ihipStream_tbENKUlT_T0_E_clISt17integral_constantIbLb0EESV_IbLb1EEEEDaSR_SS_EUlSR_E0_NS1_11comp_targetILNS1_3genE9ELNS1_11target_archE1100ELNS1_3gpuE3ELNS1_3repE0EEENS1_30default_config_static_selectorELNS0_4arch9wavefront6targetE1EEEvT1_.numbered_sgpr, 0
	.set _ZN7rocprim17ROCPRIM_400000_NS6detail17trampoline_kernelINS0_14default_configENS1_20scan_config_selectorIfEEZZNS1_9scan_implILNS1_25lookback_scan_determinismE0ELb0ELb0ES3_PKfPffZZZN2at6native31launch_logcumsumexp_cuda_kernelERKNSB_10TensorBaseESF_lENKUlvE_clEvENKUlvE0_clEvEUlffE_fEEDaPvRmT3_T4_T5_mT6_P12ihipStream_tbENKUlT_T0_E_clISt17integral_constantIbLb0EESV_IbLb1EEEEDaSR_SS_EUlSR_E0_NS1_11comp_targetILNS1_3genE9ELNS1_11target_archE1100ELNS1_3gpuE3ELNS1_3repE0EEENS1_30default_config_static_selectorELNS0_4arch9wavefront6targetE1EEEvT1_.num_named_barrier, 0
	.set _ZN7rocprim17ROCPRIM_400000_NS6detail17trampoline_kernelINS0_14default_configENS1_20scan_config_selectorIfEEZZNS1_9scan_implILNS1_25lookback_scan_determinismE0ELb0ELb0ES3_PKfPffZZZN2at6native31launch_logcumsumexp_cuda_kernelERKNSB_10TensorBaseESF_lENKUlvE_clEvENKUlvE0_clEvEUlffE_fEEDaPvRmT3_T4_T5_mT6_P12ihipStream_tbENKUlT_T0_E_clISt17integral_constantIbLb0EESV_IbLb1EEEEDaSR_SS_EUlSR_E0_NS1_11comp_targetILNS1_3genE9ELNS1_11target_archE1100ELNS1_3gpuE3ELNS1_3repE0EEENS1_30default_config_static_selectorELNS0_4arch9wavefront6targetE1EEEvT1_.private_seg_size, 0
	.set _ZN7rocprim17ROCPRIM_400000_NS6detail17trampoline_kernelINS0_14default_configENS1_20scan_config_selectorIfEEZZNS1_9scan_implILNS1_25lookback_scan_determinismE0ELb0ELb0ES3_PKfPffZZZN2at6native31launch_logcumsumexp_cuda_kernelERKNSB_10TensorBaseESF_lENKUlvE_clEvENKUlvE0_clEvEUlffE_fEEDaPvRmT3_T4_T5_mT6_P12ihipStream_tbENKUlT_T0_E_clISt17integral_constantIbLb0EESV_IbLb1EEEEDaSR_SS_EUlSR_E0_NS1_11comp_targetILNS1_3genE9ELNS1_11target_archE1100ELNS1_3gpuE3ELNS1_3repE0EEENS1_30default_config_static_selectorELNS0_4arch9wavefront6targetE1EEEvT1_.uses_vcc, 0
	.set _ZN7rocprim17ROCPRIM_400000_NS6detail17trampoline_kernelINS0_14default_configENS1_20scan_config_selectorIfEEZZNS1_9scan_implILNS1_25lookback_scan_determinismE0ELb0ELb0ES3_PKfPffZZZN2at6native31launch_logcumsumexp_cuda_kernelERKNSB_10TensorBaseESF_lENKUlvE_clEvENKUlvE0_clEvEUlffE_fEEDaPvRmT3_T4_T5_mT6_P12ihipStream_tbENKUlT_T0_E_clISt17integral_constantIbLb0EESV_IbLb1EEEEDaSR_SS_EUlSR_E0_NS1_11comp_targetILNS1_3genE9ELNS1_11target_archE1100ELNS1_3gpuE3ELNS1_3repE0EEENS1_30default_config_static_selectorELNS0_4arch9wavefront6targetE1EEEvT1_.uses_flat_scratch, 0
	.set _ZN7rocprim17ROCPRIM_400000_NS6detail17trampoline_kernelINS0_14default_configENS1_20scan_config_selectorIfEEZZNS1_9scan_implILNS1_25lookback_scan_determinismE0ELb0ELb0ES3_PKfPffZZZN2at6native31launch_logcumsumexp_cuda_kernelERKNSB_10TensorBaseESF_lENKUlvE_clEvENKUlvE0_clEvEUlffE_fEEDaPvRmT3_T4_T5_mT6_P12ihipStream_tbENKUlT_T0_E_clISt17integral_constantIbLb0EESV_IbLb1EEEEDaSR_SS_EUlSR_E0_NS1_11comp_targetILNS1_3genE9ELNS1_11target_archE1100ELNS1_3gpuE3ELNS1_3repE0EEENS1_30default_config_static_selectorELNS0_4arch9wavefront6targetE1EEEvT1_.has_dyn_sized_stack, 0
	.set _ZN7rocprim17ROCPRIM_400000_NS6detail17trampoline_kernelINS0_14default_configENS1_20scan_config_selectorIfEEZZNS1_9scan_implILNS1_25lookback_scan_determinismE0ELb0ELb0ES3_PKfPffZZZN2at6native31launch_logcumsumexp_cuda_kernelERKNSB_10TensorBaseESF_lENKUlvE_clEvENKUlvE0_clEvEUlffE_fEEDaPvRmT3_T4_T5_mT6_P12ihipStream_tbENKUlT_T0_E_clISt17integral_constantIbLb0EESV_IbLb1EEEEDaSR_SS_EUlSR_E0_NS1_11comp_targetILNS1_3genE9ELNS1_11target_archE1100ELNS1_3gpuE3ELNS1_3repE0EEENS1_30default_config_static_selectorELNS0_4arch9wavefront6targetE1EEEvT1_.has_recursion, 0
	.set _ZN7rocprim17ROCPRIM_400000_NS6detail17trampoline_kernelINS0_14default_configENS1_20scan_config_selectorIfEEZZNS1_9scan_implILNS1_25lookback_scan_determinismE0ELb0ELb0ES3_PKfPffZZZN2at6native31launch_logcumsumexp_cuda_kernelERKNSB_10TensorBaseESF_lENKUlvE_clEvENKUlvE0_clEvEUlffE_fEEDaPvRmT3_T4_T5_mT6_P12ihipStream_tbENKUlT_T0_E_clISt17integral_constantIbLb0EESV_IbLb1EEEEDaSR_SS_EUlSR_E0_NS1_11comp_targetILNS1_3genE9ELNS1_11target_archE1100ELNS1_3gpuE3ELNS1_3repE0EEENS1_30default_config_static_selectorELNS0_4arch9wavefront6targetE1EEEvT1_.has_indirect_call, 0
	.section	.AMDGPU.csdata,"",@progbits
; Kernel info:
; codeLenInByte = 0
; TotalNumSgprs: 4
; NumVgprs: 0
; ScratchSize: 0
; MemoryBound: 0
; FloatMode: 240
; IeeeMode: 1
; LDSByteSize: 0 bytes/workgroup (compile time only)
; SGPRBlocks: 0
; VGPRBlocks: 0
; NumSGPRsForWavesPerEU: 4
; NumVGPRsForWavesPerEU: 1
; Occupancy: 10
; WaveLimiterHint : 0
; COMPUTE_PGM_RSRC2:SCRATCH_EN: 0
; COMPUTE_PGM_RSRC2:USER_SGPR: 6
; COMPUTE_PGM_RSRC2:TRAP_HANDLER: 0
; COMPUTE_PGM_RSRC2:TGID_X_EN: 1
; COMPUTE_PGM_RSRC2:TGID_Y_EN: 0
; COMPUTE_PGM_RSRC2:TGID_Z_EN: 0
; COMPUTE_PGM_RSRC2:TIDIG_COMP_CNT: 0
	.section	.text._ZN7rocprim17ROCPRIM_400000_NS6detail17trampoline_kernelINS0_14default_configENS1_20scan_config_selectorIfEEZZNS1_9scan_implILNS1_25lookback_scan_determinismE0ELb0ELb0ES3_PKfPffZZZN2at6native31launch_logcumsumexp_cuda_kernelERKNSB_10TensorBaseESF_lENKUlvE_clEvENKUlvE0_clEvEUlffE_fEEDaPvRmT3_T4_T5_mT6_P12ihipStream_tbENKUlT_T0_E_clISt17integral_constantIbLb0EESV_IbLb1EEEEDaSR_SS_EUlSR_E0_NS1_11comp_targetILNS1_3genE8ELNS1_11target_archE1030ELNS1_3gpuE2ELNS1_3repE0EEENS1_30default_config_static_selectorELNS0_4arch9wavefront6targetE1EEEvT1_,"axG",@progbits,_ZN7rocprim17ROCPRIM_400000_NS6detail17trampoline_kernelINS0_14default_configENS1_20scan_config_selectorIfEEZZNS1_9scan_implILNS1_25lookback_scan_determinismE0ELb0ELb0ES3_PKfPffZZZN2at6native31launch_logcumsumexp_cuda_kernelERKNSB_10TensorBaseESF_lENKUlvE_clEvENKUlvE0_clEvEUlffE_fEEDaPvRmT3_T4_T5_mT6_P12ihipStream_tbENKUlT_T0_E_clISt17integral_constantIbLb0EESV_IbLb1EEEEDaSR_SS_EUlSR_E0_NS1_11comp_targetILNS1_3genE8ELNS1_11target_archE1030ELNS1_3gpuE2ELNS1_3repE0EEENS1_30default_config_static_selectorELNS0_4arch9wavefront6targetE1EEEvT1_,comdat
	.globl	_ZN7rocprim17ROCPRIM_400000_NS6detail17trampoline_kernelINS0_14default_configENS1_20scan_config_selectorIfEEZZNS1_9scan_implILNS1_25lookback_scan_determinismE0ELb0ELb0ES3_PKfPffZZZN2at6native31launch_logcumsumexp_cuda_kernelERKNSB_10TensorBaseESF_lENKUlvE_clEvENKUlvE0_clEvEUlffE_fEEDaPvRmT3_T4_T5_mT6_P12ihipStream_tbENKUlT_T0_E_clISt17integral_constantIbLb0EESV_IbLb1EEEEDaSR_SS_EUlSR_E0_NS1_11comp_targetILNS1_3genE8ELNS1_11target_archE1030ELNS1_3gpuE2ELNS1_3repE0EEENS1_30default_config_static_selectorELNS0_4arch9wavefront6targetE1EEEvT1_ ; -- Begin function _ZN7rocprim17ROCPRIM_400000_NS6detail17trampoline_kernelINS0_14default_configENS1_20scan_config_selectorIfEEZZNS1_9scan_implILNS1_25lookback_scan_determinismE0ELb0ELb0ES3_PKfPffZZZN2at6native31launch_logcumsumexp_cuda_kernelERKNSB_10TensorBaseESF_lENKUlvE_clEvENKUlvE0_clEvEUlffE_fEEDaPvRmT3_T4_T5_mT6_P12ihipStream_tbENKUlT_T0_E_clISt17integral_constantIbLb0EESV_IbLb1EEEEDaSR_SS_EUlSR_E0_NS1_11comp_targetILNS1_3genE8ELNS1_11target_archE1030ELNS1_3gpuE2ELNS1_3repE0EEENS1_30default_config_static_selectorELNS0_4arch9wavefront6targetE1EEEvT1_
	.p2align	8
	.type	_ZN7rocprim17ROCPRIM_400000_NS6detail17trampoline_kernelINS0_14default_configENS1_20scan_config_selectorIfEEZZNS1_9scan_implILNS1_25lookback_scan_determinismE0ELb0ELb0ES3_PKfPffZZZN2at6native31launch_logcumsumexp_cuda_kernelERKNSB_10TensorBaseESF_lENKUlvE_clEvENKUlvE0_clEvEUlffE_fEEDaPvRmT3_T4_T5_mT6_P12ihipStream_tbENKUlT_T0_E_clISt17integral_constantIbLb0EESV_IbLb1EEEEDaSR_SS_EUlSR_E0_NS1_11comp_targetILNS1_3genE8ELNS1_11target_archE1030ELNS1_3gpuE2ELNS1_3repE0EEENS1_30default_config_static_selectorELNS0_4arch9wavefront6targetE1EEEvT1_,@function
_ZN7rocprim17ROCPRIM_400000_NS6detail17trampoline_kernelINS0_14default_configENS1_20scan_config_selectorIfEEZZNS1_9scan_implILNS1_25lookback_scan_determinismE0ELb0ELb0ES3_PKfPffZZZN2at6native31launch_logcumsumexp_cuda_kernelERKNSB_10TensorBaseESF_lENKUlvE_clEvENKUlvE0_clEvEUlffE_fEEDaPvRmT3_T4_T5_mT6_P12ihipStream_tbENKUlT_T0_E_clISt17integral_constantIbLb0EESV_IbLb1EEEEDaSR_SS_EUlSR_E0_NS1_11comp_targetILNS1_3genE8ELNS1_11target_archE1030ELNS1_3gpuE2ELNS1_3repE0EEENS1_30default_config_static_selectorELNS0_4arch9wavefront6targetE1EEEvT1_: ; @_ZN7rocprim17ROCPRIM_400000_NS6detail17trampoline_kernelINS0_14default_configENS1_20scan_config_selectorIfEEZZNS1_9scan_implILNS1_25lookback_scan_determinismE0ELb0ELb0ES3_PKfPffZZZN2at6native31launch_logcumsumexp_cuda_kernelERKNSB_10TensorBaseESF_lENKUlvE_clEvENKUlvE0_clEvEUlffE_fEEDaPvRmT3_T4_T5_mT6_P12ihipStream_tbENKUlT_T0_E_clISt17integral_constantIbLb0EESV_IbLb1EEEEDaSR_SS_EUlSR_E0_NS1_11comp_targetILNS1_3genE8ELNS1_11target_archE1030ELNS1_3gpuE2ELNS1_3repE0EEENS1_30default_config_static_selectorELNS0_4arch9wavefront6targetE1EEEvT1_
; %bb.0:
	.section	.rodata,"a",@progbits
	.p2align	6, 0x0
	.amdhsa_kernel _ZN7rocprim17ROCPRIM_400000_NS6detail17trampoline_kernelINS0_14default_configENS1_20scan_config_selectorIfEEZZNS1_9scan_implILNS1_25lookback_scan_determinismE0ELb0ELb0ES3_PKfPffZZZN2at6native31launch_logcumsumexp_cuda_kernelERKNSB_10TensorBaseESF_lENKUlvE_clEvENKUlvE0_clEvEUlffE_fEEDaPvRmT3_T4_T5_mT6_P12ihipStream_tbENKUlT_T0_E_clISt17integral_constantIbLb0EESV_IbLb1EEEEDaSR_SS_EUlSR_E0_NS1_11comp_targetILNS1_3genE8ELNS1_11target_archE1030ELNS1_3gpuE2ELNS1_3repE0EEENS1_30default_config_static_selectorELNS0_4arch9wavefront6targetE1EEEvT1_
		.amdhsa_group_segment_fixed_size 0
		.amdhsa_private_segment_fixed_size 0
		.amdhsa_kernarg_size 32
		.amdhsa_user_sgpr_count 6
		.amdhsa_user_sgpr_private_segment_buffer 1
		.amdhsa_user_sgpr_dispatch_ptr 0
		.amdhsa_user_sgpr_queue_ptr 0
		.amdhsa_user_sgpr_kernarg_segment_ptr 1
		.amdhsa_user_sgpr_dispatch_id 0
		.amdhsa_user_sgpr_flat_scratch_init 0
		.amdhsa_user_sgpr_private_segment_size 0
		.amdhsa_uses_dynamic_stack 0
		.amdhsa_system_sgpr_private_segment_wavefront_offset 0
		.amdhsa_system_sgpr_workgroup_id_x 1
		.amdhsa_system_sgpr_workgroup_id_y 0
		.amdhsa_system_sgpr_workgroup_id_z 0
		.amdhsa_system_sgpr_workgroup_info 0
		.amdhsa_system_vgpr_workitem_id 0
		.amdhsa_next_free_vgpr 1
		.amdhsa_next_free_sgpr 0
		.amdhsa_reserve_vcc 0
		.amdhsa_reserve_flat_scratch 0
		.amdhsa_float_round_mode_32 0
		.amdhsa_float_round_mode_16_64 0
		.amdhsa_float_denorm_mode_32 3
		.amdhsa_float_denorm_mode_16_64 3
		.amdhsa_dx10_clamp 1
		.amdhsa_ieee_mode 1
		.amdhsa_fp16_overflow 0
		.amdhsa_exception_fp_ieee_invalid_op 0
		.amdhsa_exception_fp_denorm_src 0
		.amdhsa_exception_fp_ieee_div_zero 0
		.amdhsa_exception_fp_ieee_overflow 0
		.amdhsa_exception_fp_ieee_underflow 0
		.amdhsa_exception_fp_ieee_inexact 0
		.amdhsa_exception_int_div_zero 0
	.end_amdhsa_kernel
	.section	.text._ZN7rocprim17ROCPRIM_400000_NS6detail17trampoline_kernelINS0_14default_configENS1_20scan_config_selectorIfEEZZNS1_9scan_implILNS1_25lookback_scan_determinismE0ELb0ELb0ES3_PKfPffZZZN2at6native31launch_logcumsumexp_cuda_kernelERKNSB_10TensorBaseESF_lENKUlvE_clEvENKUlvE0_clEvEUlffE_fEEDaPvRmT3_T4_T5_mT6_P12ihipStream_tbENKUlT_T0_E_clISt17integral_constantIbLb0EESV_IbLb1EEEEDaSR_SS_EUlSR_E0_NS1_11comp_targetILNS1_3genE8ELNS1_11target_archE1030ELNS1_3gpuE2ELNS1_3repE0EEENS1_30default_config_static_selectorELNS0_4arch9wavefront6targetE1EEEvT1_,"axG",@progbits,_ZN7rocprim17ROCPRIM_400000_NS6detail17trampoline_kernelINS0_14default_configENS1_20scan_config_selectorIfEEZZNS1_9scan_implILNS1_25lookback_scan_determinismE0ELb0ELb0ES3_PKfPffZZZN2at6native31launch_logcumsumexp_cuda_kernelERKNSB_10TensorBaseESF_lENKUlvE_clEvENKUlvE0_clEvEUlffE_fEEDaPvRmT3_T4_T5_mT6_P12ihipStream_tbENKUlT_T0_E_clISt17integral_constantIbLb0EESV_IbLb1EEEEDaSR_SS_EUlSR_E0_NS1_11comp_targetILNS1_3genE8ELNS1_11target_archE1030ELNS1_3gpuE2ELNS1_3repE0EEENS1_30default_config_static_selectorELNS0_4arch9wavefront6targetE1EEEvT1_,comdat
.Lfunc_end170:
	.size	_ZN7rocprim17ROCPRIM_400000_NS6detail17trampoline_kernelINS0_14default_configENS1_20scan_config_selectorIfEEZZNS1_9scan_implILNS1_25lookback_scan_determinismE0ELb0ELb0ES3_PKfPffZZZN2at6native31launch_logcumsumexp_cuda_kernelERKNSB_10TensorBaseESF_lENKUlvE_clEvENKUlvE0_clEvEUlffE_fEEDaPvRmT3_T4_T5_mT6_P12ihipStream_tbENKUlT_T0_E_clISt17integral_constantIbLb0EESV_IbLb1EEEEDaSR_SS_EUlSR_E0_NS1_11comp_targetILNS1_3genE8ELNS1_11target_archE1030ELNS1_3gpuE2ELNS1_3repE0EEENS1_30default_config_static_selectorELNS0_4arch9wavefront6targetE1EEEvT1_, .Lfunc_end170-_ZN7rocprim17ROCPRIM_400000_NS6detail17trampoline_kernelINS0_14default_configENS1_20scan_config_selectorIfEEZZNS1_9scan_implILNS1_25lookback_scan_determinismE0ELb0ELb0ES3_PKfPffZZZN2at6native31launch_logcumsumexp_cuda_kernelERKNSB_10TensorBaseESF_lENKUlvE_clEvENKUlvE0_clEvEUlffE_fEEDaPvRmT3_T4_T5_mT6_P12ihipStream_tbENKUlT_T0_E_clISt17integral_constantIbLb0EESV_IbLb1EEEEDaSR_SS_EUlSR_E0_NS1_11comp_targetILNS1_3genE8ELNS1_11target_archE1030ELNS1_3gpuE2ELNS1_3repE0EEENS1_30default_config_static_selectorELNS0_4arch9wavefront6targetE1EEEvT1_
                                        ; -- End function
	.set _ZN7rocprim17ROCPRIM_400000_NS6detail17trampoline_kernelINS0_14default_configENS1_20scan_config_selectorIfEEZZNS1_9scan_implILNS1_25lookback_scan_determinismE0ELb0ELb0ES3_PKfPffZZZN2at6native31launch_logcumsumexp_cuda_kernelERKNSB_10TensorBaseESF_lENKUlvE_clEvENKUlvE0_clEvEUlffE_fEEDaPvRmT3_T4_T5_mT6_P12ihipStream_tbENKUlT_T0_E_clISt17integral_constantIbLb0EESV_IbLb1EEEEDaSR_SS_EUlSR_E0_NS1_11comp_targetILNS1_3genE8ELNS1_11target_archE1030ELNS1_3gpuE2ELNS1_3repE0EEENS1_30default_config_static_selectorELNS0_4arch9wavefront6targetE1EEEvT1_.num_vgpr, 0
	.set _ZN7rocprim17ROCPRIM_400000_NS6detail17trampoline_kernelINS0_14default_configENS1_20scan_config_selectorIfEEZZNS1_9scan_implILNS1_25lookback_scan_determinismE0ELb0ELb0ES3_PKfPffZZZN2at6native31launch_logcumsumexp_cuda_kernelERKNSB_10TensorBaseESF_lENKUlvE_clEvENKUlvE0_clEvEUlffE_fEEDaPvRmT3_T4_T5_mT6_P12ihipStream_tbENKUlT_T0_E_clISt17integral_constantIbLb0EESV_IbLb1EEEEDaSR_SS_EUlSR_E0_NS1_11comp_targetILNS1_3genE8ELNS1_11target_archE1030ELNS1_3gpuE2ELNS1_3repE0EEENS1_30default_config_static_selectorELNS0_4arch9wavefront6targetE1EEEvT1_.num_agpr, 0
	.set _ZN7rocprim17ROCPRIM_400000_NS6detail17trampoline_kernelINS0_14default_configENS1_20scan_config_selectorIfEEZZNS1_9scan_implILNS1_25lookback_scan_determinismE0ELb0ELb0ES3_PKfPffZZZN2at6native31launch_logcumsumexp_cuda_kernelERKNSB_10TensorBaseESF_lENKUlvE_clEvENKUlvE0_clEvEUlffE_fEEDaPvRmT3_T4_T5_mT6_P12ihipStream_tbENKUlT_T0_E_clISt17integral_constantIbLb0EESV_IbLb1EEEEDaSR_SS_EUlSR_E0_NS1_11comp_targetILNS1_3genE8ELNS1_11target_archE1030ELNS1_3gpuE2ELNS1_3repE0EEENS1_30default_config_static_selectorELNS0_4arch9wavefront6targetE1EEEvT1_.numbered_sgpr, 0
	.set _ZN7rocprim17ROCPRIM_400000_NS6detail17trampoline_kernelINS0_14default_configENS1_20scan_config_selectorIfEEZZNS1_9scan_implILNS1_25lookback_scan_determinismE0ELb0ELb0ES3_PKfPffZZZN2at6native31launch_logcumsumexp_cuda_kernelERKNSB_10TensorBaseESF_lENKUlvE_clEvENKUlvE0_clEvEUlffE_fEEDaPvRmT3_T4_T5_mT6_P12ihipStream_tbENKUlT_T0_E_clISt17integral_constantIbLb0EESV_IbLb1EEEEDaSR_SS_EUlSR_E0_NS1_11comp_targetILNS1_3genE8ELNS1_11target_archE1030ELNS1_3gpuE2ELNS1_3repE0EEENS1_30default_config_static_selectorELNS0_4arch9wavefront6targetE1EEEvT1_.num_named_barrier, 0
	.set _ZN7rocprim17ROCPRIM_400000_NS6detail17trampoline_kernelINS0_14default_configENS1_20scan_config_selectorIfEEZZNS1_9scan_implILNS1_25lookback_scan_determinismE0ELb0ELb0ES3_PKfPffZZZN2at6native31launch_logcumsumexp_cuda_kernelERKNSB_10TensorBaseESF_lENKUlvE_clEvENKUlvE0_clEvEUlffE_fEEDaPvRmT3_T4_T5_mT6_P12ihipStream_tbENKUlT_T0_E_clISt17integral_constantIbLb0EESV_IbLb1EEEEDaSR_SS_EUlSR_E0_NS1_11comp_targetILNS1_3genE8ELNS1_11target_archE1030ELNS1_3gpuE2ELNS1_3repE0EEENS1_30default_config_static_selectorELNS0_4arch9wavefront6targetE1EEEvT1_.private_seg_size, 0
	.set _ZN7rocprim17ROCPRIM_400000_NS6detail17trampoline_kernelINS0_14default_configENS1_20scan_config_selectorIfEEZZNS1_9scan_implILNS1_25lookback_scan_determinismE0ELb0ELb0ES3_PKfPffZZZN2at6native31launch_logcumsumexp_cuda_kernelERKNSB_10TensorBaseESF_lENKUlvE_clEvENKUlvE0_clEvEUlffE_fEEDaPvRmT3_T4_T5_mT6_P12ihipStream_tbENKUlT_T0_E_clISt17integral_constantIbLb0EESV_IbLb1EEEEDaSR_SS_EUlSR_E0_NS1_11comp_targetILNS1_3genE8ELNS1_11target_archE1030ELNS1_3gpuE2ELNS1_3repE0EEENS1_30default_config_static_selectorELNS0_4arch9wavefront6targetE1EEEvT1_.uses_vcc, 0
	.set _ZN7rocprim17ROCPRIM_400000_NS6detail17trampoline_kernelINS0_14default_configENS1_20scan_config_selectorIfEEZZNS1_9scan_implILNS1_25lookback_scan_determinismE0ELb0ELb0ES3_PKfPffZZZN2at6native31launch_logcumsumexp_cuda_kernelERKNSB_10TensorBaseESF_lENKUlvE_clEvENKUlvE0_clEvEUlffE_fEEDaPvRmT3_T4_T5_mT6_P12ihipStream_tbENKUlT_T0_E_clISt17integral_constantIbLb0EESV_IbLb1EEEEDaSR_SS_EUlSR_E0_NS1_11comp_targetILNS1_3genE8ELNS1_11target_archE1030ELNS1_3gpuE2ELNS1_3repE0EEENS1_30default_config_static_selectorELNS0_4arch9wavefront6targetE1EEEvT1_.uses_flat_scratch, 0
	.set _ZN7rocprim17ROCPRIM_400000_NS6detail17trampoline_kernelINS0_14default_configENS1_20scan_config_selectorIfEEZZNS1_9scan_implILNS1_25lookback_scan_determinismE0ELb0ELb0ES3_PKfPffZZZN2at6native31launch_logcumsumexp_cuda_kernelERKNSB_10TensorBaseESF_lENKUlvE_clEvENKUlvE0_clEvEUlffE_fEEDaPvRmT3_T4_T5_mT6_P12ihipStream_tbENKUlT_T0_E_clISt17integral_constantIbLb0EESV_IbLb1EEEEDaSR_SS_EUlSR_E0_NS1_11comp_targetILNS1_3genE8ELNS1_11target_archE1030ELNS1_3gpuE2ELNS1_3repE0EEENS1_30default_config_static_selectorELNS0_4arch9wavefront6targetE1EEEvT1_.has_dyn_sized_stack, 0
	.set _ZN7rocprim17ROCPRIM_400000_NS6detail17trampoline_kernelINS0_14default_configENS1_20scan_config_selectorIfEEZZNS1_9scan_implILNS1_25lookback_scan_determinismE0ELb0ELb0ES3_PKfPffZZZN2at6native31launch_logcumsumexp_cuda_kernelERKNSB_10TensorBaseESF_lENKUlvE_clEvENKUlvE0_clEvEUlffE_fEEDaPvRmT3_T4_T5_mT6_P12ihipStream_tbENKUlT_T0_E_clISt17integral_constantIbLb0EESV_IbLb1EEEEDaSR_SS_EUlSR_E0_NS1_11comp_targetILNS1_3genE8ELNS1_11target_archE1030ELNS1_3gpuE2ELNS1_3repE0EEENS1_30default_config_static_selectorELNS0_4arch9wavefront6targetE1EEEvT1_.has_recursion, 0
	.set _ZN7rocprim17ROCPRIM_400000_NS6detail17trampoline_kernelINS0_14default_configENS1_20scan_config_selectorIfEEZZNS1_9scan_implILNS1_25lookback_scan_determinismE0ELb0ELb0ES3_PKfPffZZZN2at6native31launch_logcumsumexp_cuda_kernelERKNSB_10TensorBaseESF_lENKUlvE_clEvENKUlvE0_clEvEUlffE_fEEDaPvRmT3_T4_T5_mT6_P12ihipStream_tbENKUlT_T0_E_clISt17integral_constantIbLb0EESV_IbLb1EEEEDaSR_SS_EUlSR_E0_NS1_11comp_targetILNS1_3genE8ELNS1_11target_archE1030ELNS1_3gpuE2ELNS1_3repE0EEENS1_30default_config_static_selectorELNS0_4arch9wavefront6targetE1EEEvT1_.has_indirect_call, 0
	.section	.AMDGPU.csdata,"",@progbits
; Kernel info:
; codeLenInByte = 0
; TotalNumSgprs: 4
; NumVgprs: 0
; ScratchSize: 0
; MemoryBound: 0
; FloatMode: 240
; IeeeMode: 1
; LDSByteSize: 0 bytes/workgroup (compile time only)
; SGPRBlocks: 0
; VGPRBlocks: 0
; NumSGPRsForWavesPerEU: 4
; NumVGPRsForWavesPerEU: 1
; Occupancy: 10
; WaveLimiterHint : 0
; COMPUTE_PGM_RSRC2:SCRATCH_EN: 0
; COMPUTE_PGM_RSRC2:USER_SGPR: 6
; COMPUTE_PGM_RSRC2:TRAP_HANDLER: 0
; COMPUTE_PGM_RSRC2:TGID_X_EN: 1
; COMPUTE_PGM_RSRC2:TGID_Y_EN: 0
; COMPUTE_PGM_RSRC2:TGID_Z_EN: 0
; COMPUTE_PGM_RSRC2:TIDIG_COMP_CNT: 0
	.section	.text._ZN2at6native32tensor_kernel_scan_innermost_dimIfZZZNS0_31launch_logcumsumexp_cuda_kernelERKNS_10TensorBaseES4_lENKUlvE_clEvENKUlvE0_clEvEUlffE_EEvPT_PKS8_jjjS8_T0_,"axG",@progbits,_ZN2at6native32tensor_kernel_scan_innermost_dimIfZZZNS0_31launch_logcumsumexp_cuda_kernelERKNS_10TensorBaseES4_lENKUlvE_clEvENKUlvE0_clEvEUlffE_EEvPT_PKS8_jjjS8_T0_,comdat
	.globl	_ZN2at6native32tensor_kernel_scan_innermost_dimIfZZZNS0_31launch_logcumsumexp_cuda_kernelERKNS_10TensorBaseES4_lENKUlvE_clEvENKUlvE0_clEvEUlffE_EEvPT_PKS8_jjjS8_T0_ ; -- Begin function _ZN2at6native32tensor_kernel_scan_innermost_dimIfZZZNS0_31launch_logcumsumexp_cuda_kernelERKNS_10TensorBaseES4_lENKUlvE_clEvENKUlvE0_clEvEUlffE_EEvPT_PKS8_jjjS8_T0_
	.p2align	8
	.type	_ZN2at6native32tensor_kernel_scan_innermost_dimIfZZZNS0_31launch_logcumsumexp_cuda_kernelERKNS_10TensorBaseES4_lENKUlvE_clEvENKUlvE0_clEvEUlffE_EEvPT_PKS8_jjjS8_T0_,@function
_ZN2at6native32tensor_kernel_scan_innermost_dimIfZZZNS0_31launch_logcumsumexp_cuda_kernelERKNS_10TensorBaseES4_lENKUlvE_clEvENKUlvE0_clEvEUlffE_EEvPT_PKS8_jjjS8_T0_: ; @_ZN2at6native32tensor_kernel_scan_innermost_dimIfZZZNS0_31launch_logcumsumexp_cuda_kernelERKNS_10TensorBaseES4_lENKUlvE_clEvENKUlvE0_clEvEUlffE_EEvPT_PKS8_jjjS8_T0_
; %bb.0:
	s_load_dwordx8 s[16:23], s[4:5], 0x0
	v_mov_b32_e32 v2, v1
	s_waitcnt lgkmcnt(0)
	s_lshl_b32 s7, 2, s22
	v_mul_lo_u32 v1, s7, v2
	s_mul_hi_u32 s0, s20, s21
	s_cmp_lg_u32 s0, 0
	s_mov_b64 s[0:1], -1
	v_lshl_add_u32 v10, v1, 2, 0
	s_cbranch_scc1 .LBB171_30
; %bb.1:
	s_load_dword s2, s[4:5], 0x34
	s_add_u32 s0, s4, 40
	s_addc_u32 s1, s5, 0
	s_waitcnt lgkmcnt(0)
	s_lshr_b32 s2, s2, 16
	s_mul_i32 s26, s6, s2
	s_cmp_ge_u32 s26, s20
	s_cbranch_scc1 .LBB171_29
; %bb.2:
	s_load_dword s28, s[0:1], 0x0
	s_lshl_b32 s27, 1, s22
	s_cmp_lg_u32 s21, 0
	s_cselect_b64 s[8:9], -1, 0
	v_lshl_add_u32 v1, v0, 2, v10
	s_lshl_b32 s3, s7, 2
	v_cndmask_b32_e64 v3, 0, 1, s[8:9]
	v_lshl_add_u32 v7, s27, 2, v1
	v_cmp_eq_u32_e64 s[0:1], 0, v0
	v_add3_u32 v8, v10, s3, -4
	s_waitcnt lgkmcnt(0)
	s_mul_i32 s28, s28, s2
	s_add_i32 s29, s22, 1
	v_cmp_ne_u32_e64 s[2:3], 1, v3
	v_mov_b32_e32 v4, 0
	s_movk_i32 s30, 0x1f8
	s_mov_b32 s31, 0x3fb8aa3b
	s_mov_b32 s33, 0xc2ce8ed0
	;; [unrolled: 1-line block ×5, first 2 shown]
	v_mov_b32_e32 v9, 0x3f2aaada
	s_mov_b32 s37, 0x3f317218
	s_mov_b32 s38, 0x33800000
	v_mov_b32_e32 v11, 0x7f800000
	s_branch .LBB171_4
.LBB171_3:                              ;   in Loop: Header=BB171_4 Depth=1
	s_add_i32 s26, s26, s28
	s_cmp_ge_u32 s26, s20
	s_cbranch_scc1 .LBB171_29
.LBB171_4:                              ; =>This Loop Header: Depth=1
                                        ;     Child Loop BB171_7 Depth 2
                                        ;       Child Loop BB171_19 Depth 3
	s_and_b64 vcc, exec, s[2:3]
	s_cbranch_vccnz .LBB171_3
; %bb.5:                                ;   in Loop: Header=BB171_4 Depth=1
	v_add_u32_e32 v16, s26, v2
	v_mul_lo_u32 v3, v16, s21
	v_mov_b32_e32 v13, s19
	v_cmp_le_u32_e64 s[8:9], s20, v16
	s_mov_b32 s39, 0
	v_lshlrev_b64 v[5:6], 2, v[3:4]
	v_mov_b32_e32 v3, s17
	v_add_co_u32_e32 v12, vcc, s18, v5
	v_addc_co_u32_e32 v13, vcc, v13, v6, vcc
	v_add_co_u32_e32 v14, vcc, s16, v5
	v_addc_co_u32_e32 v15, vcc, v3, v6, vcc
	v_cmp_gt_u32_e32 vcc, s20, v16
	v_mov_b32_e32 v16, s23
	s_branch .LBB171_7
.LBB171_6:                              ;   in Loop: Header=BB171_7 Depth=2
	s_or_b64 exec, exec, s[12:13]
	ds_read_b32 v16, v8
	s_add_i32 s39, s39, s7
	s_cmp_ge_u32 s39, s21
	s_waitcnt vmcnt(0) lgkmcnt(0)
	s_barrier
	s_cbranch_scc1 .LBB171_3
.LBB171_7:                              ;   Parent Loop BB171_4 Depth=1
                                        ; =>  This Loop Header: Depth=2
                                        ;       Child Loop BB171_19 Depth 3
	v_add_u32_e32 v3, s39, v0
	v_add_u32_e32 v5, s27, v3
	s_and_saveexec_b64 s[14:15], vcc
	s_cbranch_execz .LBB171_16
; %bb.8:                                ;   in Loop: Header=BB171_7 Depth=2
	v_cmp_gt_u32_e64 s[10:11], s21, v3
	v_mov_b32_e32 v6, s23
	s_and_saveexec_b64 s[12:13], s[10:11]
	s_cbranch_execz .LBB171_10
; %bb.9:                                ;   in Loop: Header=BB171_7 Depth=2
	v_lshlrev_b64 v[17:18], 2, v[3:4]
	v_add_co_u32_e64 v17, s[10:11], v12, v17
	v_addc_co_u32_e64 v18, s[10:11], v13, v18, s[10:11]
	global_load_dword v6, v[17:18], off
.LBB171_10:                             ;   in Loop: Header=BB171_7 Depth=2
	s_or_b64 exec, exec, s[12:13]
	s_waitcnt vmcnt(0)
	ds_write_b32 v1, v6
	v_cmp_gt_u32_e64 s[10:11], s21, v5
	v_mov_b32_e32 v6, s23
	s_and_saveexec_b64 s[12:13], s[10:11]
	s_cbranch_execz .LBB171_12
; %bb.11:                               ;   in Loop: Header=BB171_7 Depth=2
	v_mov_b32_e32 v6, v4
	v_lshlrev_b64 v[17:18], 2, v[5:6]
	v_add_co_u32_e64 v17, s[10:11], v12, v17
	v_addc_co_u32_e64 v18, s[10:11], v13, v18, s[10:11]
	global_load_dword v6, v[17:18], off
.LBB171_12:                             ;   in Loop: Header=BB171_7 Depth=2
	s_or_b64 exec, exec, s[12:13]
	s_waitcnt vmcnt(0)
	ds_write_b32 v7, v6
	s_and_b64 exec, exec, s[0:1]
	s_cbranch_execz .LBB171_16
; %bb.13:                               ;   in Loop: Header=BB171_7 Depth=2
	ds_read_b32 v17, v10
	v_max_f32_e32 v6, v16, v16
	v_cmp_u_f32_e64 s[12:13], v16, v16
	s_waitcnt lgkmcnt(0)
	v_max_f32_e32 v18, v17, v17
	v_min_f32_e32 v19, v18, v6
	v_max_f32_e32 v6, v18, v6
	v_cmp_u_f32_e64 s[10:11], v17, v17
	v_cndmask_b32_e64 v18, v19, v17, s[10:11]
	v_cndmask_b32_e64 v6, v6, v17, s[10:11]
	;; [unrolled: 1-line block ×4, first 2 shown]
	v_cmp_neq_f32_e64 s[10:11], v18, v6
	v_cmp_class_f32_e64 s[12:13], v18, s30
	s_or_b64 s[10:11], s[10:11], s[12:13]
	s_and_saveexec_b64 s[12:13], s[10:11]
	s_cbranch_execz .LBB171_15
; %bb.14:                               ;   in Loop: Header=BB171_7 Depth=2
	v_sub_f32_e32 v16, v18, v6
	v_mul_f32_e32 v17, 0x3fb8aa3b, v16
	v_fma_f32 v18, v16, s31, -v17
	v_rndne_f32_e32 v19, v17
	v_fmac_f32_e32 v18, 0x32a5705f, v16
	v_sub_f32_e32 v17, v17, v19
	v_add_f32_e32 v17, v17, v18
	v_cvt_i32_f32_e32 v18, v19
	v_exp_f32_e32 v17, v17
	v_cmp_ngt_f32_e64 s[10:11], s33, v16
	v_ldexp_f32 v17, v17, v18
	v_cndmask_b32_e64 v17, 0, v17, s[10:11]
	v_cmp_nlt_f32_e64 s[10:11], s34, v16
	v_cndmask_b32_e64 v18, v11, v17, s[10:11]
	v_add_f32_e32 v19, 1.0, v18
	v_cvt_f64_f32_e32 v[16:17], v19
	v_add_f32_e32 v20, -1.0, v19
	v_sub_f32_e32 v21, v20, v19
	v_sub_f32_e32 v20, v18, v20
	v_frexp_exp_i32_f64_e32 v16, v[16:17]
	v_frexp_mant_f32_e32 v17, v19
	v_cmp_gt_f32_e64 s[10:11], s36, v17
	v_add_f32_e32 v21, 1.0, v21
	v_add_f32_e32 v20, v20, v21
	v_subbrev_co_u32_e64 v16, s[10:11], 0, v16, s[10:11]
	v_sub_u32_e32 v17, 0, v16
	v_ldexp_f32 v19, v19, v17
	v_ldexp_f32 v17, v20, v17
	v_add_f32_e32 v20, -1.0, v19
	v_add_f32_e32 v23, 1.0, v19
	v_add_f32_e32 v21, 1.0, v20
	v_add_f32_e32 v24, -1.0, v23
	v_sub_f32_e32 v21, v19, v21
	v_sub_f32_e32 v19, v19, v24
	v_add_f32_e32 v21, v17, v21
	v_add_f32_e32 v17, v17, v19
	;; [unrolled: 1-line block ×3, first 2 shown]
	v_rcp_f32_e32 v24, v19
	v_add_f32_e32 v22, v20, v21
	v_sub_f32_e32 v20, v20, v22
	v_add_f32_e32 v20, v21, v20
	v_sub_f32_e32 v21, v23, v19
	v_add_f32_e32 v17, v17, v21
	v_mul_f32_e32 v21, v22, v24
	v_mul_f32_e32 v23, v19, v21
	v_fma_f32 v25, v21, v19, -v23
	v_fmac_f32_e32 v25, v21, v17
	v_add_f32_e32 v26, v23, v25
	v_sub_f32_e32 v27, v22, v26
	v_sub_f32_e32 v22, v22, v27
	;; [unrolled: 1-line block ×4, first 2 shown]
	v_add_f32_e32 v20, v20, v22
	v_sub_f32_e32 v22, v23, v25
	v_add_f32_e32 v20, v22, v20
	v_add_f32_e32 v22, v27, v20
	v_mul_f32_e32 v23, v24, v22
	v_mul_f32_e32 v25, v19, v23
	v_fma_f32 v19, v23, v19, -v25
	v_fmac_f32_e32 v19, v23, v17
	v_sub_f32_e32 v17, v27, v22
	v_add_f32_e32 v17, v20, v17
	v_add_f32_e32 v20, v25, v19
	v_sub_f32_e32 v26, v22, v20
	v_sub_f32_e32 v22, v22, v26
	;; [unrolled: 1-line block ×4, first 2 shown]
	v_add_f32_e32 v17, v17, v20
	v_sub_f32_e32 v19, v25, v19
	v_cvt_f32_i32_e32 v16, v16
	v_add_f32_e32 v17, v19, v17
	v_add_f32_e32 v19, v21, v23
	;; [unrolled: 1-line block ×3, first 2 shown]
	v_sub_f32_e32 v20, v19, v21
	v_mul_f32_e32 v17, v24, v17
	v_sub_f32_e32 v20, v23, v20
	v_add_f32_e32 v17, v20, v17
	v_mul_f32_e32 v23, 0x3f317218, v16
	v_add_f32_e32 v20, v19, v17
	v_fma_f32 v24, v16, s37, -v23
	v_mul_f32_e32 v21, v20, v20
	v_mov_b32_e32 v22, 0x3ecc95a3
	v_fmac_f32_e32 v24, 0xb102e308, v16
	v_sub_f32_e32 v16, v20, v19
	v_fmac_f32_e32 v22, 0x3e9b6dac, v21
	v_sub_f32_e32 v16, v17, v16
	v_add_f32_e32 v17, v23, v24
	v_fma_f32 v22, v21, v22, v9
	v_sub_f32_e32 v19, v17, v23
	v_ldexp_f32 v23, v20, 1
	v_mul_f32_e32 v20, v20, v21
	v_mul_f32_e32 v20, v20, v22
	v_add_f32_e32 v21, v23, v20
	v_sub_f32_e32 v22, v21, v23
	v_ldexp_f32 v16, v16, 1
	v_sub_f32_e32 v20, v20, v22
	v_add_f32_e32 v16, v16, v20
	v_add_f32_e32 v20, v21, v16
	v_sub_f32_e32 v21, v20, v21
	v_sub_f32_e32 v16, v16, v21
	v_add_f32_e32 v21, v17, v20
	v_sub_f32_e32 v22, v21, v17
	v_sub_f32_e32 v23, v21, v22
	;; [unrolled: 1-line block ×5, first 2 shown]
	v_add_f32_e32 v17, v20, v17
	v_add_f32_e32 v20, v19, v16
	v_sub_f32_e32 v22, v20, v19
	v_sub_f32_e32 v23, v20, v22
	;; [unrolled: 1-line block ×4, first 2 shown]
	v_add_f32_e32 v17, v20, v17
	v_add_f32_e32 v16, v16, v19
	;; [unrolled: 1-line block ×3, first 2 shown]
	v_sub_f32_e32 v20, v19, v21
	v_sub_f32_e32 v17, v17, v20
	v_add_f32_e32 v16, v16, v17
	v_add_f32_e32 v16, v19, v16
	v_cmp_neq_f32_e64 s[10:11], s35, v18
	v_cndmask_b32_e64 v16, v11, v16, s[10:11]
	v_cmp_lt_f32_e64 s[10:11], |v18|, s38
	v_cndmask_b32_e64 v16, v16, v18, s[10:11]
	v_add_f32_e32 v17, v6, v16
.LBB171_15:                             ;   in Loop: Header=BB171_7 Depth=2
	s_or_b64 exec, exec, s[12:13]
	ds_write_b32 v10, v17
.LBB171_16:                             ;   in Loop: Header=BB171_7 Depth=2
	s_or_b64 exec, exec, s[14:15]
	v_mov_b32_e32 v16, 0
	s_mov_b64 s[14:15], 0
	s_waitcnt lgkmcnt(0)
	s_barrier
	s_branch .LBB171_19
.LBB171_17:                             ;   in Loop: Header=BB171_19 Depth=3
	s_or_b64 exec, exec, s[12:13]
	ds_write_b32 v16, v18
.LBB171_18:                             ;   in Loop: Header=BB171_19 Depth=3
	s_or_b64 exec, exec, s[24:25]
	v_cmp_eq_u32_e64 s[10:11], s29, v6
	s_or_b64 s[14:15], s[10:11], s[14:15]
	v_mov_b32_e32 v16, v6
	s_waitcnt lgkmcnt(0)
	s_barrier
	s_andn2_b64 exec, exec, s[14:15]
	s_cbranch_execz .LBB171_24
.LBB171_19:                             ;   Parent Loop BB171_4 Depth=1
                                        ;     Parent Loop BB171_7 Depth=2
                                        ; =>    This Inner Loop Header: Depth=3
	v_add_u32_e32 v6, 1, v16
	s_and_saveexec_b64 s[10:11], s[8:9]
	s_xor_b64 s[10:11], exec, s[10:11]
; %bb.20:                               ;   in Loop: Header=BB171_19 Depth=3
	v_add_u32_e32 v6, 1, v16
                                        ; implicit-def: $vgpr16
; %bb.21:                               ;   in Loop: Header=BB171_19 Depth=3
	s_andn2_saveexec_b64 s[24:25], s[10:11]
	s_cbranch_execz .LBB171_18
; %bb.22:                               ;   in Loop: Header=BB171_19 Depth=3
	v_lshlrev_b32_e64 v17, v16, 1
	v_lshrrev_b32_e32 v18, v16, v0
	v_lshl_or_b32 v17, v18, v6, v17
	v_bfm_b32 v16, v16, 0
	v_and_b32_e32 v16, v16, v0
	v_lshl_add_u32 v17, v17, 2, v10
	v_lshl_add_u32 v16, v16, 2, v17
	v_add_u32_e32 v17, -4, v17
	ds_read_b32 v17, v17
	ds_read_b32 v18, v16
	s_waitcnt lgkmcnt(1)
	v_max_f32_e32 v20, v17, v17
	s_waitcnt lgkmcnt(0)
	v_max_f32_e32 v21, v18, v18
	v_min_f32_e32 v19, v21, v20
	v_cmp_u_f32_e64 s[10:11], v18, v18
	v_max_f32_e32 v20, v21, v20
	v_cndmask_b32_e64 v19, v19, v18, s[10:11]
	v_cmp_u_f32_e64 s[12:13], v17, v17
	v_cndmask_b32_e64 v20, v20, v18, s[10:11]
	v_cndmask_b32_e64 v19, v19, v17, s[12:13]
	;; [unrolled: 1-line block ×3, first 2 shown]
	v_cmp_neq_f32_e64 s[10:11], v19, v17
	v_cmp_class_f32_e64 s[12:13], v19, s30
	s_or_b64 s[10:11], s[10:11], s[12:13]
	s_and_saveexec_b64 s[12:13], s[10:11]
	s_cbranch_execz .LBB171_17
; %bb.23:                               ;   in Loop: Header=BB171_19 Depth=3
	v_sub_f32_e32 v18, v19, v17
	v_mul_f32_e32 v19, 0x3fb8aa3b, v18
	v_fma_f32 v20, v18, s31, -v19
	v_rndne_f32_e32 v21, v19
	v_fmac_f32_e32 v20, 0x32a5705f, v18
	v_sub_f32_e32 v19, v19, v21
	v_add_f32_e32 v19, v19, v20
	v_cvt_i32_f32_e32 v20, v21
	v_exp_f32_e32 v19, v19
	v_cmp_ngt_f32_e64 s[10:11], s33, v18
	v_ldexp_f32 v19, v19, v20
	v_cndmask_b32_e64 v19, 0, v19, s[10:11]
	v_cmp_nlt_f32_e64 s[10:11], s34, v18
	v_cndmask_b32_e64 v20, v11, v19, s[10:11]
	v_add_f32_e32 v21, 1.0, v20
	v_cvt_f64_f32_e32 v[18:19], v21
	v_add_f32_e32 v22, -1.0, v21
	v_sub_f32_e32 v23, v22, v21
	v_sub_f32_e32 v22, v20, v22
	v_frexp_exp_i32_f64_e32 v18, v[18:19]
	v_frexp_mant_f32_e32 v19, v21
	v_cmp_gt_f32_e64 s[10:11], s36, v19
	v_add_f32_e32 v23, 1.0, v23
	v_add_f32_e32 v22, v22, v23
	v_subbrev_co_u32_e64 v18, s[10:11], 0, v18, s[10:11]
	v_sub_u32_e32 v19, 0, v18
	v_ldexp_f32 v21, v21, v19
	v_ldexp_f32 v19, v22, v19
	v_add_f32_e32 v22, -1.0, v21
	v_add_f32_e32 v25, 1.0, v21
	v_add_f32_e32 v23, 1.0, v22
	v_add_f32_e32 v26, -1.0, v25
	v_sub_f32_e32 v23, v21, v23
	v_sub_f32_e32 v21, v21, v26
	v_add_f32_e32 v23, v19, v23
	v_add_f32_e32 v19, v19, v21
	;; [unrolled: 1-line block ×3, first 2 shown]
	v_rcp_f32_e32 v26, v21
	v_add_f32_e32 v24, v22, v23
	v_sub_f32_e32 v22, v22, v24
	v_add_f32_e32 v22, v23, v22
	v_sub_f32_e32 v23, v25, v21
	v_add_f32_e32 v19, v19, v23
	v_mul_f32_e32 v23, v24, v26
	v_mul_f32_e32 v25, v21, v23
	v_fma_f32 v27, v23, v21, -v25
	v_fmac_f32_e32 v27, v23, v19
	v_add_f32_e32 v28, v25, v27
	v_sub_f32_e32 v29, v24, v28
	v_sub_f32_e32 v24, v24, v29
	;; [unrolled: 1-line block ×4, first 2 shown]
	v_add_f32_e32 v22, v22, v24
	v_sub_f32_e32 v24, v25, v27
	v_add_f32_e32 v22, v24, v22
	v_add_f32_e32 v24, v29, v22
	v_mul_f32_e32 v25, v26, v24
	v_mul_f32_e32 v27, v21, v25
	v_fma_f32 v21, v25, v21, -v27
	v_fmac_f32_e32 v21, v25, v19
	v_sub_f32_e32 v19, v29, v24
	v_add_f32_e32 v19, v22, v19
	v_add_f32_e32 v22, v27, v21
	v_sub_f32_e32 v28, v24, v22
	v_sub_f32_e32 v24, v24, v28
	;; [unrolled: 1-line block ×4, first 2 shown]
	v_add_f32_e32 v19, v19, v22
	v_sub_f32_e32 v21, v27, v21
	v_cvt_f32_i32_e32 v18, v18
	v_add_f32_e32 v19, v21, v19
	v_add_f32_e32 v21, v23, v25
	;; [unrolled: 1-line block ×3, first 2 shown]
	v_sub_f32_e32 v22, v21, v23
	v_mul_f32_e32 v19, v26, v19
	v_sub_f32_e32 v22, v25, v22
	v_add_f32_e32 v19, v22, v19
	v_mul_f32_e32 v25, 0x3f317218, v18
	v_add_f32_e32 v22, v21, v19
	v_fma_f32 v26, v18, s37, -v25
	v_mul_f32_e32 v23, v22, v22
	v_mov_b32_e32 v24, 0x3ecc95a3
	v_fmac_f32_e32 v26, 0xb102e308, v18
	v_sub_f32_e32 v18, v22, v21
	v_fmac_f32_e32 v24, 0x3e9b6dac, v23
	v_sub_f32_e32 v18, v19, v18
	v_add_f32_e32 v19, v25, v26
	v_fma_f32 v24, v23, v24, v9
	v_sub_f32_e32 v21, v19, v25
	v_ldexp_f32 v25, v22, 1
	v_mul_f32_e32 v22, v22, v23
	v_mul_f32_e32 v22, v22, v24
	v_add_f32_e32 v23, v25, v22
	v_sub_f32_e32 v24, v23, v25
	v_ldexp_f32 v18, v18, 1
	v_sub_f32_e32 v22, v22, v24
	v_add_f32_e32 v18, v18, v22
	v_add_f32_e32 v22, v23, v18
	v_sub_f32_e32 v23, v22, v23
	v_sub_f32_e32 v18, v18, v23
	v_add_f32_e32 v23, v19, v22
	v_sub_f32_e32 v24, v23, v19
	v_sub_f32_e32 v25, v23, v24
	;; [unrolled: 1-line block ×5, first 2 shown]
	v_add_f32_e32 v19, v22, v19
	v_add_f32_e32 v22, v21, v18
	v_sub_f32_e32 v24, v22, v21
	v_sub_f32_e32 v25, v22, v24
	;; [unrolled: 1-line block ×4, first 2 shown]
	v_add_f32_e32 v19, v22, v19
	v_add_f32_e32 v18, v18, v21
	;; [unrolled: 1-line block ×3, first 2 shown]
	v_sub_f32_e32 v22, v21, v23
	v_sub_f32_e32 v19, v19, v22
	v_add_f32_e32 v18, v18, v19
	v_add_f32_e32 v18, v21, v18
	v_cmp_neq_f32_e64 s[10:11], s35, v20
	v_cndmask_b32_e64 v18, v11, v18, s[10:11]
	v_cmp_lt_f32_e64 s[10:11], |v20|, s38
	v_cndmask_b32_e64 v18, v18, v20, s[10:11]
	v_add_f32_e32 v18, v17, v18
	s_branch .LBB171_17
.LBB171_24:                             ;   in Loop: Header=BB171_7 Depth=2
	s_or_b64 exec, exec, s[14:15]
	s_and_saveexec_b64 s[12:13], vcc
	s_cbranch_execz .LBB171_6
; %bb.25:                               ;   in Loop: Header=BB171_7 Depth=2
	v_cmp_gt_u32_e64 s[10:11], s21, v3
	s_and_saveexec_b64 s[14:15], s[10:11]
	s_cbranch_execz .LBB171_27
; %bb.26:                               ;   in Loop: Header=BB171_7 Depth=2
	v_lshlrev_b64 v[16:17], 2, v[3:4]
	ds_read_b32 v3, v1
	v_add_co_u32_e64 v16, s[10:11], v14, v16
	v_addc_co_u32_e64 v17, s[10:11], v15, v17, s[10:11]
	s_waitcnt lgkmcnt(0)
	global_store_dword v[16:17], v3, off
.LBB171_27:                             ;   in Loop: Header=BB171_7 Depth=2
	s_or_b64 exec, exec, s[14:15]
	v_cmp_gt_u32_e64 s[10:11], s21, v5
	s_and_b64 exec, exec, s[10:11]
	s_cbranch_execz .LBB171_6
; %bb.28:                               ;   in Loop: Header=BB171_7 Depth=2
	v_mov_b32_e32 v6, v4
	ds_read_b32 v3, v7
	v_lshlrev_b64 v[5:6], 2, v[5:6]
	v_add_co_u32_e64 v5, s[10:11], v14, v5
	v_addc_co_u32_e64 v6, s[10:11], v15, v6, s[10:11]
	s_waitcnt lgkmcnt(0)
	global_store_dword v[5:6], v3, off
	s_branch .LBB171_6
.LBB171_29:
	s_mov_b64 s[0:1], 0
.LBB171_30:
	s_andn2_b64 vcc, exec, s[0:1]
	s_cbranch_vccnz .LBB171_61
; %bb.31:
	s_load_dword s2, s[4:5], 0x34
	s_add_u32 s0, s4, 40
	s_mov_b32 s10, s20
	s_mov_b32 s11, 0
	s_addc_u32 s1, s5, 0
	s_waitcnt lgkmcnt(0)
	s_lshr_b32 s2, s2, 16
	v_mov_b32_e32 v3, s10
	s_mul_hi_u32 s13, s2, s6
	s_mul_i32 s12, s2, s6
	v_mov_b32_e32 v4, s11
	v_cmp_ge_u64_e32 vcc, s[12:13], v[3:4]
	s_cbranch_vccnz .LBB171_61
; %bb.32:
	s_lshl_b32 s14, 1, s22
	s_load_dword s5, s[0:1], 0x0
	s_and_b32 s4, 0xffff, s2
	s_ashr_i32 s15, s14, 31
	s_cmp_lg_u32 s21, 0
	s_mov_b32 s24, s21
	s_cselect_b64 s[2:3], -1, 0
	s_lshl_b64 s[20:21], s[14:15], 1
	v_lshl_add_u32 v11, v0, 2, v10
	s_lshl_b32 s6, s20, 2
	v_cndmask_b32_e64 v3, 0, 1, s[2:3]
	v_mov_b32_e32 v1, 0
	s_mov_b32 s25, s11
	v_lshl_add_u32 v12, s14, 2, v11
	v_cmp_eq_u32_e64 s[0:1], 0, v0
	v_add3_u32 v13, v10, s6, -4
	s_waitcnt lgkmcnt(0)
	s_mul_i32 s33, s5, s4
	s_add_i32 s22, s22, 1
	v_cmp_ne_u32_e64 s[2:3], 1, v3
	s_movk_i32 s34, 0x1f8
	s_mov_b32 s35, 0x3fb8aa3b
	s_mov_b32 s36, 0xc2ce8ed0
	;; [unrolled: 1-line block ×5, first 2 shown]
	v_mov_b32_e32 v14, 0x3f2aaada
	s_mov_b32 s40, 0x3f317218
	s_mov_b32 s41, 0x33800000
	v_mov_b32_e32 v15, 0x7f800000
	s_branch .LBB171_34
.LBB171_33:                             ;   in Loop: Header=BB171_34 Depth=1
	s_add_u32 s12, s12, s33
	v_mov_b32_e32 v3, s10
	s_addc_u32 s13, s13, 0
	v_mov_b32_e32 v4, s11
	v_cmp_ge_u64_e32 vcc, s[12:13], v[3:4]
	s_cbranch_vccnz .LBB171_61
.LBB171_34:                             ; =>This Loop Header: Depth=1
                                        ;     Child Loop BB171_37 Depth 2
                                        ;       Child Loop BB171_49 Depth 3
	s_and_b64 vcc, exec, s[2:3]
	s_cbranch_vccnz .LBB171_33
; %bb.35:                               ;   in Loop: Header=BB171_34 Depth=1
	v_add_co_u32_e32 v3, vcc, s12, v2
	v_mad_u64_u32 v[5:6], s[4:5], v3, s24, 0
	v_mov_b32_e32 v4, s13
	v_addc_co_u32_e32 v4, vcc, 0, v4, vcc
	v_mad_u64_u32 v[6:7], s[4:5], v4, s24, v[6:7]
	v_mov_b32_e32 v7, s19
	v_cmp_gt_u64_e64 s[4:5], s[10:11], v[3:4]
	v_lshlrev_b64 v[5:6], 2, v[5:6]
	v_cmp_le_u64_e64 s[6:7], s[10:11], v[3:4]
	v_add_co_u32_e32 v16, vcc, s18, v5
	v_addc_co_u32_e32 v17, vcc, v7, v6, vcc
	v_mov_b32_e32 v7, s17
	v_add_co_u32_e32 v18, vcc, s16, v5
	v_addc_co_u32_e32 v19, vcc, v7, v6, vcc
	s_mov_b64 s[26:27], 0
	v_mov_b32_e32 v7, s23
	s_branch .LBB171_37
.LBB171_36:                             ;   in Loop: Header=BB171_37 Depth=2
	s_or_b64 exec, exec, s[8:9]
	ds_read_b32 v7, v13
	s_add_u32 s26, s26, s20
	v_mov_b32_e32 v3, s24
	s_addc_u32 s27, s27, s21
	v_mov_b32_e32 v4, s25
	v_cmp_ge_u64_e32 vcc, s[26:27], v[3:4]
	s_waitcnt lgkmcnt(0)
	s_waitcnt vmcnt(0)
	s_barrier
	s_cbranch_vccnz .LBB171_33
.LBB171_37:                             ;   Parent Loop BB171_34 Depth=1
                                        ; =>  This Loop Header: Depth=2
                                        ;       Child Loop BB171_49 Depth 3
	v_mov_b32_e32 v3, s27
	v_add_co_u32_e32 v5, vcc, s26, v0
	v_addc_co_u32_e32 v6, vcc, 0, v3, vcc
	v_mov_b32_e32 v4, s15
	v_add_co_u32_e32 v3, vcc, s14, v5
	v_addc_co_u32_e32 v4, vcc, v6, v4, vcc
	s_and_saveexec_b64 s[28:29], s[4:5]
	s_cbranch_execz .LBB171_46
; %bb.38:                               ;   in Loop: Header=BB171_37 Depth=2
	v_cmp_gt_u64_e32 vcc, s[24:25], v[5:6]
	v_mov_b32_e32 v8, s23
	s_and_saveexec_b64 s[8:9], vcc
	s_cbranch_execz .LBB171_40
; %bb.39:                               ;   in Loop: Header=BB171_37 Depth=2
	v_lshlrev_b64 v[8:9], 2, v[5:6]
	v_add_co_u32_e32 v8, vcc, v16, v8
	v_addc_co_u32_e32 v9, vcc, v17, v9, vcc
	global_load_dword v8, v[8:9], off
.LBB171_40:                             ;   in Loop: Header=BB171_37 Depth=2
	s_or_b64 exec, exec, s[8:9]
	v_cmp_gt_u64_e32 vcc, s[24:25], v[3:4]
	s_waitcnt vmcnt(0)
	ds_write_b32 v11, v8
	v_mov_b32_e32 v8, s23
	s_and_saveexec_b64 s[8:9], vcc
	s_cbranch_execz .LBB171_42
; %bb.41:                               ;   in Loop: Header=BB171_37 Depth=2
	v_lshlrev_b64 v[8:9], 2, v[3:4]
	v_add_co_u32_e32 v8, vcc, v16, v8
	v_addc_co_u32_e32 v9, vcc, v17, v9, vcc
	global_load_dword v8, v[8:9], off
.LBB171_42:                             ;   in Loop: Header=BB171_37 Depth=2
	s_or_b64 exec, exec, s[8:9]
	s_waitcnt vmcnt(0)
	ds_write_b32 v12, v8
	s_and_b64 exec, exec, s[0:1]
	s_cbranch_execz .LBB171_46
; %bb.43:                               ;   in Loop: Header=BB171_37 Depth=2
	ds_read_b32 v8, v10
	v_max_f32_e32 v9, v7, v7
	v_cmp_u_f32_e64 s[8:9], v7, v7
	s_waitcnt lgkmcnt(0)
	v_max_f32_e32 v20, v8, v8
	v_min_f32_e32 v21, v20, v9
	v_max_f32_e32 v20, v20, v9
	v_cmp_u_f32_e32 vcc, v8, v8
	v_cndmask_b32_e32 v9, v21, v8, vcc
	v_cndmask_b32_e32 v20, v20, v8, vcc
	v_cndmask_b32_e64 v9, v9, v7, s[8:9]
	v_cndmask_b32_e64 v7, v20, v7, s[8:9]
	v_cmp_neq_f32_e32 vcc, v9, v7
	v_cmp_class_f32_e64 s[8:9], v9, s34
	s_or_b64 s[30:31], vcc, s[8:9]
	s_and_saveexec_b64 s[8:9], s[30:31]
	s_cbranch_execz .LBB171_45
; %bb.44:                               ;   in Loop: Header=BB171_37 Depth=2
	v_sub_f32_e32 v8, v9, v7
	v_mul_f32_e32 v9, 0x3fb8aa3b, v8
	v_fma_f32 v20, v8, s35, -v9
	v_rndne_f32_e32 v21, v9
	v_fmac_f32_e32 v20, 0x32a5705f, v8
	v_sub_f32_e32 v9, v9, v21
	v_add_f32_e32 v9, v9, v20
	v_cvt_i32_f32_e32 v20, v21
	v_exp_f32_e32 v9, v9
	v_cmp_ngt_f32_e32 vcc, s36, v8
	v_ldexp_f32 v9, v9, v20
	v_cndmask_b32_e32 v9, 0, v9, vcc
	v_cmp_nlt_f32_e32 vcc, s37, v8
	v_cndmask_b32_e32 v20, v15, v9, vcc
	v_add_f32_e32 v21, 1.0, v20
	v_cvt_f64_f32_e32 v[8:9], v21
	v_add_f32_e32 v22, -1.0, v21
	v_sub_f32_e32 v23, v22, v21
	v_sub_f32_e32 v22, v20, v22
	v_frexp_exp_i32_f64_e32 v8, v[8:9]
	v_frexp_mant_f32_e32 v9, v21
	v_cmp_gt_f32_e32 vcc, s39, v9
	v_add_f32_e32 v23, 1.0, v23
	v_add_f32_e32 v22, v22, v23
	v_subbrev_co_u32_e32 v8, vcc, 0, v8, vcc
	v_sub_u32_e32 v9, 0, v8
	v_ldexp_f32 v21, v21, v9
	v_ldexp_f32 v9, v22, v9
	v_add_f32_e32 v22, -1.0, v21
	v_add_f32_e32 v25, 1.0, v21
	v_add_f32_e32 v23, 1.0, v22
	v_add_f32_e32 v26, -1.0, v25
	v_sub_f32_e32 v23, v21, v23
	v_sub_f32_e32 v21, v21, v26
	v_add_f32_e32 v23, v9, v23
	v_add_f32_e32 v9, v9, v21
	;; [unrolled: 1-line block ×3, first 2 shown]
	v_rcp_f32_e32 v26, v21
	v_add_f32_e32 v24, v22, v23
	v_sub_f32_e32 v22, v22, v24
	v_add_f32_e32 v22, v23, v22
	v_sub_f32_e32 v23, v25, v21
	v_add_f32_e32 v9, v9, v23
	v_mul_f32_e32 v23, v24, v26
	v_mul_f32_e32 v25, v21, v23
	v_fma_f32 v27, v23, v21, -v25
	v_fmac_f32_e32 v27, v23, v9
	v_add_f32_e32 v28, v25, v27
	v_sub_f32_e32 v29, v24, v28
	v_sub_f32_e32 v24, v24, v29
	;; [unrolled: 1-line block ×4, first 2 shown]
	v_add_f32_e32 v22, v22, v24
	v_sub_f32_e32 v24, v25, v27
	v_add_f32_e32 v22, v24, v22
	v_add_f32_e32 v24, v29, v22
	v_mul_f32_e32 v25, v26, v24
	v_mul_f32_e32 v27, v21, v25
	v_fma_f32 v21, v25, v21, -v27
	v_fmac_f32_e32 v21, v25, v9
	v_sub_f32_e32 v9, v29, v24
	v_add_f32_e32 v9, v22, v9
	v_add_f32_e32 v22, v27, v21
	v_sub_f32_e32 v28, v24, v22
	v_sub_f32_e32 v24, v24, v28
	;; [unrolled: 1-line block ×4, first 2 shown]
	v_add_f32_e32 v9, v9, v22
	v_sub_f32_e32 v21, v27, v21
	v_cvt_f32_i32_e32 v8, v8
	v_add_f32_e32 v9, v21, v9
	v_add_f32_e32 v21, v23, v25
	;; [unrolled: 1-line block ×3, first 2 shown]
	v_sub_f32_e32 v22, v21, v23
	v_mul_f32_e32 v9, v26, v9
	v_sub_f32_e32 v22, v25, v22
	v_add_f32_e32 v9, v22, v9
	v_mul_f32_e32 v25, 0x3f317218, v8
	v_add_f32_e32 v22, v21, v9
	v_fma_f32 v26, v8, s40, -v25
	v_mul_f32_e32 v23, v22, v22
	v_mov_b32_e32 v24, 0x3ecc95a3
	v_fmac_f32_e32 v26, 0xb102e308, v8
	v_sub_f32_e32 v8, v22, v21
	v_fmac_f32_e32 v24, 0x3e9b6dac, v23
	v_sub_f32_e32 v8, v9, v8
	v_add_f32_e32 v9, v25, v26
	v_fma_f32 v24, v23, v24, v14
	v_sub_f32_e32 v21, v9, v25
	v_ldexp_f32 v25, v22, 1
	v_mul_f32_e32 v22, v22, v23
	v_mul_f32_e32 v22, v22, v24
	v_add_f32_e32 v23, v25, v22
	v_sub_f32_e32 v24, v23, v25
	v_ldexp_f32 v8, v8, 1
	v_sub_f32_e32 v22, v22, v24
	v_add_f32_e32 v8, v8, v22
	v_add_f32_e32 v22, v23, v8
	v_sub_f32_e32 v23, v22, v23
	v_sub_f32_e32 v8, v8, v23
	v_add_f32_e32 v23, v9, v22
	v_sub_f32_e32 v24, v23, v9
	v_sub_f32_e32 v25, v23, v24
	;; [unrolled: 1-line block ×5, first 2 shown]
	v_add_f32_e32 v9, v22, v9
	v_add_f32_e32 v22, v21, v8
	v_sub_f32_e32 v24, v22, v21
	v_sub_f32_e32 v25, v22, v24
	;; [unrolled: 1-line block ×4, first 2 shown]
	v_add_f32_e32 v9, v22, v9
	v_add_f32_e32 v8, v8, v21
	;; [unrolled: 1-line block ×3, first 2 shown]
	v_sub_f32_e32 v22, v21, v23
	v_sub_f32_e32 v9, v9, v22
	v_add_f32_e32 v8, v8, v9
	v_add_f32_e32 v8, v21, v8
	v_cmp_neq_f32_e32 vcc, s38, v20
	v_cndmask_b32_e32 v8, v15, v8, vcc
	v_cmp_lt_f32_e64 vcc, |v20|, s41
	v_cndmask_b32_e32 v8, v8, v20, vcc
	v_add_f32_e32 v8, v7, v8
.LBB171_45:                             ;   in Loop: Header=BB171_37 Depth=2
	s_or_b64 exec, exec, s[8:9]
	ds_write_b32 v10, v8
.LBB171_46:                             ;   in Loop: Header=BB171_37 Depth=2
	s_or_b64 exec, exec, s[28:29]
	v_mov_b32_e32 v21, 0
	s_mov_b64 s[28:29], 0
	s_waitcnt lgkmcnt(0)
	s_barrier
	s_branch .LBB171_49
.LBB171_47:                             ;   in Loop: Header=BB171_49 Depth=3
	s_or_b64 exec, exec, s[8:9]
	ds_write_b32 v7, v9
.LBB171_48:                             ;   in Loop: Header=BB171_49 Depth=3
	s_or_b64 exec, exec, s[30:31]
	v_cmp_eq_u32_e32 vcc, s22, v20
	s_or_b64 s[28:29], vcc, s[28:29]
	v_mov_b32_e32 v21, v20
	s_waitcnt lgkmcnt(0)
	s_barrier
	s_andn2_b64 exec, exec, s[28:29]
	s_cbranch_execz .LBB171_56
.LBB171_49:                             ;   Parent Loop BB171_34 Depth=1
                                        ;     Parent Loop BB171_37 Depth=2
                                        ; =>    This Inner Loop Header: Depth=3
	v_add_u32_e32 v20, 1, v21
	s_and_saveexec_b64 s[8:9], s[6:7]
	s_xor_b64 s[8:9], exec, s[8:9]
; %bb.50:                               ;   in Loop: Header=BB171_49 Depth=3
	v_add_u32_e32 v20, 1, v21
                                        ; implicit-def: $vgpr21
; %bb.51:                               ;   in Loop: Header=BB171_49 Depth=3
	s_andn2_saveexec_b64 s[30:31], s[8:9]
	s_cbranch_execz .LBB171_48
; %bb.52:                               ;   in Loop: Header=BB171_49 Depth=3
	v_lshlrev_b32_e64 v7, v21, 1
	v_ashrrev_i32_e32 v8, 31, v7
	v_cmp_ge_u64_e32 vcc, v[0:1], v[7:8]
	v_mov_b32_e32 v9, v1
	v_mov_b32_e32 v8, v0
	s_and_saveexec_b64 s[8:9], vcc
	s_cbranch_execz .LBB171_54
; %bb.53:                               ;   in Loop: Header=BB171_49 Depth=3
	v_cvt_f32_u32_e32 v8, v7
	v_sub_u32_e32 v9, 0, v7
	v_rcp_iflag_f32_e32 v8, v8
	v_mul_f32_e32 v8, 0x4f7ffffe, v8
	v_cvt_u32_f32_e32 v8, v8
	v_mul_lo_u32 v9, v9, v8
	v_mul_hi_u32 v9, v8, v9
	v_add_u32_e32 v8, v8, v9
	v_mul_hi_u32 v8, v0, v8
	v_mul_lo_u32 v8, v8, v7
	v_sub_u32_e32 v8, v0, v8
	v_sub_u32_e32 v9, v8, v7
	v_cmp_ge_u32_e32 vcc, v8, v7
	v_cndmask_b32_e32 v8, v8, v9, vcc
	v_sub_u32_e32 v9, v8, v7
	v_cmp_ge_u32_e32 vcc, v8, v7
	v_cndmask_b32_e32 v8, v8, v9, vcc
.LBB171_54:                             ;   in Loop: Header=BB171_49 Depth=3
	s_or_b64 exec, exec, s[8:9]
	v_lshrrev_b32_e32 v9, v21, v0
	v_lshl_or_b32 v7, v9, v20, v7
	v_lshl_add_u32 v9, v7, 2, v10
	v_lshl_add_u32 v7, v8, 2, v9
	v_add_u32_e32 v8, -4, v9
	ds_read_b32 v8, v8
	ds_read_b32 v9, v7
	s_waitcnt lgkmcnt(1)
	v_max_f32_e32 v22, v8, v8
	s_waitcnt lgkmcnt(0)
	v_max_f32_e32 v23, v9, v9
	v_min_f32_e32 v21, v23, v22
	v_cmp_u_f32_e32 vcc, v9, v9
	v_max_f32_e32 v22, v23, v22
	v_cndmask_b32_e32 v21, v21, v9, vcc
	v_cmp_u_f32_e64 s[8:9], v8, v8
	v_cndmask_b32_e32 v22, v22, v9, vcc
	v_cndmask_b32_e64 v21, v21, v8, s[8:9]
	v_cndmask_b32_e64 v8, v22, v8, s[8:9]
	v_cmp_neq_f32_e32 vcc, v21, v8
	v_cmp_class_f32_e64 s[8:9], v21, s34
	s_or_b64 s[42:43], vcc, s[8:9]
	s_and_saveexec_b64 s[8:9], s[42:43]
	s_cbranch_execz .LBB171_47
; %bb.55:                               ;   in Loop: Header=BB171_49 Depth=3
	v_sub_f32_e32 v9, v21, v8
	v_mul_f32_e32 v21, 0x3fb8aa3b, v9
	v_fma_f32 v22, v9, s35, -v21
	v_rndne_f32_e32 v23, v21
	v_fmac_f32_e32 v22, 0x32a5705f, v9
	v_sub_f32_e32 v21, v21, v23
	v_add_f32_e32 v21, v21, v22
	v_cvt_i32_f32_e32 v22, v23
	v_exp_f32_e32 v21, v21
	v_cmp_ngt_f32_e32 vcc, s36, v9
	v_ldexp_f32 v21, v21, v22
	v_cndmask_b32_e32 v21, 0, v21, vcc
	v_cmp_nlt_f32_e32 vcc, s37, v9
	v_cndmask_b32_e32 v9, v15, v21, vcc
	v_add_f32_e32 v23, 1.0, v9
	v_cvt_f64_f32_e32 v[21:22], v23
	v_add_f32_e32 v24, -1.0, v23
	v_sub_f32_e32 v25, v24, v23
	v_sub_f32_e32 v24, v9, v24
	v_frexp_exp_i32_f64_e32 v21, v[21:22]
	v_frexp_mant_f32_e32 v22, v23
	v_cmp_gt_f32_e32 vcc, s39, v22
	v_add_f32_e32 v25, 1.0, v25
	v_add_f32_e32 v24, v24, v25
	v_subbrev_co_u32_e32 v21, vcc, 0, v21, vcc
	v_sub_u32_e32 v22, 0, v21
	v_ldexp_f32 v23, v23, v22
	v_ldexp_f32 v22, v24, v22
	v_add_f32_e32 v24, -1.0, v23
	v_add_f32_e32 v27, 1.0, v23
	v_add_f32_e32 v25, 1.0, v24
	v_add_f32_e32 v28, -1.0, v27
	v_sub_f32_e32 v25, v23, v25
	v_sub_f32_e32 v23, v23, v28
	v_add_f32_e32 v25, v22, v25
	v_add_f32_e32 v22, v22, v23
	v_add_f32_e32 v23, v27, v22
	v_rcp_f32_e32 v28, v23
	v_add_f32_e32 v26, v24, v25
	v_sub_f32_e32 v24, v24, v26
	v_add_f32_e32 v24, v25, v24
	v_sub_f32_e32 v25, v27, v23
	v_add_f32_e32 v22, v22, v25
	v_mul_f32_e32 v25, v26, v28
	v_mul_f32_e32 v27, v23, v25
	v_fma_f32 v29, v25, v23, -v27
	v_fmac_f32_e32 v29, v25, v22
	v_add_f32_e32 v30, v27, v29
	v_sub_f32_e32 v31, v26, v30
	v_sub_f32_e32 v26, v26, v31
	;; [unrolled: 1-line block ×4, first 2 shown]
	v_add_f32_e32 v24, v24, v26
	v_sub_f32_e32 v26, v27, v29
	v_add_f32_e32 v24, v26, v24
	v_add_f32_e32 v26, v31, v24
	v_mul_f32_e32 v27, v28, v26
	v_mul_f32_e32 v29, v23, v27
	v_fma_f32 v23, v27, v23, -v29
	v_fmac_f32_e32 v23, v27, v22
	v_sub_f32_e32 v22, v31, v26
	v_add_f32_e32 v22, v24, v22
	v_add_f32_e32 v24, v29, v23
	v_sub_f32_e32 v30, v26, v24
	v_sub_f32_e32 v26, v26, v30
	;; [unrolled: 1-line block ×4, first 2 shown]
	v_add_f32_e32 v22, v22, v24
	v_sub_f32_e32 v23, v29, v23
	v_cvt_f32_i32_e32 v21, v21
	v_add_f32_e32 v22, v23, v22
	v_add_f32_e32 v23, v25, v27
	;; [unrolled: 1-line block ×3, first 2 shown]
	v_sub_f32_e32 v24, v23, v25
	v_mul_f32_e32 v22, v28, v22
	v_sub_f32_e32 v24, v27, v24
	v_add_f32_e32 v22, v24, v22
	v_mul_f32_e32 v27, 0x3f317218, v21
	v_add_f32_e32 v24, v23, v22
	v_fma_f32 v28, v21, s40, -v27
	v_mul_f32_e32 v25, v24, v24
	v_mov_b32_e32 v26, 0x3ecc95a3
	v_fmac_f32_e32 v28, 0xb102e308, v21
	v_sub_f32_e32 v21, v24, v23
	v_fmac_f32_e32 v26, 0x3e9b6dac, v25
	v_sub_f32_e32 v21, v22, v21
	v_add_f32_e32 v22, v27, v28
	v_fma_f32 v26, v25, v26, v14
	v_sub_f32_e32 v23, v22, v27
	v_ldexp_f32 v27, v24, 1
	v_mul_f32_e32 v24, v24, v25
	v_mul_f32_e32 v24, v24, v26
	v_add_f32_e32 v25, v27, v24
	v_sub_f32_e32 v26, v25, v27
	v_ldexp_f32 v21, v21, 1
	v_sub_f32_e32 v24, v24, v26
	v_add_f32_e32 v21, v21, v24
	v_add_f32_e32 v24, v25, v21
	v_sub_f32_e32 v25, v24, v25
	v_sub_f32_e32 v21, v21, v25
	v_add_f32_e32 v25, v22, v24
	v_sub_f32_e32 v26, v25, v22
	v_sub_f32_e32 v27, v25, v26
	;; [unrolled: 1-line block ×5, first 2 shown]
	v_add_f32_e32 v22, v24, v22
	v_add_f32_e32 v24, v23, v21
	v_sub_f32_e32 v26, v24, v23
	v_sub_f32_e32 v27, v24, v26
	v_sub_f32_e32 v23, v23, v27
	v_sub_f32_e32 v21, v21, v26
	v_add_f32_e32 v22, v24, v22
	v_add_f32_e32 v21, v21, v23
	;; [unrolled: 1-line block ×3, first 2 shown]
	v_sub_f32_e32 v24, v23, v25
	v_sub_f32_e32 v22, v22, v24
	v_add_f32_e32 v21, v21, v22
	v_add_f32_e32 v21, v23, v21
	v_cmp_neq_f32_e32 vcc, s38, v9
	v_cndmask_b32_e32 v21, v15, v21, vcc
	v_cmp_lt_f32_e64 vcc, |v9|, s41
	v_cndmask_b32_e32 v9, v21, v9, vcc
	v_add_f32_e32 v9, v8, v9
	s_branch .LBB171_47
.LBB171_56:                             ;   in Loop: Header=BB171_37 Depth=2
	s_or_b64 exec, exec, s[28:29]
	s_and_saveexec_b64 s[8:9], s[4:5]
	s_cbranch_execz .LBB171_36
; %bb.57:                               ;   in Loop: Header=BB171_37 Depth=2
	v_cmp_gt_u64_e32 vcc, s[24:25], v[5:6]
	s_and_saveexec_b64 s[28:29], vcc
	s_cbranch_execz .LBB171_59
; %bb.58:                               ;   in Loop: Header=BB171_37 Depth=2
	ds_read_b32 v7, v11
	v_lshlrev_b64 v[5:6], 2, v[5:6]
	v_add_co_u32_e32 v5, vcc, v18, v5
	v_addc_co_u32_e32 v6, vcc, v19, v6, vcc
	s_waitcnt lgkmcnt(0)
	global_store_dword v[5:6], v7, off
.LBB171_59:                             ;   in Loop: Header=BB171_37 Depth=2
	s_or_b64 exec, exec, s[28:29]
	v_cmp_gt_u64_e32 vcc, s[24:25], v[3:4]
	s_and_b64 exec, exec, vcc
	s_cbranch_execz .LBB171_36
; %bb.60:                               ;   in Loop: Header=BB171_37 Depth=2
	ds_read_b32 v5, v12
	v_lshlrev_b64 v[3:4], 2, v[3:4]
	v_add_co_u32_e32 v3, vcc, v18, v3
	v_addc_co_u32_e32 v4, vcc, v19, v4, vcc
	s_waitcnt lgkmcnt(0)
	global_store_dword v[3:4], v5, off
	s_branch .LBB171_36
.LBB171_61:
	s_endpgm
	.section	.rodata,"a",@progbits
	.p2align	6, 0x0
	.amdhsa_kernel _ZN2at6native32tensor_kernel_scan_innermost_dimIfZZZNS0_31launch_logcumsumexp_cuda_kernelERKNS_10TensorBaseES4_lENKUlvE_clEvENKUlvE0_clEvEUlffE_EEvPT_PKS8_jjjS8_T0_
		.amdhsa_group_segment_fixed_size 0
		.amdhsa_private_segment_fixed_size 0
		.amdhsa_kernarg_size 296
		.amdhsa_user_sgpr_count 6
		.amdhsa_user_sgpr_private_segment_buffer 1
		.amdhsa_user_sgpr_dispatch_ptr 0
		.amdhsa_user_sgpr_queue_ptr 0
		.amdhsa_user_sgpr_kernarg_segment_ptr 1
		.amdhsa_user_sgpr_dispatch_id 0
		.amdhsa_user_sgpr_flat_scratch_init 0
		.amdhsa_user_sgpr_private_segment_size 0
		.amdhsa_uses_dynamic_stack 0
		.amdhsa_system_sgpr_private_segment_wavefront_offset 0
		.amdhsa_system_sgpr_workgroup_id_x 1
		.amdhsa_system_sgpr_workgroup_id_y 0
		.amdhsa_system_sgpr_workgroup_id_z 0
		.amdhsa_system_sgpr_workgroup_info 0
		.amdhsa_system_vgpr_workitem_id 1
		.amdhsa_next_free_vgpr 32
		.amdhsa_next_free_sgpr 44
		.amdhsa_reserve_vcc 1
		.amdhsa_reserve_flat_scratch 0
		.amdhsa_float_round_mode_32 0
		.amdhsa_float_round_mode_16_64 0
		.amdhsa_float_denorm_mode_32 3
		.amdhsa_float_denorm_mode_16_64 3
		.amdhsa_dx10_clamp 1
		.amdhsa_ieee_mode 1
		.amdhsa_fp16_overflow 0
		.amdhsa_exception_fp_ieee_invalid_op 0
		.amdhsa_exception_fp_denorm_src 0
		.amdhsa_exception_fp_ieee_div_zero 0
		.amdhsa_exception_fp_ieee_overflow 0
		.amdhsa_exception_fp_ieee_underflow 0
		.amdhsa_exception_fp_ieee_inexact 0
		.amdhsa_exception_int_div_zero 0
	.end_amdhsa_kernel
	.section	.text._ZN2at6native32tensor_kernel_scan_innermost_dimIfZZZNS0_31launch_logcumsumexp_cuda_kernelERKNS_10TensorBaseES4_lENKUlvE_clEvENKUlvE0_clEvEUlffE_EEvPT_PKS8_jjjS8_T0_,"axG",@progbits,_ZN2at6native32tensor_kernel_scan_innermost_dimIfZZZNS0_31launch_logcumsumexp_cuda_kernelERKNS_10TensorBaseES4_lENKUlvE_clEvENKUlvE0_clEvEUlffE_EEvPT_PKS8_jjjS8_T0_,comdat
.Lfunc_end171:
	.size	_ZN2at6native32tensor_kernel_scan_innermost_dimIfZZZNS0_31launch_logcumsumexp_cuda_kernelERKNS_10TensorBaseES4_lENKUlvE_clEvENKUlvE0_clEvEUlffE_EEvPT_PKS8_jjjS8_T0_, .Lfunc_end171-_ZN2at6native32tensor_kernel_scan_innermost_dimIfZZZNS0_31launch_logcumsumexp_cuda_kernelERKNS_10TensorBaseES4_lENKUlvE_clEvENKUlvE0_clEvEUlffE_EEvPT_PKS8_jjjS8_T0_
                                        ; -- End function
	.set _ZN2at6native32tensor_kernel_scan_innermost_dimIfZZZNS0_31launch_logcumsumexp_cuda_kernelERKNS_10TensorBaseES4_lENKUlvE_clEvENKUlvE0_clEvEUlffE_EEvPT_PKS8_jjjS8_T0_.num_vgpr, 32
	.set _ZN2at6native32tensor_kernel_scan_innermost_dimIfZZZNS0_31launch_logcumsumexp_cuda_kernelERKNS_10TensorBaseES4_lENKUlvE_clEvENKUlvE0_clEvEUlffE_EEvPT_PKS8_jjjS8_T0_.num_agpr, 0
	.set _ZN2at6native32tensor_kernel_scan_innermost_dimIfZZZNS0_31launch_logcumsumexp_cuda_kernelERKNS_10TensorBaseES4_lENKUlvE_clEvENKUlvE0_clEvEUlffE_EEvPT_PKS8_jjjS8_T0_.numbered_sgpr, 44
	.set _ZN2at6native32tensor_kernel_scan_innermost_dimIfZZZNS0_31launch_logcumsumexp_cuda_kernelERKNS_10TensorBaseES4_lENKUlvE_clEvENKUlvE0_clEvEUlffE_EEvPT_PKS8_jjjS8_T0_.num_named_barrier, 0
	.set _ZN2at6native32tensor_kernel_scan_innermost_dimIfZZZNS0_31launch_logcumsumexp_cuda_kernelERKNS_10TensorBaseES4_lENKUlvE_clEvENKUlvE0_clEvEUlffE_EEvPT_PKS8_jjjS8_T0_.private_seg_size, 0
	.set _ZN2at6native32tensor_kernel_scan_innermost_dimIfZZZNS0_31launch_logcumsumexp_cuda_kernelERKNS_10TensorBaseES4_lENKUlvE_clEvENKUlvE0_clEvEUlffE_EEvPT_PKS8_jjjS8_T0_.uses_vcc, 1
	.set _ZN2at6native32tensor_kernel_scan_innermost_dimIfZZZNS0_31launch_logcumsumexp_cuda_kernelERKNS_10TensorBaseES4_lENKUlvE_clEvENKUlvE0_clEvEUlffE_EEvPT_PKS8_jjjS8_T0_.uses_flat_scratch, 0
	.set _ZN2at6native32tensor_kernel_scan_innermost_dimIfZZZNS0_31launch_logcumsumexp_cuda_kernelERKNS_10TensorBaseES4_lENKUlvE_clEvENKUlvE0_clEvEUlffE_EEvPT_PKS8_jjjS8_T0_.has_dyn_sized_stack, 0
	.set _ZN2at6native32tensor_kernel_scan_innermost_dimIfZZZNS0_31launch_logcumsumexp_cuda_kernelERKNS_10TensorBaseES4_lENKUlvE_clEvENKUlvE0_clEvEUlffE_EEvPT_PKS8_jjjS8_T0_.has_recursion, 0
	.set _ZN2at6native32tensor_kernel_scan_innermost_dimIfZZZNS0_31launch_logcumsumexp_cuda_kernelERKNS_10TensorBaseES4_lENKUlvE_clEvENKUlvE0_clEvEUlffE_EEvPT_PKS8_jjjS8_T0_.has_indirect_call, 0
	.section	.AMDGPU.csdata,"",@progbits
; Kernel info:
; codeLenInByte = 4548
; TotalNumSgprs: 48
; NumVgprs: 32
; ScratchSize: 0
; MemoryBound: 0
; FloatMode: 240
; IeeeMode: 1
; LDSByteSize: 0 bytes/workgroup (compile time only)
; SGPRBlocks: 5
; VGPRBlocks: 7
; NumSGPRsForWavesPerEU: 48
; NumVGPRsForWavesPerEU: 32
; Occupancy: 8
; WaveLimiterHint : 0
; COMPUTE_PGM_RSRC2:SCRATCH_EN: 0
; COMPUTE_PGM_RSRC2:USER_SGPR: 6
; COMPUTE_PGM_RSRC2:TRAP_HANDLER: 0
; COMPUTE_PGM_RSRC2:TGID_X_EN: 1
; COMPUTE_PGM_RSRC2:TGID_Y_EN: 0
; COMPUTE_PGM_RSRC2:TGID_Z_EN: 0
; COMPUTE_PGM_RSRC2:TIDIG_COMP_CNT: 1
	.section	.text._ZN2at6native28tensor_kernel_scan_outer_dimIfjZZZNS0_31launch_logcumsumexp_cuda_kernelERKNS_10TensorBaseES4_lENKUlvE_clEvENKUlvE0_clEvEUlffE_EEvPT_PKS8_jjjS8_T1_,"axG",@progbits,_ZN2at6native28tensor_kernel_scan_outer_dimIfjZZZNS0_31launch_logcumsumexp_cuda_kernelERKNS_10TensorBaseES4_lENKUlvE_clEvENKUlvE0_clEvEUlffE_EEvPT_PKS8_jjjS8_T1_,comdat
	.globl	_ZN2at6native28tensor_kernel_scan_outer_dimIfjZZZNS0_31launch_logcumsumexp_cuda_kernelERKNS_10TensorBaseES4_lENKUlvE_clEvENKUlvE0_clEvEUlffE_EEvPT_PKS8_jjjS8_T1_ ; -- Begin function _ZN2at6native28tensor_kernel_scan_outer_dimIfjZZZNS0_31launch_logcumsumexp_cuda_kernelERKNS_10TensorBaseES4_lENKUlvE_clEvENKUlvE0_clEvEUlffE_EEvPT_PKS8_jjjS8_T1_
	.p2align	8
	.type	_ZN2at6native28tensor_kernel_scan_outer_dimIfjZZZNS0_31launch_logcumsumexp_cuda_kernelERKNS_10TensorBaseES4_lENKUlvE_clEvENKUlvE0_clEvEUlffE_EEvPT_PKS8_jjjS8_T1_,@function
_ZN2at6native28tensor_kernel_scan_outer_dimIfjZZZNS0_31launch_logcumsumexp_cuda_kernelERKNS_10TensorBaseES4_lENKUlvE_clEvENKUlvE0_clEvEUlffE_EEvPT_PKS8_jjjS8_T1_: ; @_ZN2at6native28tensor_kernel_scan_outer_dimIfjZZZNS0_31launch_logcumsumexp_cuda_kernelERKNS_10TensorBaseES4_lENKUlvE_clEvENKUlvE0_clEvEUlffE_EEvPT_PKS8_jjjS8_T1_
; %bb.0:
	s_load_dwordx4 s[8:11], s[4:5], 0x10
	s_waitcnt lgkmcnt(0)
	s_cmp_ge_u32 s6, s8
	s_cbranch_scc1 .LBB172_11
; %bb.1:
	s_load_dword s0, s[4:5], 0x34
	s_load_dwordx4 s[12:15], s[4:5], 0x0
	s_load_dword s28, s[4:5], 0x28
	s_add_u32 s4, s4, 40
	s_addc_u32 s5, s5, 0
	s_waitcnt lgkmcnt(0)
	s_and_b32 s29, s0, 0xffff
	s_mul_i32 s7, s7, s29
	s_cmp_lg_u32 s10, 0
	v_add_u32_e32 v2, s7, v0
	s_cselect_b64 s[2:3], -1, 0
	s_mul_i32 s7, s6, s10
	s_mov_b32 s17, 0
	s_mov_b32 s16, s9
	s_mul_i32 s20, s7, s9
	s_mul_i32 s7, s28, s10
	v_cndmask_b32_e64 v0, 0, 1, s[2:3]
	v_cmp_gt_u32_e64 s[0:1], s9, v2
	s_mul_i32 s7, s7, s9
	s_lshl_b64 s[18:19], s[16:17], 2
	v_cmp_ne_u32_e64 s[2:3], 1, v0
	v_mov_b32_e32 v1, 0
	s_movk_i32 s30, 0x1f8
	s_mov_b32 s31, 0x3fb8aa3b
	s_mov_b32 s33, 0xc2ce8ed0
	;; [unrolled: 1-line block ×5, first 2 shown]
	v_mov_b32_e32 v3, 0x3f2aaada
	s_mov_b32 s37, 0x3f317218
	s_mov_b32 s38, 0x33800000
	v_mov_b32_e32 v4, 0x7f800000
	s_mov_b32 s16, s20
	s_branch .LBB172_3
.LBB172_2:                              ;   in Loop: Header=BB172_3 Depth=1
	s_or_b64 exec, exec, s[20:21]
	s_add_i32 s6, s28, s6
	s_add_i32 s16, s16, s7
	s_cmp_ge_u32 s6, s8
	s_cbranch_scc1 .LBB172_11
.LBB172_3:                              ; =>This Loop Header: Depth=1
                                        ;     Child Loop BB172_6 Depth 2
                                        ;       Child Loop BB172_9 Depth 3
	s_and_saveexec_b64 s[20:21], s[0:1]
	s_cbranch_execz .LBB172_2
; %bb.4:                                ;   in Loop: Header=BB172_3 Depth=1
	s_load_dword s39, s[4:5], 0x4
	s_lshl_b64 s[22:23], s[16:17], 2
	s_mov_b64 s[24:25], 0
	v_mov_b32_e32 v0, v2
	s_waitcnt lgkmcnt(0)
	s_mul_i32 s39, s39, s29
	s_branch .LBB172_6
.LBB172_5:                              ;   in Loop: Header=BB172_6 Depth=2
	v_add_u32_e32 v0, s39, v0
	v_cmp_le_u32_e32 vcc, s9, v0
	s_or_b64 s[24:25], vcc, s[24:25]
	s_andn2_b64 exec, exec, s[24:25]
	s_cbranch_execz .LBB172_2
.LBB172_6:                              ;   Parent Loop BB172_3 Depth=1
                                        ; =>  This Loop Header: Depth=2
                                        ;       Child Loop BB172_9 Depth 3
	s_and_b64 vcc, exec, s[2:3]
	s_cbranch_vccnz .LBB172_5
; %bb.7:                                ;   in Loop: Header=BB172_6 Depth=2
	v_lshlrev_b64 v[5:6], 2, v[0:1]
	v_mov_b32_e32 v7, s23
	v_add_co_u32_e32 v5, vcc, s22, v5
	v_addc_co_u32_e32 v6, vcc, v7, v6, vcc
	v_mov_b32_e32 v8, s11
	s_mov_b32 s40, s10
	s_branch .LBB172_9
.LBB172_8:                              ;   in Loop: Header=BB172_9 Depth=3
	s_or_b64 exec, exec, s[26:27]
	v_mov_b32_e32 v7, s13
	v_add_co_u32_e32 v9, vcc, s12, v5
	v_addc_co_u32_e32 v10, vcc, v7, v6, vcc
	s_add_i32 s40, s40, -1
	v_mov_b32_e32 v7, s19
	v_add_co_u32_e32 v5, vcc, s18, v5
	s_cmp_eq_u32 s40, 0
	v_addc_co_u32_e32 v6, vcc, v6, v7, vcc
	global_store_dword v[9:10], v8, off
	s_cbranch_scc1 .LBB172_5
.LBB172_9:                              ;   Parent Loop BB172_3 Depth=1
                                        ;     Parent Loop BB172_6 Depth=2
                                        ; =>    This Inner Loop Header: Depth=3
	v_mov_b32_e32 v7, s15
	v_add_co_u32_e32 v9, vcc, s14, v5
	v_addc_co_u32_e32 v10, vcc, v7, v6, vcc
	global_load_dword v7, v[9:10], off
	v_max_f32_e32 v9, v8, v8
	v_cmp_u_f32_e32 vcc, v8, v8
	s_waitcnt vmcnt(0)
	v_max_f32_e32 v10, v7, v7
	v_min_f32_e32 v11, v9, v10
	v_max_f32_e32 v9, v9, v10
	v_cndmask_b32_e32 v10, v11, v8, vcc
	v_cndmask_b32_e32 v11, v9, v8, vcc
	v_cmp_u_f32_e32 vcc, v7, v7
	v_cndmask_b32_e32 v9, v10, v7, vcc
	v_cndmask_b32_e32 v7, v11, v7, vcc
	v_cmp_neq_f32_e32 vcc, v9, v7
	v_cmp_class_f32_e64 s[26:27], v9, s30
	s_or_b64 s[42:43], vcc, s[26:27]
	s_and_saveexec_b64 s[26:27], s[42:43]
	s_cbranch_execz .LBB172_8
; %bb.10:                               ;   in Loop: Header=BB172_9 Depth=3
	v_sub_f32_e32 v8, v9, v7
	v_mul_f32_e32 v9, 0x3fb8aa3b, v8
	v_fma_f32 v10, v8, s31, -v9
	v_rndne_f32_e32 v11, v9
	v_fmac_f32_e32 v10, 0x32a5705f, v8
	v_sub_f32_e32 v9, v9, v11
	v_add_f32_e32 v9, v9, v10
	v_cvt_i32_f32_e32 v10, v11
	v_exp_f32_e32 v9, v9
	v_cmp_ngt_f32_e32 vcc, s33, v8
	v_ldexp_f32 v9, v9, v10
	v_cndmask_b32_e32 v9, 0, v9, vcc
	v_cmp_nlt_f32_e32 vcc, s34, v8
	v_cndmask_b32_e32 v10, v4, v9, vcc
	v_add_f32_e32 v11, 1.0, v10
	v_cvt_f64_f32_e32 v[8:9], v11
	v_add_f32_e32 v12, -1.0, v11
	v_sub_f32_e32 v13, v12, v11
	v_sub_f32_e32 v12, v10, v12
	v_frexp_exp_i32_f64_e32 v8, v[8:9]
	v_frexp_mant_f32_e32 v9, v11
	v_cmp_gt_f32_e32 vcc, s36, v9
	v_add_f32_e32 v13, 1.0, v13
	v_add_f32_e32 v12, v12, v13
	v_subbrev_co_u32_e32 v8, vcc, 0, v8, vcc
	v_sub_u32_e32 v9, 0, v8
	v_ldexp_f32 v11, v11, v9
	v_ldexp_f32 v9, v12, v9
	v_add_f32_e32 v12, -1.0, v11
	v_add_f32_e32 v15, 1.0, v11
	v_add_f32_e32 v13, 1.0, v12
	v_add_f32_e32 v16, -1.0, v15
	v_sub_f32_e32 v13, v11, v13
	v_sub_f32_e32 v11, v11, v16
	v_add_f32_e32 v13, v9, v13
	v_add_f32_e32 v9, v9, v11
	;; [unrolled: 1-line block ×3, first 2 shown]
	v_rcp_f32_e32 v16, v11
	v_add_f32_e32 v14, v12, v13
	v_sub_f32_e32 v12, v12, v14
	v_add_f32_e32 v12, v13, v12
	v_sub_f32_e32 v13, v15, v11
	v_add_f32_e32 v9, v9, v13
	v_mul_f32_e32 v13, v14, v16
	v_mul_f32_e32 v15, v11, v13
	v_fma_f32 v17, v13, v11, -v15
	v_fmac_f32_e32 v17, v13, v9
	v_add_f32_e32 v18, v15, v17
	v_sub_f32_e32 v19, v14, v18
	v_sub_f32_e32 v14, v14, v19
	;; [unrolled: 1-line block ×4, first 2 shown]
	v_add_f32_e32 v12, v12, v14
	v_sub_f32_e32 v14, v15, v17
	v_add_f32_e32 v12, v14, v12
	v_add_f32_e32 v14, v19, v12
	v_mul_f32_e32 v15, v16, v14
	v_mul_f32_e32 v17, v11, v15
	v_fma_f32 v11, v15, v11, -v17
	v_fmac_f32_e32 v11, v15, v9
	v_sub_f32_e32 v9, v19, v14
	v_add_f32_e32 v9, v12, v9
	v_add_f32_e32 v12, v17, v11
	v_sub_f32_e32 v18, v14, v12
	v_sub_f32_e32 v14, v14, v18
	;; [unrolled: 1-line block ×4, first 2 shown]
	v_add_f32_e32 v9, v9, v12
	v_sub_f32_e32 v11, v17, v11
	v_cvt_f32_i32_e32 v8, v8
	v_add_f32_e32 v9, v11, v9
	v_add_f32_e32 v11, v13, v15
	;; [unrolled: 1-line block ×3, first 2 shown]
	v_sub_f32_e32 v12, v11, v13
	v_mul_f32_e32 v9, v16, v9
	v_sub_f32_e32 v12, v15, v12
	v_add_f32_e32 v9, v12, v9
	v_mul_f32_e32 v15, 0x3f317218, v8
	v_add_f32_e32 v12, v11, v9
	v_fma_f32 v16, v8, s37, -v15
	v_mul_f32_e32 v13, v12, v12
	v_mov_b32_e32 v14, 0x3ecc95a3
	v_fmac_f32_e32 v16, 0xb102e308, v8
	v_sub_f32_e32 v8, v12, v11
	v_fmac_f32_e32 v14, 0x3e9b6dac, v13
	v_sub_f32_e32 v8, v9, v8
	v_add_f32_e32 v9, v15, v16
	v_fma_f32 v14, v13, v14, v3
	v_sub_f32_e32 v11, v9, v15
	v_ldexp_f32 v15, v12, 1
	v_mul_f32_e32 v12, v12, v13
	v_mul_f32_e32 v12, v12, v14
	v_add_f32_e32 v13, v15, v12
	v_sub_f32_e32 v14, v13, v15
	v_ldexp_f32 v8, v8, 1
	v_sub_f32_e32 v12, v12, v14
	v_add_f32_e32 v8, v8, v12
	v_add_f32_e32 v12, v13, v8
	v_sub_f32_e32 v13, v12, v13
	v_sub_f32_e32 v8, v8, v13
	v_add_f32_e32 v13, v9, v12
	v_sub_f32_e32 v14, v13, v9
	v_sub_f32_e32 v15, v13, v14
	;; [unrolled: 1-line block ×5, first 2 shown]
	v_add_f32_e32 v9, v12, v9
	v_add_f32_e32 v12, v11, v8
	v_sub_f32_e32 v14, v12, v11
	v_sub_f32_e32 v15, v12, v14
	;; [unrolled: 1-line block ×4, first 2 shown]
	v_add_f32_e32 v9, v12, v9
	v_add_f32_e32 v8, v8, v11
	;; [unrolled: 1-line block ×3, first 2 shown]
	v_sub_f32_e32 v12, v11, v13
	v_sub_f32_e32 v9, v9, v12
	v_add_f32_e32 v8, v8, v9
	v_add_f32_e32 v8, v11, v8
	v_cmp_neq_f32_e32 vcc, s35, v10
	v_cndmask_b32_e32 v8, v4, v8, vcc
	v_cmp_lt_f32_e64 vcc, |v10|, s38
	v_cndmask_b32_e32 v8, v8, v10, vcc
	v_add_f32_e32 v8, v7, v8
	s_branch .LBB172_8
.LBB172_11:
	s_endpgm
	.section	.rodata,"a",@progbits
	.p2align	6, 0x0
	.amdhsa_kernel _ZN2at6native28tensor_kernel_scan_outer_dimIfjZZZNS0_31launch_logcumsumexp_cuda_kernelERKNS_10TensorBaseES4_lENKUlvE_clEvENKUlvE0_clEvEUlffE_EEvPT_PKS8_jjjS8_T1_
		.amdhsa_group_segment_fixed_size 0
		.amdhsa_private_segment_fixed_size 0
		.amdhsa_kernarg_size 296
		.amdhsa_user_sgpr_count 6
		.amdhsa_user_sgpr_private_segment_buffer 1
		.amdhsa_user_sgpr_dispatch_ptr 0
		.amdhsa_user_sgpr_queue_ptr 0
		.amdhsa_user_sgpr_kernarg_segment_ptr 1
		.amdhsa_user_sgpr_dispatch_id 0
		.amdhsa_user_sgpr_flat_scratch_init 0
		.amdhsa_user_sgpr_private_segment_size 0
		.amdhsa_uses_dynamic_stack 0
		.amdhsa_system_sgpr_private_segment_wavefront_offset 0
		.amdhsa_system_sgpr_workgroup_id_x 1
		.amdhsa_system_sgpr_workgroup_id_y 1
		.amdhsa_system_sgpr_workgroup_id_z 0
		.amdhsa_system_sgpr_workgroup_info 0
		.amdhsa_system_vgpr_workitem_id 0
		.amdhsa_next_free_vgpr 20
		.amdhsa_next_free_sgpr 44
		.amdhsa_reserve_vcc 1
		.amdhsa_reserve_flat_scratch 0
		.amdhsa_float_round_mode_32 0
		.amdhsa_float_round_mode_16_64 0
		.amdhsa_float_denorm_mode_32 3
		.amdhsa_float_denorm_mode_16_64 3
		.amdhsa_dx10_clamp 1
		.amdhsa_ieee_mode 1
		.amdhsa_fp16_overflow 0
		.amdhsa_exception_fp_ieee_invalid_op 0
		.amdhsa_exception_fp_denorm_src 0
		.amdhsa_exception_fp_ieee_div_zero 0
		.amdhsa_exception_fp_ieee_overflow 0
		.amdhsa_exception_fp_ieee_underflow 0
		.amdhsa_exception_fp_ieee_inexact 0
		.amdhsa_exception_int_div_zero 0
	.end_amdhsa_kernel
	.section	.text._ZN2at6native28tensor_kernel_scan_outer_dimIfjZZZNS0_31launch_logcumsumexp_cuda_kernelERKNS_10TensorBaseES4_lENKUlvE_clEvENKUlvE0_clEvEUlffE_EEvPT_PKS8_jjjS8_T1_,"axG",@progbits,_ZN2at6native28tensor_kernel_scan_outer_dimIfjZZZNS0_31launch_logcumsumexp_cuda_kernelERKNS_10TensorBaseES4_lENKUlvE_clEvENKUlvE0_clEvEUlffE_EEvPT_PKS8_jjjS8_T1_,comdat
.Lfunc_end172:
	.size	_ZN2at6native28tensor_kernel_scan_outer_dimIfjZZZNS0_31launch_logcumsumexp_cuda_kernelERKNS_10TensorBaseES4_lENKUlvE_clEvENKUlvE0_clEvEUlffE_EEvPT_PKS8_jjjS8_T1_, .Lfunc_end172-_ZN2at6native28tensor_kernel_scan_outer_dimIfjZZZNS0_31launch_logcumsumexp_cuda_kernelERKNS_10TensorBaseES4_lENKUlvE_clEvENKUlvE0_clEvEUlffE_EEvPT_PKS8_jjjS8_T1_
                                        ; -- End function
	.set _ZN2at6native28tensor_kernel_scan_outer_dimIfjZZZNS0_31launch_logcumsumexp_cuda_kernelERKNS_10TensorBaseES4_lENKUlvE_clEvENKUlvE0_clEvEUlffE_EEvPT_PKS8_jjjS8_T1_.num_vgpr, 20
	.set _ZN2at6native28tensor_kernel_scan_outer_dimIfjZZZNS0_31launch_logcumsumexp_cuda_kernelERKNS_10TensorBaseES4_lENKUlvE_clEvENKUlvE0_clEvEUlffE_EEvPT_PKS8_jjjS8_T1_.num_agpr, 0
	.set _ZN2at6native28tensor_kernel_scan_outer_dimIfjZZZNS0_31launch_logcumsumexp_cuda_kernelERKNS_10TensorBaseES4_lENKUlvE_clEvENKUlvE0_clEvEUlffE_EEvPT_PKS8_jjjS8_T1_.numbered_sgpr, 44
	.set _ZN2at6native28tensor_kernel_scan_outer_dimIfjZZZNS0_31launch_logcumsumexp_cuda_kernelERKNS_10TensorBaseES4_lENKUlvE_clEvENKUlvE0_clEvEUlffE_EEvPT_PKS8_jjjS8_T1_.num_named_barrier, 0
	.set _ZN2at6native28tensor_kernel_scan_outer_dimIfjZZZNS0_31launch_logcumsumexp_cuda_kernelERKNS_10TensorBaseES4_lENKUlvE_clEvENKUlvE0_clEvEUlffE_EEvPT_PKS8_jjjS8_T1_.private_seg_size, 0
	.set _ZN2at6native28tensor_kernel_scan_outer_dimIfjZZZNS0_31launch_logcumsumexp_cuda_kernelERKNS_10TensorBaseES4_lENKUlvE_clEvENKUlvE0_clEvEUlffE_EEvPT_PKS8_jjjS8_T1_.uses_vcc, 1
	.set _ZN2at6native28tensor_kernel_scan_outer_dimIfjZZZNS0_31launch_logcumsumexp_cuda_kernelERKNS_10TensorBaseES4_lENKUlvE_clEvENKUlvE0_clEvEUlffE_EEvPT_PKS8_jjjS8_T1_.uses_flat_scratch, 0
	.set _ZN2at6native28tensor_kernel_scan_outer_dimIfjZZZNS0_31launch_logcumsumexp_cuda_kernelERKNS_10TensorBaseES4_lENKUlvE_clEvENKUlvE0_clEvEUlffE_EEvPT_PKS8_jjjS8_T1_.has_dyn_sized_stack, 0
	.set _ZN2at6native28tensor_kernel_scan_outer_dimIfjZZZNS0_31launch_logcumsumexp_cuda_kernelERKNS_10TensorBaseES4_lENKUlvE_clEvENKUlvE0_clEvEUlffE_EEvPT_PKS8_jjjS8_T1_.has_recursion, 0
	.set _ZN2at6native28tensor_kernel_scan_outer_dimIfjZZZNS0_31launch_logcumsumexp_cuda_kernelERKNS_10TensorBaseES4_lENKUlvE_clEvENKUlvE0_clEvEUlffE_EEvPT_PKS8_jjjS8_T1_.has_indirect_call, 0
	.section	.AMDGPU.csdata,"",@progbits
; Kernel info:
; codeLenInByte = 1048
; TotalNumSgprs: 48
; NumVgprs: 20
; ScratchSize: 0
; MemoryBound: 0
; FloatMode: 240
; IeeeMode: 1
; LDSByteSize: 0 bytes/workgroup (compile time only)
; SGPRBlocks: 5
; VGPRBlocks: 4
; NumSGPRsForWavesPerEU: 48
; NumVGPRsForWavesPerEU: 20
; Occupancy: 10
; WaveLimiterHint : 0
; COMPUTE_PGM_RSRC2:SCRATCH_EN: 0
; COMPUTE_PGM_RSRC2:USER_SGPR: 6
; COMPUTE_PGM_RSRC2:TRAP_HANDLER: 0
; COMPUTE_PGM_RSRC2:TGID_X_EN: 1
; COMPUTE_PGM_RSRC2:TGID_Y_EN: 1
; COMPUTE_PGM_RSRC2:TGID_Z_EN: 0
; COMPUTE_PGM_RSRC2:TIDIG_COMP_CNT: 0
	.section	.text._ZN2at6native28tensor_kernel_scan_outer_dimIfmZZZNS0_31launch_logcumsumexp_cuda_kernelERKNS_10TensorBaseES4_lENKUlvE_clEvENKUlvE0_clEvEUlffE_EEvPT_PKS8_jjjS8_T1_,"axG",@progbits,_ZN2at6native28tensor_kernel_scan_outer_dimIfmZZZNS0_31launch_logcumsumexp_cuda_kernelERKNS_10TensorBaseES4_lENKUlvE_clEvENKUlvE0_clEvEUlffE_EEvPT_PKS8_jjjS8_T1_,comdat
	.globl	_ZN2at6native28tensor_kernel_scan_outer_dimIfmZZZNS0_31launch_logcumsumexp_cuda_kernelERKNS_10TensorBaseES4_lENKUlvE_clEvENKUlvE0_clEvEUlffE_EEvPT_PKS8_jjjS8_T1_ ; -- Begin function _ZN2at6native28tensor_kernel_scan_outer_dimIfmZZZNS0_31launch_logcumsumexp_cuda_kernelERKNS_10TensorBaseES4_lENKUlvE_clEvENKUlvE0_clEvEUlffE_EEvPT_PKS8_jjjS8_T1_
	.p2align	8
	.type	_ZN2at6native28tensor_kernel_scan_outer_dimIfmZZZNS0_31launch_logcumsumexp_cuda_kernelERKNS_10TensorBaseES4_lENKUlvE_clEvENKUlvE0_clEvEUlffE_EEvPT_PKS8_jjjS8_T1_,@function
_ZN2at6native28tensor_kernel_scan_outer_dimIfmZZZNS0_31launch_logcumsumexp_cuda_kernelERKNS_10TensorBaseES4_lENKUlvE_clEvENKUlvE0_clEvEUlffE_EEvPT_PKS8_jjjS8_T1_: ; @_ZN2at6native28tensor_kernel_scan_outer_dimIfmZZZNS0_31launch_logcumsumexp_cuda_kernelERKNS_10TensorBaseES4_lENKUlvE_clEvENKUlvE0_clEvEUlffE_EEvPT_PKS8_jjjS8_T1_
; %bb.0:
	s_load_dwordx4 s[8:11], s[4:5], 0x10
	s_waitcnt lgkmcnt(0)
	s_cmp_ge_u32 s6, s8
	s_cbranch_scc1 .LBB173_11
; %bb.1:
	s_load_dword s0, s[4:5], 0x34
	s_load_dwordx4 s[12:15], s[4:5], 0x0
	s_load_dword s26, s[4:5], 0x28
	s_add_u32 s4, s4, 40
	s_addc_u32 s5, s5, 0
	s_waitcnt lgkmcnt(0)
	s_and_b32 s27, s0, 0xffff
	s_cmp_lg_u32 s10, 0
	s_mul_i32 s7, s7, s27
	s_cselect_b64 s[20:21], -1, 0
	v_add_u32_e32 v2, s7, v0
	s_mov_b32 s3, 0
	s_mov_b32 s2, s9
	s_mul_hi_u32 s17, s10, s9
	s_mul_i32 s16, s10, s9
	v_cndmask_b32_e64 v0, 0, 1, s[20:21]
	v_cmp_gt_u32_e64 s[0:1], s9, v2
	s_lshl_b64 s[16:17], s[16:17], 2
	s_lshl_b64 s[18:19], s[2:3], 2
	v_cmp_ne_u32_e64 s[2:3], 1, v0
	v_mov_b32_e32 v1, 0
	s_movk_i32 s7, 0x1f8
	s_mov_b32 s28, 0x3fb8aa3b
	s_mov_b32 s29, 0xc2ce8ed0
	;; [unrolled: 1-line block ×5, first 2 shown]
	v_mov_b32_e32 v3, 0x3f2aaada
	s_mov_b32 s34, 0x3f317218
	s_mov_b32 s35, 0x33800000
	v_mov_b32_e32 v4, 0x7f800000
	s_branch .LBB173_3
.LBB173_2:                              ;   in Loop: Header=BB173_3 Depth=1
	s_or_b64 exec, exec, s[20:21]
	s_add_i32 s6, s6, s26
	s_cmp_ge_u32 s6, s8
	s_cbranch_scc1 .LBB173_11
.LBB173_3:                              ; =>This Loop Header: Depth=1
                                        ;     Child Loop BB173_6 Depth 2
                                        ;       Child Loop BB173_9 Depth 3
	s_and_saveexec_b64 s[20:21], s[0:1]
	s_cbranch_execz .LBB173_2
; %bb.4:                                ;   in Loop: Header=BB173_3 Depth=1
	s_load_dword s38, s[4:5], 0x4
	s_mul_i32 s22, s17, s6
	s_mul_hi_u32 s23, s16, s6
	s_mul_i32 s36, s16, s6
	s_add_i32 s37, s23, s22
	s_waitcnt lgkmcnt(0)
	s_mul_i32 s38, s38, s27
	s_mov_b64 s[22:23], 0
	v_mov_b32_e32 v0, v2
	s_branch .LBB173_6
.LBB173_5:                              ;   in Loop: Header=BB173_6 Depth=2
	v_add_u32_e32 v0, s38, v0
	v_cmp_le_u32_e32 vcc, s9, v0
	s_or_b64 s[22:23], vcc, s[22:23]
	s_andn2_b64 exec, exec, s[22:23]
	s_cbranch_execz .LBB173_2
.LBB173_6:                              ;   Parent Loop BB173_3 Depth=1
                                        ; =>  This Loop Header: Depth=2
                                        ;       Child Loop BB173_9 Depth 3
	s_and_b64 vcc, exec, s[2:3]
	s_cbranch_vccnz .LBB173_5
; %bb.7:                                ;   in Loop: Header=BB173_6 Depth=2
	v_lshlrev_b64 v[5:6], 2, v[0:1]
	v_mov_b32_e32 v7, s37
	v_add_co_u32_e32 v5, vcc, s36, v5
	v_addc_co_u32_e32 v6, vcc, v7, v6, vcc
	v_mov_b32_e32 v8, s11
	s_mov_b32 s39, s10
	s_branch .LBB173_9
.LBB173_8:                              ;   in Loop: Header=BB173_9 Depth=3
	s_or_b64 exec, exec, s[24:25]
	v_mov_b32_e32 v7, s13
	v_add_co_u32_e32 v9, vcc, s12, v5
	v_addc_co_u32_e32 v10, vcc, v7, v6, vcc
	s_add_i32 s39, s39, -1
	v_mov_b32_e32 v7, s19
	v_add_co_u32_e32 v5, vcc, s18, v5
	s_cmp_eq_u32 s39, 0
	v_addc_co_u32_e32 v6, vcc, v6, v7, vcc
	global_store_dword v[9:10], v8, off
	s_cbranch_scc1 .LBB173_5
.LBB173_9:                              ;   Parent Loop BB173_3 Depth=1
                                        ;     Parent Loop BB173_6 Depth=2
                                        ; =>    This Inner Loop Header: Depth=3
	v_mov_b32_e32 v7, s15
	v_add_co_u32_e32 v9, vcc, s14, v5
	v_addc_co_u32_e32 v10, vcc, v7, v6, vcc
	global_load_dword v7, v[9:10], off
	v_max_f32_e32 v9, v8, v8
	v_cmp_u_f32_e32 vcc, v8, v8
	s_waitcnt vmcnt(0)
	v_max_f32_e32 v10, v7, v7
	v_min_f32_e32 v11, v9, v10
	v_max_f32_e32 v9, v9, v10
	v_cndmask_b32_e32 v10, v11, v8, vcc
	v_cndmask_b32_e32 v11, v9, v8, vcc
	v_cmp_u_f32_e32 vcc, v7, v7
	v_cndmask_b32_e32 v9, v10, v7, vcc
	v_cndmask_b32_e32 v7, v11, v7, vcc
	v_cmp_neq_f32_e32 vcc, v9, v7
	v_cmp_class_f32_e64 s[24:25], v9, s7
	s_or_b64 s[40:41], vcc, s[24:25]
	s_and_saveexec_b64 s[24:25], s[40:41]
	s_cbranch_execz .LBB173_8
; %bb.10:                               ;   in Loop: Header=BB173_9 Depth=3
	v_sub_f32_e32 v8, v9, v7
	v_mul_f32_e32 v9, 0x3fb8aa3b, v8
	v_fma_f32 v10, v8, s28, -v9
	v_rndne_f32_e32 v11, v9
	v_fmac_f32_e32 v10, 0x32a5705f, v8
	v_sub_f32_e32 v9, v9, v11
	v_add_f32_e32 v9, v9, v10
	v_cvt_i32_f32_e32 v10, v11
	v_exp_f32_e32 v9, v9
	v_cmp_ngt_f32_e32 vcc, s29, v8
	v_ldexp_f32 v9, v9, v10
	v_cndmask_b32_e32 v9, 0, v9, vcc
	v_cmp_nlt_f32_e32 vcc, s30, v8
	v_cndmask_b32_e32 v10, v4, v9, vcc
	v_add_f32_e32 v11, 1.0, v10
	v_cvt_f64_f32_e32 v[8:9], v11
	v_add_f32_e32 v12, -1.0, v11
	v_sub_f32_e32 v13, v12, v11
	v_sub_f32_e32 v12, v10, v12
	v_frexp_exp_i32_f64_e32 v8, v[8:9]
	v_frexp_mant_f32_e32 v9, v11
	v_cmp_gt_f32_e32 vcc, s33, v9
	v_add_f32_e32 v13, 1.0, v13
	v_add_f32_e32 v12, v12, v13
	v_subbrev_co_u32_e32 v8, vcc, 0, v8, vcc
	v_sub_u32_e32 v9, 0, v8
	v_ldexp_f32 v11, v11, v9
	v_ldexp_f32 v9, v12, v9
	v_add_f32_e32 v12, -1.0, v11
	v_add_f32_e32 v15, 1.0, v11
	v_add_f32_e32 v13, 1.0, v12
	v_add_f32_e32 v16, -1.0, v15
	v_sub_f32_e32 v13, v11, v13
	v_sub_f32_e32 v11, v11, v16
	v_add_f32_e32 v13, v9, v13
	v_add_f32_e32 v9, v9, v11
	;; [unrolled: 1-line block ×3, first 2 shown]
	v_rcp_f32_e32 v16, v11
	v_add_f32_e32 v14, v12, v13
	v_sub_f32_e32 v12, v12, v14
	v_add_f32_e32 v12, v13, v12
	v_sub_f32_e32 v13, v15, v11
	v_add_f32_e32 v9, v9, v13
	v_mul_f32_e32 v13, v14, v16
	v_mul_f32_e32 v15, v11, v13
	v_fma_f32 v17, v13, v11, -v15
	v_fmac_f32_e32 v17, v13, v9
	v_add_f32_e32 v18, v15, v17
	v_sub_f32_e32 v19, v14, v18
	v_sub_f32_e32 v14, v14, v19
	;; [unrolled: 1-line block ×4, first 2 shown]
	v_add_f32_e32 v12, v12, v14
	v_sub_f32_e32 v14, v15, v17
	v_add_f32_e32 v12, v14, v12
	v_add_f32_e32 v14, v19, v12
	v_mul_f32_e32 v15, v16, v14
	v_mul_f32_e32 v17, v11, v15
	v_fma_f32 v11, v15, v11, -v17
	v_fmac_f32_e32 v11, v15, v9
	v_sub_f32_e32 v9, v19, v14
	v_add_f32_e32 v9, v12, v9
	v_add_f32_e32 v12, v17, v11
	v_sub_f32_e32 v18, v14, v12
	v_sub_f32_e32 v14, v14, v18
	;; [unrolled: 1-line block ×4, first 2 shown]
	v_add_f32_e32 v9, v9, v12
	v_sub_f32_e32 v11, v17, v11
	v_cvt_f32_i32_e32 v8, v8
	v_add_f32_e32 v9, v11, v9
	v_add_f32_e32 v11, v13, v15
	;; [unrolled: 1-line block ×3, first 2 shown]
	v_sub_f32_e32 v12, v11, v13
	v_mul_f32_e32 v9, v16, v9
	v_sub_f32_e32 v12, v15, v12
	v_add_f32_e32 v9, v12, v9
	v_mul_f32_e32 v15, 0x3f317218, v8
	v_add_f32_e32 v12, v11, v9
	v_fma_f32 v16, v8, s34, -v15
	v_mul_f32_e32 v13, v12, v12
	v_mov_b32_e32 v14, 0x3ecc95a3
	v_fmac_f32_e32 v16, 0xb102e308, v8
	v_sub_f32_e32 v8, v12, v11
	v_fmac_f32_e32 v14, 0x3e9b6dac, v13
	v_sub_f32_e32 v8, v9, v8
	v_add_f32_e32 v9, v15, v16
	v_fma_f32 v14, v13, v14, v3
	v_sub_f32_e32 v11, v9, v15
	v_ldexp_f32 v15, v12, 1
	v_mul_f32_e32 v12, v12, v13
	v_mul_f32_e32 v12, v12, v14
	v_add_f32_e32 v13, v15, v12
	v_sub_f32_e32 v14, v13, v15
	v_ldexp_f32 v8, v8, 1
	v_sub_f32_e32 v12, v12, v14
	v_add_f32_e32 v8, v8, v12
	v_add_f32_e32 v12, v13, v8
	v_sub_f32_e32 v13, v12, v13
	v_sub_f32_e32 v8, v8, v13
	v_add_f32_e32 v13, v9, v12
	v_sub_f32_e32 v14, v13, v9
	v_sub_f32_e32 v15, v13, v14
	v_sub_f32_e32 v11, v16, v11
	v_sub_f32_e32 v9, v9, v15
	v_sub_f32_e32 v12, v12, v14
	v_add_f32_e32 v9, v12, v9
	v_add_f32_e32 v12, v11, v8
	v_sub_f32_e32 v14, v12, v11
	v_sub_f32_e32 v15, v12, v14
	;; [unrolled: 1-line block ×4, first 2 shown]
	v_add_f32_e32 v9, v12, v9
	v_add_f32_e32 v8, v8, v11
	;; [unrolled: 1-line block ×3, first 2 shown]
	v_sub_f32_e32 v12, v11, v13
	v_sub_f32_e32 v9, v9, v12
	v_add_f32_e32 v8, v8, v9
	v_add_f32_e32 v8, v11, v8
	v_cmp_neq_f32_e32 vcc, s31, v10
	v_cndmask_b32_e32 v8, v4, v8, vcc
	v_cmp_lt_f32_e64 vcc, |v10|, s35
	v_cndmask_b32_e32 v8, v8, v10, vcc
	v_add_f32_e32 v8, v7, v8
	s_branch .LBB173_8
.LBB173_11:
	s_endpgm
	.section	.rodata,"a",@progbits
	.p2align	6, 0x0
	.amdhsa_kernel _ZN2at6native28tensor_kernel_scan_outer_dimIfmZZZNS0_31launch_logcumsumexp_cuda_kernelERKNS_10TensorBaseES4_lENKUlvE_clEvENKUlvE0_clEvEUlffE_EEvPT_PKS8_jjjS8_T1_
		.amdhsa_group_segment_fixed_size 0
		.amdhsa_private_segment_fixed_size 0
		.amdhsa_kernarg_size 296
		.amdhsa_user_sgpr_count 6
		.amdhsa_user_sgpr_private_segment_buffer 1
		.amdhsa_user_sgpr_dispatch_ptr 0
		.amdhsa_user_sgpr_queue_ptr 0
		.amdhsa_user_sgpr_kernarg_segment_ptr 1
		.amdhsa_user_sgpr_dispatch_id 0
		.amdhsa_user_sgpr_flat_scratch_init 0
		.amdhsa_user_sgpr_private_segment_size 0
		.amdhsa_uses_dynamic_stack 0
		.amdhsa_system_sgpr_private_segment_wavefront_offset 0
		.amdhsa_system_sgpr_workgroup_id_x 1
		.amdhsa_system_sgpr_workgroup_id_y 1
		.amdhsa_system_sgpr_workgroup_id_z 0
		.amdhsa_system_sgpr_workgroup_info 0
		.amdhsa_system_vgpr_workitem_id 0
		.amdhsa_next_free_vgpr 20
		.amdhsa_next_free_sgpr 42
		.amdhsa_reserve_vcc 1
		.amdhsa_reserve_flat_scratch 0
		.amdhsa_float_round_mode_32 0
		.amdhsa_float_round_mode_16_64 0
		.amdhsa_float_denorm_mode_32 3
		.amdhsa_float_denorm_mode_16_64 3
		.amdhsa_dx10_clamp 1
		.amdhsa_ieee_mode 1
		.amdhsa_fp16_overflow 0
		.amdhsa_exception_fp_ieee_invalid_op 0
		.amdhsa_exception_fp_denorm_src 0
		.amdhsa_exception_fp_ieee_div_zero 0
		.amdhsa_exception_fp_ieee_overflow 0
		.amdhsa_exception_fp_ieee_underflow 0
		.amdhsa_exception_fp_ieee_inexact 0
		.amdhsa_exception_int_div_zero 0
	.end_amdhsa_kernel
	.section	.text._ZN2at6native28tensor_kernel_scan_outer_dimIfmZZZNS0_31launch_logcumsumexp_cuda_kernelERKNS_10TensorBaseES4_lENKUlvE_clEvENKUlvE0_clEvEUlffE_EEvPT_PKS8_jjjS8_T1_,"axG",@progbits,_ZN2at6native28tensor_kernel_scan_outer_dimIfmZZZNS0_31launch_logcumsumexp_cuda_kernelERKNS_10TensorBaseES4_lENKUlvE_clEvENKUlvE0_clEvEUlffE_EEvPT_PKS8_jjjS8_T1_,comdat
.Lfunc_end173:
	.size	_ZN2at6native28tensor_kernel_scan_outer_dimIfmZZZNS0_31launch_logcumsumexp_cuda_kernelERKNS_10TensorBaseES4_lENKUlvE_clEvENKUlvE0_clEvEUlffE_EEvPT_PKS8_jjjS8_T1_, .Lfunc_end173-_ZN2at6native28tensor_kernel_scan_outer_dimIfmZZZNS0_31launch_logcumsumexp_cuda_kernelERKNS_10TensorBaseES4_lENKUlvE_clEvENKUlvE0_clEvEUlffE_EEvPT_PKS8_jjjS8_T1_
                                        ; -- End function
	.set _ZN2at6native28tensor_kernel_scan_outer_dimIfmZZZNS0_31launch_logcumsumexp_cuda_kernelERKNS_10TensorBaseES4_lENKUlvE_clEvENKUlvE0_clEvEUlffE_EEvPT_PKS8_jjjS8_T1_.num_vgpr, 20
	.set _ZN2at6native28tensor_kernel_scan_outer_dimIfmZZZNS0_31launch_logcumsumexp_cuda_kernelERKNS_10TensorBaseES4_lENKUlvE_clEvENKUlvE0_clEvEUlffE_EEvPT_PKS8_jjjS8_T1_.num_agpr, 0
	.set _ZN2at6native28tensor_kernel_scan_outer_dimIfmZZZNS0_31launch_logcumsumexp_cuda_kernelERKNS_10TensorBaseES4_lENKUlvE_clEvENKUlvE0_clEvEUlffE_EEvPT_PKS8_jjjS8_T1_.numbered_sgpr, 42
	.set _ZN2at6native28tensor_kernel_scan_outer_dimIfmZZZNS0_31launch_logcumsumexp_cuda_kernelERKNS_10TensorBaseES4_lENKUlvE_clEvENKUlvE0_clEvEUlffE_EEvPT_PKS8_jjjS8_T1_.num_named_barrier, 0
	.set _ZN2at6native28tensor_kernel_scan_outer_dimIfmZZZNS0_31launch_logcumsumexp_cuda_kernelERKNS_10TensorBaseES4_lENKUlvE_clEvENKUlvE0_clEvEUlffE_EEvPT_PKS8_jjjS8_T1_.private_seg_size, 0
	.set _ZN2at6native28tensor_kernel_scan_outer_dimIfmZZZNS0_31launch_logcumsumexp_cuda_kernelERKNS_10TensorBaseES4_lENKUlvE_clEvENKUlvE0_clEvEUlffE_EEvPT_PKS8_jjjS8_T1_.uses_vcc, 1
	.set _ZN2at6native28tensor_kernel_scan_outer_dimIfmZZZNS0_31launch_logcumsumexp_cuda_kernelERKNS_10TensorBaseES4_lENKUlvE_clEvENKUlvE0_clEvEUlffE_EEvPT_PKS8_jjjS8_T1_.uses_flat_scratch, 0
	.set _ZN2at6native28tensor_kernel_scan_outer_dimIfmZZZNS0_31launch_logcumsumexp_cuda_kernelERKNS_10TensorBaseES4_lENKUlvE_clEvENKUlvE0_clEvEUlffE_EEvPT_PKS8_jjjS8_T1_.has_dyn_sized_stack, 0
	.set _ZN2at6native28tensor_kernel_scan_outer_dimIfmZZZNS0_31launch_logcumsumexp_cuda_kernelERKNS_10TensorBaseES4_lENKUlvE_clEvENKUlvE0_clEvEUlffE_EEvPT_PKS8_jjjS8_T1_.has_recursion, 0
	.set _ZN2at6native28tensor_kernel_scan_outer_dimIfmZZZNS0_31launch_logcumsumexp_cuda_kernelERKNS_10TensorBaseES4_lENKUlvE_clEvENKUlvE0_clEvEUlffE_EEvPT_PKS8_jjjS8_T1_.has_indirect_call, 0
	.section	.AMDGPU.csdata,"",@progbits
; Kernel info:
; codeLenInByte = 1048
; TotalNumSgprs: 46
; NumVgprs: 20
; ScratchSize: 0
; MemoryBound: 0
; FloatMode: 240
; IeeeMode: 1
; LDSByteSize: 0 bytes/workgroup (compile time only)
; SGPRBlocks: 5
; VGPRBlocks: 4
; NumSGPRsForWavesPerEU: 46
; NumVGPRsForWavesPerEU: 20
; Occupancy: 10
; WaveLimiterHint : 0
; COMPUTE_PGM_RSRC2:SCRATCH_EN: 0
; COMPUTE_PGM_RSRC2:USER_SGPR: 6
; COMPUTE_PGM_RSRC2:TRAP_HANDLER: 0
; COMPUTE_PGM_RSRC2:TGID_X_EN: 1
; COMPUTE_PGM_RSRC2:TGID_Y_EN: 1
; COMPUTE_PGM_RSRC2:TGID_Z_EN: 0
; COMPUTE_PGM_RSRC2:TIDIG_COMP_CNT: 0
	.section	.text._ZN7rocprim17ROCPRIM_400000_NS6detail31init_lookback_scan_state_kernelINS1_19lookback_scan_stateIN3c107complexIdEELb0ELb0EEENS1_16block_id_wrapperIjLb0EEEEEvT_jT0_jPNSA_10value_typeE,"axG",@progbits,_ZN7rocprim17ROCPRIM_400000_NS6detail31init_lookback_scan_state_kernelINS1_19lookback_scan_stateIN3c107complexIdEELb0ELb0EEENS1_16block_id_wrapperIjLb0EEEEEvT_jT0_jPNSA_10value_typeE,comdat
	.protected	_ZN7rocprim17ROCPRIM_400000_NS6detail31init_lookback_scan_state_kernelINS1_19lookback_scan_stateIN3c107complexIdEELb0ELb0EEENS1_16block_id_wrapperIjLb0EEEEEvT_jT0_jPNSA_10value_typeE ; -- Begin function _ZN7rocprim17ROCPRIM_400000_NS6detail31init_lookback_scan_state_kernelINS1_19lookback_scan_stateIN3c107complexIdEELb0ELb0EEENS1_16block_id_wrapperIjLb0EEEEEvT_jT0_jPNSA_10value_typeE
	.globl	_ZN7rocprim17ROCPRIM_400000_NS6detail31init_lookback_scan_state_kernelINS1_19lookback_scan_stateIN3c107complexIdEELb0ELb0EEENS1_16block_id_wrapperIjLb0EEEEEvT_jT0_jPNSA_10value_typeE
	.p2align	8
	.type	_ZN7rocprim17ROCPRIM_400000_NS6detail31init_lookback_scan_state_kernelINS1_19lookback_scan_stateIN3c107complexIdEELb0ELb0EEENS1_16block_id_wrapperIjLb0EEEEEvT_jT0_jPNSA_10value_typeE,@function
_ZN7rocprim17ROCPRIM_400000_NS6detail31init_lookback_scan_state_kernelINS1_19lookback_scan_stateIN3c107complexIdEELb0ELb0EEENS1_16block_id_wrapperIjLb0EEEEEvT_jT0_jPNSA_10value_typeE: ; @_ZN7rocprim17ROCPRIM_400000_NS6detail31init_lookback_scan_state_kernelINS1_19lookback_scan_stateIN3c107complexIdEELb0ELb0EEENS1_16block_id_wrapperIjLb0EEEEEvT_jT0_jPNSA_10value_typeE
; %bb.0:
	s_load_dword s0, s[4:5], 0x3c
	s_load_dwordx2 s[10:11], s[4:5], 0x28
	s_load_dwordx2 s[8:9], s[4:5], 0x10
	s_load_dword s14, s[4:5], 0x18
	s_waitcnt lgkmcnt(0)
	s_and_b32 s0, s0, 0xffff
	s_mul_i32 s6, s6, s0
	s_cmp_eq_u64 s[10:11], 0
	v_add_u32_e32 v0, s6, v0
	s_cbranch_scc1 .LBB174_6
; %bb.1:
	s_load_dword s0, s[4:5], 0x20
	s_mov_b32 s13, 0
	s_waitcnt lgkmcnt(0)
	s_cmp_lt_u32 s0, s14
	s_cselect_b32 s1, s0, 0
	v_cmp_eq_u32_e32 vcc, s1, v0
	s_and_saveexec_b64 s[6:7], vcc
	s_cbranch_execz .LBB174_5
; %bb.2:
	s_add_i32 s12, s0, 64
	v_mov_b32_e32 v1, s12
	global_load_ubyte v2, v1, s[8:9] glc
	s_load_dwordx4 s[0:3], s[4:5], 0x0
	v_mov_b32_e32 v1, 0
	s_add_u32 s4, s8, s12
	s_addc_u32 s5, s9, 0
	s_waitcnt vmcnt(0)
	v_cmp_ne_u32_sdwa s[16:17], v2, v1 src0_sel:WORD_0 src1_sel:DWORD
	s_and_b64 vcc, exec, s[16:17]
	v_readfirstlane_b32 s15, v2
	s_cbranch_vccnz .LBB174_4
.LBB174_3:                              ; =>This Inner Loop Header: Depth=1
	global_load_ubyte v2, v1, s[4:5] glc
	s_waitcnt vmcnt(0)
	v_cmp_eq_u32_sdwa s[16:17], v2, v1 src0_sel:WORD_0 src1_sel:DWORD
	s_and_b64 vcc, exec, s[16:17]
	v_readfirstlane_b32 s15, v2
	s_cbranch_vccnz .LBB174_3
.LBB174_4:
	s_and_b32 s4, 0xffff, s15
	s_cmp_eq_u32 s4, 1
	s_waitcnt lgkmcnt(0)
	s_cselect_b32 s3, s1, s3
	s_cselect_b32 s2, s0, s2
	s_lshl_b64 s[0:1], s[12:13], 4
	s_add_u32 s0, s2, s0
	s_addc_u32 s1, s3, s1
	v_mov_b32_e32 v5, 0
	buffer_wbinvl1_vol
	global_load_dwordx4 v[1:4], v5, s[0:1]
	s_waitcnt vmcnt(0)
	global_store_dwordx4 v5, v[1:4], s[10:11]
.LBB174_5:
	s_or_b64 exec, exec, s[6:7]
.LBB174_6:
	v_cmp_gt_u32_e32 vcc, s14, v0
	s_and_saveexec_b64 s[0:1], vcc
	s_cbranch_execnz .LBB174_9
; %bb.7:
	s_or_b64 exec, exec, s[0:1]
	v_cmp_gt_u32_e32 vcc, 64, v0
	s_and_saveexec_b64 s[0:1], vcc
	s_cbranch_execnz .LBB174_10
.LBB174_8:
	s_endpgm
.LBB174_9:
	v_add_u32_e32 v1, 64, v0
	v_mov_b32_e32 v2, 0
	global_store_byte v1, v2, s[8:9]
	s_or_b64 exec, exec, s[0:1]
	v_cmp_gt_u32_e32 vcc, 64, v0
	s_and_saveexec_b64 s[0:1], vcc
	s_cbranch_execz .LBB174_8
.LBB174_10:
	v_mov_b32_e32 v1, 0xff
	global_store_byte v0, v1, s[8:9]
	s_endpgm
	.section	.rodata,"a",@progbits
	.p2align	6, 0x0
	.amdhsa_kernel _ZN7rocprim17ROCPRIM_400000_NS6detail31init_lookback_scan_state_kernelINS1_19lookback_scan_stateIN3c107complexIdEELb0ELb0EEENS1_16block_id_wrapperIjLb0EEEEEvT_jT0_jPNSA_10value_typeE
		.amdhsa_group_segment_fixed_size 0
		.amdhsa_private_segment_fixed_size 0
		.amdhsa_kernarg_size 304
		.amdhsa_user_sgpr_count 6
		.amdhsa_user_sgpr_private_segment_buffer 1
		.amdhsa_user_sgpr_dispatch_ptr 0
		.amdhsa_user_sgpr_queue_ptr 0
		.amdhsa_user_sgpr_kernarg_segment_ptr 1
		.amdhsa_user_sgpr_dispatch_id 0
		.amdhsa_user_sgpr_flat_scratch_init 0
		.amdhsa_user_sgpr_private_segment_size 0
		.amdhsa_uses_dynamic_stack 0
		.amdhsa_system_sgpr_private_segment_wavefront_offset 0
		.amdhsa_system_sgpr_workgroup_id_x 1
		.amdhsa_system_sgpr_workgroup_id_y 0
		.amdhsa_system_sgpr_workgroup_id_z 0
		.amdhsa_system_sgpr_workgroup_info 0
		.amdhsa_system_vgpr_workitem_id 0
		.amdhsa_next_free_vgpr 6
		.amdhsa_next_free_sgpr 18
		.amdhsa_reserve_vcc 1
		.amdhsa_reserve_flat_scratch 0
		.amdhsa_float_round_mode_32 0
		.amdhsa_float_round_mode_16_64 0
		.amdhsa_float_denorm_mode_32 3
		.amdhsa_float_denorm_mode_16_64 3
		.amdhsa_dx10_clamp 1
		.amdhsa_ieee_mode 1
		.amdhsa_fp16_overflow 0
		.amdhsa_exception_fp_ieee_invalid_op 0
		.amdhsa_exception_fp_denorm_src 0
		.amdhsa_exception_fp_ieee_div_zero 0
		.amdhsa_exception_fp_ieee_overflow 0
		.amdhsa_exception_fp_ieee_underflow 0
		.amdhsa_exception_fp_ieee_inexact 0
		.amdhsa_exception_int_div_zero 0
	.end_amdhsa_kernel
	.section	.text._ZN7rocprim17ROCPRIM_400000_NS6detail31init_lookback_scan_state_kernelINS1_19lookback_scan_stateIN3c107complexIdEELb0ELb0EEENS1_16block_id_wrapperIjLb0EEEEEvT_jT0_jPNSA_10value_typeE,"axG",@progbits,_ZN7rocprim17ROCPRIM_400000_NS6detail31init_lookback_scan_state_kernelINS1_19lookback_scan_stateIN3c107complexIdEELb0ELb0EEENS1_16block_id_wrapperIjLb0EEEEEvT_jT0_jPNSA_10value_typeE,comdat
.Lfunc_end174:
	.size	_ZN7rocprim17ROCPRIM_400000_NS6detail31init_lookback_scan_state_kernelINS1_19lookback_scan_stateIN3c107complexIdEELb0ELb0EEENS1_16block_id_wrapperIjLb0EEEEEvT_jT0_jPNSA_10value_typeE, .Lfunc_end174-_ZN7rocprim17ROCPRIM_400000_NS6detail31init_lookback_scan_state_kernelINS1_19lookback_scan_stateIN3c107complexIdEELb0ELb0EEENS1_16block_id_wrapperIjLb0EEEEEvT_jT0_jPNSA_10value_typeE
                                        ; -- End function
	.set _ZN7rocprim17ROCPRIM_400000_NS6detail31init_lookback_scan_state_kernelINS1_19lookback_scan_stateIN3c107complexIdEELb0ELb0EEENS1_16block_id_wrapperIjLb0EEEEEvT_jT0_jPNSA_10value_typeE.num_vgpr, 6
	.set _ZN7rocprim17ROCPRIM_400000_NS6detail31init_lookback_scan_state_kernelINS1_19lookback_scan_stateIN3c107complexIdEELb0ELb0EEENS1_16block_id_wrapperIjLb0EEEEEvT_jT0_jPNSA_10value_typeE.num_agpr, 0
	.set _ZN7rocprim17ROCPRIM_400000_NS6detail31init_lookback_scan_state_kernelINS1_19lookback_scan_stateIN3c107complexIdEELb0ELb0EEENS1_16block_id_wrapperIjLb0EEEEEvT_jT0_jPNSA_10value_typeE.numbered_sgpr, 18
	.set _ZN7rocprim17ROCPRIM_400000_NS6detail31init_lookback_scan_state_kernelINS1_19lookback_scan_stateIN3c107complexIdEELb0ELb0EEENS1_16block_id_wrapperIjLb0EEEEEvT_jT0_jPNSA_10value_typeE.num_named_barrier, 0
	.set _ZN7rocprim17ROCPRIM_400000_NS6detail31init_lookback_scan_state_kernelINS1_19lookback_scan_stateIN3c107complexIdEELb0ELb0EEENS1_16block_id_wrapperIjLb0EEEEEvT_jT0_jPNSA_10value_typeE.private_seg_size, 0
	.set _ZN7rocprim17ROCPRIM_400000_NS6detail31init_lookback_scan_state_kernelINS1_19lookback_scan_stateIN3c107complexIdEELb0ELb0EEENS1_16block_id_wrapperIjLb0EEEEEvT_jT0_jPNSA_10value_typeE.uses_vcc, 1
	.set _ZN7rocprim17ROCPRIM_400000_NS6detail31init_lookback_scan_state_kernelINS1_19lookback_scan_stateIN3c107complexIdEELb0ELb0EEENS1_16block_id_wrapperIjLb0EEEEEvT_jT0_jPNSA_10value_typeE.uses_flat_scratch, 0
	.set _ZN7rocprim17ROCPRIM_400000_NS6detail31init_lookback_scan_state_kernelINS1_19lookback_scan_stateIN3c107complexIdEELb0ELb0EEENS1_16block_id_wrapperIjLb0EEEEEvT_jT0_jPNSA_10value_typeE.has_dyn_sized_stack, 0
	.set _ZN7rocprim17ROCPRIM_400000_NS6detail31init_lookback_scan_state_kernelINS1_19lookback_scan_stateIN3c107complexIdEELb0ELb0EEENS1_16block_id_wrapperIjLb0EEEEEvT_jT0_jPNSA_10value_typeE.has_recursion, 0
	.set _ZN7rocprim17ROCPRIM_400000_NS6detail31init_lookback_scan_state_kernelINS1_19lookback_scan_stateIN3c107complexIdEELb0ELb0EEENS1_16block_id_wrapperIjLb0EEEEEvT_jT0_jPNSA_10value_typeE.has_indirect_call, 0
	.section	.AMDGPU.csdata,"",@progbits
; Kernel info:
; codeLenInByte = 344
; TotalNumSgprs: 22
; NumVgprs: 6
; ScratchSize: 0
; MemoryBound: 0
; FloatMode: 240
; IeeeMode: 1
; LDSByteSize: 0 bytes/workgroup (compile time only)
; SGPRBlocks: 2
; VGPRBlocks: 1
; NumSGPRsForWavesPerEU: 22
; NumVGPRsForWavesPerEU: 6
; Occupancy: 10
; WaveLimiterHint : 0
; COMPUTE_PGM_RSRC2:SCRATCH_EN: 0
; COMPUTE_PGM_RSRC2:USER_SGPR: 6
; COMPUTE_PGM_RSRC2:TRAP_HANDLER: 0
; COMPUTE_PGM_RSRC2:TGID_X_EN: 1
; COMPUTE_PGM_RSRC2:TGID_Y_EN: 0
; COMPUTE_PGM_RSRC2:TGID_Z_EN: 0
; COMPUTE_PGM_RSRC2:TIDIG_COMP_CNT: 0
	.section	.text._ZN7rocprim17ROCPRIM_400000_NS6detail17trampoline_kernelINS0_14default_configENS1_20scan_config_selectorIN3c107complexIdEEEEZZNS1_9scan_implILNS1_25lookback_scan_determinismE0ELb0ELb0ES3_PKS7_PS7_S7_ZZZN2at6native31launch_logcumsumexp_cuda_kernelERKNSE_10TensorBaseESI_lENKUlvE_clEvENKUlvE1_clEvEUlS7_S7_E_S7_EEDaPvRmT3_T4_T5_mT6_P12ihipStream_tbENKUlT_T0_E_clISt17integral_constantIbLb0EESZ_EEDaSU_SV_EUlSU_E_NS1_11comp_targetILNS1_3genE0ELNS1_11target_archE4294967295ELNS1_3gpuE0ELNS1_3repE0EEENS1_30default_config_static_selectorELNS0_4arch9wavefront6targetE1EEEvT1_,"axG",@progbits,_ZN7rocprim17ROCPRIM_400000_NS6detail17trampoline_kernelINS0_14default_configENS1_20scan_config_selectorIN3c107complexIdEEEEZZNS1_9scan_implILNS1_25lookback_scan_determinismE0ELb0ELb0ES3_PKS7_PS7_S7_ZZZN2at6native31launch_logcumsumexp_cuda_kernelERKNSE_10TensorBaseESI_lENKUlvE_clEvENKUlvE1_clEvEUlS7_S7_E_S7_EEDaPvRmT3_T4_T5_mT6_P12ihipStream_tbENKUlT_T0_E_clISt17integral_constantIbLb0EESZ_EEDaSU_SV_EUlSU_E_NS1_11comp_targetILNS1_3genE0ELNS1_11target_archE4294967295ELNS1_3gpuE0ELNS1_3repE0EEENS1_30default_config_static_selectorELNS0_4arch9wavefront6targetE1EEEvT1_,comdat
	.globl	_ZN7rocprim17ROCPRIM_400000_NS6detail17trampoline_kernelINS0_14default_configENS1_20scan_config_selectorIN3c107complexIdEEEEZZNS1_9scan_implILNS1_25lookback_scan_determinismE0ELb0ELb0ES3_PKS7_PS7_S7_ZZZN2at6native31launch_logcumsumexp_cuda_kernelERKNSE_10TensorBaseESI_lENKUlvE_clEvENKUlvE1_clEvEUlS7_S7_E_S7_EEDaPvRmT3_T4_T5_mT6_P12ihipStream_tbENKUlT_T0_E_clISt17integral_constantIbLb0EESZ_EEDaSU_SV_EUlSU_E_NS1_11comp_targetILNS1_3genE0ELNS1_11target_archE4294967295ELNS1_3gpuE0ELNS1_3repE0EEENS1_30default_config_static_selectorELNS0_4arch9wavefront6targetE1EEEvT1_ ; -- Begin function _ZN7rocprim17ROCPRIM_400000_NS6detail17trampoline_kernelINS0_14default_configENS1_20scan_config_selectorIN3c107complexIdEEEEZZNS1_9scan_implILNS1_25lookback_scan_determinismE0ELb0ELb0ES3_PKS7_PS7_S7_ZZZN2at6native31launch_logcumsumexp_cuda_kernelERKNSE_10TensorBaseESI_lENKUlvE_clEvENKUlvE1_clEvEUlS7_S7_E_S7_EEDaPvRmT3_T4_T5_mT6_P12ihipStream_tbENKUlT_T0_E_clISt17integral_constantIbLb0EESZ_EEDaSU_SV_EUlSU_E_NS1_11comp_targetILNS1_3genE0ELNS1_11target_archE4294967295ELNS1_3gpuE0ELNS1_3repE0EEENS1_30default_config_static_selectorELNS0_4arch9wavefront6targetE1EEEvT1_
	.p2align	8
	.type	_ZN7rocprim17ROCPRIM_400000_NS6detail17trampoline_kernelINS0_14default_configENS1_20scan_config_selectorIN3c107complexIdEEEEZZNS1_9scan_implILNS1_25lookback_scan_determinismE0ELb0ELb0ES3_PKS7_PS7_S7_ZZZN2at6native31launch_logcumsumexp_cuda_kernelERKNSE_10TensorBaseESI_lENKUlvE_clEvENKUlvE1_clEvEUlS7_S7_E_S7_EEDaPvRmT3_T4_T5_mT6_P12ihipStream_tbENKUlT_T0_E_clISt17integral_constantIbLb0EESZ_EEDaSU_SV_EUlSU_E_NS1_11comp_targetILNS1_3genE0ELNS1_11target_archE4294967295ELNS1_3gpuE0ELNS1_3repE0EEENS1_30default_config_static_selectorELNS0_4arch9wavefront6targetE1EEEvT1_,@function
_ZN7rocprim17ROCPRIM_400000_NS6detail17trampoline_kernelINS0_14default_configENS1_20scan_config_selectorIN3c107complexIdEEEEZZNS1_9scan_implILNS1_25lookback_scan_determinismE0ELb0ELb0ES3_PKS7_PS7_S7_ZZZN2at6native31launch_logcumsumexp_cuda_kernelERKNSE_10TensorBaseESI_lENKUlvE_clEvENKUlvE1_clEvEUlS7_S7_E_S7_EEDaPvRmT3_T4_T5_mT6_P12ihipStream_tbENKUlT_T0_E_clISt17integral_constantIbLb0EESZ_EEDaSU_SV_EUlSU_E_NS1_11comp_targetILNS1_3genE0ELNS1_11target_archE4294967295ELNS1_3gpuE0ELNS1_3repE0EEENS1_30default_config_static_selectorELNS0_4arch9wavefront6targetE1EEEvT1_: ; @_ZN7rocprim17ROCPRIM_400000_NS6detail17trampoline_kernelINS0_14default_configENS1_20scan_config_selectorIN3c107complexIdEEEEZZNS1_9scan_implILNS1_25lookback_scan_determinismE0ELb0ELb0ES3_PKS7_PS7_S7_ZZZN2at6native31launch_logcumsumexp_cuda_kernelERKNSE_10TensorBaseESI_lENKUlvE_clEvENKUlvE1_clEvEUlS7_S7_E_S7_EEDaPvRmT3_T4_T5_mT6_P12ihipStream_tbENKUlT_T0_E_clISt17integral_constantIbLb0EESZ_EEDaSU_SV_EUlSU_E_NS1_11comp_targetILNS1_3genE0ELNS1_11target_archE4294967295ELNS1_3gpuE0ELNS1_3repE0EEENS1_30default_config_static_selectorELNS0_4arch9wavefront6targetE1EEEvT1_
; %bb.0:
	.section	.rodata,"a",@progbits
	.p2align	6, 0x0
	.amdhsa_kernel _ZN7rocprim17ROCPRIM_400000_NS6detail17trampoline_kernelINS0_14default_configENS1_20scan_config_selectorIN3c107complexIdEEEEZZNS1_9scan_implILNS1_25lookback_scan_determinismE0ELb0ELb0ES3_PKS7_PS7_S7_ZZZN2at6native31launch_logcumsumexp_cuda_kernelERKNSE_10TensorBaseESI_lENKUlvE_clEvENKUlvE1_clEvEUlS7_S7_E_S7_EEDaPvRmT3_T4_T5_mT6_P12ihipStream_tbENKUlT_T0_E_clISt17integral_constantIbLb0EESZ_EEDaSU_SV_EUlSU_E_NS1_11comp_targetILNS1_3genE0ELNS1_11target_archE4294967295ELNS1_3gpuE0ELNS1_3repE0EEENS1_30default_config_static_selectorELNS0_4arch9wavefront6targetE1EEEvT1_
		.amdhsa_group_segment_fixed_size 0
		.amdhsa_private_segment_fixed_size 0
		.amdhsa_kernarg_size 128
		.amdhsa_user_sgpr_count 6
		.amdhsa_user_sgpr_private_segment_buffer 1
		.amdhsa_user_sgpr_dispatch_ptr 0
		.amdhsa_user_sgpr_queue_ptr 0
		.amdhsa_user_sgpr_kernarg_segment_ptr 1
		.amdhsa_user_sgpr_dispatch_id 0
		.amdhsa_user_sgpr_flat_scratch_init 0
		.amdhsa_user_sgpr_private_segment_size 0
		.amdhsa_uses_dynamic_stack 0
		.amdhsa_system_sgpr_private_segment_wavefront_offset 0
		.amdhsa_system_sgpr_workgroup_id_x 1
		.amdhsa_system_sgpr_workgroup_id_y 0
		.amdhsa_system_sgpr_workgroup_id_z 0
		.amdhsa_system_sgpr_workgroup_info 0
		.amdhsa_system_vgpr_workitem_id 0
		.amdhsa_next_free_vgpr 1
		.amdhsa_next_free_sgpr 0
		.amdhsa_reserve_vcc 0
		.amdhsa_reserve_flat_scratch 0
		.amdhsa_float_round_mode_32 0
		.amdhsa_float_round_mode_16_64 0
		.amdhsa_float_denorm_mode_32 3
		.amdhsa_float_denorm_mode_16_64 3
		.amdhsa_dx10_clamp 1
		.amdhsa_ieee_mode 1
		.amdhsa_fp16_overflow 0
		.amdhsa_exception_fp_ieee_invalid_op 0
		.amdhsa_exception_fp_denorm_src 0
		.amdhsa_exception_fp_ieee_div_zero 0
		.amdhsa_exception_fp_ieee_overflow 0
		.amdhsa_exception_fp_ieee_underflow 0
		.amdhsa_exception_fp_ieee_inexact 0
		.amdhsa_exception_int_div_zero 0
	.end_amdhsa_kernel
	.section	.text._ZN7rocprim17ROCPRIM_400000_NS6detail17trampoline_kernelINS0_14default_configENS1_20scan_config_selectorIN3c107complexIdEEEEZZNS1_9scan_implILNS1_25lookback_scan_determinismE0ELb0ELb0ES3_PKS7_PS7_S7_ZZZN2at6native31launch_logcumsumexp_cuda_kernelERKNSE_10TensorBaseESI_lENKUlvE_clEvENKUlvE1_clEvEUlS7_S7_E_S7_EEDaPvRmT3_T4_T5_mT6_P12ihipStream_tbENKUlT_T0_E_clISt17integral_constantIbLb0EESZ_EEDaSU_SV_EUlSU_E_NS1_11comp_targetILNS1_3genE0ELNS1_11target_archE4294967295ELNS1_3gpuE0ELNS1_3repE0EEENS1_30default_config_static_selectorELNS0_4arch9wavefront6targetE1EEEvT1_,"axG",@progbits,_ZN7rocprim17ROCPRIM_400000_NS6detail17trampoline_kernelINS0_14default_configENS1_20scan_config_selectorIN3c107complexIdEEEEZZNS1_9scan_implILNS1_25lookback_scan_determinismE0ELb0ELb0ES3_PKS7_PS7_S7_ZZZN2at6native31launch_logcumsumexp_cuda_kernelERKNSE_10TensorBaseESI_lENKUlvE_clEvENKUlvE1_clEvEUlS7_S7_E_S7_EEDaPvRmT3_T4_T5_mT6_P12ihipStream_tbENKUlT_T0_E_clISt17integral_constantIbLb0EESZ_EEDaSU_SV_EUlSU_E_NS1_11comp_targetILNS1_3genE0ELNS1_11target_archE4294967295ELNS1_3gpuE0ELNS1_3repE0EEENS1_30default_config_static_selectorELNS0_4arch9wavefront6targetE1EEEvT1_,comdat
.Lfunc_end175:
	.size	_ZN7rocprim17ROCPRIM_400000_NS6detail17trampoline_kernelINS0_14default_configENS1_20scan_config_selectorIN3c107complexIdEEEEZZNS1_9scan_implILNS1_25lookback_scan_determinismE0ELb0ELb0ES3_PKS7_PS7_S7_ZZZN2at6native31launch_logcumsumexp_cuda_kernelERKNSE_10TensorBaseESI_lENKUlvE_clEvENKUlvE1_clEvEUlS7_S7_E_S7_EEDaPvRmT3_T4_T5_mT6_P12ihipStream_tbENKUlT_T0_E_clISt17integral_constantIbLb0EESZ_EEDaSU_SV_EUlSU_E_NS1_11comp_targetILNS1_3genE0ELNS1_11target_archE4294967295ELNS1_3gpuE0ELNS1_3repE0EEENS1_30default_config_static_selectorELNS0_4arch9wavefront6targetE1EEEvT1_, .Lfunc_end175-_ZN7rocprim17ROCPRIM_400000_NS6detail17trampoline_kernelINS0_14default_configENS1_20scan_config_selectorIN3c107complexIdEEEEZZNS1_9scan_implILNS1_25lookback_scan_determinismE0ELb0ELb0ES3_PKS7_PS7_S7_ZZZN2at6native31launch_logcumsumexp_cuda_kernelERKNSE_10TensorBaseESI_lENKUlvE_clEvENKUlvE1_clEvEUlS7_S7_E_S7_EEDaPvRmT3_T4_T5_mT6_P12ihipStream_tbENKUlT_T0_E_clISt17integral_constantIbLb0EESZ_EEDaSU_SV_EUlSU_E_NS1_11comp_targetILNS1_3genE0ELNS1_11target_archE4294967295ELNS1_3gpuE0ELNS1_3repE0EEENS1_30default_config_static_selectorELNS0_4arch9wavefront6targetE1EEEvT1_
                                        ; -- End function
	.set _ZN7rocprim17ROCPRIM_400000_NS6detail17trampoline_kernelINS0_14default_configENS1_20scan_config_selectorIN3c107complexIdEEEEZZNS1_9scan_implILNS1_25lookback_scan_determinismE0ELb0ELb0ES3_PKS7_PS7_S7_ZZZN2at6native31launch_logcumsumexp_cuda_kernelERKNSE_10TensorBaseESI_lENKUlvE_clEvENKUlvE1_clEvEUlS7_S7_E_S7_EEDaPvRmT3_T4_T5_mT6_P12ihipStream_tbENKUlT_T0_E_clISt17integral_constantIbLb0EESZ_EEDaSU_SV_EUlSU_E_NS1_11comp_targetILNS1_3genE0ELNS1_11target_archE4294967295ELNS1_3gpuE0ELNS1_3repE0EEENS1_30default_config_static_selectorELNS0_4arch9wavefront6targetE1EEEvT1_.num_vgpr, 0
	.set _ZN7rocprim17ROCPRIM_400000_NS6detail17trampoline_kernelINS0_14default_configENS1_20scan_config_selectorIN3c107complexIdEEEEZZNS1_9scan_implILNS1_25lookback_scan_determinismE0ELb0ELb0ES3_PKS7_PS7_S7_ZZZN2at6native31launch_logcumsumexp_cuda_kernelERKNSE_10TensorBaseESI_lENKUlvE_clEvENKUlvE1_clEvEUlS7_S7_E_S7_EEDaPvRmT3_T4_T5_mT6_P12ihipStream_tbENKUlT_T0_E_clISt17integral_constantIbLb0EESZ_EEDaSU_SV_EUlSU_E_NS1_11comp_targetILNS1_3genE0ELNS1_11target_archE4294967295ELNS1_3gpuE0ELNS1_3repE0EEENS1_30default_config_static_selectorELNS0_4arch9wavefront6targetE1EEEvT1_.num_agpr, 0
	.set _ZN7rocprim17ROCPRIM_400000_NS6detail17trampoline_kernelINS0_14default_configENS1_20scan_config_selectorIN3c107complexIdEEEEZZNS1_9scan_implILNS1_25lookback_scan_determinismE0ELb0ELb0ES3_PKS7_PS7_S7_ZZZN2at6native31launch_logcumsumexp_cuda_kernelERKNSE_10TensorBaseESI_lENKUlvE_clEvENKUlvE1_clEvEUlS7_S7_E_S7_EEDaPvRmT3_T4_T5_mT6_P12ihipStream_tbENKUlT_T0_E_clISt17integral_constantIbLb0EESZ_EEDaSU_SV_EUlSU_E_NS1_11comp_targetILNS1_3genE0ELNS1_11target_archE4294967295ELNS1_3gpuE0ELNS1_3repE0EEENS1_30default_config_static_selectorELNS0_4arch9wavefront6targetE1EEEvT1_.numbered_sgpr, 0
	.set _ZN7rocprim17ROCPRIM_400000_NS6detail17trampoline_kernelINS0_14default_configENS1_20scan_config_selectorIN3c107complexIdEEEEZZNS1_9scan_implILNS1_25lookback_scan_determinismE0ELb0ELb0ES3_PKS7_PS7_S7_ZZZN2at6native31launch_logcumsumexp_cuda_kernelERKNSE_10TensorBaseESI_lENKUlvE_clEvENKUlvE1_clEvEUlS7_S7_E_S7_EEDaPvRmT3_T4_T5_mT6_P12ihipStream_tbENKUlT_T0_E_clISt17integral_constantIbLb0EESZ_EEDaSU_SV_EUlSU_E_NS1_11comp_targetILNS1_3genE0ELNS1_11target_archE4294967295ELNS1_3gpuE0ELNS1_3repE0EEENS1_30default_config_static_selectorELNS0_4arch9wavefront6targetE1EEEvT1_.num_named_barrier, 0
	.set _ZN7rocprim17ROCPRIM_400000_NS6detail17trampoline_kernelINS0_14default_configENS1_20scan_config_selectorIN3c107complexIdEEEEZZNS1_9scan_implILNS1_25lookback_scan_determinismE0ELb0ELb0ES3_PKS7_PS7_S7_ZZZN2at6native31launch_logcumsumexp_cuda_kernelERKNSE_10TensorBaseESI_lENKUlvE_clEvENKUlvE1_clEvEUlS7_S7_E_S7_EEDaPvRmT3_T4_T5_mT6_P12ihipStream_tbENKUlT_T0_E_clISt17integral_constantIbLb0EESZ_EEDaSU_SV_EUlSU_E_NS1_11comp_targetILNS1_3genE0ELNS1_11target_archE4294967295ELNS1_3gpuE0ELNS1_3repE0EEENS1_30default_config_static_selectorELNS0_4arch9wavefront6targetE1EEEvT1_.private_seg_size, 0
	.set _ZN7rocprim17ROCPRIM_400000_NS6detail17trampoline_kernelINS0_14default_configENS1_20scan_config_selectorIN3c107complexIdEEEEZZNS1_9scan_implILNS1_25lookback_scan_determinismE0ELb0ELb0ES3_PKS7_PS7_S7_ZZZN2at6native31launch_logcumsumexp_cuda_kernelERKNSE_10TensorBaseESI_lENKUlvE_clEvENKUlvE1_clEvEUlS7_S7_E_S7_EEDaPvRmT3_T4_T5_mT6_P12ihipStream_tbENKUlT_T0_E_clISt17integral_constantIbLb0EESZ_EEDaSU_SV_EUlSU_E_NS1_11comp_targetILNS1_3genE0ELNS1_11target_archE4294967295ELNS1_3gpuE0ELNS1_3repE0EEENS1_30default_config_static_selectorELNS0_4arch9wavefront6targetE1EEEvT1_.uses_vcc, 0
	.set _ZN7rocprim17ROCPRIM_400000_NS6detail17trampoline_kernelINS0_14default_configENS1_20scan_config_selectorIN3c107complexIdEEEEZZNS1_9scan_implILNS1_25lookback_scan_determinismE0ELb0ELb0ES3_PKS7_PS7_S7_ZZZN2at6native31launch_logcumsumexp_cuda_kernelERKNSE_10TensorBaseESI_lENKUlvE_clEvENKUlvE1_clEvEUlS7_S7_E_S7_EEDaPvRmT3_T4_T5_mT6_P12ihipStream_tbENKUlT_T0_E_clISt17integral_constantIbLb0EESZ_EEDaSU_SV_EUlSU_E_NS1_11comp_targetILNS1_3genE0ELNS1_11target_archE4294967295ELNS1_3gpuE0ELNS1_3repE0EEENS1_30default_config_static_selectorELNS0_4arch9wavefront6targetE1EEEvT1_.uses_flat_scratch, 0
	.set _ZN7rocprim17ROCPRIM_400000_NS6detail17trampoline_kernelINS0_14default_configENS1_20scan_config_selectorIN3c107complexIdEEEEZZNS1_9scan_implILNS1_25lookback_scan_determinismE0ELb0ELb0ES3_PKS7_PS7_S7_ZZZN2at6native31launch_logcumsumexp_cuda_kernelERKNSE_10TensorBaseESI_lENKUlvE_clEvENKUlvE1_clEvEUlS7_S7_E_S7_EEDaPvRmT3_T4_T5_mT6_P12ihipStream_tbENKUlT_T0_E_clISt17integral_constantIbLb0EESZ_EEDaSU_SV_EUlSU_E_NS1_11comp_targetILNS1_3genE0ELNS1_11target_archE4294967295ELNS1_3gpuE0ELNS1_3repE0EEENS1_30default_config_static_selectorELNS0_4arch9wavefront6targetE1EEEvT1_.has_dyn_sized_stack, 0
	.set _ZN7rocprim17ROCPRIM_400000_NS6detail17trampoline_kernelINS0_14default_configENS1_20scan_config_selectorIN3c107complexIdEEEEZZNS1_9scan_implILNS1_25lookback_scan_determinismE0ELb0ELb0ES3_PKS7_PS7_S7_ZZZN2at6native31launch_logcumsumexp_cuda_kernelERKNSE_10TensorBaseESI_lENKUlvE_clEvENKUlvE1_clEvEUlS7_S7_E_S7_EEDaPvRmT3_T4_T5_mT6_P12ihipStream_tbENKUlT_T0_E_clISt17integral_constantIbLb0EESZ_EEDaSU_SV_EUlSU_E_NS1_11comp_targetILNS1_3genE0ELNS1_11target_archE4294967295ELNS1_3gpuE0ELNS1_3repE0EEENS1_30default_config_static_selectorELNS0_4arch9wavefront6targetE1EEEvT1_.has_recursion, 0
	.set _ZN7rocprim17ROCPRIM_400000_NS6detail17trampoline_kernelINS0_14default_configENS1_20scan_config_selectorIN3c107complexIdEEEEZZNS1_9scan_implILNS1_25lookback_scan_determinismE0ELb0ELb0ES3_PKS7_PS7_S7_ZZZN2at6native31launch_logcumsumexp_cuda_kernelERKNSE_10TensorBaseESI_lENKUlvE_clEvENKUlvE1_clEvEUlS7_S7_E_S7_EEDaPvRmT3_T4_T5_mT6_P12ihipStream_tbENKUlT_T0_E_clISt17integral_constantIbLb0EESZ_EEDaSU_SV_EUlSU_E_NS1_11comp_targetILNS1_3genE0ELNS1_11target_archE4294967295ELNS1_3gpuE0ELNS1_3repE0EEENS1_30default_config_static_selectorELNS0_4arch9wavefront6targetE1EEEvT1_.has_indirect_call, 0
	.section	.AMDGPU.csdata,"",@progbits
; Kernel info:
; codeLenInByte = 0
; TotalNumSgprs: 4
; NumVgprs: 0
; ScratchSize: 0
; MemoryBound: 0
; FloatMode: 240
; IeeeMode: 1
; LDSByteSize: 0 bytes/workgroup (compile time only)
; SGPRBlocks: 0
; VGPRBlocks: 0
; NumSGPRsForWavesPerEU: 4
; NumVGPRsForWavesPerEU: 1
; Occupancy: 10
; WaveLimiterHint : 0
; COMPUTE_PGM_RSRC2:SCRATCH_EN: 0
; COMPUTE_PGM_RSRC2:USER_SGPR: 6
; COMPUTE_PGM_RSRC2:TRAP_HANDLER: 0
; COMPUTE_PGM_RSRC2:TGID_X_EN: 1
; COMPUTE_PGM_RSRC2:TGID_Y_EN: 0
; COMPUTE_PGM_RSRC2:TGID_Z_EN: 0
; COMPUTE_PGM_RSRC2:TIDIG_COMP_CNT: 0
	.section	.text._ZN7rocprim17ROCPRIM_400000_NS6detail17trampoline_kernelINS0_14default_configENS1_20scan_config_selectorIN3c107complexIdEEEEZZNS1_9scan_implILNS1_25lookback_scan_determinismE0ELb0ELb0ES3_PKS7_PS7_S7_ZZZN2at6native31launch_logcumsumexp_cuda_kernelERKNSE_10TensorBaseESI_lENKUlvE_clEvENKUlvE1_clEvEUlS7_S7_E_S7_EEDaPvRmT3_T4_T5_mT6_P12ihipStream_tbENKUlT_T0_E_clISt17integral_constantIbLb0EESZ_EEDaSU_SV_EUlSU_E_NS1_11comp_targetILNS1_3genE5ELNS1_11target_archE942ELNS1_3gpuE9ELNS1_3repE0EEENS1_30default_config_static_selectorELNS0_4arch9wavefront6targetE1EEEvT1_,"axG",@progbits,_ZN7rocprim17ROCPRIM_400000_NS6detail17trampoline_kernelINS0_14default_configENS1_20scan_config_selectorIN3c107complexIdEEEEZZNS1_9scan_implILNS1_25lookback_scan_determinismE0ELb0ELb0ES3_PKS7_PS7_S7_ZZZN2at6native31launch_logcumsumexp_cuda_kernelERKNSE_10TensorBaseESI_lENKUlvE_clEvENKUlvE1_clEvEUlS7_S7_E_S7_EEDaPvRmT3_T4_T5_mT6_P12ihipStream_tbENKUlT_T0_E_clISt17integral_constantIbLb0EESZ_EEDaSU_SV_EUlSU_E_NS1_11comp_targetILNS1_3genE5ELNS1_11target_archE942ELNS1_3gpuE9ELNS1_3repE0EEENS1_30default_config_static_selectorELNS0_4arch9wavefront6targetE1EEEvT1_,comdat
	.globl	_ZN7rocprim17ROCPRIM_400000_NS6detail17trampoline_kernelINS0_14default_configENS1_20scan_config_selectorIN3c107complexIdEEEEZZNS1_9scan_implILNS1_25lookback_scan_determinismE0ELb0ELb0ES3_PKS7_PS7_S7_ZZZN2at6native31launch_logcumsumexp_cuda_kernelERKNSE_10TensorBaseESI_lENKUlvE_clEvENKUlvE1_clEvEUlS7_S7_E_S7_EEDaPvRmT3_T4_T5_mT6_P12ihipStream_tbENKUlT_T0_E_clISt17integral_constantIbLb0EESZ_EEDaSU_SV_EUlSU_E_NS1_11comp_targetILNS1_3genE5ELNS1_11target_archE942ELNS1_3gpuE9ELNS1_3repE0EEENS1_30default_config_static_selectorELNS0_4arch9wavefront6targetE1EEEvT1_ ; -- Begin function _ZN7rocprim17ROCPRIM_400000_NS6detail17trampoline_kernelINS0_14default_configENS1_20scan_config_selectorIN3c107complexIdEEEEZZNS1_9scan_implILNS1_25lookback_scan_determinismE0ELb0ELb0ES3_PKS7_PS7_S7_ZZZN2at6native31launch_logcumsumexp_cuda_kernelERKNSE_10TensorBaseESI_lENKUlvE_clEvENKUlvE1_clEvEUlS7_S7_E_S7_EEDaPvRmT3_T4_T5_mT6_P12ihipStream_tbENKUlT_T0_E_clISt17integral_constantIbLb0EESZ_EEDaSU_SV_EUlSU_E_NS1_11comp_targetILNS1_3genE5ELNS1_11target_archE942ELNS1_3gpuE9ELNS1_3repE0EEENS1_30default_config_static_selectorELNS0_4arch9wavefront6targetE1EEEvT1_
	.p2align	8
	.type	_ZN7rocprim17ROCPRIM_400000_NS6detail17trampoline_kernelINS0_14default_configENS1_20scan_config_selectorIN3c107complexIdEEEEZZNS1_9scan_implILNS1_25lookback_scan_determinismE0ELb0ELb0ES3_PKS7_PS7_S7_ZZZN2at6native31launch_logcumsumexp_cuda_kernelERKNSE_10TensorBaseESI_lENKUlvE_clEvENKUlvE1_clEvEUlS7_S7_E_S7_EEDaPvRmT3_T4_T5_mT6_P12ihipStream_tbENKUlT_T0_E_clISt17integral_constantIbLb0EESZ_EEDaSU_SV_EUlSU_E_NS1_11comp_targetILNS1_3genE5ELNS1_11target_archE942ELNS1_3gpuE9ELNS1_3repE0EEENS1_30default_config_static_selectorELNS0_4arch9wavefront6targetE1EEEvT1_,@function
_ZN7rocprim17ROCPRIM_400000_NS6detail17trampoline_kernelINS0_14default_configENS1_20scan_config_selectorIN3c107complexIdEEEEZZNS1_9scan_implILNS1_25lookback_scan_determinismE0ELb0ELb0ES3_PKS7_PS7_S7_ZZZN2at6native31launch_logcumsumexp_cuda_kernelERKNSE_10TensorBaseESI_lENKUlvE_clEvENKUlvE1_clEvEUlS7_S7_E_S7_EEDaPvRmT3_T4_T5_mT6_P12ihipStream_tbENKUlT_T0_E_clISt17integral_constantIbLb0EESZ_EEDaSU_SV_EUlSU_E_NS1_11comp_targetILNS1_3genE5ELNS1_11target_archE942ELNS1_3gpuE9ELNS1_3repE0EEENS1_30default_config_static_selectorELNS0_4arch9wavefront6targetE1EEEvT1_: ; @_ZN7rocprim17ROCPRIM_400000_NS6detail17trampoline_kernelINS0_14default_configENS1_20scan_config_selectorIN3c107complexIdEEEEZZNS1_9scan_implILNS1_25lookback_scan_determinismE0ELb0ELb0ES3_PKS7_PS7_S7_ZZZN2at6native31launch_logcumsumexp_cuda_kernelERKNSE_10TensorBaseESI_lENKUlvE_clEvENKUlvE1_clEvEUlS7_S7_E_S7_EEDaPvRmT3_T4_T5_mT6_P12ihipStream_tbENKUlT_T0_E_clISt17integral_constantIbLb0EESZ_EEDaSU_SV_EUlSU_E_NS1_11comp_targetILNS1_3genE5ELNS1_11target_archE942ELNS1_3gpuE9ELNS1_3repE0EEENS1_30default_config_static_selectorELNS0_4arch9wavefront6targetE1EEEvT1_
; %bb.0:
	.section	.rodata,"a",@progbits
	.p2align	6, 0x0
	.amdhsa_kernel _ZN7rocprim17ROCPRIM_400000_NS6detail17trampoline_kernelINS0_14default_configENS1_20scan_config_selectorIN3c107complexIdEEEEZZNS1_9scan_implILNS1_25lookback_scan_determinismE0ELb0ELb0ES3_PKS7_PS7_S7_ZZZN2at6native31launch_logcumsumexp_cuda_kernelERKNSE_10TensorBaseESI_lENKUlvE_clEvENKUlvE1_clEvEUlS7_S7_E_S7_EEDaPvRmT3_T4_T5_mT6_P12ihipStream_tbENKUlT_T0_E_clISt17integral_constantIbLb0EESZ_EEDaSU_SV_EUlSU_E_NS1_11comp_targetILNS1_3genE5ELNS1_11target_archE942ELNS1_3gpuE9ELNS1_3repE0EEENS1_30default_config_static_selectorELNS0_4arch9wavefront6targetE1EEEvT1_
		.amdhsa_group_segment_fixed_size 0
		.amdhsa_private_segment_fixed_size 0
		.amdhsa_kernarg_size 128
		.amdhsa_user_sgpr_count 6
		.amdhsa_user_sgpr_private_segment_buffer 1
		.amdhsa_user_sgpr_dispatch_ptr 0
		.amdhsa_user_sgpr_queue_ptr 0
		.amdhsa_user_sgpr_kernarg_segment_ptr 1
		.amdhsa_user_sgpr_dispatch_id 0
		.amdhsa_user_sgpr_flat_scratch_init 0
		.amdhsa_user_sgpr_private_segment_size 0
		.amdhsa_uses_dynamic_stack 0
		.amdhsa_system_sgpr_private_segment_wavefront_offset 0
		.amdhsa_system_sgpr_workgroup_id_x 1
		.amdhsa_system_sgpr_workgroup_id_y 0
		.amdhsa_system_sgpr_workgroup_id_z 0
		.amdhsa_system_sgpr_workgroup_info 0
		.amdhsa_system_vgpr_workitem_id 0
		.amdhsa_next_free_vgpr 1
		.amdhsa_next_free_sgpr 0
		.amdhsa_reserve_vcc 0
		.amdhsa_reserve_flat_scratch 0
		.amdhsa_float_round_mode_32 0
		.amdhsa_float_round_mode_16_64 0
		.amdhsa_float_denorm_mode_32 3
		.amdhsa_float_denorm_mode_16_64 3
		.amdhsa_dx10_clamp 1
		.amdhsa_ieee_mode 1
		.amdhsa_fp16_overflow 0
		.amdhsa_exception_fp_ieee_invalid_op 0
		.amdhsa_exception_fp_denorm_src 0
		.amdhsa_exception_fp_ieee_div_zero 0
		.amdhsa_exception_fp_ieee_overflow 0
		.amdhsa_exception_fp_ieee_underflow 0
		.amdhsa_exception_fp_ieee_inexact 0
		.amdhsa_exception_int_div_zero 0
	.end_amdhsa_kernel
	.section	.text._ZN7rocprim17ROCPRIM_400000_NS6detail17trampoline_kernelINS0_14default_configENS1_20scan_config_selectorIN3c107complexIdEEEEZZNS1_9scan_implILNS1_25lookback_scan_determinismE0ELb0ELb0ES3_PKS7_PS7_S7_ZZZN2at6native31launch_logcumsumexp_cuda_kernelERKNSE_10TensorBaseESI_lENKUlvE_clEvENKUlvE1_clEvEUlS7_S7_E_S7_EEDaPvRmT3_T4_T5_mT6_P12ihipStream_tbENKUlT_T0_E_clISt17integral_constantIbLb0EESZ_EEDaSU_SV_EUlSU_E_NS1_11comp_targetILNS1_3genE5ELNS1_11target_archE942ELNS1_3gpuE9ELNS1_3repE0EEENS1_30default_config_static_selectorELNS0_4arch9wavefront6targetE1EEEvT1_,"axG",@progbits,_ZN7rocprim17ROCPRIM_400000_NS6detail17trampoline_kernelINS0_14default_configENS1_20scan_config_selectorIN3c107complexIdEEEEZZNS1_9scan_implILNS1_25lookback_scan_determinismE0ELb0ELb0ES3_PKS7_PS7_S7_ZZZN2at6native31launch_logcumsumexp_cuda_kernelERKNSE_10TensorBaseESI_lENKUlvE_clEvENKUlvE1_clEvEUlS7_S7_E_S7_EEDaPvRmT3_T4_T5_mT6_P12ihipStream_tbENKUlT_T0_E_clISt17integral_constantIbLb0EESZ_EEDaSU_SV_EUlSU_E_NS1_11comp_targetILNS1_3genE5ELNS1_11target_archE942ELNS1_3gpuE9ELNS1_3repE0EEENS1_30default_config_static_selectorELNS0_4arch9wavefront6targetE1EEEvT1_,comdat
.Lfunc_end176:
	.size	_ZN7rocprim17ROCPRIM_400000_NS6detail17trampoline_kernelINS0_14default_configENS1_20scan_config_selectorIN3c107complexIdEEEEZZNS1_9scan_implILNS1_25lookback_scan_determinismE0ELb0ELb0ES3_PKS7_PS7_S7_ZZZN2at6native31launch_logcumsumexp_cuda_kernelERKNSE_10TensorBaseESI_lENKUlvE_clEvENKUlvE1_clEvEUlS7_S7_E_S7_EEDaPvRmT3_T4_T5_mT6_P12ihipStream_tbENKUlT_T0_E_clISt17integral_constantIbLb0EESZ_EEDaSU_SV_EUlSU_E_NS1_11comp_targetILNS1_3genE5ELNS1_11target_archE942ELNS1_3gpuE9ELNS1_3repE0EEENS1_30default_config_static_selectorELNS0_4arch9wavefront6targetE1EEEvT1_, .Lfunc_end176-_ZN7rocprim17ROCPRIM_400000_NS6detail17trampoline_kernelINS0_14default_configENS1_20scan_config_selectorIN3c107complexIdEEEEZZNS1_9scan_implILNS1_25lookback_scan_determinismE0ELb0ELb0ES3_PKS7_PS7_S7_ZZZN2at6native31launch_logcumsumexp_cuda_kernelERKNSE_10TensorBaseESI_lENKUlvE_clEvENKUlvE1_clEvEUlS7_S7_E_S7_EEDaPvRmT3_T4_T5_mT6_P12ihipStream_tbENKUlT_T0_E_clISt17integral_constantIbLb0EESZ_EEDaSU_SV_EUlSU_E_NS1_11comp_targetILNS1_3genE5ELNS1_11target_archE942ELNS1_3gpuE9ELNS1_3repE0EEENS1_30default_config_static_selectorELNS0_4arch9wavefront6targetE1EEEvT1_
                                        ; -- End function
	.set _ZN7rocprim17ROCPRIM_400000_NS6detail17trampoline_kernelINS0_14default_configENS1_20scan_config_selectorIN3c107complexIdEEEEZZNS1_9scan_implILNS1_25lookback_scan_determinismE0ELb0ELb0ES3_PKS7_PS7_S7_ZZZN2at6native31launch_logcumsumexp_cuda_kernelERKNSE_10TensorBaseESI_lENKUlvE_clEvENKUlvE1_clEvEUlS7_S7_E_S7_EEDaPvRmT3_T4_T5_mT6_P12ihipStream_tbENKUlT_T0_E_clISt17integral_constantIbLb0EESZ_EEDaSU_SV_EUlSU_E_NS1_11comp_targetILNS1_3genE5ELNS1_11target_archE942ELNS1_3gpuE9ELNS1_3repE0EEENS1_30default_config_static_selectorELNS0_4arch9wavefront6targetE1EEEvT1_.num_vgpr, 0
	.set _ZN7rocprim17ROCPRIM_400000_NS6detail17trampoline_kernelINS0_14default_configENS1_20scan_config_selectorIN3c107complexIdEEEEZZNS1_9scan_implILNS1_25lookback_scan_determinismE0ELb0ELb0ES3_PKS7_PS7_S7_ZZZN2at6native31launch_logcumsumexp_cuda_kernelERKNSE_10TensorBaseESI_lENKUlvE_clEvENKUlvE1_clEvEUlS7_S7_E_S7_EEDaPvRmT3_T4_T5_mT6_P12ihipStream_tbENKUlT_T0_E_clISt17integral_constantIbLb0EESZ_EEDaSU_SV_EUlSU_E_NS1_11comp_targetILNS1_3genE5ELNS1_11target_archE942ELNS1_3gpuE9ELNS1_3repE0EEENS1_30default_config_static_selectorELNS0_4arch9wavefront6targetE1EEEvT1_.num_agpr, 0
	.set _ZN7rocprim17ROCPRIM_400000_NS6detail17trampoline_kernelINS0_14default_configENS1_20scan_config_selectorIN3c107complexIdEEEEZZNS1_9scan_implILNS1_25lookback_scan_determinismE0ELb0ELb0ES3_PKS7_PS7_S7_ZZZN2at6native31launch_logcumsumexp_cuda_kernelERKNSE_10TensorBaseESI_lENKUlvE_clEvENKUlvE1_clEvEUlS7_S7_E_S7_EEDaPvRmT3_T4_T5_mT6_P12ihipStream_tbENKUlT_T0_E_clISt17integral_constantIbLb0EESZ_EEDaSU_SV_EUlSU_E_NS1_11comp_targetILNS1_3genE5ELNS1_11target_archE942ELNS1_3gpuE9ELNS1_3repE0EEENS1_30default_config_static_selectorELNS0_4arch9wavefront6targetE1EEEvT1_.numbered_sgpr, 0
	.set _ZN7rocprim17ROCPRIM_400000_NS6detail17trampoline_kernelINS0_14default_configENS1_20scan_config_selectorIN3c107complexIdEEEEZZNS1_9scan_implILNS1_25lookback_scan_determinismE0ELb0ELb0ES3_PKS7_PS7_S7_ZZZN2at6native31launch_logcumsumexp_cuda_kernelERKNSE_10TensorBaseESI_lENKUlvE_clEvENKUlvE1_clEvEUlS7_S7_E_S7_EEDaPvRmT3_T4_T5_mT6_P12ihipStream_tbENKUlT_T0_E_clISt17integral_constantIbLb0EESZ_EEDaSU_SV_EUlSU_E_NS1_11comp_targetILNS1_3genE5ELNS1_11target_archE942ELNS1_3gpuE9ELNS1_3repE0EEENS1_30default_config_static_selectorELNS0_4arch9wavefront6targetE1EEEvT1_.num_named_barrier, 0
	.set _ZN7rocprim17ROCPRIM_400000_NS6detail17trampoline_kernelINS0_14default_configENS1_20scan_config_selectorIN3c107complexIdEEEEZZNS1_9scan_implILNS1_25lookback_scan_determinismE0ELb0ELb0ES3_PKS7_PS7_S7_ZZZN2at6native31launch_logcumsumexp_cuda_kernelERKNSE_10TensorBaseESI_lENKUlvE_clEvENKUlvE1_clEvEUlS7_S7_E_S7_EEDaPvRmT3_T4_T5_mT6_P12ihipStream_tbENKUlT_T0_E_clISt17integral_constantIbLb0EESZ_EEDaSU_SV_EUlSU_E_NS1_11comp_targetILNS1_3genE5ELNS1_11target_archE942ELNS1_3gpuE9ELNS1_3repE0EEENS1_30default_config_static_selectorELNS0_4arch9wavefront6targetE1EEEvT1_.private_seg_size, 0
	.set _ZN7rocprim17ROCPRIM_400000_NS6detail17trampoline_kernelINS0_14default_configENS1_20scan_config_selectorIN3c107complexIdEEEEZZNS1_9scan_implILNS1_25lookback_scan_determinismE0ELb0ELb0ES3_PKS7_PS7_S7_ZZZN2at6native31launch_logcumsumexp_cuda_kernelERKNSE_10TensorBaseESI_lENKUlvE_clEvENKUlvE1_clEvEUlS7_S7_E_S7_EEDaPvRmT3_T4_T5_mT6_P12ihipStream_tbENKUlT_T0_E_clISt17integral_constantIbLb0EESZ_EEDaSU_SV_EUlSU_E_NS1_11comp_targetILNS1_3genE5ELNS1_11target_archE942ELNS1_3gpuE9ELNS1_3repE0EEENS1_30default_config_static_selectorELNS0_4arch9wavefront6targetE1EEEvT1_.uses_vcc, 0
	.set _ZN7rocprim17ROCPRIM_400000_NS6detail17trampoline_kernelINS0_14default_configENS1_20scan_config_selectorIN3c107complexIdEEEEZZNS1_9scan_implILNS1_25lookback_scan_determinismE0ELb0ELb0ES3_PKS7_PS7_S7_ZZZN2at6native31launch_logcumsumexp_cuda_kernelERKNSE_10TensorBaseESI_lENKUlvE_clEvENKUlvE1_clEvEUlS7_S7_E_S7_EEDaPvRmT3_T4_T5_mT6_P12ihipStream_tbENKUlT_T0_E_clISt17integral_constantIbLb0EESZ_EEDaSU_SV_EUlSU_E_NS1_11comp_targetILNS1_3genE5ELNS1_11target_archE942ELNS1_3gpuE9ELNS1_3repE0EEENS1_30default_config_static_selectorELNS0_4arch9wavefront6targetE1EEEvT1_.uses_flat_scratch, 0
	.set _ZN7rocprim17ROCPRIM_400000_NS6detail17trampoline_kernelINS0_14default_configENS1_20scan_config_selectorIN3c107complexIdEEEEZZNS1_9scan_implILNS1_25lookback_scan_determinismE0ELb0ELb0ES3_PKS7_PS7_S7_ZZZN2at6native31launch_logcumsumexp_cuda_kernelERKNSE_10TensorBaseESI_lENKUlvE_clEvENKUlvE1_clEvEUlS7_S7_E_S7_EEDaPvRmT3_T4_T5_mT6_P12ihipStream_tbENKUlT_T0_E_clISt17integral_constantIbLb0EESZ_EEDaSU_SV_EUlSU_E_NS1_11comp_targetILNS1_3genE5ELNS1_11target_archE942ELNS1_3gpuE9ELNS1_3repE0EEENS1_30default_config_static_selectorELNS0_4arch9wavefront6targetE1EEEvT1_.has_dyn_sized_stack, 0
	.set _ZN7rocprim17ROCPRIM_400000_NS6detail17trampoline_kernelINS0_14default_configENS1_20scan_config_selectorIN3c107complexIdEEEEZZNS1_9scan_implILNS1_25lookback_scan_determinismE0ELb0ELb0ES3_PKS7_PS7_S7_ZZZN2at6native31launch_logcumsumexp_cuda_kernelERKNSE_10TensorBaseESI_lENKUlvE_clEvENKUlvE1_clEvEUlS7_S7_E_S7_EEDaPvRmT3_T4_T5_mT6_P12ihipStream_tbENKUlT_T0_E_clISt17integral_constantIbLb0EESZ_EEDaSU_SV_EUlSU_E_NS1_11comp_targetILNS1_3genE5ELNS1_11target_archE942ELNS1_3gpuE9ELNS1_3repE0EEENS1_30default_config_static_selectorELNS0_4arch9wavefront6targetE1EEEvT1_.has_recursion, 0
	.set _ZN7rocprim17ROCPRIM_400000_NS6detail17trampoline_kernelINS0_14default_configENS1_20scan_config_selectorIN3c107complexIdEEEEZZNS1_9scan_implILNS1_25lookback_scan_determinismE0ELb0ELb0ES3_PKS7_PS7_S7_ZZZN2at6native31launch_logcumsumexp_cuda_kernelERKNSE_10TensorBaseESI_lENKUlvE_clEvENKUlvE1_clEvEUlS7_S7_E_S7_EEDaPvRmT3_T4_T5_mT6_P12ihipStream_tbENKUlT_T0_E_clISt17integral_constantIbLb0EESZ_EEDaSU_SV_EUlSU_E_NS1_11comp_targetILNS1_3genE5ELNS1_11target_archE942ELNS1_3gpuE9ELNS1_3repE0EEENS1_30default_config_static_selectorELNS0_4arch9wavefront6targetE1EEEvT1_.has_indirect_call, 0
	.section	.AMDGPU.csdata,"",@progbits
; Kernel info:
; codeLenInByte = 0
; TotalNumSgprs: 4
; NumVgprs: 0
; ScratchSize: 0
; MemoryBound: 0
; FloatMode: 240
; IeeeMode: 1
; LDSByteSize: 0 bytes/workgroup (compile time only)
; SGPRBlocks: 0
; VGPRBlocks: 0
; NumSGPRsForWavesPerEU: 4
; NumVGPRsForWavesPerEU: 1
; Occupancy: 10
; WaveLimiterHint : 0
; COMPUTE_PGM_RSRC2:SCRATCH_EN: 0
; COMPUTE_PGM_RSRC2:USER_SGPR: 6
; COMPUTE_PGM_RSRC2:TRAP_HANDLER: 0
; COMPUTE_PGM_RSRC2:TGID_X_EN: 1
; COMPUTE_PGM_RSRC2:TGID_Y_EN: 0
; COMPUTE_PGM_RSRC2:TGID_Z_EN: 0
; COMPUTE_PGM_RSRC2:TIDIG_COMP_CNT: 0
	.section	.text._ZN7rocprim17ROCPRIM_400000_NS6detail17trampoline_kernelINS0_14default_configENS1_20scan_config_selectorIN3c107complexIdEEEEZZNS1_9scan_implILNS1_25lookback_scan_determinismE0ELb0ELb0ES3_PKS7_PS7_S7_ZZZN2at6native31launch_logcumsumexp_cuda_kernelERKNSE_10TensorBaseESI_lENKUlvE_clEvENKUlvE1_clEvEUlS7_S7_E_S7_EEDaPvRmT3_T4_T5_mT6_P12ihipStream_tbENKUlT_T0_E_clISt17integral_constantIbLb0EESZ_EEDaSU_SV_EUlSU_E_NS1_11comp_targetILNS1_3genE4ELNS1_11target_archE910ELNS1_3gpuE8ELNS1_3repE0EEENS1_30default_config_static_selectorELNS0_4arch9wavefront6targetE1EEEvT1_,"axG",@progbits,_ZN7rocprim17ROCPRIM_400000_NS6detail17trampoline_kernelINS0_14default_configENS1_20scan_config_selectorIN3c107complexIdEEEEZZNS1_9scan_implILNS1_25lookback_scan_determinismE0ELb0ELb0ES3_PKS7_PS7_S7_ZZZN2at6native31launch_logcumsumexp_cuda_kernelERKNSE_10TensorBaseESI_lENKUlvE_clEvENKUlvE1_clEvEUlS7_S7_E_S7_EEDaPvRmT3_T4_T5_mT6_P12ihipStream_tbENKUlT_T0_E_clISt17integral_constantIbLb0EESZ_EEDaSU_SV_EUlSU_E_NS1_11comp_targetILNS1_3genE4ELNS1_11target_archE910ELNS1_3gpuE8ELNS1_3repE0EEENS1_30default_config_static_selectorELNS0_4arch9wavefront6targetE1EEEvT1_,comdat
	.globl	_ZN7rocprim17ROCPRIM_400000_NS6detail17trampoline_kernelINS0_14default_configENS1_20scan_config_selectorIN3c107complexIdEEEEZZNS1_9scan_implILNS1_25lookback_scan_determinismE0ELb0ELb0ES3_PKS7_PS7_S7_ZZZN2at6native31launch_logcumsumexp_cuda_kernelERKNSE_10TensorBaseESI_lENKUlvE_clEvENKUlvE1_clEvEUlS7_S7_E_S7_EEDaPvRmT3_T4_T5_mT6_P12ihipStream_tbENKUlT_T0_E_clISt17integral_constantIbLb0EESZ_EEDaSU_SV_EUlSU_E_NS1_11comp_targetILNS1_3genE4ELNS1_11target_archE910ELNS1_3gpuE8ELNS1_3repE0EEENS1_30default_config_static_selectorELNS0_4arch9wavefront6targetE1EEEvT1_ ; -- Begin function _ZN7rocprim17ROCPRIM_400000_NS6detail17trampoline_kernelINS0_14default_configENS1_20scan_config_selectorIN3c107complexIdEEEEZZNS1_9scan_implILNS1_25lookback_scan_determinismE0ELb0ELb0ES3_PKS7_PS7_S7_ZZZN2at6native31launch_logcumsumexp_cuda_kernelERKNSE_10TensorBaseESI_lENKUlvE_clEvENKUlvE1_clEvEUlS7_S7_E_S7_EEDaPvRmT3_T4_T5_mT6_P12ihipStream_tbENKUlT_T0_E_clISt17integral_constantIbLb0EESZ_EEDaSU_SV_EUlSU_E_NS1_11comp_targetILNS1_3genE4ELNS1_11target_archE910ELNS1_3gpuE8ELNS1_3repE0EEENS1_30default_config_static_selectorELNS0_4arch9wavefront6targetE1EEEvT1_
	.p2align	8
	.type	_ZN7rocprim17ROCPRIM_400000_NS6detail17trampoline_kernelINS0_14default_configENS1_20scan_config_selectorIN3c107complexIdEEEEZZNS1_9scan_implILNS1_25lookback_scan_determinismE0ELb0ELb0ES3_PKS7_PS7_S7_ZZZN2at6native31launch_logcumsumexp_cuda_kernelERKNSE_10TensorBaseESI_lENKUlvE_clEvENKUlvE1_clEvEUlS7_S7_E_S7_EEDaPvRmT3_T4_T5_mT6_P12ihipStream_tbENKUlT_T0_E_clISt17integral_constantIbLb0EESZ_EEDaSU_SV_EUlSU_E_NS1_11comp_targetILNS1_3genE4ELNS1_11target_archE910ELNS1_3gpuE8ELNS1_3repE0EEENS1_30default_config_static_selectorELNS0_4arch9wavefront6targetE1EEEvT1_,@function
_ZN7rocprim17ROCPRIM_400000_NS6detail17trampoline_kernelINS0_14default_configENS1_20scan_config_selectorIN3c107complexIdEEEEZZNS1_9scan_implILNS1_25lookback_scan_determinismE0ELb0ELb0ES3_PKS7_PS7_S7_ZZZN2at6native31launch_logcumsumexp_cuda_kernelERKNSE_10TensorBaseESI_lENKUlvE_clEvENKUlvE1_clEvEUlS7_S7_E_S7_EEDaPvRmT3_T4_T5_mT6_P12ihipStream_tbENKUlT_T0_E_clISt17integral_constantIbLb0EESZ_EEDaSU_SV_EUlSU_E_NS1_11comp_targetILNS1_3genE4ELNS1_11target_archE910ELNS1_3gpuE8ELNS1_3repE0EEENS1_30default_config_static_selectorELNS0_4arch9wavefront6targetE1EEEvT1_: ; @_ZN7rocprim17ROCPRIM_400000_NS6detail17trampoline_kernelINS0_14default_configENS1_20scan_config_selectorIN3c107complexIdEEEEZZNS1_9scan_implILNS1_25lookback_scan_determinismE0ELb0ELb0ES3_PKS7_PS7_S7_ZZZN2at6native31launch_logcumsumexp_cuda_kernelERKNSE_10TensorBaseESI_lENKUlvE_clEvENKUlvE1_clEvEUlS7_S7_E_S7_EEDaPvRmT3_T4_T5_mT6_P12ihipStream_tbENKUlT_T0_E_clISt17integral_constantIbLb0EESZ_EEDaSU_SV_EUlSU_E_NS1_11comp_targetILNS1_3genE4ELNS1_11target_archE910ELNS1_3gpuE8ELNS1_3repE0EEENS1_30default_config_static_selectorELNS0_4arch9wavefront6targetE1EEEvT1_
; %bb.0:
	.section	.rodata,"a",@progbits
	.p2align	6, 0x0
	.amdhsa_kernel _ZN7rocprim17ROCPRIM_400000_NS6detail17trampoline_kernelINS0_14default_configENS1_20scan_config_selectorIN3c107complexIdEEEEZZNS1_9scan_implILNS1_25lookback_scan_determinismE0ELb0ELb0ES3_PKS7_PS7_S7_ZZZN2at6native31launch_logcumsumexp_cuda_kernelERKNSE_10TensorBaseESI_lENKUlvE_clEvENKUlvE1_clEvEUlS7_S7_E_S7_EEDaPvRmT3_T4_T5_mT6_P12ihipStream_tbENKUlT_T0_E_clISt17integral_constantIbLb0EESZ_EEDaSU_SV_EUlSU_E_NS1_11comp_targetILNS1_3genE4ELNS1_11target_archE910ELNS1_3gpuE8ELNS1_3repE0EEENS1_30default_config_static_selectorELNS0_4arch9wavefront6targetE1EEEvT1_
		.amdhsa_group_segment_fixed_size 0
		.amdhsa_private_segment_fixed_size 0
		.amdhsa_kernarg_size 128
		.amdhsa_user_sgpr_count 6
		.amdhsa_user_sgpr_private_segment_buffer 1
		.amdhsa_user_sgpr_dispatch_ptr 0
		.amdhsa_user_sgpr_queue_ptr 0
		.amdhsa_user_sgpr_kernarg_segment_ptr 1
		.amdhsa_user_sgpr_dispatch_id 0
		.amdhsa_user_sgpr_flat_scratch_init 0
		.amdhsa_user_sgpr_private_segment_size 0
		.amdhsa_uses_dynamic_stack 0
		.amdhsa_system_sgpr_private_segment_wavefront_offset 0
		.amdhsa_system_sgpr_workgroup_id_x 1
		.amdhsa_system_sgpr_workgroup_id_y 0
		.amdhsa_system_sgpr_workgroup_id_z 0
		.amdhsa_system_sgpr_workgroup_info 0
		.amdhsa_system_vgpr_workitem_id 0
		.amdhsa_next_free_vgpr 1
		.amdhsa_next_free_sgpr 0
		.amdhsa_reserve_vcc 0
		.amdhsa_reserve_flat_scratch 0
		.amdhsa_float_round_mode_32 0
		.amdhsa_float_round_mode_16_64 0
		.amdhsa_float_denorm_mode_32 3
		.amdhsa_float_denorm_mode_16_64 3
		.amdhsa_dx10_clamp 1
		.amdhsa_ieee_mode 1
		.amdhsa_fp16_overflow 0
		.amdhsa_exception_fp_ieee_invalid_op 0
		.amdhsa_exception_fp_denorm_src 0
		.amdhsa_exception_fp_ieee_div_zero 0
		.amdhsa_exception_fp_ieee_overflow 0
		.amdhsa_exception_fp_ieee_underflow 0
		.amdhsa_exception_fp_ieee_inexact 0
		.amdhsa_exception_int_div_zero 0
	.end_amdhsa_kernel
	.section	.text._ZN7rocprim17ROCPRIM_400000_NS6detail17trampoline_kernelINS0_14default_configENS1_20scan_config_selectorIN3c107complexIdEEEEZZNS1_9scan_implILNS1_25lookback_scan_determinismE0ELb0ELb0ES3_PKS7_PS7_S7_ZZZN2at6native31launch_logcumsumexp_cuda_kernelERKNSE_10TensorBaseESI_lENKUlvE_clEvENKUlvE1_clEvEUlS7_S7_E_S7_EEDaPvRmT3_T4_T5_mT6_P12ihipStream_tbENKUlT_T0_E_clISt17integral_constantIbLb0EESZ_EEDaSU_SV_EUlSU_E_NS1_11comp_targetILNS1_3genE4ELNS1_11target_archE910ELNS1_3gpuE8ELNS1_3repE0EEENS1_30default_config_static_selectorELNS0_4arch9wavefront6targetE1EEEvT1_,"axG",@progbits,_ZN7rocprim17ROCPRIM_400000_NS6detail17trampoline_kernelINS0_14default_configENS1_20scan_config_selectorIN3c107complexIdEEEEZZNS1_9scan_implILNS1_25lookback_scan_determinismE0ELb0ELb0ES3_PKS7_PS7_S7_ZZZN2at6native31launch_logcumsumexp_cuda_kernelERKNSE_10TensorBaseESI_lENKUlvE_clEvENKUlvE1_clEvEUlS7_S7_E_S7_EEDaPvRmT3_T4_T5_mT6_P12ihipStream_tbENKUlT_T0_E_clISt17integral_constantIbLb0EESZ_EEDaSU_SV_EUlSU_E_NS1_11comp_targetILNS1_3genE4ELNS1_11target_archE910ELNS1_3gpuE8ELNS1_3repE0EEENS1_30default_config_static_selectorELNS0_4arch9wavefront6targetE1EEEvT1_,comdat
.Lfunc_end177:
	.size	_ZN7rocprim17ROCPRIM_400000_NS6detail17trampoline_kernelINS0_14default_configENS1_20scan_config_selectorIN3c107complexIdEEEEZZNS1_9scan_implILNS1_25lookback_scan_determinismE0ELb0ELb0ES3_PKS7_PS7_S7_ZZZN2at6native31launch_logcumsumexp_cuda_kernelERKNSE_10TensorBaseESI_lENKUlvE_clEvENKUlvE1_clEvEUlS7_S7_E_S7_EEDaPvRmT3_T4_T5_mT6_P12ihipStream_tbENKUlT_T0_E_clISt17integral_constantIbLb0EESZ_EEDaSU_SV_EUlSU_E_NS1_11comp_targetILNS1_3genE4ELNS1_11target_archE910ELNS1_3gpuE8ELNS1_3repE0EEENS1_30default_config_static_selectorELNS0_4arch9wavefront6targetE1EEEvT1_, .Lfunc_end177-_ZN7rocprim17ROCPRIM_400000_NS6detail17trampoline_kernelINS0_14default_configENS1_20scan_config_selectorIN3c107complexIdEEEEZZNS1_9scan_implILNS1_25lookback_scan_determinismE0ELb0ELb0ES3_PKS7_PS7_S7_ZZZN2at6native31launch_logcumsumexp_cuda_kernelERKNSE_10TensorBaseESI_lENKUlvE_clEvENKUlvE1_clEvEUlS7_S7_E_S7_EEDaPvRmT3_T4_T5_mT6_P12ihipStream_tbENKUlT_T0_E_clISt17integral_constantIbLb0EESZ_EEDaSU_SV_EUlSU_E_NS1_11comp_targetILNS1_3genE4ELNS1_11target_archE910ELNS1_3gpuE8ELNS1_3repE0EEENS1_30default_config_static_selectorELNS0_4arch9wavefront6targetE1EEEvT1_
                                        ; -- End function
	.set _ZN7rocprim17ROCPRIM_400000_NS6detail17trampoline_kernelINS0_14default_configENS1_20scan_config_selectorIN3c107complexIdEEEEZZNS1_9scan_implILNS1_25lookback_scan_determinismE0ELb0ELb0ES3_PKS7_PS7_S7_ZZZN2at6native31launch_logcumsumexp_cuda_kernelERKNSE_10TensorBaseESI_lENKUlvE_clEvENKUlvE1_clEvEUlS7_S7_E_S7_EEDaPvRmT3_T4_T5_mT6_P12ihipStream_tbENKUlT_T0_E_clISt17integral_constantIbLb0EESZ_EEDaSU_SV_EUlSU_E_NS1_11comp_targetILNS1_3genE4ELNS1_11target_archE910ELNS1_3gpuE8ELNS1_3repE0EEENS1_30default_config_static_selectorELNS0_4arch9wavefront6targetE1EEEvT1_.num_vgpr, 0
	.set _ZN7rocprim17ROCPRIM_400000_NS6detail17trampoline_kernelINS0_14default_configENS1_20scan_config_selectorIN3c107complexIdEEEEZZNS1_9scan_implILNS1_25lookback_scan_determinismE0ELb0ELb0ES3_PKS7_PS7_S7_ZZZN2at6native31launch_logcumsumexp_cuda_kernelERKNSE_10TensorBaseESI_lENKUlvE_clEvENKUlvE1_clEvEUlS7_S7_E_S7_EEDaPvRmT3_T4_T5_mT6_P12ihipStream_tbENKUlT_T0_E_clISt17integral_constantIbLb0EESZ_EEDaSU_SV_EUlSU_E_NS1_11comp_targetILNS1_3genE4ELNS1_11target_archE910ELNS1_3gpuE8ELNS1_3repE0EEENS1_30default_config_static_selectorELNS0_4arch9wavefront6targetE1EEEvT1_.num_agpr, 0
	.set _ZN7rocprim17ROCPRIM_400000_NS6detail17trampoline_kernelINS0_14default_configENS1_20scan_config_selectorIN3c107complexIdEEEEZZNS1_9scan_implILNS1_25lookback_scan_determinismE0ELb0ELb0ES3_PKS7_PS7_S7_ZZZN2at6native31launch_logcumsumexp_cuda_kernelERKNSE_10TensorBaseESI_lENKUlvE_clEvENKUlvE1_clEvEUlS7_S7_E_S7_EEDaPvRmT3_T4_T5_mT6_P12ihipStream_tbENKUlT_T0_E_clISt17integral_constantIbLb0EESZ_EEDaSU_SV_EUlSU_E_NS1_11comp_targetILNS1_3genE4ELNS1_11target_archE910ELNS1_3gpuE8ELNS1_3repE0EEENS1_30default_config_static_selectorELNS0_4arch9wavefront6targetE1EEEvT1_.numbered_sgpr, 0
	.set _ZN7rocprim17ROCPRIM_400000_NS6detail17trampoline_kernelINS0_14default_configENS1_20scan_config_selectorIN3c107complexIdEEEEZZNS1_9scan_implILNS1_25lookback_scan_determinismE0ELb0ELb0ES3_PKS7_PS7_S7_ZZZN2at6native31launch_logcumsumexp_cuda_kernelERKNSE_10TensorBaseESI_lENKUlvE_clEvENKUlvE1_clEvEUlS7_S7_E_S7_EEDaPvRmT3_T4_T5_mT6_P12ihipStream_tbENKUlT_T0_E_clISt17integral_constantIbLb0EESZ_EEDaSU_SV_EUlSU_E_NS1_11comp_targetILNS1_3genE4ELNS1_11target_archE910ELNS1_3gpuE8ELNS1_3repE0EEENS1_30default_config_static_selectorELNS0_4arch9wavefront6targetE1EEEvT1_.num_named_barrier, 0
	.set _ZN7rocprim17ROCPRIM_400000_NS6detail17trampoline_kernelINS0_14default_configENS1_20scan_config_selectorIN3c107complexIdEEEEZZNS1_9scan_implILNS1_25lookback_scan_determinismE0ELb0ELb0ES3_PKS7_PS7_S7_ZZZN2at6native31launch_logcumsumexp_cuda_kernelERKNSE_10TensorBaseESI_lENKUlvE_clEvENKUlvE1_clEvEUlS7_S7_E_S7_EEDaPvRmT3_T4_T5_mT6_P12ihipStream_tbENKUlT_T0_E_clISt17integral_constantIbLb0EESZ_EEDaSU_SV_EUlSU_E_NS1_11comp_targetILNS1_3genE4ELNS1_11target_archE910ELNS1_3gpuE8ELNS1_3repE0EEENS1_30default_config_static_selectorELNS0_4arch9wavefront6targetE1EEEvT1_.private_seg_size, 0
	.set _ZN7rocprim17ROCPRIM_400000_NS6detail17trampoline_kernelINS0_14default_configENS1_20scan_config_selectorIN3c107complexIdEEEEZZNS1_9scan_implILNS1_25lookback_scan_determinismE0ELb0ELb0ES3_PKS7_PS7_S7_ZZZN2at6native31launch_logcumsumexp_cuda_kernelERKNSE_10TensorBaseESI_lENKUlvE_clEvENKUlvE1_clEvEUlS7_S7_E_S7_EEDaPvRmT3_T4_T5_mT6_P12ihipStream_tbENKUlT_T0_E_clISt17integral_constantIbLb0EESZ_EEDaSU_SV_EUlSU_E_NS1_11comp_targetILNS1_3genE4ELNS1_11target_archE910ELNS1_3gpuE8ELNS1_3repE0EEENS1_30default_config_static_selectorELNS0_4arch9wavefront6targetE1EEEvT1_.uses_vcc, 0
	.set _ZN7rocprim17ROCPRIM_400000_NS6detail17trampoline_kernelINS0_14default_configENS1_20scan_config_selectorIN3c107complexIdEEEEZZNS1_9scan_implILNS1_25lookback_scan_determinismE0ELb0ELb0ES3_PKS7_PS7_S7_ZZZN2at6native31launch_logcumsumexp_cuda_kernelERKNSE_10TensorBaseESI_lENKUlvE_clEvENKUlvE1_clEvEUlS7_S7_E_S7_EEDaPvRmT3_T4_T5_mT6_P12ihipStream_tbENKUlT_T0_E_clISt17integral_constantIbLb0EESZ_EEDaSU_SV_EUlSU_E_NS1_11comp_targetILNS1_3genE4ELNS1_11target_archE910ELNS1_3gpuE8ELNS1_3repE0EEENS1_30default_config_static_selectorELNS0_4arch9wavefront6targetE1EEEvT1_.uses_flat_scratch, 0
	.set _ZN7rocprim17ROCPRIM_400000_NS6detail17trampoline_kernelINS0_14default_configENS1_20scan_config_selectorIN3c107complexIdEEEEZZNS1_9scan_implILNS1_25lookback_scan_determinismE0ELb0ELb0ES3_PKS7_PS7_S7_ZZZN2at6native31launch_logcumsumexp_cuda_kernelERKNSE_10TensorBaseESI_lENKUlvE_clEvENKUlvE1_clEvEUlS7_S7_E_S7_EEDaPvRmT3_T4_T5_mT6_P12ihipStream_tbENKUlT_T0_E_clISt17integral_constantIbLb0EESZ_EEDaSU_SV_EUlSU_E_NS1_11comp_targetILNS1_3genE4ELNS1_11target_archE910ELNS1_3gpuE8ELNS1_3repE0EEENS1_30default_config_static_selectorELNS0_4arch9wavefront6targetE1EEEvT1_.has_dyn_sized_stack, 0
	.set _ZN7rocprim17ROCPRIM_400000_NS6detail17trampoline_kernelINS0_14default_configENS1_20scan_config_selectorIN3c107complexIdEEEEZZNS1_9scan_implILNS1_25lookback_scan_determinismE0ELb0ELb0ES3_PKS7_PS7_S7_ZZZN2at6native31launch_logcumsumexp_cuda_kernelERKNSE_10TensorBaseESI_lENKUlvE_clEvENKUlvE1_clEvEUlS7_S7_E_S7_EEDaPvRmT3_T4_T5_mT6_P12ihipStream_tbENKUlT_T0_E_clISt17integral_constantIbLb0EESZ_EEDaSU_SV_EUlSU_E_NS1_11comp_targetILNS1_3genE4ELNS1_11target_archE910ELNS1_3gpuE8ELNS1_3repE0EEENS1_30default_config_static_selectorELNS0_4arch9wavefront6targetE1EEEvT1_.has_recursion, 0
	.set _ZN7rocprim17ROCPRIM_400000_NS6detail17trampoline_kernelINS0_14default_configENS1_20scan_config_selectorIN3c107complexIdEEEEZZNS1_9scan_implILNS1_25lookback_scan_determinismE0ELb0ELb0ES3_PKS7_PS7_S7_ZZZN2at6native31launch_logcumsumexp_cuda_kernelERKNSE_10TensorBaseESI_lENKUlvE_clEvENKUlvE1_clEvEUlS7_S7_E_S7_EEDaPvRmT3_T4_T5_mT6_P12ihipStream_tbENKUlT_T0_E_clISt17integral_constantIbLb0EESZ_EEDaSU_SV_EUlSU_E_NS1_11comp_targetILNS1_3genE4ELNS1_11target_archE910ELNS1_3gpuE8ELNS1_3repE0EEENS1_30default_config_static_selectorELNS0_4arch9wavefront6targetE1EEEvT1_.has_indirect_call, 0
	.section	.AMDGPU.csdata,"",@progbits
; Kernel info:
; codeLenInByte = 0
; TotalNumSgprs: 4
; NumVgprs: 0
; ScratchSize: 0
; MemoryBound: 0
; FloatMode: 240
; IeeeMode: 1
; LDSByteSize: 0 bytes/workgroup (compile time only)
; SGPRBlocks: 0
; VGPRBlocks: 0
; NumSGPRsForWavesPerEU: 4
; NumVGPRsForWavesPerEU: 1
; Occupancy: 10
; WaveLimiterHint : 0
; COMPUTE_PGM_RSRC2:SCRATCH_EN: 0
; COMPUTE_PGM_RSRC2:USER_SGPR: 6
; COMPUTE_PGM_RSRC2:TRAP_HANDLER: 0
; COMPUTE_PGM_RSRC2:TGID_X_EN: 1
; COMPUTE_PGM_RSRC2:TGID_Y_EN: 0
; COMPUTE_PGM_RSRC2:TGID_Z_EN: 0
; COMPUTE_PGM_RSRC2:TIDIG_COMP_CNT: 0
	.section	.text._ZN7rocprim17ROCPRIM_400000_NS6detail17trampoline_kernelINS0_14default_configENS1_20scan_config_selectorIN3c107complexIdEEEEZZNS1_9scan_implILNS1_25lookback_scan_determinismE0ELb0ELb0ES3_PKS7_PS7_S7_ZZZN2at6native31launch_logcumsumexp_cuda_kernelERKNSE_10TensorBaseESI_lENKUlvE_clEvENKUlvE1_clEvEUlS7_S7_E_S7_EEDaPvRmT3_T4_T5_mT6_P12ihipStream_tbENKUlT_T0_E_clISt17integral_constantIbLb0EESZ_EEDaSU_SV_EUlSU_E_NS1_11comp_targetILNS1_3genE3ELNS1_11target_archE908ELNS1_3gpuE7ELNS1_3repE0EEENS1_30default_config_static_selectorELNS0_4arch9wavefront6targetE1EEEvT1_,"axG",@progbits,_ZN7rocprim17ROCPRIM_400000_NS6detail17trampoline_kernelINS0_14default_configENS1_20scan_config_selectorIN3c107complexIdEEEEZZNS1_9scan_implILNS1_25lookback_scan_determinismE0ELb0ELb0ES3_PKS7_PS7_S7_ZZZN2at6native31launch_logcumsumexp_cuda_kernelERKNSE_10TensorBaseESI_lENKUlvE_clEvENKUlvE1_clEvEUlS7_S7_E_S7_EEDaPvRmT3_T4_T5_mT6_P12ihipStream_tbENKUlT_T0_E_clISt17integral_constantIbLb0EESZ_EEDaSU_SV_EUlSU_E_NS1_11comp_targetILNS1_3genE3ELNS1_11target_archE908ELNS1_3gpuE7ELNS1_3repE0EEENS1_30default_config_static_selectorELNS0_4arch9wavefront6targetE1EEEvT1_,comdat
	.globl	_ZN7rocprim17ROCPRIM_400000_NS6detail17trampoline_kernelINS0_14default_configENS1_20scan_config_selectorIN3c107complexIdEEEEZZNS1_9scan_implILNS1_25lookback_scan_determinismE0ELb0ELb0ES3_PKS7_PS7_S7_ZZZN2at6native31launch_logcumsumexp_cuda_kernelERKNSE_10TensorBaseESI_lENKUlvE_clEvENKUlvE1_clEvEUlS7_S7_E_S7_EEDaPvRmT3_T4_T5_mT6_P12ihipStream_tbENKUlT_T0_E_clISt17integral_constantIbLb0EESZ_EEDaSU_SV_EUlSU_E_NS1_11comp_targetILNS1_3genE3ELNS1_11target_archE908ELNS1_3gpuE7ELNS1_3repE0EEENS1_30default_config_static_selectorELNS0_4arch9wavefront6targetE1EEEvT1_ ; -- Begin function _ZN7rocprim17ROCPRIM_400000_NS6detail17trampoline_kernelINS0_14default_configENS1_20scan_config_selectorIN3c107complexIdEEEEZZNS1_9scan_implILNS1_25lookback_scan_determinismE0ELb0ELb0ES3_PKS7_PS7_S7_ZZZN2at6native31launch_logcumsumexp_cuda_kernelERKNSE_10TensorBaseESI_lENKUlvE_clEvENKUlvE1_clEvEUlS7_S7_E_S7_EEDaPvRmT3_T4_T5_mT6_P12ihipStream_tbENKUlT_T0_E_clISt17integral_constantIbLb0EESZ_EEDaSU_SV_EUlSU_E_NS1_11comp_targetILNS1_3genE3ELNS1_11target_archE908ELNS1_3gpuE7ELNS1_3repE0EEENS1_30default_config_static_selectorELNS0_4arch9wavefront6targetE1EEEvT1_
	.p2align	8
	.type	_ZN7rocprim17ROCPRIM_400000_NS6detail17trampoline_kernelINS0_14default_configENS1_20scan_config_selectorIN3c107complexIdEEEEZZNS1_9scan_implILNS1_25lookback_scan_determinismE0ELb0ELb0ES3_PKS7_PS7_S7_ZZZN2at6native31launch_logcumsumexp_cuda_kernelERKNSE_10TensorBaseESI_lENKUlvE_clEvENKUlvE1_clEvEUlS7_S7_E_S7_EEDaPvRmT3_T4_T5_mT6_P12ihipStream_tbENKUlT_T0_E_clISt17integral_constantIbLb0EESZ_EEDaSU_SV_EUlSU_E_NS1_11comp_targetILNS1_3genE3ELNS1_11target_archE908ELNS1_3gpuE7ELNS1_3repE0EEENS1_30default_config_static_selectorELNS0_4arch9wavefront6targetE1EEEvT1_,@function
_ZN7rocprim17ROCPRIM_400000_NS6detail17trampoline_kernelINS0_14default_configENS1_20scan_config_selectorIN3c107complexIdEEEEZZNS1_9scan_implILNS1_25lookback_scan_determinismE0ELb0ELb0ES3_PKS7_PS7_S7_ZZZN2at6native31launch_logcumsumexp_cuda_kernelERKNSE_10TensorBaseESI_lENKUlvE_clEvENKUlvE1_clEvEUlS7_S7_E_S7_EEDaPvRmT3_T4_T5_mT6_P12ihipStream_tbENKUlT_T0_E_clISt17integral_constantIbLb0EESZ_EEDaSU_SV_EUlSU_E_NS1_11comp_targetILNS1_3genE3ELNS1_11target_archE908ELNS1_3gpuE7ELNS1_3repE0EEENS1_30default_config_static_selectorELNS0_4arch9wavefront6targetE1EEEvT1_: ; @_ZN7rocprim17ROCPRIM_400000_NS6detail17trampoline_kernelINS0_14default_configENS1_20scan_config_selectorIN3c107complexIdEEEEZZNS1_9scan_implILNS1_25lookback_scan_determinismE0ELb0ELb0ES3_PKS7_PS7_S7_ZZZN2at6native31launch_logcumsumexp_cuda_kernelERKNSE_10TensorBaseESI_lENKUlvE_clEvENKUlvE1_clEvEUlS7_S7_E_S7_EEDaPvRmT3_T4_T5_mT6_P12ihipStream_tbENKUlT_T0_E_clISt17integral_constantIbLb0EESZ_EEDaSU_SV_EUlSU_E_NS1_11comp_targetILNS1_3genE3ELNS1_11target_archE908ELNS1_3gpuE7ELNS1_3repE0EEENS1_30default_config_static_selectorELNS0_4arch9wavefront6targetE1EEEvT1_
; %bb.0:
	.section	.rodata,"a",@progbits
	.p2align	6, 0x0
	.amdhsa_kernel _ZN7rocprim17ROCPRIM_400000_NS6detail17trampoline_kernelINS0_14default_configENS1_20scan_config_selectorIN3c107complexIdEEEEZZNS1_9scan_implILNS1_25lookback_scan_determinismE0ELb0ELb0ES3_PKS7_PS7_S7_ZZZN2at6native31launch_logcumsumexp_cuda_kernelERKNSE_10TensorBaseESI_lENKUlvE_clEvENKUlvE1_clEvEUlS7_S7_E_S7_EEDaPvRmT3_T4_T5_mT6_P12ihipStream_tbENKUlT_T0_E_clISt17integral_constantIbLb0EESZ_EEDaSU_SV_EUlSU_E_NS1_11comp_targetILNS1_3genE3ELNS1_11target_archE908ELNS1_3gpuE7ELNS1_3repE0EEENS1_30default_config_static_selectorELNS0_4arch9wavefront6targetE1EEEvT1_
		.amdhsa_group_segment_fixed_size 0
		.amdhsa_private_segment_fixed_size 0
		.amdhsa_kernarg_size 128
		.amdhsa_user_sgpr_count 6
		.amdhsa_user_sgpr_private_segment_buffer 1
		.amdhsa_user_sgpr_dispatch_ptr 0
		.amdhsa_user_sgpr_queue_ptr 0
		.amdhsa_user_sgpr_kernarg_segment_ptr 1
		.amdhsa_user_sgpr_dispatch_id 0
		.amdhsa_user_sgpr_flat_scratch_init 0
		.amdhsa_user_sgpr_private_segment_size 0
		.amdhsa_uses_dynamic_stack 0
		.amdhsa_system_sgpr_private_segment_wavefront_offset 0
		.amdhsa_system_sgpr_workgroup_id_x 1
		.amdhsa_system_sgpr_workgroup_id_y 0
		.amdhsa_system_sgpr_workgroup_id_z 0
		.amdhsa_system_sgpr_workgroup_info 0
		.amdhsa_system_vgpr_workitem_id 0
		.amdhsa_next_free_vgpr 1
		.amdhsa_next_free_sgpr 0
		.amdhsa_reserve_vcc 0
		.amdhsa_reserve_flat_scratch 0
		.amdhsa_float_round_mode_32 0
		.amdhsa_float_round_mode_16_64 0
		.amdhsa_float_denorm_mode_32 3
		.amdhsa_float_denorm_mode_16_64 3
		.amdhsa_dx10_clamp 1
		.amdhsa_ieee_mode 1
		.amdhsa_fp16_overflow 0
		.amdhsa_exception_fp_ieee_invalid_op 0
		.amdhsa_exception_fp_denorm_src 0
		.amdhsa_exception_fp_ieee_div_zero 0
		.amdhsa_exception_fp_ieee_overflow 0
		.amdhsa_exception_fp_ieee_underflow 0
		.amdhsa_exception_fp_ieee_inexact 0
		.amdhsa_exception_int_div_zero 0
	.end_amdhsa_kernel
	.section	.text._ZN7rocprim17ROCPRIM_400000_NS6detail17trampoline_kernelINS0_14default_configENS1_20scan_config_selectorIN3c107complexIdEEEEZZNS1_9scan_implILNS1_25lookback_scan_determinismE0ELb0ELb0ES3_PKS7_PS7_S7_ZZZN2at6native31launch_logcumsumexp_cuda_kernelERKNSE_10TensorBaseESI_lENKUlvE_clEvENKUlvE1_clEvEUlS7_S7_E_S7_EEDaPvRmT3_T4_T5_mT6_P12ihipStream_tbENKUlT_T0_E_clISt17integral_constantIbLb0EESZ_EEDaSU_SV_EUlSU_E_NS1_11comp_targetILNS1_3genE3ELNS1_11target_archE908ELNS1_3gpuE7ELNS1_3repE0EEENS1_30default_config_static_selectorELNS0_4arch9wavefront6targetE1EEEvT1_,"axG",@progbits,_ZN7rocprim17ROCPRIM_400000_NS6detail17trampoline_kernelINS0_14default_configENS1_20scan_config_selectorIN3c107complexIdEEEEZZNS1_9scan_implILNS1_25lookback_scan_determinismE0ELb0ELb0ES3_PKS7_PS7_S7_ZZZN2at6native31launch_logcumsumexp_cuda_kernelERKNSE_10TensorBaseESI_lENKUlvE_clEvENKUlvE1_clEvEUlS7_S7_E_S7_EEDaPvRmT3_T4_T5_mT6_P12ihipStream_tbENKUlT_T0_E_clISt17integral_constantIbLb0EESZ_EEDaSU_SV_EUlSU_E_NS1_11comp_targetILNS1_3genE3ELNS1_11target_archE908ELNS1_3gpuE7ELNS1_3repE0EEENS1_30default_config_static_selectorELNS0_4arch9wavefront6targetE1EEEvT1_,comdat
.Lfunc_end178:
	.size	_ZN7rocprim17ROCPRIM_400000_NS6detail17trampoline_kernelINS0_14default_configENS1_20scan_config_selectorIN3c107complexIdEEEEZZNS1_9scan_implILNS1_25lookback_scan_determinismE0ELb0ELb0ES3_PKS7_PS7_S7_ZZZN2at6native31launch_logcumsumexp_cuda_kernelERKNSE_10TensorBaseESI_lENKUlvE_clEvENKUlvE1_clEvEUlS7_S7_E_S7_EEDaPvRmT3_T4_T5_mT6_P12ihipStream_tbENKUlT_T0_E_clISt17integral_constantIbLb0EESZ_EEDaSU_SV_EUlSU_E_NS1_11comp_targetILNS1_3genE3ELNS1_11target_archE908ELNS1_3gpuE7ELNS1_3repE0EEENS1_30default_config_static_selectorELNS0_4arch9wavefront6targetE1EEEvT1_, .Lfunc_end178-_ZN7rocprim17ROCPRIM_400000_NS6detail17trampoline_kernelINS0_14default_configENS1_20scan_config_selectorIN3c107complexIdEEEEZZNS1_9scan_implILNS1_25lookback_scan_determinismE0ELb0ELb0ES3_PKS7_PS7_S7_ZZZN2at6native31launch_logcumsumexp_cuda_kernelERKNSE_10TensorBaseESI_lENKUlvE_clEvENKUlvE1_clEvEUlS7_S7_E_S7_EEDaPvRmT3_T4_T5_mT6_P12ihipStream_tbENKUlT_T0_E_clISt17integral_constantIbLb0EESZ_EEDaSU_SV_EUlSU_E_NS1_11comp_targetILNS1_3genE3ELNS1_11target_archE908ELNS1_3gpuE7ELNS1_3repE0EEENS1_30default_config_static_selectorELNS0_4arch9wavefront6targetE1EEEvT1_
                                        ; -- End function
	.set _ZN7rocprim17ROCPRIM_400000_NS6detail17trampoline_kernelINS0_14default_configENS1_20scan_config_selectorIN3c107complexIdEEEEZZNS1_9scan_implILNS1_25lookback_scan_determinismE0ELb0ELb0ES3_PKS7_PS7_S7_ZZZN2at6native31launch_logcumsumexp_cuda_kernelERKNSE_10TensorBaseESI_lENKUlvE_clEvENKUlvE1_clEvEUlS7_S7_E_S7_EEDaPvRmT3_T4_T5_mT6_P12ihipStream_tbENKUlT_T0_E_clISt17integral_constantIbLb0EESZ_EEDaSU_SV_EUlSU_E_NS1_11comp_targetILNS1_3genE3ELNS1_11target_archE908ELNS1_3gpuE7ELNS1_3repE0EEENS1_30default_config_static_selectorELNS0_4arch9wavefront6targetE1EEEvT1_.num_vgpr, 0
	.set _ZN7rocprim17ROCPRIM_400000_NS6detail17trampoline_kernelINS0_14default_configENS1_20scan_config_selectorIN3c107complexIdEEEEZZNS1_9scan_implILNS1_25lookback_scan_determinismE0ELb0ELb0ES3_PKS7_PS7_S7_ZZZN2at6native31launch_logcumsumexp_cuda_kernelERKNSE_10TensorBaseESI_lENKUlvE_clEvENKUlvE1_clEvEUlS7_S7_E_S7_EEDaPvRmT3_T4_T5_mT6_P12ihipStream_tbENKUlT_T0_E_clISt17integral_constantIbLb0EESZ_EEDaSU_SV_EUlSU_E_NS1_11comp_targetILNS1_3genE3ELNS1_11target_archE908ELNS1_3gpuE7ELNS1_3repE0EEENS1_30default_config_static_selectorELNS0_4arch9wavefront6targetE1EEEvT1_.num_agpr, 0
	.set _ZN7rocprim17ROCPRIM_400000_NS6detail17trampoline_kernelINS0_14default_configENS1_20scan_config_selectorIN3c107complexIdEEEEZZNS1_9scan_implILNS1_25lookback_scan_determinismE0ELb0ELb0ES3_PKS7_PS7_S7_ZZZN2at6native31launch_logcumsumexp_cuda_kernelERKNSE_10TensorBaseESI_lENKUlvE_clEvENKUlvE1_clEvEUlS7_S7_E_S7_EEDaPvRmT3_T4_T5_mT6_P12ihipStream_tbENKUlT_T0_E_clISt17integral_constantIbLb0EESZ_EEDaSU_SV_EUlSU_E_NS1_11comp_targetILNS1_3genE3ELNS1_11target_archE908ELNS1_3gpuE7ELNS1_3repE0EEENS1_30default_config_static_selectorELNS0_4arch9wavefront6targetE1EEEvT1_.numbered_sgpr, 0
	.set _ZN7rocprim17ROCPRIM_400000_NS6detail17trampoline_kernelINS0_14default_configENS1_20scan_config_selectorIN3c107complexIdEEEEZZNS1_9scan_implILNS1_25lookback_scan_determinismE0ELb0ELb0ES3_PKS7_PS7_S7_ZZZN2at6native31launch_logcumsumexp_cuda_kernelERKNSE_10TensorBaseESI_lENKUlvE_clEvENKUlvE1_clEvEUlS7_S7_E_S7_EEDaPvRmT3_T4_T5_mT6_P12ihipStream_tbENKUlT_T0_E_clISt17integral_constantIbLb0EESZ_EEDaSU_SV_EUlSU_E_NS1_11comp_targetILNS1_3genE3ELNS1_11target_archE908ELNS1_3gpuE7ELNS1_3repE0EEENS1_30default_config_static_selectorELNS0_4arch9wavefront6targetE1EEEvT1_.num_named_barrier, 0
	.set _ZN7rocprim17ROCPRIM_400000_NS6detail17trampoline_kernelINS0_14default_configENS1_20scan_config_selectorIN3c107complexIdEEEEZZNS1_9scan_implILNS1_25lookback_scan_determinismE0ELb0ELb0ES3_PKS7_PS7_S7_ZZZN2at6native31launch_logcumsumexp_cuda_kernelERKNSE_10TensorBaseESI_lENKUlvE_clEvENKUlvE1_clEvEUlS7_S7_E_S7_EEDaPvRmT3_T4_T5_mT6_P12ihipStream_tbENKUlT_T0_E_clISt17integral_constantIbLb0EESZ_EEDaSU_SV_EUlSU_E_NS1_11comp_targetILNS1_3genE3ELNS1_11target_archE908ELNS1_3gpuE7ELNS1_3repE0EEENS1_30default_config_static_selectorELNS0_4arch9wavefront6targetE1EEEvT1_.private_seg_size, 0
	.set _ZN7rocprim17ROCPRIM_400000_NS6detail17trampoline_kernelINS0_14default_configENS1_20scan_config_selectorIN3c107complexIdEEEEZZNS1_9scan_implILNS1_25lookback_scan_determinismE0ELb0ELb0ES3_PKS7_PS7_S7_ZZZN2at6native31launch_logcumsumexp_cuda_kernelERKNSE_10TensorBaseESI_lENKUlvE_clEvENKUlvE1_clEvEUlS7_S7_E_S7_EEDaPvRmT3_T4_T5_mT6_P12ihipStream_tbENKUlT_T0_E_clISt17integral_constantIbLb0EESZ_EEDaSU_SV_EUlSU_E_NS1_11comp_targetILNS1_3genE3ELNS1_11target_archE908ELNS1_3gpuE7ELNS1_3repE0EEENS1_30default_config_static_selectorELNS0_4arch9wavefront6targetE1EEEvT1_.uses_vcc, 0
	.set _ZN7rocprim17ROCPRIM_400000_NS6detail17trampoline_kernelINS0_14default_configENS1_20scan_config_selectorIN3c107complexIdEEEEZZNS1_9scan_implILNS1_25lookback_scan_determinismE0ELb0ELb0ES3_PKS7_PS7_S7_ZZZN2at6native31launch_logcumsumexp_cuda_kernelERKNSE_10TensorBaseESI_lENKUlvE_clEvENKUlvE1_clEvEUlS7_S7_E_S7_EEDaPvRmT3_T4_T5_mT6_P12ihipStream_tbENKUlT_T0_E_clISt17integral_constantIbLb0EESZ_EEDaSU_SV_EUlSU_E_NS1_11comp_targetILNS1_3genE3ELNS1_11target_archE908ELNS1_3gpuE7ELNS1_3repE0EEENS1_30default_config_static_selectorELNS0_4arch9wavefront6targetE1EEEvT1_.uses_flat_scratch, 0
	.set _ZN7rocprim17ROCPRIM_400000_NS6detail17trampoline_kernelINS0_14default_configENS1_20scan_config_selectorIN3c107complexIdEEEEZZNS1_9scan_implILNS1_25lookback_scan_determinismE0ELb0ELb0ES3_PKS7_PS7_S7_ZZZN2at6native31launch_logcumsumexp_cuda_kernelERKNSE_10TensorBaseESI_lENKUlvE_clEvENKUlvE1_clEvEUlS7_S7_E_S7_EEDaPvRmT3_T4_T5_mT6_P12ihipStream_tbENKUlT_T0_E_clISt17integral_constantIbLb0EESZ_EEDaSU_SV_EUlSU_E_NS1_11comp_targetILNS1_3genE3ELNS1_11target_archE908ELNS1_3gpuE7ELNS1_3repE0EEENS1_30default_config_static_selectorELNS0_4arch9wavefront6targetE1EEEvT1_.has_dyn_sized_stack, 0
	.set _ZN7rocprim17ROCPRIM_400000_NS6detail17trampoline_kernelINS0_14default_configENS1_20scan_config_selectorIN3c107complexIdEEEEZZNS1_9scan_implILNS1_25lookback_scan_determinismE0ELb0ELb0ES3_PKS7_PS7_S7_ZZZN2at6native31launch_logcumsumexp_cuda_kernelERKNSE_10TensorBaseESI_lENKUlvE_clEvENKUlvE1_clEvEUlS7_S7_E_S7_EEDaPvRmT3_T4_T5_mT6_P12ihipStream_tbENKUlT_T0_E_clISt17integral_constantIbLb0EESZ_EEDaSU_SV_EUlSU_E_NS1_11comp_targetILNS1_3genE3ELNS1_11target_archE908ELNS1_3gpuE7ELNS1_3repE0EEENS1_30default_config_static_selectorELNS0_4arch9wavefront6targetE1EEEvT1_.has_recursion, 0
	.set _ZN7rocprim17ROCPRIM_400000_NS6detail17trampoline_kernelINS0_14default_configENS1_20scan_config_selectorIN3c107complexIdEEEEZZNS1_9scan_implILNS1_25lookback_scan_determinismE0ELb0ELb0ES3_PKS7_PS7_S7_ZZZN2at6native31launch_logcumsumexp_cuda_kernelERKNSE_10TensorBaseESI_lENKUlvE_clEvENKUlvE1_clEvEUlS7_S7_E_S7_EEDaPvRmT3_T4_T5_mT6_P12ihipStream_tbENKUlT_T0_E_clISt17integral_constantIbLb0EESZ_EEDaSU_SV_EUlSU_E_NS1_11comp_targetILNS1_3genE3ELNS1_11target_archE908ELNS1_3gpuE7ELNS1_3repE0EEENS1_30default_config_static_selectorELNS0_4arch9wavefront6targetE1EEEvT1_.has_indirect_call, 0
	.section	.AMDGPU.csdata,"",@progbits
; Kernel info:
; codeLenInByte = 0
; TotalNumSgprs: 4
; NumVgprs: 0
; ScratchSize: 0
; MemoryBound: 0
; FloatMode: 240
; IeeeMode: 1
; LDSByteSize: 0 bytes/workgroup (compile time only)
; SGPRBlocks: 0
; VGPRBlocks: 0
; NumSGPRsForWavesPerEU: 4
; NumVGPRsForWavesPerEU: 1
; Occupancy: 10
; WaveLimiterHint : 0
; COMPUTE_PGM_RSRC2:SCRATCH_EN: 0
; COMPUTE_PGM_RSRC2:USER_SGPR: 6
; COMPUTE_PGM_RSRC2:TRAP_HANDLER: 0
; COMPUTE_PGM_RSRC2:TGID_X_EN: 1
; COMPUTE_PGM_RSRC2:TGID_Y_EN: 0
; COMPUTE_PGM_RSRC2:TGID_Z_EN: 0
; COMPUTE_PGM_RSRC2:TIDIG_COMP_CNT: 0
	.text
	.p2align	2                               ; -- Begin function _ZZZZN2at6native31launch_logcumsumexp_cuda_kernelERKNS_10TensorBaseES3_lENKUlvE_clEvENKUlvE1_clEvENKUlN3c107complexIdEES8_E_clES8_S8_
	.type	_ZZZZN2at6native31launch_logcumsumexp_cuda_kernelERKNS_10TensorBaseES3_lENKUlvE_clEvENKUlvE1_clEvENKUlN3c107complexIdEES8_E_clES8_S8_,@function
_ZZZZN2at6native31launch_logcumsumexp_cuda_kernelERKNS_10TensorBaseES3_lENKUlvE_clEvENKUlvE1_clEvENKUlN3c107complexIdEES8_E_clES8_S8_: ; @_ZZZZN2at6native31launch_logcumsumexp_cuda_kernelERKNS_10TensorBaseES3_lENKUlvE_clEvENKUlvE1_clEvENKUlN3c107complexIdEES8_E_clES8_S8_
; %bb.0:
	s_waitcnt vmcnt(0) expcnt(0) lgkmcnt(0)
	v_cmp_o_f64_e32 vcc, v[4:5], v[6:7]
	v_mov_b32_e32 v9, v7
	v_mov_b32_e32 v11, v5
	;; [unrolled: 1-line block ×4, first 2 shown]
	s_and_saveexec_b64 s[8:9], vcc
	s_cbranch_execz .LBB179_2
; %bb.1:
	v_cmp_u_f64_e64 s[4:5], v[0:1], v[2:3]
	v_cmp_lt_f64_e64 s[6:7], v[0:1], v[4:5]
	s_or_b64 s[4:5], s[6:7], s[4:5]
	v_cndmask_b32_e64 v11, v5, v1, s[4:5]
	v_cndmask_b32_e64 v10, v4, v0, s[4:5]
	;; [unrolled: 1-line block ×4, first 2 shown]
.LBB179_2:
	s_or_b64 exec, exec, s[8:9]
	s_and_saveexec_b64 s[6:7], vcc
	s_cbranch_execz .LBB179_4
; %bb.3:
	v_cmp_u_f64_e32 vcc, v[0:1], v[2:3]
	v_cmp_ge_f64_e64 s[4:5], v[0:1], v[4:5]
	s_or_b64 vcc, s[4:5], vcc
	v_cndmask_b32_e32 v5, v5, v1, vcc
	v_cndmask_b32_e32 v4, v4, v0, vcc
	;; [unrolled: 1-line block ×4, first 2 shown]
.LBB179_4:
	s_or_b64 exec, exec, s[6:7]
	v_cmp_o_f64_e32 vcc, v[10:11], v[8:9]
	v_mov_b32_e32 v0, 0
	v_mov_b32_e32 v2, 0
	;; [unrolled: 1-line block ×4, first 2 shown]
	s_and_saveexec_b64 s[12:13], vcc
	s_cbranch_execz .LBB179_48
; %bb.5:
	s_movk_i32 s4, 0x1f8
	v_cmp_class_f64_e64 s[4:5], v[10:11], s4
	v_cmp_neq_f64_e32 vcc, v[10:11], v[4:5]
	s_or_b64 s[4:5], s[4:5], vcc
	s_and_saveexec_b64 s[6:7], s[4:5]
	s_xor_b64 s[14:15], exec, s[6:7]
	s_cbranch_execz .LBB179_21
; %bb.6:
	v_add_f64 v[0:1], v[8:9], -v[6:7]
	s_mov_b32 s4, 0
	s_mov_b32 s5, 0x41d00000
                                        ; implicit-def: $vgpr22
                                        ; implicit-def: $vgpr2_vgpr3
                                        ; implicit-def: $vgpr8_vgpr9
	v_trig_preop_f64 v[20:21], |v[0:1]|, 0
	v_trig_preop_f64 v[18:19], |v[0:1]|, 1
	;; [unrolled: 1-line block ×3, first 2 shown]
	v_cmp_nlt_f64_e64 s[6:7], |v[0:1]|, s[4:5]
	s_and_saveexec_b64 s[4:5], s[6:7]
	s_xor_b64 s[8:9], exec, s[4:5]
	s_cbranch_execz .LBB179_8
; %bb.7:
	s_mov_b32 s4, 0
	s_mov_b32 s5, 0x7b000000
	s_movk_i32 s10, 0xff80
	v_ldexp_f64 v[2:3], |v[0:1]|, s10
	v_cmp_ge_f64_e64 vcc, |v[0:1]|, s[4:5]
	v_and_b32_e32 v8, 0x7fffffff, v1
	s_mov_b32 s4, 0
	s_mov_b32 s5, 0x7ff00000
	v_mov_b32_e32 v35, 0x40100000
	v_mov_b32_e32 v34, 0
	s_mov_b32 s10, 0x33145c07
	s_mov_b32 s11, 0x3c91a626
	v_cndmask_b32_e32 v3, v8, v3, vcc
	v_cndmask_b32_e32 v2, v0, v2, vcc
	v_mul_f64 v[8:9], v[20:21], v[2:3]
	v_mul_f64 v[12:13], v[18:19], v[2:3]
	;; [unrolled: 1-line block ×3, first 2 shown]
	v_fma_f64 v[16:17], v[20:21], v[2:3], -v[8:9]
	v_fma_f64 v[30:31], v[18:19], v[2:3], -v[12:13]
	v_fma_f64 v[2:3], v[14:15], v[2:3], -v[28:29]
	v_add_f64 v[22:23], v[12:13], v[16:17]
	v_add_f64 v[24:25], v[22:23], -v[12:13]
	v_add_f64 v[32:33], v[8:9], v[22:23]
	v_add_f64 v[26:27], v[22:23], -v[24:25]
	v_add_f64 v[16:17], v[16:17], -v[24:25]
	v_add_f64 v[24:25], v[28:29], v[30:31]
	v_add_f64 v[8:9], v[32:33], -v[8:9]
	v_add_f64 v[12:13], v[12:13], -v[26:27]
	v_ldexp_f64 v[26:27], v[32:33], -2
	v_add_f64 v[36:37], v[24:25], -v[28:29]
	v_add_f64 v[8:9], v[22:23], -v[8:9]
	v_add_f64 v[12:13], v[16:17], v[12:13]
	v_fract_f64_e32 v[16:17], v[26:27]
	v_cmp_neq_f64_e64 vcc, |v[26:27]|, s[4:5]
	v_add_f64 v[30:31], v[30:31], -v[36:37]
	v_add_f64 v[22:23], v[24:25], v[12:13]
	v_ldexp_f64 v[16:17], v[16:17], 2
	v_add_f64 v[26:27], v[8:9], v[22:23]
	v_cndmask_b32_e32 v17, 0, v17, vcc
	v_cndmask_b32_e32 v16, 0, v16, vcc
	v_add_f64 v[38:39], v[22:23], -v[24:25]
	v_add_f64 v[32:33], v[26:27], v[16:17]
	v_add_f64 v[8:9], v[26:27], -v[8:9]
	v_add_f64 v[48:49], v[22:23], -v[38:39]
	;; [unrolled: 1-line block ×3, first 2 shown]
	v_cmp_gt_f64_e32 vcc, 0, v[32:33]
	v_add_f64 v[32:33], v[24:25], -v[36:37]
	v_add_f64 v[8:9], v[22:23], -v[8:9]
	;; [unrolled: 1-line block ×3, first 2 shown]
	v_cndmask_b32_e32 v35, 0, v35, vcc
	v_add_f64 v[16:17], v[16:17], v[34:35]
	v_add_f64 v[32:33], v[28:29], -v[32:33]
	v_add_f64 v[12:13], v[12:13], v[24:25]
	v_add_f64 v[50:51], v[26:27], v[16:17]
	;; [unrolled: 1-line block ×3, first 2 shown]
	v_cvt_i32_f64_e32 v37, v[50:51]
	v_add_f64 v[12:13], v[30:31], v[12:13]
	v_cvt_f64_i32_e32 v[35:36], v37
	v_add_f64 v[16:17], v[16:17], -v[35:36]
	v_add_f64 v[2:3], v[2:3], v[12:13]
	v_add_f64 v[24:25], v[26:27], v[16:17]
	;; [unrolled: 1-line block ×3, first 2 shown]
	v_add_f64 v[12:13], v[24:25], -v[16:17]
	v_cmp_le_f64_e32 vcc, 0.5, v[24:25]
	v_add_f64 v[8:9], v[26:27], -v[12:13]
	v_mov_b32_e32 v12, 0x3ff00000
	v_cndmask_b32_e32 v35, 0, v12, vcc
	v_addc_co_u32_e64 v22, s[4:5], 0, v37, vcc
	s_mov_b32 s4, 0x54442d18
	s_mov_b32 s5, 0x3ff921fb
	v_add_f64 v[2:3], v[2:3], v[8:9]
	v_add_f64 v[8:9], v[24:25], -v[34:35]
	v_add_f64 v[12:13], v[8:9], v[2:3]
	v_mul_f64 v[16:17], v[12:13], s[4:5]
	v_add_f64 v[8:9], v[12:13], -v[8:9]
	v_fma_f64 v[23:24], v[12:13], s[4:5], -v[16:17]
	v_add_f64 v[2:3], v[2:3], -v[8:9]
	v_fma_f64 v[8:9], v[12:13], s[10:11], v[23:24]
	v_fma_f64 v[8:9], v[2:3], s[4:5], v[8:9]
	v_add_f64 v[2:3], v[16:17], v[8:9]
	v_add_f64 v[12:13], v[2:3], -v[16:17]
	v_add_f64 v[8:9], v[8:9], -v[12:13]
	s_andn2_saveexec_b64 s[4:5], s[8:9]
	s_cbranch_execz .LBB179_10
	s_branch .LBB179_9
.LBB179_8:
	s_andn2_saveexec_b64 s[4:5], s[8:9]
	s_cbranch_execz .LBB179_10
.LBB179_9:
	s_mov_b32 s8, 0x6dc9c883
	s_mov_b32 s9, 0x3fe45f30
	v_mul_f64 v[2:3], |v[0:1]|, s[8:9]
	s_mov_b32 s8, 0x54442d18
	s_mov_b32 s9, 0xbff921fb
	;; [unrolled: 1-line block ×4, first 2 shown]
	v_rndne_f64_e32 v[12:13], v[2:3]
	v_fma_f64 v[2:3], v[12:13], s[8:9], |v[0:1]|
	v_mul_f64 v[8:9], v[12:13], s[10:11]
	s_mov_b32 s8, 0x252049c0
	s_mov_b32 s9, 0xb97b839a
	v_fma_f64 v[24:25], v[12:13], s[10:11], v[2:3]
	v_add_f64 v[16:17], v[2:3], v[8:9]
	s_mov_b32 s11, 0x3c91a626
	v_add_f64 v[22:23], v[2:3], -v[16:17]
	v_add_f64 v[16:17], v[16:17], -v[24:25]
	v_add_f64 v[2:3], v[22:23], v[8:9]
	v_fma_f64 v[8:9], v[12:13], s[10:11], v[8:9]
	v_cvt_i32_f64_e32 v22, v[12:13]
	v_add_f64 v[2:3], v[16:17], v[2:3]
	v_add_f64 v[2:3], v[2:3], -v[8:9]
	v_fma_f64 v[8:9], v[12:13], s[8:9], v[2:3]
	v_add_f64 v[2:3], v[24:25], v[8:9]
	v_add_f64 v[16:17], v[2:3], -v[24:25]
	v_add_f64 v[8:9], v[8:9], -v[16:17]
.LBB179_10:
	s_or_b64 exec, exec, s[4:5]
                                        ; implicit-def: $vgpr23
                                        ; implicit-def: $vgpr12_vgpr13
                                        ; implicit-def: $vgpr16_vgpr17
	s_and_saveexec_b64 s[4:5], s[6:7]
	s_xor_b64 s[6:7], exec, s[4:5]
	s_cbranch_execz .LBB179_12
; %bb.11:
	s_mov_b32 s4, 0
	s_mov_b32 s5, 0x7b000000
	s_movk_i32 s8, 0xff80
	v_ldexp_f64 v[12:13], |v[0:1]|, s8
	v_cmp_ge_f64_e64 vcc, |v[0:1]|, s[4:5]
	v_and_b32_e32 v16, 0x7fffffff, v1
	s_mov_b32 s4, 0
	s_mov_b32 s5, 0x7ff00000
	v_mov_b32_e32 v36, 0x40100000
	v_mov_b32_e32 v35, 0
	s_mov_b32 s8, 0x33145c07
	s_mov_b32 s9, 0x3c91a626
	v_cndmask_b32_e32 v13, v16, v13, vcc
	v_cndmask_b32_e32 v12, v0, v12, vcc
	v_mul_f64 v[16:17], v[20:21], v[12:13]
	v_mul_f64 v[23:24], v[18:19], v[12:13]
	v_mul_f64 v[31:32], v[14:15], v[12:13]
	v_fma_f64 v[20:21], v[20:21], v[12:13], -v[16:17]
	v_fma_f64 v[18:19], v[18:19], v[12:13], -v[23:24]
	;; [unrolled: 1-line block ×3, first 2 shown]
	v_add_f64 v[25:26], v[23:24], v[20:21]
	v_add_f64 v[27:28], v[25:26], -v[23:24]
	v_add_f64 v[33:34], v[16:17], v[25:26]
	v_add_f64 v[29:30], v[25:26], -v[27:28]
	v_add_f64 v[20:21], v[20:21], -v[27:28]
	v_add_f64 v[27:28], v[31:32], v[18:19]
	v_add_f64 v[16:17], v[33:34], -v[16:17]
	v_add_f64 v[23:24], v[23:24], -v[29:30]
	v_ldexp_f64 v[29:30], v[33:34], -2
	v_add_f64 v[37:38], v[27:28], -v[31:32]
	v_add_f64 v[16:17], v[25:26], -v[16:17]
	v_add_f64 v[20:21], v[20:21], v[23:24]
	v_fract_f64_e32 v[23:24], v[29:30]
	v_cmp_neq_f64_e64 vcc, |v[29:30]|, s[4:5]
	v_add_f64 v[18:19], v[18:19], -v[37:38]
	v_add_f64 v[25:26], v[27:28], v[20:21]
	v_ldexp_f64 v[23:24], v[23:24], 2
	v_add_f64 v[29:30], v[16:17], v[25:26]
	v_cndmask_b32_e32 v24, 0, v24, vcc
	v_cndmask_b32_e32 v23, 0, v23, vcc
	v_add_f64 v[48:49], v[25:26], -v[27:28]
	v_add_f64 v[33:34], v[29:30], v[23:24]
	v_add_f64 v[14:15], v[29:30], -v[16:17]
	v_add_f64 v[50:51], v[25:26], -v[48:49]
	v_add_f64 v[20:21], v[20:21], -v[48:49]
	v_cmp_gt_f64_e32 vcc, 0, v[33:34]
	v_add_f64 v[33:34], v[27:28], -v[37:38]
	v_add_f64 v[14:15], v[25:26], -v[14:15]
	;; [unrolled: 1-line block ×3, first 2 shown]
	v_cndmask_b32_e32 v36, 0, v36, vcc
	v_add_f64 v[23:24], v[23:24], v[35:36]
	v_add_f64 v[33:34], v[31:32], -v[33:34]
	v_add_f64 v[20:21], v[20:21], v[27:28]
	v_add_f64 v[52:53], v[29:30], v[23:24]
	;; [unrolled: 1-line block ×3, first 2 shown]
	v_cvt_i32_f64_e32 v38, v[52:53]
	v_add_f64 v[16:17], v[18:19], v[20:21]
	v_cvt_f64_i32_e32 v[36:37], v38
	v_add_f64 v[23:24], v[23:24], -v[36:37]
	v_add_f64 v[12:13], v[12:13], v[16:17]
	v_add_f64 v[18:19], v[29:30], v[23:24]
	;; [unrolled: 1-line block ×3, first 2 shown]
	v_add_f64 v[16:17], v[18:19], -v[23:24]
	v_cmp_le_f64_e32 vcc, 0.5, v[18:19]
	v_add_f64 v[14:15], v[29:30], -v[16:17]
	v_mov_b32_e32 v16, 0x3ff00000
	v_cndmask_b32_e32 v36, 0, v16, vcc
	v_addc_co_u32_e64 v23, s[4:5], 0, v38, vcc
	s_mov_b32 s4, 0x54442d18
	s_mov_b32 s5, 0x3ff921fb
	v_add_f64 v[12:13], v[12:13], v[14:15]
	v_add_f64 v[14:15], v[18:19], -v[35:36]
	v_add_f64 v[16:17], v[14:15], v[12:13]
	v_mul_f64 v[18:19], v[16:17], s[4:5]
	v_add_f64 v[14:15], v[16:17], -v[14:15]
	v_fma_f64 v[20:21], v[16:17], s[4:5], -v[18:19]
	v_add_f64 v[12:13], v[12:13], -v[14:15]
	v_fma_f64 v[14:15], v[16:17], s[8:9], v[20:21]
	v_fma_f64 v[14:15], v[12:13], s[4:5], v[14:15]
	v_add_f64 v[12:13], v[18:19], v[14:15]
	v_add_f64 v[16:17], v[12:13], -v[18:19]
	v_add_f64 v[16:17], v[14:15], -v[16:17]
	s_andn2_saveexec_b64 s[4:5], s[6:7]
	s_cbranch_execnz .LBB179_13
	s_branch .LBB179_14
.LBB179_12:
	s_andn2_saveexec_b64 s[4:5], s[6:7]
	s_cbranch_execz .LBB179_14
.LBB179_13:
	s_mov_b32 s6, 0x6dc9c883
	s_mov_b32 s7, 0x3fe45f30
	v_mul_f64 v[12:13], |v[0:1]|, s[6:7]
	s_mov_b32 s6, 0x54442d18
	s_mov_b32 s7, 0xbff921fb
	;; [unrolled: 1-line block ×4, first 2 shown]
	v_rndne_f64_e32 v[14:15], v[12:13]
	v_fma_f64 v[12:13], v[14:15], s[6:7], |v[0:1]|
	v_mul_f64 v[16:17], v[14:15], s[8:9]
	s_mov_b32 s6, 0x252049c0
	s_mov_b32 s7, 0xb97b839a
	v_fma_f64 v[23:24], v[14:15], s[8:9], v[12:13]
	v_add_f64 v[18:19], v[12:13], v[16:17]
	s_mov_b32 s9, 0x3c91a626
	v_add_f64 v[20:21], v[12:13], -v[18:19]
	v_add_f64 v[18:19], v[18:19], -v[23:24]
	v_add_f64 v[12:13], v[20:21], v[16:17]
	v_fma_f64 v[16:17], v[14:15], s[8:9], v[16:17]
	v_add_f64 v[12:13], v[18:19], v[12:13]
	v_add_f64 v[12:13], v[12:13], -v[16:17]
	v_fma_f64 v[16:17], v[14:15], s[6:7], v[12:13]
	v_add_f64 v[12:13], v[23:24], v[16:17]
	v_add_f64 v[18:19], v[12:13], -v[23:24]
	v_cvt_i32_f64_e32 v23, v[14:15]
	v_add_f64 v[16:17], v[16:17], -v[18:19]
.LBB179_14:
	s_or_b64 exec, exec, s[4:5]
	v_add_f64 v[10:11], v[10:11], -v[4:5]
	s_mov_b32 s4, 0x652b82fe
	s_mov_b32 s5, 0x3ff71547
	;; [unrolled: 1-line block ×6, first 2 shown]
	v_mov_b32_e32 v20, 0xfca7ab0c
	v_mul_f64 v[14:15], v[10:11], s[4:5]
	s_mov_b32 s4, 0x6a5dcb37
	v_mov_b32_e32 v21, 0x3e928af3
	s_mov_b32 s5, 0x3e5ade15
	s_mov_b32 s8, 0x623fde64
	s_mov_b32 s9, 0x3ec71dee
	s_mov_b32 s20, 0xb42fdfa7
	s_mov_b32 s6, 0x7c89e6b0
	v_rndne_f64_e32 v[14:15], v[14:15]
	s_mov_b32 s21, 0xbe5ae600
	s_mov_b32 s7, 0x3efa0199
	;; [unrolled: 1-line block ×3, first 2 shown]
	v_mov_b32_e32 v31, s21
	s_mov_b32 s11, 0x3de5e0b2
	v_mov_b32_e32 v30, s20
	v_mul_f64 v[28:29], v[12:13], v[12:13]
	v_fma_f64 v[18:19], v[14:15], s[18:19], v[10:11]
	s_mov_b32 s20, 0x796cde01
	s_mov_b32 s21, 0x3ec71de3
	v_mul_f64 v[50:51], v[8:9], 0.5
	s_mov_b32 s22, 0
	s_mov_b32 s23, 0x40900000
	v_and_b32_e32 v54, 1, v22
	v_mul_f64 v[36:37], v[28:29], 0.5
	v_fma_f64 v[18:19], v[14:15], s[16:17], v[18:19]
	v_lshlrev_b32_e32 v22, 30, v22
	v_cmp_eq_u32_e32 vcc, 0, v54
	v_and_b32_e32 v22, 0x80000000, v22
	v_add_f64 v[48:49], -v[36:37], 1.0
	v_fma_f64 v[24:25], v[18:19], s[4:5], v[20:21]
	v_mul_f64 v[20:21], v[2:3], v[2:3]
	s_mov_b32 s4, 0x14761f6e
	s_mov_b32 s5, 0x3f2a01a0
	v_fma_f64 v[24:25], v[18:19], v[24:25], s[8:9]
	v_mul_f64 v[26:27], v[20:21], 0.5
	v_fma_f64 v[32:33], v[20:21], s[10:11], v[30:31]
	v_fma_f64 v[30:31], v[28:29], s[10:11], v[30:31]
	s_mov_b32 s8, 0x1852b7b0
	s_mov_b32 s9, 0x3f56c16c
	v_mul_f64 v[52:53], v[2:3], -v[20:21]
	s_mov_b32 s10, 0x19f4ec90
	v_fma_f64 v[24:25], v[18:19], v[24:25], s[6:7]
	v_add_f64 v[34:35], -v[26:27], 1.0
	v_fma_f64 v[32:33], v[20:21], v[32:33], s[20:21]
	v_fma_f64 v[30:31], v[28:29], v[30:31], s[20:21]
	s_mov_b32 s7, 0x3f811111
	s_mov_b32 s6, 0x11122322
	;; [unrolled: 1-line block ×4, first 2 shown]
	v_fma_f64 v[24:25], v[18:19], v[24:25], s[4:5]
	s_mov_b32 s4, 0x19e83e5c
	s_mov_b32 s5, 0xbf2a01a0
	v_add_f64 v[38:39], -v[34:35], 1.0
	v_fma_f64 v[32:33], v[20:21], v[32:33], s[4:5]
	v_fma_f64 v[30:31], v[28:29], v[30:31], s[4:5]
	s_mov_b32 s4, 0x9037ab78
	s_mov_b32 s5, 0x3e21eeb6
	v_fma_f64 v[24:25], v[18:19], v[24:25], s[8:9]
	s_mov_b32 s11, 0x3efa01a0
	s_mov_b32 s8, 11
	v_add_f64 v[26:27], v[38:39], -v[26:27]
	v_add_f64 v[38:39], -v[48:49], 1.0
	s_mov_b32 s9, 0x3fe00000
	v_fma_f64 v[24:25], v[18:19], v[24:25], s[6:7]
	s_mov_b32 s6, 0x11110bb3
	v_fma_f64 v[32:33], v[20:21], v[32:33], s[6:7]
	v_fma_f64 v[30:31], v[28:29], v[30:31], s[6:7]
	v_add_f64 v[36:37], v[38:39], -v[36:37]
	v_mul_f64 v[38:39], v[16:17], 0.5
	s_mov_b32 s6, 0x46cc5e42
	s_mov_b32 s7, 0xbda907db
	v_fma_f64 v[26:27], v[2:3], -v[8:9], v[26:27]
	v_fma_f64 v[24:25], v[18:19], v[24:25], s[20:21]
	v_fma_f64 v[32:33], v[52:53], v[32:33], v[50:51]
	v_mul_f64 v[50:51], v[12:13], -v[28:29]
	s_mov_b32 s20, 0x55555555
	v_fma_f64 v[36:37], v[12:13], -v[16:17], v[36:37]
	v_fma_f64 v[8:9], v[20:21], v[32:33], -v[8:9]
	v_fma_f64 v[30:31], v[50:51], v[30:31], v[38:39]
	v_mov_b32_e32 v39, s5
	v_mov_b32_e32 v38, s4
	v_fma_f64 v[32:33], v[20:21], s[6:7], v[38:39]
	v_fma_f64 v[38:39], v[28:29], s[6:7], v[38:39]
	s_mov_b32 s4, 0xa17f65f6
	s_mov_b32 s5, 0xbe927e4f
	;; [unrolled: 1-line block ×4, first 2 shown]
	v_fma_f64 v[24:25], v[18:19], v[24:25], s[6:7]
	v_fma_f64 v[30:31], v[28:29], v[30:31], -v[16:17]
	v_fma_f64 v[32:33], v[20:21], v[32:33], s[4:5]
	v_fma_f64 v[38:39], v[28:29], v[38:39], s[4:5]
	s_mov_b32 s4, 0x16c16967
	s_mov_b32 s5, 0xbf56c16c
	s_movk_i32 s6, 0x1f8
	v_mov_b32_e32 v16, 0x7ff80000
	v_fma_f64 v[24:25], v[18:19], v[24:25], s[8:9]
	v_mov_b32_e32 v17, 0x7ff00000
	v_fma_f64 v[32:33], v[20:21], v[32:33], s[10:11]
	v_fma_f64 v[38:39], v[28:29], v[38:39], s[10:11]
	s_mov_b32 s10, 0
	s_mov_b32 s11, 0xc090cc00
	v_cmp_ngt_f64_e64 s[8:9], s[10:11], v[10:11]
	v_fma_f64 v[24:25], v[18:19], v[24:25], 1.0
	v_fma_f64 v[32:33], v[20:21], v[32:33], s[4:5]
	v_fma_f64 v[38:39], v[28:29], v[38:39], s[4:5]
	s_mov_b32 s5, 0xbfc55555
	s_mov_b32 s4, s20
	v_fma_f64 v[8:9], v[52:53], s[4:5], v[8:9]
	v_fma_f64 v[32:33], v[20:21], v[32:33], s[20:21]
	v_mul_f64 v[20:21], v[20:21], v[20:21]
	v_fma_f64 v[38:39], v[28:29], v[38:39], s[20:21]
	v_mul_f64 v[28:29], v[28:29], v[28:29]
	v_add_f64 v[2:3], v[2:3], -v[8:9]
	v_fma_f64 v[20:21], v[20:21], v[32:33], v[26:27]
	v_cvt_i32_f64_e32 v26, v[14:15]
	v_fma_f64 v[14:15], v[18:19], v[24:25], 1.0
	v_fma_f64 v[18:19], v[28:29], v[38:39], v[36:37]
	v_fma_f64 v[24:25], v[50:51], s[4:5], v[30:31]
	v_cmp_class_f64_e64 s[4:5], v[0:1], s6
	v_cmp_nlt_f64_e64 s[6:7], s[22:23], v[10:11]
	v_xor_b32_e32 v0, 0x80000000, v3
	v_add_f64 v[20:21], v[34:35], v[20:21]
	v_and_b32_e32 v27, 1, v23
	v_ldexp_f64 v[8:9], v[14:15], v26
	v_add_f64 v[14:15], v[48:49], v[18:19]
	v_add_f64 v[12:13], v[12:13], -v[24:25]
	v_lshlrev_b32_e32 v23, 30, v23
	v_cmp_eq_u32_e64 s[10:11], 0, v27
	s_movk_i32 s22, 0x204
	v_cndmask_b32_e32 v0, v0, v21, vcc
	v_xor_b32_e32 v0, v0, v22
	v_cndmask_b32_e64 v3, v16, v0, s[4:5]
	v_xor_b32_e32 v0, v23, v1
	v_cndmask_b32_e64 v13, v15, v13, s[10:11]
	v_and_b32_e32 v0, 0x80000000, v0
	v_cndmask_b32_e32 v2, v2, v20, vcc
	v_cndmask_b32_e64 v9, v17, v9, s[6:7]
	v_cndmask_b32_e64 v12, v14, v12, s[10:11]
	s_and_b64 vcc, s[8:9], s[6:7]
	v_xor_b32_e32 v1, v13, v0
	v_cndmask_b32_e64 v2, 0, v2, s[4:5]
	v_cndmask_b32_e64 v9, 0, v9, s[8:9]
	v_cndmask_b32_e32 v8, 0, v8, vcc
	v_cndmask_b32_e64 v0, 0, v12, s[4:5]
	v_cndmask_b32_e64 v1, v16, v1, s[4:5]
	v_mul_f64 v[10:11], v[8:9], v[2:3]
	v_mul_f64 v[0:1], v[8:9], v[0:1]
	v_fma_f64 v[2:3], v[8:9], v[2:3], 1.0
	v_cmp_class_f64_e64 s[24:25], v[10:11], s22
	v_max_f64 v[12:13], |v[10:11]|, |v[0:1]|
	v_cmp_class_f64_e64 s[8:9], v[0:1], s22
	v_cmp_u_f64_e64 s[4:5], v[2:3], v[0:1]
	v_cmp_class_f64_e64 s[10:11], v[2:3], s22
	v_frexp_exp_i32_f64_e32 v22, v[12:13]
	s_or_b64 s[24:25], s[24:25], s[8:9]
	v_sub_u32_e32 v14, 0, v22
	v_ldexp_f64 v[12:13], |v[0:1]|, v14
	v_ldexp_f64 v[14:15], |v[10:11]|, v14
	v_mul_f64 v[12:13], v[12:13], v[12:13]
	v_fma_f64 v[12:13], v[14:15], v[14:15], v[12:13]
	v_rsq_f64_e32 v[14:15], v[12:13]
	v_cmp_eq_f64_e32 vcc, 0, v[12:13]
	v_mul_f64 v[18:19], v[12:13], v[14:15]
	v_mul_f64 v[14:15], v[14:15], 0.5
	v_fma_f64 v[20:21], -v[14:15], v[18:19], 0.5
	v_fma_f64 v[18:19], v[18:19], v[20:21], v[18:19]
	v_fma_f64 v[14:15], v[14:15], v[20:21], v[14:15]
	v_fma_f64 v[20:21], -v[18:19], v[18:19], v[12:13]
	v_fma_f64 v[14:15], v[20:21], v[14:15], v[18:19]
	v_cndmask_b32_e32 v9, v15, v13, vcc
	v_cndmask_b32_e32 v8, v14, v12, vcc
	v_ldexp_f64 v[12:13], v[8:9], v22
	v_cmp_u_f64_e32 vcc, v[10:11], v[0:1]
	v_max_f64 v[8:9], |v[2:3]|, |v[0:1]|
	v_cmp_ngt_f64_e64 s[6:7], 0.5, v[12:13]
	s_or_b64 s[24:25], s[24:25], vcc
	s_or_b64 s[6:7], s[24:25], s[6:7]
	s_and_saveexec_b64 s[24:25], s[6:7]
	s_xor_b64 s[6:7], exec, s[24:25]
	s_cbranch_execz .LBB179_16
; %bb.15:
	v_frexp_exp_i32_f64_e32 v20, v[8:9]
	s_mov_b32 s21, 0x3fe55555
	s_mov_b32 s19, 0x3fe62e42
	;; [unrolled: 1-line block ×3, first 2 shown]
	v_sub_u32_e32 v12, 0, v20
	v_ldexp_f64 v[10:11], |v[0:1]|, v12
	v_ldexp_f64 v[12:13], |v[2:3]|, v12
	v_mul_f64 v[10:11], v[10:11], v[10:11]
	v_fma_f64 v[10:11], v[12:13], v[12:13], v[10:11]
	v_rsq_f64_e32 v[12:13], v[10:11]
	v_cmp_eq_f64_e32 vcc, 0, v[10:11]
	v_mul_f64 v[14:15], v[10:11], v[12:13]
	v_mul_f64 v[12:13], v[12:13], 0.5
	v_fma_f64 v[18:19], -v[12:13], v[14:15], 0.5
	v_fma_f64 v[14:15], v[14:15], v[18:19], v[14:15]
	v_fma_f64 v[12:13], v[12:13], v[18:19], v[12:13]
	v_fma_f64 v[18:19], -v[14:15], v[14:15], v[10:11]
	v_fma_f64 v[12:13], v[18:19], v[12:13], v[14:15]
	v_mov_b32_e32 v15, 0xfff00000
	v_cndmask_b32_e32 v11, v13, v11, vcc
	v_cndmask_b32_e32 v10, v12, v10, vcc
	v_ldexp_f64 v[10:11], v[10:11], v20
	s_or_b64 vcc, s[10:11], s[8:9]
	s_or_b64 s[24:25], vcc, s[4:5]
	v_cndmask_b32_e64 v11, v11, v16, s[4:5]
	v_cndmask_b32_e32 v12, v11, v17, vcc
	v_cndmask_b32_e64 v11, v10, 0, s[24:25]
	v_frexp_mant_f64_e32 v[13:14], v[11:12]
	s_mov_b32 s24, 0xbf559e2b
	s_mov_b32 s25, 0x3fc3ab76
	v_cmp_gt_f64_e32 vcc, s[20:21], v[13:14]
	s_mov_b32 s20, 0x55555780
	v_cndmask_b32_e64 v10, 0, 1, vcc
	v_ldexp_f64 v[13:14], v[13:14], v10
	v_frexp_exp_i32_f64_e32 v10, v[11:12]
	v_add_f64 v[17:18], v[13:14], 1.0
	v_add_f64 v[23:24], v[13:14], -1.0
	v_subbrev_co_u32_e32 v10, vcc, 0, v10, vcc
	v_cmp_class_f64_e64 vcc, v[11:12], s22
	v_rcp_f64_e32 v[19:20], v[17:18]
	v_add_f64 v[25:26], v[17:18], -1.0
	v_add_f64 v[13:14], v[13:14], -v[25:26]
	v_fma_f64 v[21:22], -v[17:18], v[19:20], 1.0
	v_fma_f64 v[19:20], v[21:22], v[19:20], v[19:20]
	v_fma_f64 v[21:22], -v[17:18], v[19:20], 1.0
	v_fma_f64 v[19:20], v[21:22], v[19:20], v[19:20]
	v_mul_f64 v[21:22], v[23:24], v[19:20]
	v_mul_f64 v[27:28], v[17:18], v[21:22]
	v_fma_f64 v[17:18], v[21:22], v[17:18], -v[27:28]
	v_fma_f64 v[13:14], v[21:22], v[13:14], v[17:18]
	v_add_f64 v[17:18], v[27:28], v[13:14]
	v_add_f64 v[25:26], v[23:24], -v[17:18]
	v_add_f64 v[27:28], v[17:18], -v[27:28]
	;; [unrolled: 1-line block ×5, first 2 shown]
	v_mov_b32_e32 v23, 0x6b47b09a
	v_mov_b32_e32 v24, 0x3fc38538
	v_add_f64 v[13:14], v[13:14], v[17:18]
	v_add_f64 v[13:14], v[25:26], v[13:14]
	v_mul_f64 v[13:14], v[19:20], v[13:14]
	v_add_f64 v[17:18], v[21:22], v[13:14]
	v_mul_f64 v[19:20], v[17:18], v[17:18]
	v_fma_f64 v[23:24], v[19:20], s[24:25], v[23:24]
	s_mov_b32 s24, 0xd7f4df2e
	s_mov_b32 s25, 0x3fc7474d
	v_mul_f64 v[25:26], v[17:18], v[19:20]
	v_fma_f64 v[23:24], v[19:20], v[23:24], s[24:25]
	s_mov_b32 s24, 0x16291751
	s_mov_b32 s25, 0x3fcc71c0
	v_fma_f64 v[23:24], v[19:20], v[23:24], s[24:25]
	s_mov_b32 s24, 0x9b27acf1
	s_mov_b32 s25, 0x3fd24924
	;; [unrolled: 3-line block ×3, first 2 shown]
	v_fma_f64 v[23:24], v[19:20], v[23:24], s[24:25]
	v_fma_f64 v[19:20], v[19:20], v[23:24], s[20:21]
	v_ldexp_f64 v[23:24], v[17:18], 1
	v_add_f64 v[17:18], v[17:18], -v[21:22]
	v_mul_f64 v[19:20], v[25:26], v[19:20]
	v_cvt_f64_i32_e32 v[25:26], v10
	v_add_f64 v[13:14], v[13:14], -v[17:18]
	v_mul_f64 v[27:28], v[25:26], s[18:19]
	v_add_f64 v[21:22], v[23:24], v[19:20]
	v_ldexp_f64 v[13:14], v[13:14], 1
	v_add_f64 v[17:18], v[21:22], -v[23:24]
	v_fma_f64 v[23:24], v[25:26], s[18:19], -v[27:28]
	v_add_f64 v[17:18], v[19:20], -v[17:18]
	v_fma_f64 v[19:20], v[25:26], s[16:17], v[23:24]
	v_add_f64 v[13:14], v[13:14], v[17:18]
	v_add_f64 v[17:18], v[27:28], v[19:20]
	;; [unrolled: 1-line block ×3, first 2 shown]
	v_add_f64 v[27:28], v[17:18], -v[27:28]
	v_add_f64 v[25:26], v[17:18], v[23:24]
	v_add_f64 v[21:22], v[23:24], -v[21:22]
	v_add_f64 v[19:20], v[19:20], -v[27:28]
	;; [unrolled: 1-line block ×6, first 2 shown]
	v_add_f64 v[23:24], v[19:20], v[13:14]
	v_add_f64 v[17:18], v[17:18], -v[31:32]
	v_add_f64 v[17:18], v[21:22], v[17:18]
	v_add_f64 v[21:22], v[23:24], -v[19:20]
	;; [unrolled: 2-line block ×3, first 2 shown]
	v_add_f64 v[13:14], v[13:14], -v[21:22]
	v_add_f64 v[27:28], v[25:26], v[17:18]
	v_add_f64 v[19:20], v[19:20], -v[23:24]
	v_add_f64 v[21:22], v[27:28], -v[25:26]
	v_add_f64 v[13:14], v[13:14], v[19:20]
	v_add_f64 v[17:18], v[17:18], -v[21:22]
	v_add_f64 v[13:14], v[13:14], v[17:18]
	v_add_f64 v[13:14], v[27:28], v[13:14]
	v_cndmask_b32_e32 v10, v13, v11, vcc
	v_cndmask_b32_e32 v13, v14, v12, vcc
	v_cmp_ngt_f64_e32 vcc, 0, v[11:12]
	v_cndmask_b32_e32 v13, v16, v13, vcc
	v_cmp_nge_f64_e32 vcc, 0, v[11:12]
	v_cndmask_b32_e32 v10, 0, v10, vcc
	v_cmp_neq_f64_e32 vcc, 0, v[11:12]
	v_cndmask_b32_e32 v11, v15, v13, vcc
.LBB179_16:
	s_andn2_saveexec_b64 s[16:17], s[6:7]
	s_cbranch_execz .LBB179_20
; %bb.17:
	v_add_f64 v[12:13], v[10:11], 2.0
	v_mul_f64 v[14:15], v[0:1], v[0:1]
	v_fma_f64 v[12:13], v[10:11], v[12:13], v[14:15]
	v_cmp_neq_f64_e32 vcc, 0, v[12:13]
	s_and_saveexec_b64 s[18:19], vcc
	s_cbranch_execz .LBB179_19
; %bb.18:
	v_add_f64 v[14:15], v[12:13], 1.0
	s_mov_b32 s7, 0x3fe55555
	s_mov_b32 s6, 0x55555555
	;; [unrolled: 1-line block ×4, first 2 shown]
	v_frexp_mant_f64_e32 v[10:11], v[14:15]
	v_frexp_exp_i32_f64_e32 v20, v[14:15]
	v_add_f64 v[16:17], v[14:15], -1.0
	v_cmp_gt_f64_e32 vcc, s[6:7], v[10:11]
	s_mov_b32 s6, 0x55555780
	v_add_f64 v[18:19], v[16:17], -v[14:15]
	v_add_f64 v[16:17], v[12:13], -v[16:17]
	v_subbrev_co_u32_e32 v10, vcc, 0, v20, vcc
	v_sub_u32_e32 v11, 0, v10
	v_ldexp_f64 v[14:15], v[14:15], v11
	v_add_f64 v[18:19], v[18:19], 1.0
	v_cmp_nge_f64_e32 vcc, -1.0, v[12:13]
	v_add_f64 v[20:21], v[14:15], 1.0
	v_add_f64 v[16:17], v[16:17], v[18:19]
	v_add_f64 v[26:27], v[14:15], -1.0
	v_add_f64 v[18:19], v[20:21], -1.0
	v_ldexp_f64 v[16:17], v[16:17], v11
	v_add_f64 v[28:29], v[26:27], 1.0
	v_cvt_f64_i32_e32 v[10:11], v10
	v_add_f64 v[18:19], v[14:15], -v[18:19]
	v_add_f64 v[14:15], v[14:15], -v[28:29]
	v_add_f64 v[18:19], v[16:17], v[18:19]
	v_add_f64 v[14:15], v[16:17], v[14:15]
	;; [unrolled: 1-line block ×4, first 2 shown]
	v_rcp_f64_e32 v[24:25], v[22:23]
	v_add_f64 v[20:21], v[22:23], -v[20:21]
	v_add_f64 v[26:27], v[28:29], -v[26:27]
	;; [unrolled: 1-line block ×4, first 2 shown]
	v_fma_f64 v[30:31], -v[22:23], v[24:25], 1.0
	v_fma_f64 v[24:25], v[30:31], v[24:25], v[24:25]
	v_fma_f64 v[16:17], -v[22:23], v[24:25], 1.0
	v_fma_f64 v[16:17], v[16:17], v[24:25], v[24:25]
	v_mul_f64 v[24:25], v[28:29], v[16:17]
	v_mul_f64 v[30:31], v[22:23], v[24:25]
	v_fma_f64 v[20:21], v[24:25], v[22:23], -v[30:31]
	v_fma_f64 v[20:21], v[24:25], v[18:19], v[20:21]
	v_add_f64 v[32:33], v[30:31], v[20:21]
	v_add_f64 v[34:35], v[28:29], -v[32:33]
	v_add_f64 v[26:27], v[32:33], -v[30:31]
	;; [unrolled: 1-line block ×5, first 2 shown]
	v_add_f64 v[14:15], v[14:15], v[28:29]
	v_add_f64 v[14:15], v[20:21], v[14:15]
	;; [unrolled: 1-line block ×3, first 2 shown]
	v_mul_f64 v[26:27], v[16:17], v[20:21]
	v_add_f64 v[32:33], v[34:35], -v[20:21]
	v_mul_f64 v[28:29], v[22:23], v[26:27]
	v_add_f64 v[14:15], v[14:15], v[32:33]
	v_fma_f64 v[22:23], v[26:27], v[22:23], -v[28:29]
	v_fma_f64 v[18:19], v[26:27], v[18:19], v[22:23]
	v_add_f64 v[22:23], v[28:29], v[18:19]
	v_add_f64 v[30:31], v[20:21], -v[22:23]
	v_add_f64 v[28:29], v[22:23], -v[28:29]
	;; [unrolled: 1-line block ×5, first 2 shown]
	v_mov_b32_e32 v22, 0x6b47b09a
	v_mov_b32_e32 v23, 0x3fc38538
	v_add_f64 v[14:15], v[14:15], v[20:21]
	v_add_f64 v[20:21], v[24:25], v[26:27]
	;; [unrolled: 1-line block ×3, first 2 shown]
	v_add_f64 v[18:19], v[20:21], -v[24:25]
	v_add_f64 v[14:15], v[30:31], v[14:15]
	v_add_f64 v[18:19], v[26:27], -v[18:19]
	v_mul_f64 v[14:15], v[16:17], v[14:15]
	v_add_f64 v[14:15], v[18:19], v[14:15]
	v_add_f64 v[16:17], v[20:21], v[14:15]
	v_mul_f64 v[18:19], v[16:17], v[16:17]
	v_fma_f64 v[22:23], v[18:19], s[20:21], v[22:23]
	s_mov_b32 s20, 0xd7f4df2e
	s_mov_b32 s21, 0x3fc7474d
	v_mul_f64 v[24:25], v[16:17], v[18:19]
	v_fma_f64 v[22:23], v[18:19], v[22:23], s[20:21]
	s_mov_b32 s20, 0x16291751
	s_mov_b32 s21, 0x3fcc71c0
	v_fma_f64 v[22:23], v[18:19], v[22:23], s[20:21]
	s_mov_b32 s20, 0x9b27acf1
	s_mov_b32 s21, 0x3fd24924
	;; [unrolled: 3-line block ×3, first 2 shown]
	v_fma_f64 v[22:23], v[18:19], v[22:23], s[20:21]
	v_fma_f64 v[18:19], v[18:19], v[22:23], s[6:7]
	v_ldexp_f64 v[22:23], v[16:17], 1
	v_add_f64 v[16:17], v[16:17], -v[20:21]
	s_mov_b32 s6, 0xfefa39ef
	s_mov_b32 s7, 0x3fe62e42
	v_mul_f64 v[18:19], v[24:25], v[18:19]
	v_mul_f64 v[24:25], v[10:11], s[6:7]
	v_add_f64 v[14:15], v[14:15], -v[16:17]
	v_add_f64 v[20:21], v[22:23], v[18:19]
	v_ldexp_f64 v[14:15], v[14:15], 1
	v_add_f64 v[16:17], v[20:21], -v[22:23]
	v_fma_f64 v[22:23], v[10:11], s[6:7], -v[24:25]
	s_mov_b32 s6, 0x3b39803f
	s_mov_b32 s7, 0x3c7abc9e
	v_add_f64 v[16:17], v[18:19], -v[16:17]
	v_fma_f64 v[10:11], v[10:11], s[6:7], v[22:23]
	s_mov_b32 s6, 0
	s_mov_b32 s7, 0x7ff00000
	v_cmp_neq_f64_e64 s[6:7], s[6:7], v[12:13]
	v_add_f64 v[14:15], v[14:15], v[16:17]
	v_add_f64 v[16:17], v[24:25], v[10:11]
	s_and_b64 vcc, vcc, s[6:7]
	v_add_f64 v[18:19], v[20:21], v[14:15]
	v_add_f64 v[24:25], v[16:17], -v[24:25]
	v_add_f64 v[22:23], v[16:17], v[18:19]
	v_add_f64 v[20:21], v[18:19], -v[20:21]
	v_add_f64 v[10:11], v[10:11], -v[24:25]
	;; [unrolled: 1-line block ×6, first 2 shown]
	v_add_f64 v[20:21], v[10:11], v[14:15]
	v_add_f64 v[16:17], v[16:17], -v[28:29]
	v_add_f64 v[16:17], v[18:19], v[16:17]
	v_add_f64 v[18:19], v[20:21], -v[10:11]
	;; [unrolled: 2-line block ×3, first 2 shown]
	v_add_f64 v[14:15], v[14:15], -v[18:19]
	v_add_f64 v[24:25], v[22:23], v[16:17]
	v_add_f64 v[10:11], v[10:11], -v[20:21]
	v_add_f64 v[18:19], v[24:25], -v[22:23]
	v_add_f64 v[10:11], v[14:15], v[10:11]
	v_add_f64 v[14:15], v[16:17], -v[18:19]
	v_mov_b32_e32 v16, 0xfff00000
	v_add_f64 v[10:11], v[10:11], v[14:15]
	v_mov_b32_e32 v14, 0x7ff00000
	v_mov_b32_e32 v15, 0x7ff80000
	v_add_f64 v[10:11], v[24:25], v[10:11]
	v_mul_f64 v[10:11], v[10:11], 0.5
	v_cndmask_b32_e32 v10, 0, v10, vcc
	v_cmp_ngt_f64_e32 vcc, -1.0, v[12:13]
	v_cndmask_b32_e64 v11, v14, v11, s[6:7]
	v_cndmask_b32_e32 v11, v15, v11, vcc
	v_cmp_neq_f64_e32 vcc, -1.0, v[12:13]
	v_cndmask_b32_e32 v11, v16, v11, vcc
.LBB179_19:
	s_or_b64 exec, exec, s[18:19]
.LBB179_20:
	s_or_b64 exec, exec, s[16:17]
	v_max_f64 v[12:13], |v[0:1]|, |v[0:1]|
	v_max_f64 v[14:15], |v[2:3]|, |v[2:3]|
	s_brev_b32 s16, -2
	v_add_f64 v[10:11], v[4:5], v[10:11]
	v_min_f64 v[12:13], v[14:15], v[12:13]
	v_div_scale_f64 v[14:15], s[6:7], v[8:9], v[8:9], v[12:13]
	s_mov_b32 s6, 0xb5e68a13
	s_mov_b32 s7, 0x3eeba404
	v_rcp_f64_e32 v[16:17], v[14:15]
	v_fma_f64 v[18:19], -v[14:15], v[16:17], 1.0
	v_fma_f64 v[16:17], v[16:17], v[18:19], v[16:17]
	v_div_scale_f64 v[18:19], vcc, v[12:13], v[8:9], v[12:13]
	v_fma_f64 v[20:21], -v[14:15], v[16:17], 1.0
	v_fma_f64 v[16:17], v[16:17], v[20:21], v[16:17]
	v_mul_f64 v[20:21], v[18:19], v[16:17]
	v_fma_f64 v[14:15], -v[14:15], v[20:21], v[18:19]
	v_div_fmas_f64 v[14:15], v[14:15], v[16:17], v[20:21]
	v_cmp_lt_f64_e64 vcc, |v[2:3]|, |v[0:1]|
	v_mov_b32_e32 v2, 0x54442d18
	v_ashrrev_i32_e32 v16, 31, v3
	v_div_fixup_f64 v[8:9], v[14:15], v[8:9], v[12:13]
	v_mov_b32_e32 v14, 0xbd3237f4
	v_mov_b32_e32 v15, 0xbf23e260
	v_mul_f64 v[12:13], v[8:9], v[8:9]
	v_fma_f64 v[14:15], v[12:13], s[6:7], v[14:15]
	s_mov_b32 s6, 0x69efb384
	s_mov_b32 s7, 0x3f4b2bb0
	v_fma_f64 v[14:15], v[12:13], v[14:15], s[6:7]
	s_mov_b32 s6, 0xaf56de9b
	s_mov_b32 s7, 0xbf67952d
	;; [unrolled: 3-line block ×19, first 2 shown]
	v_mul_f64 v[12:13], v[12:13], v[14:15]
	v_mov_b32_e32 v14, 0x7f3321d2
	v_mov_b32_e32 v15, 0x3fe921fb
	v_fma_f64 v[8:9], v[8:9], v[12:13], v[8:9]
	v_add_f64 v[12:13], -v[8:9], s[6:7]
	s_mov_b32 s7, 0x400921fb
	v_cndmask_b32_e32 v9, v9, v13, vcc
	v_cndmask_b32_e32 v8, v8, v12, vcc
	v_add_f64 v[12:13], -v[8:9], s[6:7]
	v_cmp_eq_f64_e64 s[6:7], 0, v[0:1]
	v_cmp_gt_i32_e32 vcc, 0, v3
	v_cndmask_b32_e32 v2, v2, v14, vcc
	v_and_b32_e32 v3, 0x54442d18, v16
	v_mov_b32_e32 v0, 0x4002d97c
	v_and_b32_e32 v14, 0x400921fb, v16
	v_cndmask_b32_e32 v0, v15, v0, vcc
	v_cndmask_b32_e32 v8, v8, v12, vcc
	;; [unrolled: 1-line block ×3, first 2 shown]
	v_cndmask_b32_e64 v3, v8, v3, s[6:7]
	v_cndmask_b32_e64 v8, v9, v14, s[6:7]
	s_and_b64 vcc, s[10:11], s[8:9]
	v_mov_b32_e32 v12, 0x7ff80000
	v_cndmask_b32_e32 v8, v8, v0, vcc
	v_cndmask_b32_e32 v0, v3, v2, vcc
	v_cndmask_b32_e64 v2, v8, v12, s[4:5]
	v_cndmask_b32_e64 v0, v0, 0, s[4:5]
	v_bfi_b32 v1, s16, v2, v1
	v_add_f64 v[8:9], v[6:7], v[0:1]
                                        ; implicit-def: $vgpr6_vgpr7
.LBB179_21:
	s_andn2_saveexec_b64 s[10:11], s[14:15]
	s_cbranch_execz .LBB179_47
; %bb.22:
	v_cmp_ngt_f64_e32 vcc, 0, v[10:11]
	s_and_saveexec_b64 s[14:15], vcc
	s_cbranch_execz .LBB179_46
; %bb.23:
	v_trig_preop_f64 v[16:17], |v[8:9]|, 0
	v_trig_preop_f64 v[14:15], |v[8:9]|, 1
	;; [unrolled: 1-line block ×3, first 2 shown]
	s_mov_b32 s4, 0
	s_mov_b32 s5, 0x41d00000
	v_cmp_nlt_f64_e64 s[6:7], |v[8:9]|, s[4:5]
                                        ; implicit-def: $vgpr26
                                        ; implicit-def: $vgpr0_vgpr1
                                        ; implicit-def: $vgpr2_vgpr3
	s_and_saveexec_b64 s[4:5], s[6:7]
	s_xor_b64 s[8:9], exec, s[4:5]
	s_cbranch_execz .LBB179_25
; %bb.24:
	s_mov_b32 s4, 0
	s_mov_b32 s5, 0x7b000000
	s_movk_i32 s16, 0xff80
	v_ldexp_f64 v[0:1], |v[8:9]|, s16
	v_cmp_ge_f64_e64 vcc, |v[8:9]|, s[4:5]
	v_and_b32_e32 v2, 0x7fffffff, v9
	s_mov_b32 s4, 0
	s_mov_b32 s5, 0x7ff00000
	v_mov_b32_e32 v31, 0x40100000
	v_mov_b32_e32 v30, 0
	s_mov_b32 s16, 0x33145c07
	s_mov_b32 s17, 0x3c91a626
	v_cndmask_b32_e32 v1, v2, v1, vcc
	v_cndmask_b32_e32 v0, v8, v0, vcc
	v_mul_f64 v[2:3], v[16:17], v[0:1]
	v_mul_f64 v[4:5], v[14:15], v[0:1]
	;; [unrolled: 1-line block ×3, first 2 shown]
	v_fma_f64 v[10:11], v[16:17], v[0:1], -v[2:3]
	v_fma_f64 v[26:27], v[14:15], v[0:1], -v[4:5]
	;; [unrolled: 1-line block ×3, first 2 shown]
	v_add_f64 v[18:19], v[4:5], v[10:11]
	v_add_f64 v[20:21], v[18:19], -v[4:5]
	v_add_f64 v[28:29], v[2:3], v[18:19]
	v_add_f64 v[22:23], v[18:19], -v[20:21]
	v_add_f64 v[10:11], v[10:11], -v[20:21]
	v_add_f64 v[20:21], v[24:25], v[26:27]
	v_add_f64 v[2:3], v[28:29], -v[2:3]
	v_add_f64 v[4:5], v[4:5], -v[22:23]
	v_ldexp_f64 v[22:23], v[28:29], -2
	v_add_f64 v[32:33], v[20:21], -v[24:25]
	v_add_f64 v[2:3], v[18:19], -v[2:3]
	v_add_f64 v[4:5], v[10:11], v[4:5]
	v_fract_f64_e32 v[10:11], v[22:23]
	v_cmp_neq_f64_e64 vcc, |v[22:23]|, s[4:5]
	v_add_f64 v[26:27], v[26:27], -v[32:33]
	v_add_f64 v[18:19], v[20:21], v[4:5]
	v_ldexp_f64 v[10:11], v[10:11], 2
	v_add_f64 v[22:23], v[2:3], v[18:19]
	v_cndmask_b32_e32 v11, 0, v11, vcc
	v_cndmask_b32_e32 v10, 0, v10, vcc
	v_add_f64 v[34:35], v[18:19], -v[20:21]
	v_add_f64 v[28:29], v[22:23], v[10:11]
	v_add_f64 v[2:3], v[22:23], -v[2:3]
	v_add_f64 v[36:37], v[18:19], -v[34:35]
	;; [unrolled: 1-line block ×3, first 2 shown]
	v_cmp_gt_f64_e32 vcc, 0, v[28:29]
	v_add_f64 v[28:29], v[20:21], -v[32:33]
	v_add_f64 v[2:3], v[18:19], -v[2:3]
	v_add_f64 v[20:21], v[20:21], -v[36:37]
	v_cndmask_b32_e32 v31, 0, v31, vcc
	v_add_f64 v[10:11], v[10:11], v[30:31]
	v_add_f64 v[28:29], v[24:25], -v[28:29]
	v_add_f64 v[4:5], v[4:5], v[20:21]
	v_add_f64 v[38:39], v[22:23], v[10:11]
	;; [unrolled: 1-line block ×3, first 2 shown]
	v_cvt_i32_f64_e32 v33, v[38:39]
	v_add_f64 v[4:5], v[26:27], v[4:5]
	v_cvt_f64_i32_e32 v[31:32], v33
	v_add_f64 v[10:11], v[10:11], -v[31:32]
	v_add_f64 v[0:1], v[0:1], v[4:5]
	v_add_f64 v[20:21], v[22:23], v[10:11]
	;; [unrolled: 1-line block ×3, first 2 shown]
	v_add_f64 v[4:5], v[20:21], -v[10:11]
	v_cmp_le_f64_e32 vcc, 0.5, v[20:21]
	v_add_f64 v[2:3], v[22:23], -v[4:5]
	v_mov_b32_e32 v4, 0x3ff00000
	v_cndmask_b32_e32 v31, 0, v4, vcc
	v_addc_co_u32_e64 v26, s[4:5], 0, v33, vcc
	s_mov_b32 s4, 0x54442d18
	s_mov_b32 s5, 0x3ff921fb
	v_add_f64 v[0:1], v[0:1], v[2:3]
	v_add_f64 v[2:3], v[20:21], -v[30:31]
	v_add_f64 v[4:5], v[2:3], v[0:1]
	v_mul_f64 v[10:11], v[4:5], s[4:5]
	v_add_f64 v[2:3], v[4:5], -v[2:3]
	v_fma_f64 v[18:19], v[4:5], s[4:5], -v[10:11]
	v_add_f64 v[0:1], v[0:1], -v[2:3]
	v_fma_f64 v[2:3], v[4:5], s[16:17], v[18:19]
	v_fma_f64 v[2:3], v[0:1], s[4:5], v[2:3]
	v_add_f64 v[0:1], v[10:11], v[2:3]
	v_add_f64 v[4:5], v[0:1], -v[10:11]
	v_add_f64 v[2:3], v[2:3], -v[4:5]
	s_andn2_saveexec_b64 s[4:5], s[8:9]
	s_cbranch_execz .LBB179_27
	s_branch .LBB179_26
.LBB179_25:
	s_andn2_saveexec_b64 s[4:5], s[8:9]
	s_cbranch_execz .LBB179_27
.LBB179_26:
	s_mov_b32 s8, 0x6dc9c883
	s_mov_b32 s9, 0x3fe45f30
	v_mul_f64 v[0:1], |v[8:9]|, s[8:9]
	s_mov_b32 s8, 0x54442d18
	s_mov_b32 s9, 0xbff921fb
	s_mov_b32 s17, 0xbc91a626
	s_mov_b32 s16, 0x33145c00
	v_rndne_f64_e32 v[4:5], v[0:1]
	v_fma_f64 v[0:1], v[4:5], s[8:9], |v[8:9]|
	v_mul_f64 v[2:3], v[4:5], s[16:17]
	s_mov_b32 s8, 0x252049c0
	s_mov_b32 s9, 0xb97b839a
	v_cvt_i32_f64_e32 v26, v[4:5]
	v_fma_f64 v[20:21], v[4:5], s[16:17], v[0:1]
	v_add_f64 v[10:11], v[0:1], v[2:3]
	s_mov_b32 s17, 0x3c91a626
	v_add_f64 v[18:19], v[0:1], -v[10:11]
	v_add_f64 v[10:11], v[10:11], -v[20:21]
	v_add_f64 v[0:1], v[18:19], v[2:3]
	v_fma_f64 v[2:3], v[4:5], s[16:17], v[2:3]
	v_add_f64 v[0:1], v[10:11], v[0:1]
	v_add_f64 v[0:1], v[0:1], -v[2:3]
	v_fma_f64 v[2:3], v[4:5], s[8:9], v[0:1]
	v_add_f64 v[0:1], v[20:21], v[2:3]
	v_add_f64 v[10:11], v[0:1], -v[20:21]
	v_add_f64 v[2:3], v[2:3], -v[10:11]
.LBB179_27:
	s_or_b64 exec, exec, s[4:5]
                                        ; implicit-def: $vgpr27
                                        ; implicit-def: $vgpr4_vgpr5
                                        ; implicit-def: $vgpr10_vgpr11
	s_and_saveexec_b64 s[4:5], s[6:7]
	s_xor_b64 s[6:7], exec, s[4:5]
	s_cbranch_execz .LBB179_29
; %bb.28:
	s_mov_b32 s4, 0
	s_mov_b32 s5, 0x7b000000
	s_movk_i32 s8, 0xff80
	v_ldexp_f64 v[4:5], |v[8:9]|, s8
	v_cmp_ge_f64_e64 vcc, |v[8:9]|, s[4:5]
	v_and_b32_e32 v10, 0x7fffffff, v9
	s_mov_b32 s4, 0
	s_mov_b32 s5, 0x7ff00000
	v_mov_b32_e32 v32, 0x40100000
	v_mov_b32_e32 v31, 0
	s_mov_b32 s8, 0x33145c07
	s_mov_b32 s9, 0x3c91a626
	v_cndmask_b32_e32 v5, v10, v5, vcc
	v_cndmask_b32_e32 v4, v8, v4, vcc
	v_mul_f64 v[10:11], v[16:17], v[4:5]
	v_mul_f64 v[18:19], v[14:15], v[4:5]
	;; [unrolled: 1-line block ×3, first 2 shown]
	v_fma_f64 v[16:17], v[16:17], v[4:5], -v[10:11]
	v_fma_f64 v[14:15], v[14:15], v[4:5], -v[18:19]
	;; [unrolled: 1-line block ×3, first 2 shown]
	v_add_f64 v[20:21], v[18:19], v[16:17]
	v_add_f64 v[22:23], v[20:21], -v[18:19]
	v_add_f64 v[29:30], v[10:11], v[20:21]
	v_add_f64 v[24:25], v[20:21], -v[22:23]
	v_add_f64 v[16:17], v[16:17], -v[22:23]
	v_add_f64 v[22:23], v[27:28], v[14:15]
	v_add_f64 v[10:11], v[29:30], -v[10:11]
	v_add_f64 v[18:19], v[18:19], -v[24:25]
	v_ldexp_f64 v[24:25], v[29:30], -2
	v_add_f64 v[33:34], v[22:23], -v[27:28]
	v_add_f64 v[10:11], v[20:21], -v[10:11]
	v_add_f64 v[16:17], v[16:17], v[18:19]
	v_fract_f64_e32 v[18:19], v[24:25]
	v_cmp_neq_f64_e64 vcc, |v[24:25]|, s[4:5]
	v_add_f64 v[14:15], v[14:15], -v[33:34]
	v_add_f64 v[20:21], v[22:23], v[16:17]
	v_ldexp_f64 v[18:19], v[18:19], 2
	v_add_f64 v[24:25], v[10:11], v[20:21]
	v_cndmask_b32_e32 v19, 0, v19, vcc
	v_cndmask_b32_e32 v18, 0, v18, vcc
	v_add_f64 v[35:36], v[20:21], -v[22:23]
	v_add_f64 v[29:30], v[24:25], v[18:19]
	v_add_f64 v[10:11], v[24:25], -v[10:11]
	v_add_f64 v[37:38], v[20:21], -v[35:36]
	;; [unrolled: 1-line block ×3, first 2 shown]
	v_cmp_gt_f64_e32 vcc, 0, v[29:30]
	v_add_f64 v[29:30], v[22:23], -v[33:34]
	v_add_f64 v[10:11], v[20:21], -v[10:11]
	v_add_f64 v[22:23], v[22:23], -v[37:38]
	v_cndmask_b32_e32 v32, 0, v32, vcc
	v_add_f64 v[18:19], v[18:19], v[31:32]
	v_add_f64 v[29:30], v[27:28], -v[29:30]
	v_add_f64 v[16:17], v[16:17], v[22:23]
	v_add_f64 v[48:49], v[24:25], v[18:19]
	;; [unrolled: 1-line block ×3, first 2 shown]
	v_cvt_i32_f64_e32 v34, v[48:49]
	v_add_f64 v[12:13], v[14:15], v[16:17]
	v_cvt_f64_i32_e32 v[32:33], v34
	v_add_f64 v[18:19], v[18:19], -v[32:33]
	v_add_f64 v[4:5], v[4:5], v[12:13]
	v_add_f64 v[14:15], v[24:25], v[18:19]
	;; [unrolled: 1-line block ×3, first 2 shown]
	v_add_f64 v[12:13], v[14:15], -v[18:19]
	v_cmp_le_f64_e32 vcc, 0.5, v[14:15]
	v_add_f64 v[10:11], v[24:25], -v[12:13]
	v_mov_b32_e32 v12, 0x3ff00000
	v_cndmask_b32_e32 v32, 0, v12, vcc
	v_addc_co_u32_e64 v27, s[4:5], 0, v34, vcc
	s_mov_b32 s4, 0x54442d18
	s_mov_b32 s5, 0x3ff921fb
	v_add_f64 v[4:5], v[4:5], v[10:11]
	v_add_f64 v[10:11], v[14:15], -v[31:32]
	v_add_f64 v[12:13], v[10:11], v[4:5]
	v_mul_f64 v[14:15], v[12:13], s[4:5]
	v_add_f64 v[10:11], v[12:13], -v[10:11]
	v_fma_f64 v[16:17], v[12:13], s[4:5], -v[14:15]
	v_add_f64 v[4:5], v[4:5], -v[10:11]
	v_fma_f64 v[10:11], v[12:13], s[8:9], v[16:17]
	v_fma_f64 v[10:11], v[4:5], s[4:5], v[10:11]
	v_add_f64 v[4:5], v[14:15], v[10:11]
	v_add_f64 v[12:13], v[4:5], -v[14:15]
	v_add_f64 v[10:11], v[10:11], -v[12:13]
	s_andn2_saveexec_b64 s[4:5], s[6:7]
	s_cbranch_execnz .LBB179_30
	s_branch .LBB179_31
.LBB179_29:
	s_andn2_saveexec_b64 s[4:5], s[6:7]
	s_cbranch_execz .LBB179_31
.LBB179_30:
	s_mov_b32 s6, 0x6dc9c883
	s_mov_b32 s7, 0x3fe45f30
	v_mul_f64 v[4:5], |v[8:9]|, s[6:7]
	s_mov_b32 s6, 0x54442d18
	s_mov_b32 s7, 0xbff921fb
	s_mov_b32 s9, 0xbc91a626
	s_mov_b32 s8, 0x33145c00
	v_rndne_f64_e32 v[12:13], v[4:5]
	v_fma_f64 v[4:5], v[12:13], s[6:7], |v[8:9]|
	v_mul_f64 v[10:11], v[12:13], s[8:9]
	s_mov_b32 s6, 0x252049c0
	s_mov_b32 s7, 0xb97b839a
	v_cvt_i32_f64_e32 v27, v[12:13]
	v_fma_f64 v[18:19], v[12:13], s[8:9], v[4:5]
	v_add_f64 v[14:15], v[4:5], v[10:11]
	s_mov_b32 s9, 0x3c91a626
	v_add_f64 v[16:17], v[4:5], -v[14:15]
	v_add_f64 v[14:15], v[14:15], -v[18:19]
	v_add_f64 v[4:5], v[16:17], v[10:11]
	v_fma_f64 v[10:11], v[12:13], s[8:9], v[10:11]
	v_add_f64 v[4:5], v[14:15], v[4:5]
	v_add_f64 v[4:5], v[4:5], -v[10:11]
	v_fma_f64 v[10:11], v[12:13], s[6:7], v[4:5]
	v_add_f64 v[4:5], v[18:19], v[10:11]
	v_add_f64 v[14:15], v[4:5], -v[18:19]
	v_add_f64 v[10:11], v[10:11], -v[14:15]
.LBB179_31:
	s_or_b64 exec, exec, s[4:5]
	v_trig_preop_f64 v[24:25], |v[6:7]|, 0
	v_trig_preop_f64 v[22:23], |v[6:7]|, 1
	;; [unrolled: 1-line block ×3, first 2 shown]
	s_mov_b32 s4, 0
	s_mov_b32 s5, 0x41d00000
	v_cmp_nlt_f64_e64 s[4:5], |v[6:7]|, s[4:5]
                                        ; implicit-def: $vgpr28
                                        ; implicit-def: $vgpr12_vgpr13
                                        ; implicit-def: $vgpr14_vgpr15
	s_and_saveexec_b64 s[6:7], s[4:5]
	s_xor_b64 s[6:7], exec, s[6:7]
	s_cbranch_execz .LBB179_33
; %bb.32:
	s_mov_b32 s8, 0
	s_mov_b32 s9, 0x7b000000
	s_movk_i32 s16, 0xff80
	v_ldexp_f64 v[12:13], |v[6:7]|, s16
	v_cmp_ge_f64_e64 vcc, |v[6:7]|, s[8:9]
	v_and_b32_e32 v14, 0x7fffffff, v7
	s_mov_b32 s8, 0
	s_mov_b32 s9, 0x7ff00000
	v_mov_b32_e32 v48, 0x40100000
	s_mov_b32 s16, 0x33145c07
	s_mov_b32 s17, 0x3c91a626
	v_cndmask_b32_e32 v13, v14, v13, vcc
	v_cndmask_b32_e32 v12, v6, v12, vcc
	v_mul_f64 v[16:17], v[24:25], v[12:13]
	v_mul_f64 v[20:21], v[22:23], v[12:13]
	;; [unrolled: 1-line block ×3, first 2 shown]
	v_fma_f64 v[28:29], v[24:25], v[12:13], -v[16:17]
	v_fma_f64 v[34:35], v[22:23], v[12:13], -v[20:21]
	;; [unrolled: 1-line block ×3, first 2 shown]
	v_add_f64 v[30:31], v[20:21], v[28:29]
	v_add_f64 v[38:39], v[14:15], v[34:35]
	v_add_f64 v[32:33], v[30:31], -v[20:21]
	v_add_f64 v[36:37], v[30:31], -v[32:33]
	;; [unrolled: 1-line block ×3, first 2 shown]
	v_add_f64 v[32:33], v[16:17], v[30:31]
	v_add_f64 v[20:21], v[20:21], -v[36:37]
	v_add_f64 v[36:37], v[38:39], -v[14:15]
	;; [unrolled: 1-line block ×3, first 2 shown]
	v_ldexp_f64 v[32:33], v[32:33], -2
	v_add_f64 v[20:21], v[28:29], v[20:21]
	v_add_f64 v[28:29], v[34:35], -v[36:37]
	v_add_f64 v[34:35], v[38:39], -v[36:37]
	v_fract_f64_e32 v[36:37], v[32:33]
	v_add_f64 v[16:17], v[30:31], -v[16:17]
	v_cmp_neq_f64_e64 vcc, |v[32:33]|, s[8:9]
	s_mov_b32 s8, 0x54442d18
	s_mov_b32 s9, 0x3ff921fb
	v_add_f64 v[30:31], v[38:39], v[20:21]
	v_add_f64 v[32:33], v[14:15], -v[34:35]
	v_ldexp_f64 v[34:35], v[36:37], 2
	v_add_f64 v[36:37], v[16:17], v[30:31]
	v_add_f64 v[28:29], v[28:29], v[32:33]
	v_cndmask_b32_e32 v33, 0, v35, vcc
	v_cndmask_b32_e32 v32, 0, v34, vcc
	v_add_f64 v[34:35], v[36:37], v[32:33]
	v_add_f64 v[14:15], v[36:37], -v[16:17]
	v_cmp_gt_f64_e32 vcc, 0, v[34:35]
	v_add_f64 v[34:35], v[30:31], -v[38:39]
	v_add_f64 v[14:15], v[30:31], -v[14:15]
	;; [unrolled: 1-line block ×5, first 2 shown]
	v_mov_b32_e32 v38, 0
	v_cndmask_b32_e32 v39, 0, v48, vcc
	v_add_f64 v[32:33], v[32:33], v[38:39]
	v_add_f64 v[20:21], v[20:21], v[34:35]
	v_add_f64 v[48:49], v[36:37], v[32:33]
	v_add_f64 v[16:17], v[28:29], v[20:21]
	v_cvt_i32_f64_e32 v48, v[48:49]
	v_cvt_f64_i32_e32 v[34:35], v48
	v_add_f64 v[12:13], v[12:13], v[16:17]
	v_add_f64 v[32:33], v[32:33], -v[34:35]
	v_add_f64 v[12:13], v[14:15], v[12:13]
	v_add_f64 v[20:21], v[36:37], v[32:33]
	v_add_f64 v[16:17], v[20:21], -v[32:33]
	v_cmp_le_f64_e32 vcc, 0.5, v[20:21]
	v_add_f64 v[14:15], v[36:37], -v[16:17]
	v_mov_b32_e32 v16, 0x3ff00000
	v_cndmask_b32_e32 v39, 0, v16, vcc
	v_add_f64 v[12:13], v[12:13], v[14:15]
	v_add_f64 v[14:15], v[20:21], -v[38:39]
	v_add_f64 v[16:17], v[14:15], v[12:13]
	v_mul_f64 v[20:21], v[16:17], s[8:9]
	v_add_f64 v[14:15], v[16:17], -v[14:15]
	v_fma_f64 v[28:29], v[16:17], s[8:9], -v[20:21]
	v_add_f64 v[12:13], v[12:13], -v[14:15]
	v_fma_f64 v[14:15], v[16:17], s[16:17], v[28:29]
	v_addc_co_u32_e32 v28, vcc, 0, v48, vcc
	v_fma_f64 v[14:15], v[12:13], s[8:9], v[14:15]
	v_add_f64 v[12:13], v[20:21], v[14:15]
	v_add_f64 v[16:17], v[12:13], -v[20:21]
	v_add_f64 v[14:15], v[14:15], -v[16:17]
	s_andn2_saveexec_b64 s[6:7], s[6:7]
	s_cbranch_execz .LBB179_35
	s_branch .LBB179_34
.LBB179_33:
	s_andn2_saveexec_b64 s[6:7], s[6:7]
	s_cbranch_execz .LBB179_35
.LBB179_34:
	s_mov_b32 s8, 0x6dc9c883
	s_mov_b32 s9, 0x3fe45f30
	v_mul_f64 v[12:13], |v[6:7]|, s[8:9]
	s_mov_b32 s8, 0x54442d18
	s_mov_b32 s9, 0xbff921fb
	;; [unrolled: 1-line block ×4, first 2 shown]
	v_rndne_f64_e32 v[16:17], v[12:13]
	v_fma_f64 v[12:13], v[16:17], s[8:9], |v[6:7]|
	v_mul_f64 v[14:15], v[16:17], s[16:17]
	s_mov_b32 s8, 0x252049c0
	s_mov_b32 s9, 0xb97b839a
	v_fma_f64 v[30:31], v[16:17], s[16:17], v[12:13]
	v_add_f64 v[20:21], v[12:13], v[14:15]
	s_mov_b32 s17, 0x3c91a626
	v_add_f64 v[28:29], v[12:13], -v[20:21]
	v_add_f64 v[20:21], v[20:21], -v[30:31]
	v_add_f64 v[12:13], v[28:29], v[14:15]
	v_fma_f64 v[14:15], v[16:17], s[16:17], v[14:15]
	v_cvt_i32_f64_e32 v28, v[16:17]
	v_add_f64 v[12:13], v[20:21], v[12:13]
	v_add_f64 v[12:13], v[12:13], -v[14:15]
	v_fma_f64 v[14:15], v[16:17], s[8:9], v[12:13]
	v_add_f64 v[12:13], v[30:31], v[14:15]
	v_add_f64 v[20:21], v[12:13], -v[30:31]
	v_add_f64 v[14:15], v[14:15], -v[20:21]
.LBB179_35:
	s_or_b64 exec, exec, s[6:7]
                                        ; implicit-def: $vgpr29
                                        ; implicit-def: $vgpr16_vgpr17
                                        ; implicit-def: $vgpr20_vgpr21
	s_and_saveexec_b64 s[6:7], s[4:5]
	s_xor_b64 s[6:7], exec, s[6:7]
	s_cbranch_execz .LBB179_37
; %bb.36:
	s_mov_b32 s4, 0
	s_mov_b32 s5, 0x7b000000
	v_cmp_ge_f64_e64 vcc, |v[6:7]|, s[4:5]
	s_movk_i32 s4, 0xff80
	v_ldexp_f64 v[16:17], |v[6:7]|, s4
	v_and_b32_e32 v20, 0x7fffffff, v7
	s_mov_b32 s4, 0
	s_mov_b32 s5, 0x7ff00000
	;; [unrolled: 1-line block ×4, first 2 shown]
	v_cndmask_b32_e32 v17, v20, v17, vcc
	v_cndmask_b32_e32 v16, v6, v16, vcc
	v_mul_f64 v[29:30], v[24:25], v[16:17]
	v_mul_f64 v[20:21], v[22:23], v[16:17]
	v_fma_f64 v[24:25], v[24:25], v[16:17], -v[29:30]
	v_add_f64 v[31:32], v[20:21], v[24:25]
	v_add_f64 v[48:49], v[31:32], -v[20:21]
	v_add_f64 v[33:34], v[29:30], v[31:32]
	v_add_f64 v[24:25], v[24:25], -v[48:49]
	v_add_f64 v[48:49], v[31:32], -v[48:49]
	v_ldexp_f64 v[35:36], v[33:34], -2
	v_add_f64 v[29:30], v[33:34], -v[29:30]
	v_add_f64 v[48:49], v[20:21], -v[48:49]
	v_fma_f64 v[20:21], v[22:23], v[16:17], -v[20:21]
	v_mul_f64 v[22:23], v[18:19], v[16:17]
	v_fract_f64_e32 v[37:38], v[35:36]
	v_add_f64 v[29:30], v[31:32], -v[29:30]
	v_cmp_neq_f64_e64 vcc, |v[35:36]|, s[4:5]
	v_add_f64 v[24:25], v[24:25], v[48:49]
	v_add_f64 v[48:49], v[22:23], v[20:21]
	v_fma_f64 v[16:17], v[18:19], v[16:17], -v[22:23]
	v_ldexp_f64 v[18:19], v[37:38], 2
	v_add_f64 v[50:51], v[48:49], v[24:25]
	v_cndmask_b32_e32 v19, 0, v19, vcc
	v_cndmask_b32_e32 v18, 0, v18, vcc
	v_add_f64 v[33:34], v[50:51], -v[48:49]
	v_add_f64 v[31:32], v[29:30], v[50:51]
	v_add_f64 v[24:25], v[24:25], -v[33:34]
	v_add_f64 v[33:34], v[50:51], -v[33:34]
	;; [unrolled: 1-line block ×5, first 2 shown]
	v_add_f64 v[24:25], v[24:25], v[33:34]
	v_add_f64 v[33:34], v[48:49], -v[22:23]
	v_add_f64 v[20:21], v[20:21], -v[33:34]
	;; [unrolled: 1-line block ×4, first 2 shown]
	v_add_f64 v[20:21], v[20:21], v[33:34]
	v_add_f64 v[20:21], v[20:21], v[24:25]
	;; [unrolled: 1-line block ×5, first 2 shown]
	v_cmp_gt_f64_e32 vcc, 0, v[20:21]
	v_mov_b32_e32 v20, 0x40100000
	v_cndmask_b32_e32 v21, 0, v20, vcc
	v_mov_b32_e32 v20, 0
	v_add_f64 v[18:19], v[18:19], v[20:21]
	v_add_f64 v[21:22], v[31:32], v[18:19]
	v_cvt_i32_f64_e32 v24, v[21:22]
	v_cvt_f64_i32_e32 v[21:22], v24
	v_add_f64 v[18:19], v[18:19], -v[21:22]
	v_add_f64 v[22:23], v[31:32], v[18:19]
	v_add_f64 v[18:19], v[22:23], -v[18:19]
	v_cmp_le_f64_e32 vcc, 0.5, v[22:23]
	v_add_f64 v[18:19], v[31:32], -v[18:19]
	v_addc_co_u32_e64 v29, s[4:5], 0, v24, vcc
	s_mov_b32 s4, 0x54442d18
	s_mov_b32 s5, 0x3ff921fb
	v_add_f64 v[16:17], v[16:17], v[18:19]
	v_mov_b32_e32 v18, 0x3ff00000
	v_cndmask_b32_e32 v21, 0, v18, vcc
	v_add_f64 v[18:19], v[22:23], -v[20:21]
	v_add_f64 v[20:21], v[18:19], v[16:17]
	v_add_f64 v[18:19], v[20:21], -v[18:19]
	v_add_f64 v[16:17], v[16:17], -v[18:19]
	v_mul_f64 v[18:19], v[20:21], s[4:5]
	v_fma_f64 v[22:23], v[20:21], s[4:5], -v[18:19]
	v_fma_f64 v[20:21], v[20:21], s[8:9], v[22:23]
	v_fma_f64 v[20:21], v[16:17], s[4:5], v[20:21]
	v_add_f64 v[16:17], v[18:19], v[20:21]
	v_add_f64 v[18:19], v[16:17], -v[18:19]
	v_add_f64 v[20:21], v[20:21], -v[18:19]
	s_andn2_saveexec_b64 s[4:5], s[6:7]
	s_cbranch_execnz .LBB179_38
	s_branch .LBB179_39
.LBB179_37:
	s_andn2_saveexec_b64 s[4:5], s[6:7]
	s_cbranch_execz .LBB179_39
.LBB179_38:
	s_mov_b32 s6, 0x6dc9c883
	s_mov_b32 s7, 0x3fe45f30
	v_mul_f64 v[16:17], |v[6:7]|, s[6:7]
	s_mov_b32 s6, 0x54442d18
	s_mov_b32 s7, 0xbff921fb
	;; [unrolled: 1-line block ×4, first 2 shown]
	v_rndne_f64_e32 v[18:19], v[16:17]
	v_fma_f64 v[16:17], v[18:19], s[6:7], |v[6:7]|
	v_mul_f64 v[20:21], v[18:19], s[8:9]
	s_mov_b32 s6, 0x252049c0
	s_mov_b32 s7, 0xb97b839a
	v_fma_f64 v[29:30], v[18:19], s[8:9], v[16:17]
	v_add_f64 v[22:23], v[16:17], v[20:21]
	s_mov_b32 s9, 0x3c91a626
	v_add_f64 v[24:25], v[16:17], -v[22:23]
	v_add_f64 v[22:23], v[22:23], -v[29:30]
	v_add_f64 v[16:17], v[24:25], v[20:21]
	v_fma_f64 v[20:21], v[18:19], s[8:9], v[20:21]
	v_add_f64 v[16:17], v[22:23], v[16:17]
	v_add_f64 v[16:17], v[16:17], -v[20:21]
	v_fma_f64 v[20:21], v[18:19], s[6:7], v[16:17]
	v_add_f64 v[16:17], v[29:30], v[20:21]
	v_add_f64 v[22:23], v[16:17], -v[29:30]
	v_cvt_i32_f64_e32 v29, v[18:19]
	v_add_f64 v[20:21], v[20:21], -v[22:23]
.LBB179_39:
	s_or_b64 exec, exec, s[4:5]
	v_mul_f64 v[24:25], v[0:1], v[0:1]
	s_mov_b32 s8, 0xb42fdfa7
	s_mov_b32 s9, 0xbe5ae600
	;; [unrolled: 1-line block ×3, first 2 shown]
	v_mov_b32_e32 v19, s9
	s_mov_b32 s7, 0x3de5e0b2
	v_mov_b32_e32 v18, s8
	s_mov_b32 s4, 0x796cde01
	v_fma_f64 v[22:23], v[24:25], s[6:7], v[18:19]
	v_mul_f64 v[30:31], v[24:25], 0.5
	s_mov_b32 s18, 0x9037ab78
	s_mov_b32 s5, 0x3ec71de3
	;; [unrolled: 1-line block ×6, first 2 shown]
	v_fma_f64 v[32:33], v[24:25], v[22:23], s[4:5]
	v_mov_b32_e32 v23, s19
	v_mov_b32_e32 v22, s18
	v_add_f64 v[34:35], -v[30:31], 1.0
	v_fma_f64 v[36:37], v[24:25], s[16:17], v[22:23]
	s_mov_b32 s22, 0xa17f65f6
	s_mov_b32 s9, 0xbf2a01a0
	;; [unrolled: 1-line block ×3, first 2 shown]
	v_fma_f64 v[32:33], v[24:25], v[32:33], s[8:9]
	s_mov_b32 s20, 0x11110bb3
	s_mov_b32 s24, 0x19f4ec90
	v_add_f64 v[38:39], -v[34:35], 1.0
	v_fma_f64 v[36:37], v[24:25], v[36:37], s[22:23]
	s_mov_b32 s21, 0x3f811111
	s_mov_b32 s25, 0x3efa01a0
	v_mul_f64 v[48:49], v[2:3], 0.5
	v_mul_f64 v[50:51], v[0:1], -v[24:25]
	v_fma_f64 v[32:33], v[24:25], v[32:33], s[20:21]
	s_mov_b32 s26, 0x16c16967
	v_add_f64 v[30:31], v[38:39], -v[30:31]
	v_mul_f64 v[38:39], v[4:5], v[4:5]
	v_fma_f64 v[36:37], v[24:25], v[36:37], s[24:25]
	s_mov_b32 s27, 0xbf56c16c
	s_mov_b32 s18, 0x55555555
	;; [unrolled: 1-line block ×3, first 2 shown]
	v_fma_f64 v[32:33], v[50:51], v[32:33], v[48:49]
	s_mov_b32 s28, s18
	s_mov_b32 s19, 0xbfc55555
	v_fma_f64 v[48:49], v[38:39], s[6:7], v[18:19]
	v_fma_f64 v[36:37], v[24:25], v[36:37], s[26:27]
	v_and_b32_e32 v52, 1, v26
	v_lshlrev_b32_e32 v26, 30, v26
	v_cmp_eq_u32_e32 vcc, 0, v52
	v_fma_f64 v[32:33], v[24:25], v[32:33], -v[2:3]
	v_fma_f64 v[2:3], v[0:1], -v[2:3], v[30:31]
	s_movk_i32 s40, 0x1f8
	v_fma_f64 v[48:49], v[38:39], v[48:49], s[4:5]
	v_fma_f64 v[36:37], v[24:25], v[36:37], s[28:29]
	v_mul_f64 v[24:25], v[24:25], v[24:25]
	v_fma_f64 v[32:33], v[50:51], s[18:19], v[32:33]
	v_fma_f64 v[30:31], v[38:39], v[48:49], s[8:9]
	v_mul_f64 v[48:49], v[4:5], -v[38:39]
	v_fma_f64 v[2:3], v[24:25], v[36:37], v[2:3]
	v_mul_f64 v[24:25], v[38:39], 0.5
	v_fma_f64 v[36:37], v[38:39], s[16:17], v[22:23]
	v_add_f64 v[0:1], v[0:1], -v[32:33]
	v_fma_f64 v[30:31], v[38:39], v[30:31], s[20:21]
	v_add_f64 v[2:3], v[34:35], v[2:3]
	v_mul_f64 v[34:35], v[10:11], 0.5
	v_add_f64 v[50:51], -v[24:25], 1.0
	v_fma_f64 v[36:37], v[38:39], v[36:37], s[22:23]
	v_fma_f64 v[30:31], v[48:49], v[30:31], v[34:35]
	v_add_f64 v[34:35], -v[50:51], 1.0
	v_fma_f64 v[36:37], v[38:39], v[36:37], s[24:25]
	v_fma_f64 v[30:31], v[38:39], v[30:31], -v[10:11]
	v_add_f64 v[24:25], v[34:35], -v[24:25]
	v_fma_f64 v[32:33], v[38:39], v[36:37], s[26:27]
	v_mul_f64 v[34:35], v[12:13], v[12:13]
	v_cndmask_b32_e32 v36, v2, v0, vcc
	v_cndmask_b32_e32 v37, v3, v1, vcc
	v_mul_f64 v[0:1], v[38:39], v[38:39]
	v_cmp_class_f64_e64 vcc, v[8:9], s40
	v_fma_f64 v[10:11], v[4:5], -v[10:11], v[24:25]
	v_xor_b32_e32 v24, v26, v9
	v_fma_f64 v[2:3], v[38:39], v[32:33], s[28:29]
	v_and_b32_e32 v26, 0x80000000, v24
	v_fma_f64 v[24:25], v[48:49], s[18:19], v[30:31]
	v_fma_f64 v[32:33], v[34:35], s[6:7], v[18:19]
	v_xor_b32_e32 v26, v37, v26
	v_cndmask_b32_e32 v8, 0, v36, vcc
	v_and_b32_e32 v48, 1, v27
	v_mul_f64 v[38:39], v[14:15], 0.5
	v_fma_f64 v[0:1], v[0:1], v[2:3], v[10:11]
	v_mul_f64 v[10:11], v[16:17], v[16:17]
	v_add_f64 v[4:5], v[4:5], -v[24:25]
	v_mov_b32_e32 v24, 0x7ff80000
	v_fma_f64 v[30:31], v[34:35], v[32:33], s[4:5]
	v_cndmask_b32_e32 v9, v24, v26, vcc
	v_mul_f64 v[25:26], v[34:35], 0.5
	v_fma_f64 v[2:3], v[34:35], s[16:17], v[22:23]
	v_add_f64 v[0:1], v[50:51], v[0:1]
	v_fma_f64 v[18:19], v[10:11], s[6:7], v[18:19]
	v_xor_b32_e32 v5, 0x80000000, v5
	v_mul_f64 v[32:33], v[12:13], -v[34:35]
	v_fma_f64 v[30:31], v[34:35], v[30:31], s[8:9]
	v_lshlrev_b32_e32 v27, 30, v27
	v_add_f64 v[36:37], -v[25:26], 1.0
	v_fma_f64 v[2:3], v[34:35], v[2:3], s[22:23]
	v_and_b32_e32 v27, 0x80000000, v27
	v_fma_f64 v[18:19], v[10:11], v[18:19], s[4:5]
	v_cmp_eq_u32_e64 s[4:5], 0, v48
	v_cndmask_b32_e64 v50, v4, v0, s[4:5]
	v_fma_f64 v[30:31], v[34:35], v[30:31], s[20:21]
	v_cndmask_b32_e64 v51, v5, v1, s[4:5]
	v_add_f64 v[0:1], -v[36:37], 1.0
	v_fma_f64 v[4:5], v[10:11], s[16:17], v[22:23]
	v_mul_f64 v[22:23], v[10:11], 0.5
	v_fma_f64 v[2:3], v[34:35], v[2:3], s[24:25]
	v_fma_f64 v[18:19], v[10:11], v[18:19], s[8:9]
	v_mul_f64 v[48:49], v[20:21], 0.5
	v_fma_f64 v[30:31], v[32:33], v[30:31], v[38:39]
	v_mul_f64 v[38:39], v[16:17], -v[10:11]
	v_add_f64 v[0:1], v[0:1], -v[25:26]
	v_fma_f64 v[4:5], v[10:11], v[4:5], s[22:23]
	v_add_f64 v[25:26], -v[22:23], 1.0
	v_fma_f64 v[2:3], v[34:35], v[2:3], s[26:27]
	v_fma_f64 v[18:19], v[10:11], v[18:19], s[20:21]
	s_mov_b32 s16, 0
	v_fma_f64 v[30:31], v[34:35], v[30:31], -v[14:15]
	s_mov_b32 s17, 0x7ff00000
	v_fma_f64 v[0:1], v[12:13], -v[14:15], v[0:1]
	v_fma_f64 v[4:5], v[10:11], v[4:5], s[24:25]
	v_add_f64 v[14:15], -v[25:26], 1.0
	v_fma_f64 v[2:3], v[34:35], v[2:3], s[28:29]
	v_mul_f64 v[34:35], v[34:35], v[34:35]
	v_fma_f64 v[18:19], v[38:39], v[18:19], v[48:49]
	v_fma_f64 v[30:31], v[32:33], s[18:19], v[30:31]
	v_cmp_neq_f64_e64 s[4:5], 0, v[8:9]
	v_cmp_class_f64_e64 s[8:9], v[6:7], s40
	v_fma_f64 v[4:5], v[10:11], v[4:5], s[26:27]
	v_add_f64 v[14:15], v[14:15], -v[22:23]
	v_mul_f64 v[22:23], v[10:11], v[10:11]
	v_fma_f64 v[0:1], v[34:35], v[2:3], v[0:1]
	v_fma_f64 v[18:19], v[10:11], v[18:19], -v[20:21]
	v_add_f64 v[12:13], v[12:13], -v[30:31]
	v_xor_b32_e32 v27, v51, v27
	v_cndmask_b32_e32 v50, 0, v50, vcc
	v_fma_f64 v[4:5], v[10:11], v[4:5], s[28:29]
	v_fma_f64 v[10:11], v[16:17], -v[20:21], v[14:15]
	v_mul_f64 v[14:15], v[8:9], s[16:17]
	v_add_f64 v[0:1], v[36:37], v[0:1]
	v_fma_f64 v[18:19], v[38:39], s[18:19], v[18:19]
	v_and_b32_e32 v8, 1, v28
	v_cmp_eq_u32_e64 s[6:7], 0, v8
	v_lshlrev_b32_e32 v9, 30, v28
	v_xor_b32_e32 v7, v9, v7
	v_fma_f64 v[4:5], v[22:23], v[4:5], v[10:11]
	v_and_b32_e32 v7, 0x80000000, v7
	v_cndmask_b32_e64 v8, v0, v12, s[6:7]
	v_cndmask_b32_e64 v6, v1, v13, s[6:7]
	v_add_f64 v[0:1], v[16:17], -v[18:19]
	v_xor_b32_e32 v7, v6, v7
	v_cndmask_b32_e64 v6, 0, v8, s[8:9]
	v_and_b32_e32 v8, 1, v29
	v_add_f64 v[4:5], v[25:26], v[4:5]
	v_cmp_eq_u32_e64 s[6:7], 0, v8
	v_cndmask_b32_e32 v51, v24, v27, vcc
	v_cndmask_b32_e64 v7, v24, v7, s[8:9]
	v_xor_b32_e32 v1, 0x80000000, v1
	v_mul_f64 v[2:3], v[50:51], s[16:17]
	v_cmp_neq_f64_e32 vcc, 0, v[50:51]
	s_movk_i32 s20, 0x204
	v_cndmask_b32_e64 v0, v0, v4, s[6:7]
	v_lshlrev_b32_e32 v4, 30, v29
	v_cndmask_b32_e64 v1, v1, v5, s[6:7]
	v_and_b32_e32 v4, 0x80000000, v4
	v_xor_b32_e32 v1, v1, v4
	v_cndmask_b32_e64 v0, 0, v0, s[8:9]
	v_cndmask_b32_e64 v1, v24, v1, s[8:9]
	v_mul_f64 v[4:5], v[0:1], s[16:17]
	v_cmp_neq_f64_e64 s[6:7], 0, v[0:1]
	v_mul_f64 v[0:1], v[6:7], s[16:17]
	v_cmp_neq_f64_e64 s[8:9], 0, v[6:7]
	v_cndmask_b32_e32 v3, 0, v3, vcc
	v_cndmask_b32_e32 v2, 0, v2, vcc
	v_cndmask_b32_e64 v7, 0, v15, s[4:5]
	v_cndmask_b32_e64 v6, 0, v14, s[4:5]
	;; [unrolled: 1-line block ×6, first 2 shown]
	v_add_f64 v[2:3], v[2:3], v[4:5]
	v_add_f64 v[0:1], v[6:7], v[0:1]
	v_add_f64 v[10:11], v[2:3], -1.0
	v_max_f64 v[4:5], |v[0:1]|, |v[0:1]|
	v_cmp_class_f64_e64 s[8:9], v[0:1], s20
	v_cmp_class_f64_e64 s[22:23], v[10:11], s20
	v_max_f64 v[2:3], |v[10:11]|, v[4:5]
	s_or_b64 s[22:23], s[8:9], s[22:23]
	v_frexp_exp_i32_f64_e32 v14, v[2:3]
	v_sub_u32_e32 v6, 0, v14
	v_ldexp_f64 v[2:3], |v[0:1]|, v6
	v_ldexp_f64 v[6:7], |v[10:11]|, v6
	v_mul_f64 v[2:3], v[2:3], v[2:3]
	v_fma_f64 v[6:7], v[6:7], v[6:7], v[2:3]
	v_rsq_f64_e32 v[2:3], v[6:7]
	v_cmp_eq_f64_e32 vcc, 0, v[6:7]
	v_mul_f64 v[8:9], v[6:7], v[2:3]
	v_mul_f64 v[2:3], v[2:3], 0.5
	v_fma_f64 v[12:13], -v[2:3], v[8:9], 0.5
	v_fma_f64 v[8:9], v[8:9], v[12:13], v[8:9]
	v_fma_f64 v[2:3], v[2:3], v[12:13], v[2:3]
	v_fma_f64 v[12:13], -v[8:9], v[8:9], v[6:7]
	v_fma_f64 v[8:9], v[12:13], v[2:3], v[8:9]
	v_add_f64 v[2:3], v[10:11], 1.0
	v_cndmask_b32_e32 v7, v9, v7, vcc
	v_cndmask_b32_e32 v6, v8, v6, vcc
	v_ldexp_f64 v[8:9], v[6:7], v14
	v_cmp_u_f64_e32 vcc, v[10:11], v[0:1]
	v_max_f64 v[6:7], |v[2:3]|, v[4:5]
	v_cmp_u_f64_e64 s[4:5], v[2:3], v[0:1]
	v_cmp_class_f64_e64 s[16:17], v[2:3], s20
	v_cmp_ngt_f64_e64 s[6:7], 0.5, v[8:9]
	s_or_b64 s[22:23], s[22:23], vcc
	s_or_b64 s[6:7], s[22:23], s[6:7]
	s_and_saveexec_b64 s[22:23], s[6:7]
	s_xor_b64 s[6:7], exec, s[22:23]
	s_cbranch_execz .LBB179_41
; %bb.40:
	v_frexp_exp_i32_f64_e32 v16, v[6:7]
	s_mov_b32 s19, 0x3fe55555
	v_sub_u32_e32 v10, 0, v16
	v_ldexp_f64 v[8:9], |v[0:1]|, v10
	v_ldexp_f64 v[10:11], |v[2:3]|, v10
	v_mul_f64 v[8:9], v[8:9], v[8:9]
	v_fma_f64 v[8:9], v[10:11], v[10:11], v[8:9]
	v_rsq_f64_e32 v[10:11], v[8:9]
	v_cmp_eq_f64_e32 vcc, 0, v[8:9]
	v_mul_f64 v[12:13], v[8:9], v[10:11]
	v_mul_f64 v[10:11], v[10:11], 0.5
	v_fma_f64 v[14:15], -v[10:11], v[12:13], 0.5
	v_fma_f64 v[12:13], v[12:13], v[14:15], v[12:13]
	v_fma_f64 v[10:11], v[10:11], v[14:15], v[10:11]
	v_fma_f64 v[14:15], -v[12:13], v[12:13], v[8:9]
	v_fma_f64 v[10:11], v[14:15], v[10:11], v[12:13]
	v_cndmask_b32_e32 v9, v11, v9, vcc
	v_cndmask_b32_e32 v8, v10, v8, vcc
	v_ldexp_f64 v[8:9], v[8:9], v16
	s_or_b64 vcc, s[8:9], s[16:17]
	v_mov_b32_e32 v10, 0x7ff00000
	s_or_b64 s[22:23], vcc, s[4:5]
	v_cndmask_b32_e64 v9, v9, v24, s[4:5]
	v_cndmask_b32_e32 v9, v9, v10, vcc
	v_cndmask_b32_e64 v8, v8, 0, s[22:23]
	v_frexp_mant_f64_e32 v[10:11], v[8:9]
	s_mov_b32 s22, 0xbf559e2b
	s_mov_b32 s23, 0x3fc3ab76
	v_cmp_gt_f64_e32 vcc, s[18:19], v[10:11]
	s_mov_b32 s18, 0x55555780
	v_cndmask_b32_e64 v12, 0, 1, vcc
	v_ldexp_f64 v[10:11], v[10:11], v12
	v_add_f64 v[12:13], v[10:11], 1.0
	v_add_f64 v[18:19], v[10:11], -1.0
	v_rcp_f64_e32 v[14:15], v[12:13]
	v_add_f64 v[20:21], v[12:13], -1.0
	v_add_f64 v[10:11], v[10:11], -v[20:21]
	v_fma_f64 v[16:17], -v[12:13], v[14:15], 1.0
	v_fma_f64 v[14:15], v[16:17], v[14:15], v[14:15]
	v_fma_f64 v[16:17], -v[12:13], v[14:15], 1.0
	v_fma_f64 v[14:15], v[16:17], v[14:15], v[14:15]
	v_mul_f64 v[16:17], v[18:19], v[14:15]
	v_mul_f64 v[22:23], v[12:13], v[16:17]
	v_fma_f64 v[12:13], v[16:17], v[12:13], -v[22:23]
	v_fma_f64 v[10:11], v[16:17], v[10:11], v[12:13]
	v_add_f64 v[12:13], v[22:23], v[10:11]
	v_add_f64 v[20:21], v[18:19], -v[12:13]
	v_add_f64 v[22:23], v[12:13], -v[22:23]
	;; [unrolled: 1-line block ×5, first 2 shown]
	v_mov_b32_e32 v18, 0x6b47b09a
	v_mov_b32_e32 v19, 0x3fc38538
	v_add_f64 v[10:11], v[10:11], v[12:13]
	v_add_f64 v[10:11], v[20:21], v[10:11]
	v_mul_f64 v[10:11], v[14:15], v[10:11]
	v_add_f64 v[12:13], v[16:17], v[10:11]
	v_mul_f64 v[14:15], v[12:13], v[12:13]
	v_fma_f64 v[18:19], v[14:15], s[22:23], v[18:19]
	s_mov_b32 s22, 0xd7f4df2e
	s_mov_b32 s23, 0x3fc7474d
	v_mul_f64 v[20:21], v[12:13], v[14:15]
	v_fma_f64 v[18:19], v[14:15], v[18:19], s[22:23]
	s_mov_b32 s22, 0x16291751
	s_mov_b32 s23, 0x3fcc71c0
	v_fma_f64 v[18:19], v[14:15], v[18:19], s[22:23]
	s_mov_b32 s22, 0x9b27acf1
	s_mov_b32 s23, 0x3fd24924
	;; [unrolled: 3-line block ×3, first 2 shown]
	v_fma_f64 v[18:19], v[14:15], v[18:19], s[22:23]
	v_fma_f64 v[14:15], v[14:15], v[18:19], s[18:19]
	v_ldexp_f64 v[18:19], v[12:13], 1
	v_add_f64 v[12:13], v[12:13], -v[16:17]
	s_mov_b32 s18, 0xfefa39ef
	s_mov_b32 s19, 0x3fe62e42
	v_mul_f64 v[14:15], v[20:21], v[14:15]
	v_frexp_exp_i32_f64_e32 v20, v[8:9]
	v_add_f64 v[10:11], v[10:11], -v[12:13]
	v_add_f64 v[16:17], v[18:19], v[14:15]
	v_subbrev_co_u32_e32 v20, vcc, 0, v20, vcc
	v_cvt_f64_i32_e32 v[20:21], v20
	v_ldexp_f64 v[10:11], v[10:11], 1
	v_cmp_class_f64_e64 vcc, v[8:9], s20
	v_mul_f64 v[22:23], v[20:21], s[18:19]
	v_add_f64 v[12:13], v[16:17], -v[18:19]
	v_fma_f64 v[18:19], v[20:21], s[18:19], -v[22:23]
	v_add_f64 v[12:13], v[14:15], -v[12:13]
	s_mov_b32 s18, 0x3b39803f
	s_mov_b32 s19, 0x3c7abc9e
	v_fma_f64 v[14:15], v[20:21], s[18:19], v[18:19]
	v_add_f64 v[10:11], v[10:11], v[12:13]
	v_add_f64 v[12:13], v[22:23], v[14:15]
	;; [unrolled: 1-line block ×3, first 2 shown]
	v_add_f64 v[22:23], v[12:13], -v[22:23]
	v_add_f64 v[20:21], v[12:13], v[18:19]
	v_add_f64 v[16:17], v[18:19], -v[16:17]
	v_add_f64 v[14:15], v[14:15], -v[22:23]
	;; [unrolled: 1-line block ×6, first 2 shown]
	v_add_f64 v[18:19], v[14:15], v[10:11]
	v_add_f64 v[12:13], v[12:13], -v[27:28]
	v_add_f64 v[12:13], v[16:17], v[12:13]
	v_add_f64 v[16:17], v[18:19], -v[14:15]
	v_add_f64 v[12:13], v[18:19], v[12:13]
	v_add_f64 v[18:19], v[18:19], -v[16:17]
	v_add_f64 v[10:11], v[10:11], -v[16:17]
	v_add_f64 v[22:23], v[20:21], v[12:13]
	v_add_f64 v[14:15], v[14:15], -v[18:19]
	v_add_f64 v[16:17], v[22:23], -v[20:21]
	v_add_f64 v[10:11], v[10:11], v[14:15]
	v_add_f64 v[12:13], v[12:13], -v[16:17]
	v_add_f64 v[10:11], v[10:11], v[12:13]
	v_mov_b32_e32 v12, 0xfff00000
	v_add_f64 v[10:11], v[22:23], v[10:11]
	v_cndmask_b32_e32 v10, v10, v8, vcc
	v_cndmask_b32_e32 v11, v11, v9, vcc
	v_cmp_ngt_f64_e32 vcc, 0, v[8:9]
	v_cndmask_b32_e32 v11, v24, v11, vcc
	v_cmp_nge_f64_e32 vcc, 0, v[8:9]
	v_cndmask_b32_e32 v10, 0, v10, vcc
	v_cmp_neq_f64_e32 vcc, 0, v[8:9]
	v_cndmask_b32_e32 v11, v12, v11, vcc
.LBB179_41:
	s_andn2_saveexec_b64 s[18:19], s[6:7]
	s_cbranch_execz .LBB179_45
; %bb.42:
	v_add_f64 v[8:9], v[10:11], 2.0
	v_mul_f64 v[8:9], v[10:11], v[8:9]
	v_fma_f64 v[8:9], v[0:1], v[0:1], v[8:9]
	v_cmp_neq_f64_e32 vcc, 0, v[8:9]
	s_and_saveexec_b64 s[20:21], vcc
	s_cbranch_execz .LBB179_44
; %bb.43:
	v_add_f64 v[11:12], v[8:9], 1.0
	s_mov_b32 s7, 0x3fe55555
	s_mov_b32 s6, 0x55555555
	;; [unrolled: 1-line block ×4, first 2 shown]
	v_frexp_mant_f64_e32 v[15:16], v[11:12]
	v_frexp_exp_i32_f64_e32 v10, v[11:12]
	v_add_f64 v[13:14], v[11:12], -1.0
	v_cmp_gt_f64_e32 vcc, s[6:7], v[15:16]
	s_mov_b32 s6, 0x55555780
	v_add_f64 v[17:18], v[13:14], -v[11:12]
	v_add_f64 v[13:14], v[8:9], -v[13:14]
	v_subbrev_co_u32_e32 v10, vcc, 0, v10, vcc
	v_sub_u32_e32 v19, 0, v10
	v_ldexp_f64 v[11:12], v[11:12], v19
	v_add_f64 v[15:16], v[17:18], 1.0
	v_cmp_nge_f64_e32 vcc, -1.0, v[8:9]
	v_add_f64 v[17:18], v[11:12], 1.0
	v_add_f64 v[13:14], v[13:14], v[15:16]
	v_add_f64 v[23:24], v[11:12], -1.0
	v_add_f64 v[15:16], v[17:18], -1.0
	v_ldexp_f64 v[13:14], v[13:14], v19
	v_add_f64 v[25:26], v[23:24], 1.0
	v_add_f64 v[15:16], v[11:12], -v[15:16]
	v_add_f64 v[11:12], v[11:12], -v[25:26]
	v_add_f64 v[15:16], v[13:14], v[15:16]
	v_add_f64 v[11:12], v[13:14], v[11:12]
	;; [unrolled: 1-line block ×4, first 2 shown]
	v_rcp_f64_e32 v[21:22], v[19:20]
	v_add_f64 v[17:18], v[19:20], -v[17:18]
	v_add_f64 v[23:24], v[25:26], -v[23:24]
	;; [unrolled: 1-line block ×4, first 2 shown]
	v_fma_f64 v[27:28], -v[19:20], v[21:22], 1.0
	v_fma_f64 v[21:22], v[27:28], v[21:22], v[21:22]
	v_fma_f64 v[13:14], -v[19:20], v[21:22], 1.0
	v_fma_f64 v[13:14], v[13:14], v[21:22], v[21:22]
	v_mul_f64 v[21:22], v[25:26], v[13:14]
	v_mul_f64 v[27:28], v[19:20], v[21:22]
	v_fma_f64 v[17:18], v[21:22], v[19:20], -v[27:28]
	v_fma_f64 v[17:18], v[21:22], v[15:16], v[17:18]
	v_add_f64 v[29:30], v[27:28], v[17:18]
	v_add_f64 v[31:32], v[25:26], -v[29:30]
	v_add_f64 v[23:24], v[29:30], -v[27:28]
	;; [unrolled: 1-line block ×5, first 2 shown]
	v_add_f64 v[11:12], v[11:12], v[25:26]
	v_add_f64 v[11:12], v[17:18], v[11:12]
	;; [unrolled: 1-line block ×3, first 2 shown]
	v_mul_f64 v[23:24], v[13:14], v[17:18]
	v_add_f64 v[29:30], v[31:32], -v[17:18]
	v_mul_f64 v[25:26], v[19:20], v[23:24]
	v_add_f64 v[11:12], v[11:12], v[29:30]
	v_fma_f64 v[19:20], v[23:24], v[19:20], -v[25:26]
	v_fma_f64 v[15:16], v[23:24], v[15:16], v[19:20]
	v_add_f64 v[19:20], v[25:26], v[15:16]
	v_add_f64 v[27:28], v[17:18], -v[19:20]
	v_add_f64 v[25:26], v[19:20], -v[25:26]
	;; [unrolled: 1-line block ×5, first 2 shown]
	v_mov_b32_e32 v19, 0x6b47b09a
	v_mov_b32_e32 v20, 0x3fc38538
	v_add_f64 v[11:12], v[11:12], v[17:18]
	v_add_f64 v[17:18], v[21:22], v[23:24]
	;; [unrolled: 1-line block ×3, first 2 shown]
	v_add_f64 v[15:16], v[17:18], -v[21:22]
	v_add_f64 v[11:12], v[27:28], v[11:12]
	v_add_f64 v[15:16], v[23:24], -v[15:16]
	v_mul_f64 v[11:12], v[13:14], v[11:12]
	v_add_f64 v[11:12], v[15:16], v[11:12]
	v_add_f64 v[13:14], v[17:18], v[11:12]
	v_mul_f64 v[15:16], v[13:14], v[13:14]
	v_fma_f64 v[19:20], v[15:16], s[22:23], v[19:20]
	s_mov_b32 s22, 0xd7f4df2e
	s_mov_b32 s23, 0x3fc7474d
	v_mul_f64 v[21:22], v[13:14], v[15:16]
	v_fma_f64 v[19:20], v[15:16], v[19:20], s[22:23]
	s_mov_b32 s22, 0x16291751
	s_mov_b32 s23, 0x3fcc71c0
	v_fma_f64 v[19:20], v[15:16], v[19:20], s[22:23]
	s_mov_b32 s22, 0x9b27acf1
	s_mov_b32 s23, 0x3fd24924
	;; [unrolled: 3-line block ×3, first 2 shown]
	v_fma_f64 v[19:20], v[15:16], v[19:20], s[22:23]
	v_fma_f64 v[15:16], v[15:16], v[19:20], s[6:7]
	v_ldexp_f64 v[19:20], v[13:14], 1
	v_add_f64 v[13:14], v[13:14], -v[17:18]
	s_mov_b32 s6, 0xfefa39ef
	s_mov_b32 s7, 0x3fe62e42
	v_mul_f64 v[15:16], v[21:22], v[15:16]
	v_cvt_f64_i32_e32 v[21:22], v10
	v_add_f64 v[10:11], v[11:12], -v[13:14]
	v_mul_f64 v[23:24], v[21:22], s[6:7]
	v_add_f64 v[17:18], v[19:20], v[15:16]
	v_ldexp_f64 v[10:11], v[10:11], 1
	v_add_f64 v[12:13], v[17:18], -v[19:20]
	v_fma_f64 v[19:20], v[21:22], s[6:7], -v[23:24]
	s_mov_b32 s6, 0x3b39803f
	s_mov_b32 s7, 0x3c7abc9e
	v_add_f64 v[12:13], v[15:16], -v[12:13]
	v_fma_f64 v[14:15], v[21:22], s[6:7], v[19:20]
	s_mov_b32 s6, 0
	s_mov_b32 s7, 0x7ff00000
	v_cmp_neq_f64_e64 s[6:7], s[6:7], v[8:9]
	v_add_f64 v[10:11], v[10:11], v[12:13]
	v_add_f64 v[12:13], v[23:24], v[14:15]
	s_and_b64 vcc, vcc, s[6:7]
	v_add_f64 v[19:20], v[17:18], v[10:11]
	v_add_f64 v[23:24], v[12:13], -v[23:24]
	v_add_f64 v[21:22], v[12:13], v[19:20]
	v_add_f64 v[16:17], v[19:20], -v[17:18]
	v_add_f64 v[14:15], v[14:15], -v[23:24]
	;; [unrolled: 1-line block ×6, first 2 shown]
	v_add_f64 v[18:19], v[14:15], v[10:11]
	v_add_f64 v[12:13], v[12:13], -v[27:28]
	v_add_f64 v[12:13], v[16:17], v[12:13]
	v_add_f64 v[16:17], v[18:19], -v[14:15]
	;; [unrolled: 2-line block ×3, first 2 shown]
	v_add_f64 v[10:11], v[10:11], -v[16:17]
	v_add_f64 v[23:24], v[21:22], v[12:13]
	v_add_f64 v[14:15], v[14:15], -v[18:19]
	v_add_f64 v[16:17], v[23:24], -v[21:22]
	v_add_f64 v[10:11], v[10:11], v[14:15]
	v_mov_b32_e32 v14, 0xfff00000
	v_add_f64 v[12:13], v[12:13], -v[16:17]
	v_add_f64 v[10:11], v[10:11], v[12:13]
	v_mov_b32_e32 v12, 0x7ff00000
	v_mov_b32_e32 v13, 0x7ff80000
	v_add_f64 v[10:11], v[23:24], v[10:11]
	v_mul_f64 v[10:11], v[10:11], 0.5
	v_cndmask_b32_e32 v10, 0, v10, vcc
	v_cmp_ngt_f64_e32 vcc, -1.0, v[8:9]
	v_cndmask_b32_e64 v11, v12, v11, s[6:7]
	v_cndmask_b32_e32 v11, v13, v11, vcc
	v_cmp_neq_f64_e32 vcc, -1.0, v[8:9]
	v_cndmask_b32_e32 v11, v14, v11, vcc
.LBB179_44:
	s_or_b64 exec, exec, s[20:21]
.LBB179_45:
	s_or_b64 exec, exec, s[18:19]
	v_max_f64 v[8:9], |v[2:3]|, |v[2:3]|
	v_min_f64 v[4:5], v[8:9], v[4:5]
	v_div_scale_f64 v[8:9], s[6:7], v[6:7], v[6:7], v[4:5]
	s_mov_b32 s6, 0xb5e68a13
	s_mov_b32 s7, 0x3eeba404
	v_rcp_f64_e32 v[12:13], v[8:9]
	v_fma_f64 v[14:15], -v[8:9], v[12:13], 1.0
	v_fma_f64 v[12:13], v[12:13], v[14:15], v[12:13]
	v_div_scale_f64 v[14:15], vcc, v[4:5], v[6:7], v[4:5]
	v_fma_f64 v[16:17], -v[8:9], v[12:13], 1.0
	v_fma_f64 v[12:13], v[12:13], v[16:17], v[12:13]
	v_mul_f64 v[16:17], v[14:15], v[12:13]
	v_fma_f64 v[8:9], -v[8:9], v[16:17], v[14:15]
	v_div_fmas_f64 v[8:9], v[8:9], v[12:13], v[16:17]
	v_cmp_lt_f64_e64 vcc, |v[2:3]|, |v[0:1]|
	v_mov_b32_e32 v2, 0x54442d18
	v_mov_b32_e32 v12, 0x7ff80000
	v_div_fixup_f64 v[4:5], v[8:9], v[6:7], v[4:5]
	v_mov_b32_e32 v8, 0xbd3237f4
	v_mov_b32_e32 v9, 0xbf23e260
	v_mul_f64 v[6:7], v[4:5], v[4:5]
	v_fma_f64 v[8:9], v[6:7], s[6:7], v[8:9]
	s_mov_b32 s6, 0x69efb384
	s_mov_b32 s7, 0x3f4b2bb0
	v_fma_f64 v[8:9], v[6:7], v[8:9], s[6:7]
	s_mov_b32 s6, 0xaf56de9b
	s_mov_b32 s7, 0xbf67952d
	;; [unrolled: 3-line block ×19, first 2 shown]
	v_mul_f64 v[6:7], v[6:7], v[8:9]
	v_ashrrev_i32_e32 v9, 31, v3
	v_mov_b32_e32 v8, 0x7f3321d2
	v_fma_f64 v[4:5], v[4:5], v[6:7], v[4:5]
	v_add_f64 v[6:7], -v[4:5], s[6:7]
	s_mov_b32 s7, 0x400921fb
	v_cndmask_b32_e32 v5, v5, v7, vcc
	v_cndmask_b32_e32 v4, v4, v6, vcc
	v_add_f64 v[6:7], -v[4:5], s[6:7]
	v_cmp_eq_f64_e64 s[6:7], 0, v[0:1]
	v_cmp_gt_i32_e32 vcc, 0, v3
	v_mov_b32_e32 v0, 0x3fe921fb
	v_and_b32_e32 v3, 0x54442d18, v9
	v_cndmask_b32_e32 v2, v2, v8, vcc
	v_cndmask_b32_e32 v4, v4, v6, vcc
	v_mov_b32_e32 v6, 0x4002d97c
	v_cndmask_b32_e32 v0, v0, v6, vcc
	v_and_b32_e32 v6, 0x400921fb, v9
	v_cndmask_b32_e32 v5, v5, v7, vcc
	v_cndmask_b32_e64 v3, v4, v3, s[6:7]
	v_cndmask_b32_e64 v4, v5, v6, s[6:7]
	s_and_b64 vcc, s[8:9], s[16:17]
	v_cndmask_b32_e32 v0, v4, v0, vcc
	v_cndmask_b32_e32 v2, v3, v2, vcc
	v_cndmask_b32_e64 v8, v2, 0, s[4:5]
	v_cndmask_b32_e64 v0, v0, v12, s[4:5]
	s_brev_b32 s4, -2
	v_bfi_b32 v9, s4, v0, v1
.LBB179_46:
	s_or_b64 exec, exec, s[14:15]
.LBB179_47:
	s_or_b64 exec, exec, s[10:11]
	v_mov_b32_e32 v0, v10
	v_mov_b32_e32 v2, v8
	;; [unrolled: 1-line block ×4, first 2 shown]
.LBB179_48:
	s_or_b64 exec, exec, s[12:13]
	s_setpc_b64 s[30:31]
.Lfunc_end179:
	.size	_ZZZZN2at6native31launch_logcumsumexp_cuda_kernelERKNS_10TensorBaseES3_lENKUlvE_clEvENKUlvE1_clEvENKUlN3c107complexIdEES8_E_clES8_S8_, .Lfunc_end179-_ZZZZN2at6native31launch_logcumsumexp_cuda_kernelERKNS_10TensorBaseES3_lENKUlvE_clEvENKUlvE1_clEvENKUlN3c107complexIdEES8_E_clES8_S8_
                                        ; -- End function
	.set .L_ZZZZN2at6native31launch_logcumsumexp_cuda_kernelERKNS_10TensorBaseES3_lENKUlvE_clEvENKUlvE1_clEvENKUlN3c107complexIdEES8_E_clES8_S8_.num_vgpr, 55
	.set .L_ZZZZN2at6native31launch_logcumsumexp_cuda_kernelERKNS_10TensorBaseES3_lENKUlvE_clEvENKUlvE1_clEvENKUlN3c107complexIdEES8_E_clES8_S8_.num_agpr, 0
	.set .L_ZZZZN2at6native31launch_logcumsumexp_cuda_kernelERKNS_10TensorBaseES3_lENKUlvE_clEvENKUlvE1_clEvENKUlN3c107complexIdEES8_E_clES8_S8_.numbered_sgpr, 41
	.set .L_ZZZZN2at6native31launch_logcumsumexp_cuda_kernelERKNS_10TensorBaseES3_lENKUlvE_clEvENKUlvE1_clEvENKUlN3c107complexIdEES8_E_clES8_S8_.num_named_barrier, 0
	.set .L_ZZZZN2at6native31launch_logcumsumexp_cuda_kernelERKNS_10TensorBaseES3_lENKUlvE_clEvENKUlvE1_clEvENKUlN3c107complexIdEES8_E_clES8_S8_.private_seg_size, 0
	.set .L_ZZZZN2at6native31launch_logcumsumexp_cuda_kernelERKNS_10TensorBaseES3_lENKUlvE_clEvENKUlvE1_clEvENKUlN3c107complexIdEES8_E_clES8_S8_.uses_vcc, 1
	.set .L_ZZZZN2at6native31launch_logcumsumexp_cuda_kernelERKNS_10TensorBaseES3_lENKUlvE_clEvENKUlvE1_clEvENKUlN3c107complexIdEES8_E_clES8_S8_.uses_flat_scratch, 0
	.set .L_ZZZZN2at6native31launch_logcumsumexp_cuda_kernelERKNS_10TensorBaseES3_lENKUlvE_clEvENKUlvE1_clEvENKUlN3c107complexIdEES8_E_clES8_S8_.has_dyn_sized_stack, 0
	.set .L_ZZZZN2at6native31launch_logcumsumexp_cuda_kernelERKNS_10TensorBaseES3_lENKUlvE_clEvENKUlvE1_clEvENKUlN3c107complexIdEES8_E_clES8_S8_.has_recursion, 0
	.set .L_ZZZZN2at6native31launch_logcumsumexp_cuda_kernelERKNS_10TensorBaseES3_lENKUlvE_clEvENKUlvE1_clEvENKUlN3c107complexIdEES8_E_clES8_S8_.has_indirect_call, 0
	.section	.AMDGPU.csdata,"",@progbits
; Function info:
; codeLenInByte = 14076
; TotalNumSgprs: 45
; NumVgprs: 55
; ScratchSize: 0
; MemoryBound: 0
	.section	.text._ZN7rocprim17ROCPRIM_400000_NS6detail17trampoline_kernelINS0_14default_configENS1_20scan_config_selectorIN3c107complexIdEEEEZZNS1_9scan_implILNS1_25lookback_scan_determinismE0ELb0ELb0ES3_PKS7_PS7_S7_ZZZN2at6native31launch_logcumsumexp_cuda_kernelERKNSE_10TensorBaseESI_lENKUlvE_clEvENKUlvE1_clEvEUlS7_S7_E_S7_EEDaPvRmT3_T4_T5_mT6_P12ihipStream_tbENKUlT_T0_E_clISt17integral_constantIbLb0EESZ_EEDaSU_SV_EUlSU_E_NS1_11comp_targetILNS1_3genE2ELNS1_11target_archE906ELNS1_3gpuE6ELNS1_3repE0EEENS1_30default_config_static_selectorELNS0_4arch9wavefront6targetE1EEEvT1_,"axG",@progbits,_ZN7rocprim17ROCPRIM_400000_NS6detail17trampoline_kernelINS0_14default_configENS1_20scan_config_selectorIN3c107complexIdEEEEZZNS1_9scan_implILNS1_25lookback_scan_determinismE0ELb0ELb0ES3_PKS7_PS7_S7_ZZZN2at6native31launch_logcumsumexp_cuda_kernelERKNSE_10TensorBaseESI_lENKUlvE_clEvENKUlvE1_clEvEUlS7_S7_E_S7_EEDaPvRmT3_T4_T5_mT6_P12ihipStream_tbENKUlT_T0_E_clISt17integral_constantIbLb0EESZ_EEDaSU_SV_EUlSU_E_NS1_11comp_targetILNS1_3genE2ELNS1_11target_archE906ELNS1_3gpuE6ELNS1_3repE0EEENS1_30default_config_static_selectorELNS0_4arch9wavefront6targetE1EEEvT1_,comdat
	.globl	_ZN7rocprim17ROCPRIM_400000_NS6detail17trampoline_kernelINS0_14default_configENS1_20scan_config_selectorIN3c107complexIdEEEEZZNS1_9scan_implILNS1_25lookback_scan_determinismE0ELb0ELb0ES3_PKS7_PS7_S7_ZZZN2at6native31launch_logcumsumexp_cuda_kernelERKNSE_10TensorBaseESI_lENKUlvE_clEvENKUlvE1_clEvEUlS7_S7_E_S7_EEDaPvRmT3_T4_T5_mT6_P12ihipStream_tbENKUlT_T0_E_clISt17integral_constantIbLb0EESZ_EEDaSU_SV_EUlSU_E_NS1_11comp_targetILNS1_3genE2ELNS1_11target_archE906ELNS1_3gpuE6ELNS1_3repE0EEENS1_30default_config_static_selectorELNS0_4arch9wavefront6targetE1EEEvT1_ ; -- Begin function _ZN7rocprim17ROCPRIM_400000_NS6detail17trampoline_kernelINS0_14default_configENS1_20scan_config_selectorIN3c107complexIdEEEEZZNS1_9scan_implILNS1_25lookback_scan_determinismE0ELb0ELb0ES3_PKS7_PS7_S7_ZZZN2at6native31launch_logcumsumexp_cuda_kernelERKNSE_10TensorBaseESI_lENKUlvE_clEvENKUlvE1_clEvEUlS7_S7_E_S7_EEDaPvRmT3_T4_T5_mT6_P12ihipStream_tbENKUlT_T0_E_clISt17integral_constantIbLb0EESZ_EEDaSU_SV_EUlSU_E_NS1_11comp_targetILNS1_3genE2ELNS1_11target_archE906ELNS1_3gpuE6ELNS1_3repE0EEENS1_30default_config_static_selectorELNS0_4arch9wavefront6targetE1EEEvT1_
	.p2align	8
	.type	_ZN7rocprim17ROCPRIM_400000_NS6detail17trampoline_kernelINS0_14default_configENS1_20scan_config_selectorIN3c107complexIdEEEEZZNS1_9scan_implILNS1_25lookback_scan_determinismE0ELb0ELb0ES3_PKS7_PS7_S7_ZZZN2at6native31launch_logcumsumexp_cuda_kernelERKNSE_10TensorBaseESI_lENKUlvE_clEvENKUlvE1_clEvEUlS7_S7_E_S7_EEDaPvRmT3_T4_T5_mT6_P12ihipStream_tbENKUlT_T0_E_clISt17integral_constantIbLb0EESZ_EEDaSU_SV_EUlSU_E_NS1_11comp_targetILNS1_3genE2ELNS1_11target_archE906ELNS1_3gpuE6ELNS1_3repE0EEENS1_30default_config_static_selectorELNS0_4arch9wavefront6targetE1EEEvT1_,@function
_ZN7rocprim17ROCPRIM_400000_NS6detail17trampoline_kernelINS0_14default_configENS1_20scan_config_selectorIN3c107complexIdEEEEZZNS1_9scan_implILNS1_25lookback_scan_determinismE0ELb0ELb0ES3_PKS7_PS7_S7_ZZZN2at6native31launch_logcumsumexp_cuda_kernelERKNSE_10TensorBaseESI_lENKUlvE_clEvENKUlvE1_clEvEUlS7_S7_E_S7_EEDaPvRmT3_T4_T5_mT6_P12ihipStream_tbENKUlT_T0_E_clISt17integral_constantIbLb0EESZ_EEDaSU_SV_EUlSU_E_NS1_11comp_targetILNS1_3genE2ELNS1_11target_archE906ELNS1_3gpuE6ELNS1_3repE0EEENS1_30default_config_static_selectorELNS0_4arch9wavefront6targetE1EEEvT1_: ; @_ZN7rocprim17ROCPRIM_400000_NS6detail17trampoline_kernelINS0_14default_configENS1_20scan_config_selectorIN3c107complexIdEEEEZZNS1_9scan_implILNS1_25lookback_scan_determinismE0ELb0ELb0ES3_PKS7_PS7_S7_ZZZN2at6native31launch_logcumsumexp_cuda_kernelERKNSE_10TensorBaseESI_lENKUlvE_clEvENKUlvE1_clEvEUlS7_S7_E_S7_EEDaPvRmT3_T4_T5_mT6_P12ihipStream_tbENKUlT_T0_E_clISt17integral_constantIbLb0EESZ_EEDaSU_SV_EUlSU_E_NS1_11comp_targetILNS1_3genE2ELNS1_11target_archE906ELNS1_3gpuE6ELNS1_3repE0EEENS1_30default_config_static_selectorELNS0_4arch9wavefront6targetE1EEEvT1_
; %bb.0:
	s_mov_b64 s[34:35], s[4:5]
	s_load_dwordx8 s[44:51], s[4:5], 0x0
	s_nop 0
	s_load_dword s4, s[4:5], 0x50
	s_nop 0
	s_load_dwordx4 s[60:63], s[34:35], 0x38
	s_load_dwordx2 s[64:65], s[34:35], 0x48
	s_add_u32 s0, s0, s7
	s_addc_u32 s1, s1, 0
	s_waitcnt lgkmcnt(0)
	s_lshl_b64 s[38:39], s[46:47], 4
	s_mov_b32 s33, s6
	s_add_u32 s6, s44, s38
	s_addc_u32 s7, s45, s39
	s_add_i32 s8, s4, -1
	s_mul_i32 s9, s8, 0x3c0
	s_sub_u32 s41, s50, s9
	s_subb_u32 s50, s51, 0
	s_mov_b32 s5, 0
	s_mul_i32 s4, s33, 0x3c0
	s_cmp_lg_u32 s33, s8
	s_cselect_b64 s[42:43], -1, 0
	s_lshl_b64 s[44:45], s[4:5], 4
	v_mov_b32_e32 v167, v0
	s_add_u32 s6, s6, s44
	s_addc_u32 s7, s7, s45
	s_mov_b64 s[4:5], -1
	s_and_b64 vcc, exec, s[42:43]
	v_lshlrev_b32_e32 v169, 4, v167
	s_mov_b32 s32, 0
	s_cbranch_vccz .LBB180_2
; %bb.1:
	v_mov_b32_e32 v0, s7
	v_add_co_u32_e32 v50, vcc, s6, v169
	v_addc_co_u32_e32 v51, vcc, 0, v0, vcc
	v_add_co_u32_e32 v32, vcc, 0x1000, v50
	v_addc_co_u32_e32 v33, vcc, 0, v51, vcc
	;; [unrolled: 2-line block ×4, first 2 shown]
	global_load_dwordx4 v[0:3], v169, s[6:7]
	global_load_dwordx4 v[4:7], v169, s[6:7] offset:1024
	global_load_dwordx4 v[8:11], v169, s[6:7] offset:2048
	;; [unrolled: 1-line block ×3, first 2 shown]
	global_load_dwordx4 v[16:19], v[32:33], off
	global_load_dwordx4 v[20:23], v[32:33], off offset:1024
	global_load_dwordx4 v[24:27], v[32:33], off offset:2048
	;; [unrolled: 1-line block ×3, first 2 shown]
	s_nop 0
	global_load_dwordx4 v[32:35], v[48:49], off
	global_load_dwordx4 v[36:39], v[48:49], off offset:1024
	global_load_dwordx4 v[40:43], v[48:49], off offset:2048
	;; [unrolled: 1-line block ×3, first 2 shown]
	s_nop 0
	global_load_dwordx4 v[48:51], v[60:61], off
	global_load_dwordx4 v[52:55], v[60:61], off offset:1024
	global_load_dwordx4 v[56:59], v[60:61], off offset:2048
	s_mov_b64 s[4:5], 0
	s_waitcnt vmcnt(14)
	ds_write_b128 v169, v[0:3]
	s_waitcnt vmcnt(13)
	ds_write_b128 v169, v[4:7] offset:1024
	s_waitcnt vmcnt(12)
	ds_write_b128 v169, v[8:11] offset:2048
	;; [unrolled: 2-line block ×14, first 2 shown]
	s_waitcnt lgkmcnt(0)
	; wave barrier
.LBB180_2:
	s_andn2_b64 vcc, exec, s[4:5]
	v_cmp_gt_u32_e64 s[4:5], s41, v167
	s_cbranch_vccnz .LBB180_34
; %bb.3:
	s_load_dwordx4 s[8:11], s[6:7], 0x0
	s_waitcnt lgkmcnt(0)
	v_mov_b32_e32 v2, s10
	v_mov_b32_e32 v0, s8
	;; [unrolled: 1-line block ×4, first 2 shown]
	s_and_saveexec_b64 s[12:13], s[4:5]
	s_cbranch_execz .LBB180_5
; %bb.4:
	global_load_dwordx4 v[0:3], v169, s[6:7]
.LBB180_5:
	s_or_b64 exec, exec, s[12:13]
	v_or_b32_e32 v4, 64, v167
	v_cmp_gt_u32_e32 vcc, s41, v4
	v_mov_b32_e32 v6, s10
	v_mov_b32_e32 v4, s8
	v_mov_b32_e32 v7, s11
	v_mov_b32_e32 v5, s9
	s_and_saveexec_b64 s[4:5], vcc
	s_cbranch_execz .LBB180_7
; %bb.6:
	global_load_dwordx4 v[4:7], v169, s[6:7] offset:1024
.LBB180_7:
	s_or_b64 exec, exec, s[4:5]
	v_or_b32_e32 v8, 0x80, v167
	v_cmp_gt_u32_e32 vcc, s41, v8
	v_mov_b32_e32 v10, s10
	v_mov_b32_e32 v8, s8
	v_mov_b32_e32 v11, s11
	v_mov_b32_e32 v9, s9
	s_and_saveexec_b64 s[4:5], vcc
	s_cbranch_execz .LBB180_9
; %bb.8:
	global_load_dwordx4 v[8:11], v169, s[6:7] offset:2048
.LBB180_9:
	;; [unrolled: 12-line block ×3, first 2 shown]
	s_or_b64 exec, exec, s[4:5]
	v_or_b32_e32 v20, 0x100, v167
	v_mov_b32_e32 v19, s11
	v_mov_b32_e32 v17, s9
	v_cmp_gt_u32_e32 vcc, s41, v20
	v_mov_b32_e32 v18, s10
	v_mov_b32_e32 v16, s8
	s_and_saveexec_b64 s[4:5], vcc
	s_cbranch_execz .LBB180_13
; %bb.12:
	v_lshlrev_b32_e32 v16, 4, v20
	global_load_dwordx4 v[16:19], v16, s[6:7]
.LBB180_13:
	s_or_b64 exec, exec, s[4:5]
	v_or_b32_e32 v24, 0x140, v167
	v_mov_b32_e32 v23, s11
	v_mov_b32_e32 v21, s9
	v_cmp_gt_u32_e32 vcc, s41, v24
	v_mov_b32_e32 v22, s10
	v_mov_b32_e32 v20, s8
	s_and_saveexec_b64 s[4:5], vcc
	s_cbranch_execz .LBB180_15
; %bb.14:
	v_lshlrev_b32_e32 v20, 4, v24
	global_load_dwordx4 v[20:23], v20, s[6:7]
.LBB180_15:
	;; [unrolled: 13-line block ×11, first 2 shown]
	s_or_b64 exec, exec, s[4:5]
	s_waitcnt vmcnt(0)
	ds_write_b128 v169, v[0:3]
	ds_write_b128 v169, v[4:7] offset:1024
	ds_write_b128 v169, v[8:11] offset:2048
	;; [unrolled: 1-line block ×14, first 2 shown]
	s_waitcnt lgkmcnt(0)
	; wave barrier
.LBB180_34:
	v_mul_u32_u24_e32 v170, 0xf0, v167
	ds_read_b128 v[40:43], v170
	ds_read_b128 v[103:106], v170 offset:16
	ds_read_b128 v[99:102], v170 offset:32
	;; [unrolled: 1-line block ×14, first 2 shown]
	s_cmp_lg_u32 s33, 0
	s_waitcnt lgkmcnt(0)
	; wave barrier
	s_cbranch_scc0 .LBB180_94
; %bb.35:
	s_getpc_b64 s[36:37]
	s_add_u32 s36, s36, _ZZZZN2at6native31launch_logcumsumexp_cuda_kernelERKNS_10TensorBaseES3_lENKUlvE_clEvENKUlvE1_clEvENKUlN3c107complexIdEES8_E_clES8_S8_@rel32@lo+4
	s_addc_u32 s37, s37, _ZZZZN2at6native31launch_logcumsumexp_cuda_kernelERKNS_10TensorBaseES3_lENKUlvE_clEvENKUlvE1_clEvENKUlN3c107complexIdEES8_E_clES8_S8_@rel32@hi+12
	v_mov_b32_e32 v0, v40
	v_mov_b32_e32 v1, v41
	;; [unrolled: 1-line block ×8, first 2 shown]
	s_swappc_b64 s[30:31], s[36:37]
	v_mov_b32_e32 v4, v99
	v_mov_b32_e32 v5, v100
	v_mov_b32_e32 v6, v101
	v_mov_b32_e32 v7, v102
	s_swappc_b64 s[30:31], s[36:37]
	v_mov_b32_e32 v4, v95
	v_mov_b32_e32 v5, v96
	v_mov_b32_e32 v6, v97
	v_mov_b32_e32 v7, v98
	;; [unrolled: 5-line block ×13, first 2 shown]
	s_swappc_b64 s[30:31], s[36:37]
	v_mov_b32_e32 v4, v0
	v_mbcnt_lo_u32_b32 v0, -1, 0
	v_mbcnt_hi_u32_b32 v111, -1, v0
	v_mov_b32_e32 v5, v1
	v_mov_b32_e32 v6, v2
	;; [unrolled: 1-line block ×3, first 2 shown]
	v_and_b32_e32 v107, 15, v111
	v_mov_b32_dpp v0, v4 row_shr:1 row_mask:0xf bank_mask:0xf
	v_mov_b32_dpp v1, v5 row_shr:1 row_mask:0xf bank_mask:0xf
	;; [unrolled: 1-line block ×4, first 2 shown]
	v_cmp_ne_u32_e32 vcc, 0, v107
	s_and_saveexec_b64 s[46:47], vcc
	s_cbranch_execz .LBB180_37
; %bb.36:
	s_swappc_b64 s[30:31], s[36:37]
	v_mov_b32_e32 v4, v0
	v_mov_b32_e32 v5, v1
	;; [unrolled: 1-line block ×4, first 2 shown]
.LBB180_37:
	s_or_b64 exec, exec, s[46:47]
	v_mov_b32_dpp v0, v4 row_shr:2 row_mask:0xf bank_mask:0xf
	v_mov_b32_dpp v1, v5 row_shr:2 row_mask:0xf bank_mask:0xf
	v_mov_b32_dpp v2, v6 row_shr:2 row_mask:0xf bank_mask:0xf
	v_mov_b32_dpp v3, v7 row_shr:2 row_mask:0xf bank_mask:0xf
	v_cmp_lt_u32_e32 vcc, 1, v107
	s_and_saveexec_b64 s[36:37], vcc
	s_cbranch_execz .LBB180_39
; %bb.38:
	s_getpc_b64 s[4:5]
	s_add_u32 s4, s4, _ZZZZN2at6native31launch_logcumsumexp_cuda_kernelERKNS_10TensorBaseES3_lENKUlvE_clEvENKUlvE1_clEvENKUlN3c107complexIdEES8_E_clES8_S8_@rel32@lo+4
	s_addc_u32 s5, s5, _ZZZZN2at6native31launch_logcumsumexp_cuda_kernelERKNS_10TensorBaseES3_lENKUlvE_clEvENKUlvE1_clEvENKUlN3c107complexIdEES8_E_clES8_S8_@rel32@hi+12
	s_swappc_b64 s[30:31], s[4:5]
	v_mov_b32_e32 v4, v0
	v_mov_b32_e32 v5, v1
	v_mov_b32_e32 v6, v2
	v_mov_b32_e32 v7, v3
.LBB180_39:
	s_or_b64 exec, exec, s[36:37]
	v_mov_b32_dpp v0, v4 row_shr:4 row_mask:0xf bank_mask:0xf
	v_mov_b32_dpp v1, v5 row_shr:4 row_mask:0xf bank_mask:0xf
	v_mov_b32_dpp v2, v6 row_shr:4 row_mask:0xf bank_mask:0xf
	v_mov_b32_dpp v3, v7 row_shr:4 row_mask:0xf bank_mask:0xf
	v_cmp_lt_u32_e32 vcc, 3, v107
	s_and_saveexec_b64 s[36:37], vcc
	s_cbranch_execz .LBB180_41
; %bb.40:
	s_getpc_b64 s[4:5]
	s_add_u32 s4, s4, _ZZZZN2at6native31launch_logcumsumexp_cuda_kernelERKNS_10TensorBaseES3_lENKUlvE_clEvENKUlvE1_clEvENKUlN3c107complexIdEES8_E_clES8_S8_@rel32@lo+4
	s_addc_u32 s5, s5, _ZZZZN2at6native31launch_logcumsumexp_cuda_kernelERKNS_10TensorBaseES3_lENKUlvE_clEvENKUlvE1_clEvENKUlN3c107complexIdEES8_E_clES8_S8_@rel32@hi+12
	s_swappc_b64 s[30:31], s[4:5]
	v_mov_b32_e32 v4, v0
	v_mov_b32_e32 v5, v1
	v_mov_b32_e32 v6, v2
	v_mov_b32_e32 v7, v3
.LBB180_41:
	s_or_b64 exec, exec, s[36:37]
	v_mov_b32_dpp v0, v4 row_shr:8 row_mask:0xf bank_mask:0xf
	v_mov_b32_dpp v1, v5 row_shr:8 row_mask:0xf bank_mask:0xf
	v_mov_b32_dpp v2, v6 row_shr:8 row_mask:0xf bank_mask:0xf
	v_mov_b32_dpp v3, v7 row_shr:8 row_mask:0xf bank_mask:0xf
	v_cmp_lt_u32_e32 vcc, 7, v107
	s_and_saveexec_b64 s[36:37], vcc
	s_cbranch_execz .LBB180_43
; %bb.42:
	s_getpc_b64 s[4:5]
	s_add_u32 s4, s4, _ZZZZN2at6native31launch_logcumsumexp_cuda_kernelERKNS_10TensorBaseES3_lENKUlvE_clEvENKUlvE1_clEvENKUlN3c107complexIdEES8_E_clES8_S8_@rel32@lo+4
	s_addc_u32 s5, s5, _ZZZZN2at6native31launch_logcumsumexp_cuda_kernelERKNS_10TensorBaseES3_lENKUlvE_clEvENKUlvE1_clEvENKUlN3c107complexIdEES8_E_clES8_S8_@rel32@hi+12
	s_swappc_b64 s[30:31], s[4:5]
	v_mov_b32_e32 v4, v0
	v_mov_b32_e32 v5, v1
	v_mov_b32_e32 v6, v2
	v_mov_b32_e32 v7, v3
.LBB180_43:
	s_or_b64 exec, exec, s[36:37]
	v_and_b32_e32 v8, 16, v111
	v_mov_b32_dpp v0, v4 row_bcast:15 row_mask:0xf bank_mask:0xf
	v_mov_b32_dpp v1, v5 row_bcast:15 row_mask:0xf bank_mask:0xf
	;; [unrolled: 1-line block ×4, first 2 shown]
	v_cmp_ne_u32_e32 vcc, 0, v8
	s_and_saveexec_b64 s[36:37], vcc
	s_cbranch_execz .LBB180_45
; %bb.44:
	s_getpc_b64 s[4:5]
	s_add_u32 s4, s4, _ZZZZN2at6native31launch_logcumsumexp_cuda_kernelERKNS_10TensorBaseES3_lENKUlvE_clEvENKUlvE1_clEvENKUlN3c107complexIdEES8_E_clES8_S8_@rel32@lo+4
	s_addc_u32 s5, s5, _ZZZZN2at6native31launch_logcumsumexp_cuda_kernelERKNS_10TensorBaseES3_lENKUlvE_clEvENKUlvE1_clEvENKUlN3c107complexIdEES8_E_clES8_S8_@rel32@hi+12
	s_swappc_b64 s[30:31], s[4:5]
	v_mov_b32_e32 v4, v0
	v_mov_b32_e32 v5, v1
	;; [unrolled: 1-line block ×4, first 2 shown]
.LBB180_45:
	s_or_b64 exec, exec, s[36:37]
	v_mov_b32_dpp v0, v4 row_bcast:31 row_mask:0xf bank_mask:0xf
	v_mov_b32_dpp v1, v5 row_bcast:31 row_mask:0xf bank_mask:0xf
	;; [unrolled: 1-line block ×4, first 2 shown]
	v_cmp_lt_u32_e32 vcc, 31, v111
	s_and_saveexec_b64 s[36:37], vcc
	s_cbranch_execz .LBB180_47
; %bb.46:
	s_getpc_b64 s[4:5]
	s_add_u32 s4, s4, _ZZZZN2at6native31launch_logcumsumexp_cuda_kernelERKNS_10TensorBaseES3_lENKUlvE_clEvENKUlvE1_clEvENKUlN3c107complexIdEES8_E_clES8_S8_@rel32@lo+4
	s_addc_u32 s5, s5, _ZZZZN2at6native31launch_logcumsumexp_cuda_kernelERKNS_10TensorBaseES3_lENKUlvE_clEvENKUlvE1_clEvENKUlN3c107complexIdEES8_E_clES8_S8_@rel32@hi+12
	s_swappc_b64 s[30:31], s[4:5]
	v_mov_b32_e32 v4, v0
	v_mov_b32_e32 v5, v1
	;; [unrolled: 1-line block ×4, first 2 shown]
.LBB180_47:
	s_or_b64 exec, exec, s[36:37]
	v_cmp_eq_u32_e32 vcc, 63, v167
	s_and_saveexec_b64 s[4:5], vcc
; %bb.48:
	v_mov_b32_e32 v0, 0
	ds_write_b128 v0, v[4:7]
; %bb.49:
	s_or_b64 exec, exec, s[4:5]
	v_subrev_co_u32_e64 v0, s[36:37], 1, v111
	v_and_b32_e32 v1, 64, v111
	v_cmp_lt_i32_e32 vcc, v0, v1
	v_cndmask_b32_e32 v0, v0, v111, vcc
	v_lshlrev_b32_e32 v0, 2, v0
	v_mov_b32_e32 v1, 0
	s_waitcnt lgkmcnt(0)
	; wave barrier
	ds_bpermute_b32 v115, v0, v4
	ds_bpermute_b32 v116, v0, v5
	;; [unrolled: 1-line block ×4, first 2 shown]
	ds_read_b128 v[107:110], v1
	s_and_saveexec_b64 s[4:5], s[36:37]
	s_cbranch_execz .LBB180_51
; %bb.50:
	s_add_i32 s6, s33, 64
	s_mov_b32 s7, 0
	s_lshl_b64 s[8:9], s[6:7], 4
	s_add_u32 s8, s60, s8
	s_addc_u32 s9, s61, s9
	v_mov_b32_e32 v0, 1
	v_mov_b32_e32 v2, s6
	s_waitcnt lgkmcnt(0)
	global_store_dwordx4 v1, v[107:110], s[8:9]
	s_waitcnt vmcnt(0)
	buffer_wbinvl1_vol
	global_store_byte v2, v0, s[64:65]
.LBB180_51:
	s_or_b64 exec, exec, s[4:5]
	v_xad_u32 v119, v111, -1, s33
	v_add_u32_e32 v0, 64, v119
	global_load_ubyte v123, v0, s[64:65] glc
	s_waitcnt vmcnt(0)
	v_cmp_eq_u16_e32 vcc, 0, v123
	s_and_saveexec_b64 s[4:5], vcc
	s_cbranch_execz .LBB180_55
; %bb.52:
	v_mov_b32_e32 v3, s65
	v_add_co_u32_e32 v2, vcc, s64, v0
	v_addc_co_u32_e32 v3, vcc, 0, v3, vcc
	s_mov_b64 s[6:7], 0
.LBB180_53:                             ; =>This Inner Loop Header: Depth=1
	global_load_ubyte v123, v[2:3], off glc
	s_waitcnt vmcnt(0)
	v_cmp_ne_u16_e32 vcc, 0, v123
	s_or_b64 s[6:7], vcc, s[6:7]
	s_andn2_b64 exec, exec, s[6:7]
	s_cbranch_execnz .LBB180_53
; %bb.54:
	s_or_b64 exec, exec, s[6:7]
.LBB180_55:
	s_or_b64 exec, exec, s[4:5]
	v_mov_b32_e32 v2, s63
	v_mov_b32_e32 v3, s61
	v_cmp_eq_u16_e32 vcc, 1, v123
	v_cndmask_b32_e32 v2, v2, v3, vcc
	v_mov_b32_e32 v3, s62
	v_mov_b32_e32 v4, s60
	v_lshlrev_b64 v[0:1], 4, v[0:1]
	v_cndmask_b32_e32 v3, v3, v4, vcc
	v_add_co_u32_e32 v0, vcc, v3, v0
	v_addc_co_u32_e32 v1, vcc, v2, v1, vcc
	s_waitcnt lgkmcnt(0)
	buffer_wbinvl1_vol
	global_load_dwordx4 v[4:7], v[0:1], off
	v_lshlrev_b64 v[121:122], v111, -1
	v_and_b32_e32 v124, 63, v111
	v_cmp_eq_u16_e32 vcc, 2, v123
	v_cmp_ne_u32_e64 s[4:5], 63, v124
	v_addc_co_u32_e64 v0, s[4:5], 0, v111, s[4:5]
	v_and_b32_e32 v1, vcc_hi, v122
	v_lshlrev_b32_e32 v125, 2, v0
	v_or_b32_e32 v0, 0x80000000, v1
	v_ffbl_b32_e32 v9, v0
	v_and_b32_e32 v8, vcc_lo, v121
	v_add_u32_e32 v9, 32, v9
	v_ffbl_b32_e32 v8, v8
	v_min_u32_e32 v112, v8, v9
	v_cmp_lt_u32_e32 vcc, v124, v112
	s_waitcnt vmcnt(0)
	ds_bpermute_b32 v0, v125, v4
	ds_bpermute_b32 v1, v125, v5
	;; [unrolled: 1-line block ×4, first 2 shown]
	s_and_saveexec_b64 s[46:47], vcc
	s_cbranch_execz .LBB180_57
; %bb.56:
	s_getpc_b64 s[4:5]
	s_add_u32 s4, s4, _ZZZZN2at6native31launch_logcumsumexp_cuda_kernelERKNS_10TensorBaseES3_lENKUlvE_clEvENKUlvE1_clEvENKUlN3c107complexIdEES8_E_clES8_S8_@rel32@lo+4
	s_addc_u32 s5, s5, _ZZZZN2at6native31launch_logcumsumexp_cuda_kernelERKNS_10TensorBaseES3_lENKUlvE_clEvENKUlvE1_clEvENKUlN3c107complexIdEES8_E_clES8_S8_@rel32@hi+12
	s_swappc_b64 s[30:31], s[4:5]
	v_mov_b32_e32 v4, v0
	v_mov_b32_e32 v5, v1
	v_mov_b32_e32 v6, v2
	v_mov_b32_e32 v7, v3
.LBB180_57:
	s_or_b64 exec, exec, s[46:47]
	v_cmp_gt_u32_e32 vcc, 62, v124
	s_waitcnt lgkmcnt(3)
	v_cndmask_b32_e64 v0, 0, 2, vcc
	v_add_lshl_u32 v126, v0, v111, 2
	ds_bpermute_b32 v0, v126, v4
	s_waitcnt lgkmcnt(3)
	ds_bpermute_b32 v1, v126, v5
	s_waitcnt lgkmcnt(3)
	ds_bpermute_b32 v2, v126, v6
	s_waitcnt lgkmcnt(3)
	ds_bpermute_b32 v3, v126, v7
	v_add_u32_e32 v127, 2, v124
	v_cmp_le_u32_e32 vcc, v127, v112
	s_and_saveexec_b64 s[46:47], vcc
	s_cbranch_execz .LBB180_59
; %bb.58:
	s_getpc_b64 s[4:5]
	s_add_u32 s4, s4, _ZZZZN2at6native31launch_logcumsumexp_cuda_kernelERKNS_10TensorBaseES3_lENKUlvE_clEvENKUlvE1_clEvENKUlN3c107complexIdEES8_E_clES8_S8_@rel32@lo+4
	s_addc_u32 s5, s5, _ZZZZN2at6native31launch_logcumsumexp_cuda_kernelERKNS_10TensorBaseES3_lENKUlvE_clEvENKUlvE1_clEvENKUlN3c107complexIdEES8_E_clES8_S8_@rel32@hi+12
	s_swappc_b64 s[30:31], s[4:5]
	v_mov_b32_e32 v4, v0
	v_mov_b32_e32 v5, v1
	v_mov_b32_e32 v6, v2
	v_mov_b32_e32 v7, v3
.LBB180_59:
	s_or_b64 exec, exec, s[46:47]
	v_cmp_gt_u32_e32 vcc, 60, v124
	s_waitcnt lgkmcnt(3)
	v_cndmask_b32_e64 v0, 0, 4, vcc
	v_add_lshl_u32 v128, v0, v111, 2
	ds_bpermute_b32 v0, v128, v4
	s_waitcnt lgkmcnt(3)
	ds_bpermute_b32 v1, v128, v5
	s_waitcnt lgkmcnt(3)
	ds_bpermute_b32 v2, v128, v6
	s_waitcnt lgkmcnt(3)
	ds_bpermute_b32 v3, v128, v7
	v_add_u32_e32 v129, 4, v124
	v_cmp_le_u32_e32 vcc, v129, v112
	;; [unrolled: 26-line block ×4, first 2 shown]
	s_and_saveexec_b64 s[46:47], vcc
	s_cbranch_execz .LBB180_65
; %bb.64:
	s_getpc_b64 s[4:5]
	s_add_u32 s4, s4, _ZZZZN2at6native31launch_logcumsumexp_cuda_kernelERKNS_10TensorBaseES3_lENKUlvE_clEvENKUlvE1_clEvENKUlN3c107complexIdEES8_E_clES8_S8_@rel32@lo+4
	s_addc_u32 s5, s5, _ZZZZN2at6native31launch_logcumsumexp_cuda_kernelERKNS_10TensorBaseES3_lENKUlvE_clEvENKUlvE1_clEvENKUlN3c107complexIdEES8_E_clES8_S8_@rel32@hi+12
	s_swappc_b64 s[30:31], s[4:5]
	v_mov_b32_e32 v4, v0
	v_mov_b32_e32 v5, v1
	;; [unrolled: 1-line block ×4, first 2 shown]
.LBB180_65:
	s_or_b64 exec, exec, s[46:47]
	s_waitcnt lgkmcnt(3)
	v_mov_b32_e32 v0, 0x80
	v_lshl_or_b32 v134, v111, 2, v0
	ds_bpermute_b32 v0, v134, v4
	s_waitcnt lgkmcnt(3)
	ds_bpermute_b32 v1, v134, v5
	s_waitcnt lgkmcnt(3)
	;; [unrolled: 2-line block ×3, first 2 shown]
	ds_bpermute_b32 v3, v134, v7
	v_add_u32_e32 v135, 32, v124
	v_cmp_le_u32_e32 vcc, v135, v112
	s_and_saveexec_b64 s[46:47], vcc
	s_cbranch_execz .LBB180_67
; %bb.66:
	s_getpc_b64 s[4:5]
	s_add_u32 s4, s4, _ZZZZN2at6native31launch_logcumsumexp_cuda_kernelERKNS_10TensorBaseES3_lENKUlvE_clEvENKUlvE1_clEvENKUlN3c107complexIdEES8_E_clES8_S8_@rel32@lo+4
	s_addc_u32 s5, s5, _ZZZZN2at6native31launch_logcumsumexp_cuda_kernelERKNS_10TensorBaseES3_lENKUlvE_clEvENKUlvE1_clEvENKUlN3c107complexIdEES8_E_clES8_S8_@rel32@hi+12
	s_swappc_b64 s[30:31], s[4:5]
	v_mov_b32_e32 v4, v0
	v_mov_b32_e32 v5, v1
	;; [unrolled: 1-line block ×4, first 2 shown]
.LBB180_67:
	s_or_b64 exec, exec, s[46:47]
	v_mov_b32_e32 v120, 0
	v_mov_b32_e32 v136, 2
	s_branch .LBB180_70
.LBB180_68:                             ;   in Loop: Header=BB180_70 Depth=1
	s_or_b64 exec, exec, s[46:47]
	s_getpc_b64 s[4:5]
	s_add_u32 s4, s4, _ZZZZN2at6native31launch_logcumsumexp_cuda_kernelERKNS_10TensorBaseES3_lENKUlvE_clEvENKUlvE1_clEvENKUlN3c107complexIdEES8_E_clES8_S8_@rel32@lo+4
	s_addc_u32 s5, s5, _ZZZZN2at6native31launch_logcumsumexp_cuda_kernelERKNS_10TensorBaseES3_lENKUlvE_clEvENKUlvE1_clEvENKUlN3c107complexIdEES8_E_clES8_S8_@rel32@hi+12
	s_waitcnt lgkmcnt(3)
	v_mov_b32_e32 v0, v4
	s_waitcnt lgkmcnt(2)
	v_mov_b32_e32 v1, v5
	;; [unrolled: 2-line block ×4, first 2 shown]
	v_mov_b32_e32 v4, v111
	v_mov_b32_e32 v5, v112
	;; [unrolled: 1-line block ×4, first 2 shown]
	v_subrev_u32_e32 v119, 64, v119
	s_swappc_b64 s[30:31], s[4:5]
	v_mov_b32_e32 v4, v0
	v_mov_b32_e32 v5, v1
	;; [unrolled: 1-line block ×4, first 2 shown]
	s_mov_b64 s[4:5], 0
.LBB180_69:                             ;   in Loop: Header=BB180_70 Depth=1
	s_and_b64 vcc, exec, s[4:5]
	s_cbranch_vccnz .LBB180_87
.LBB180_70:                             ; =>This Loop Header: Depth=1
                                        ;     Child Loop BB180_73 Depth 2
	v_mov_b32_e32 v114, v7
	v_mov_b32_e32 v112, v5
	v_cmp_ne_u16_sdwa s[4:5], v123, v136 src0_sel:BYTE_0 src1_sel:DWORD
	v_mov_b32_e32 v113, v6
	v_mov_b32_e32 v111, v4
	s_cmp_lg_u64 s[4:5], exec
	s_mov_b64 s[4:5], -1
                                        ; implicit-def: $vgpr6_vgpr7
                                        ; implicit-def: $vgpr123
	s_cbranch_scc1 .LBB180_69
; %bb.71:                               ;   in Loop: Header=BB180_70 Depth=1
	global_load_ubyte v123, v119, s[64:65] glc
	s_waitcnt vmcnt(0)
	v_cmp_eq_u16_e32 vcc, 0, v123
	s_and_saveexec_b64 s[4:5], vcc
	s_cbranch_execz .LBB180_75
; %bb.72:                               ;   in Loop: Header=BB180_70 Depth=1
	s_waitcnt lgkmcnt(2)
	v_mov_b32_e32 v1, s65
	v_add_co_u32_e32 v0, vcc, s64, v119
	v_addc_co_u32_e32 v1, vcc, 0, v1, vcc
	s_mov_b64 s[6:7], 0
.LBB180_73:                             ;   Parent Loop BB180_70 Depth=1
                                        ; =>  This Inner Loop Header: Depth=2
	global_load_ubyte v123, v[0:1], off glc
	s_waitcnt vmcnt(0)
	v_cmp_ne_u16_e32 vcc, 0, v123
	s_or_b64 s[6:7], vcc, s[6:7]
	s_andn2_b64 exec, exec, s[6:7]
	s_cbranch_execnz .LBB180_73
; %bb.74:                               ;   in Loop: Header=BB180_70 Depth=1
	s_or_b64 exec, exec, s[6:7]
.LBB180_75:                             ;   in Loop: Header=BB180_70 Depth=1
	s_or_b64 exec, exec, s[4:5]
	s_waitcnt lgkmcnt(3)
	v_mov_b32_e32 v0, s63
	s_waitcnt lgkmcnt(2)
	v_mov_b32_e32 v1, s61
	v_cmp_eq_u16_e32 vcc, 1, v123
	s_waitcnt lgkmcnt(1)
	v_cndmask_b32_e32 v2, v0, v1, vcc
	v_mov_b32_e32 v0, s62
	v_mov_b32_e32 v1, s60
	s_waitcnt lgkmcnt(0)
	v_cndmask_b32_e32 v3, v0, v1, vcc
	v_lshlrev_b64 v[0:1], 4, v[119:120]
	buffer_wbinvl1_vol
	v_add_co_u32_e32 v0, vcc, v3, v0
	v_addc_co_u32_e32 v1, vcc, v2, v1, vcc
	global_load_dwordx4 v[4:7], v[0:1], off
	v_cmp_eq_u16_e32 vcc, 2, v123
	v_and_b32_e32 v0, vcc_hi, v122
	v_or_b32_e32 v0, 0x80000000, v0
	v_ffbl_b32_e32 v9, v0
	v_and_b32_e32 v8, vcc_lo, v121
	v_add_u32_e32 v9, 32, v9
	v_ffbl_b32_e32 v8, v8
	v_min_u32_e32 v137, v8, v9
	v_cmp_lt_u32_e32 vcc, v124, v137
	s_waitcnt vmcnt(0)
	ds_bpermute_b32 v0, v125, v4
	ds_bpermute_b32 v1, v125, v5
	;; [unrolled: 1-line block ×4, first 2 shown]
	s_and_saveexec_b64 s[46:47], vcc
	s_cbranch_execz .LBB180_77
; %bb.76:                               ;   in Loop: Header=BB180_70 Depth=1
	s_getpc_b64 s[4:5]
	s_add_u32 s4, s4, _ZZZZN2at6native31launch_logcumsumexp_cuda_kernelERKNS_10TensorBaseES3_lENKUlvE_clEvENKUlvE1_clEvENKUlN3c107complexIdEES8_E_clES8_S8_@rel32@lo+4
	s_addc_u32 s5, s5, _ZZZZN2at6native31launch_logcumsumexp_cuda_kernelERKNS_10TensorBaseES3_lENKUlvE_clEvENKUlvE1_clEvENKUlN3c107complexIdEES8_E_clES8_S8_@rel32@hi+12
	s_swappc_b64 s[30:31], s[4:5]
	v_mov_b32_e32 v4, v0
	v_mov_b32_e32 v5, v1
	v_mov_b32_e32 v6, v2
	v_mov_b32_e32 v7, v3
.LBB180_77:                             ;   in Loop: Header=BB180_70 Depth=1
	s_or_b64 exec, exec, s[46:47]
	s_waitcnt lgkmcnt(3)
	ds_bpermute_b32 v0, v126, v4
	s_waitcnt lgkmcnt(3)
	ds_bpermute_b32 v1, v126, v5
	s_waitcnt lgkmcnt(3)
	ds_bpermute_b32 v2, v126, v6
	s_waitcnt lgkmcnt(3)
	ds_bpermute_b32 v3, v126, v7
	v_cmp_le_u32_e32 vcc, v127, v137
	s_and_saveexec_b64 s[46:47], vcc
	s_cbranch_execz .LBB180_79
; %bb.78:                               ;   in Loop: Header=BB180_70 Depth=1
	s_getpc_b64 s[4:5]
	s_add_u32 s4, s4, _ZZZZN2at6native31launch_logcumsumexp_cuda_kernelERKNS_10TensorBaseES3_lENKUlvE_clEvENKUlvE1_clEvENKUlN3c107complexIdEES8_E_clES8_S8_@rel32@lo+4
	s_addc_u32 s5, s5, _ZZZZN2at6native31launch_logcumsumexp_cuda_kernelERKNS_10TensorBaseES3_lENKUlvE_clEvENKUlvE1_clEvENKUlN3c107complexIdEES8_E_clES8_S8_@rel32@hi+12
	s_swappc_b64 s[30:31], s[4:5]
	v_mov_b32_e32 v4, v0
	v_mov_b32_e32 v5, v1
	v_mov_b32_e32 v6, v2
	v_mov_b32_e32 v7, v3
.LBB180_79:                             ;   in Loop: Header=BB180_70 Depth=1
	s_or_b64 exec, exec, s[46:47]
	s_waitcnt lgkmcnt(3)
	ds_bpermute_b32 v0, v128, v4
	s_waitcnt lgkmcnt(3)
	ds_bpermute_b32 v1, v128, v5
	s_waitcnt lgkmcnt(3)
	ds_bpermute_b32 v2, v128, v6
	s_waitcnt lgkmcnt(3)
	ds_bpermute_b32 v3, v128, v7
	v_cmp_le_u32_e32 vcc, v129, v137
	;; [unrolled: 22-line block ×5, first 2 shown]
	s_and_saveexec_b64 s[46:47], vcc
	s_cbranch_execz .LBB180_68
; %bb.86:                               ;   in Loop: Header=BB180_70 Depth=1
	s_getpc_b64 s[4:5]
	s_add_u32 s4, s4, _ZZZZN2at6native31launch_logcumsumexp_cuda_kernelERKNS_10TensorBaseES3_lENKUlvE_clEvENKUlvE1_clEvENKUlN3c107complexIdEES8_E_clES8_S8_@rel32@lo+4
	s_addc_u32 s5, s5, _ZZZZN2at6native31launch_logcumsumexp_cuda_kernelERKNS_10TensorBaseES3_lENKUlvE_clEvENKUlvE1_clEvENKUlN3c107complexIdEES8_E_clES8_S8_@rel32@hi+12
	s_swappc_b64 s[30:31], s[4:5]
	v_mov_b32_e32 v4, v0
	v_mov_b32_e32 v5, v1
	;; [unrolled: 1-line block ×4, first 2 shown]
	s_branch .LBB180_68
.LBB180_87:
	s_and_saveexec_b64 s[46:47], s[36:37]
	s_cbranch_execz .LBB180_89
; %bb.88:
	s_getpc_b64 s[4:5]
	s_add_u32 s4, s4, _ZZZZN2at6native31launch_logcumsumexp_cuda_kernelERKNS_10TensorBaseES3_lENKUlvE_clEvENKUlvE1_clEvENKUlN3c107complexIdEES8_E_clES8_S8_@rel32@lo+4
	s_addc_u32 s5, s5, _ZZZZN2at6native31launch_logcumsumexp_cuda_kernelERKNS_10TensorBaseES3_lENKUlvE_clEvENKUlvE1_clEvENKUlN3c107complexIdEES8_E_clES8_S8_@rel32@hi+12
	s_waitcnt lgkmcnt(3)
	v_mov_b32_e32 v0, v111
	s_waitcnt lgkmcnt(2)
	v_mov_b32_e32 v1, v112
	;; [unrolled: 2-line block ×4, first 2 shown]
	v_mov_b32_e32 v4, v107
	v_mov_b32_e32 v5, v108
	;; [unrolled: 1-line block ×4, first 2 shown]
	s_swappc_b64 s[30:31], s[4:5]
	s_add_i32 s4, s33, 64
	s_mov_b32 s5, 0
	s_lshl_b64 s[6:7], s[4:5], 4
	s_add_u32 s6, s62, s6
	s_addc_u32 s7, s63, s7
	v_mov_b32_e32 v4, 0
	global_store_dwordx4 v4, v[0:3], s[6:7]
	s_waitcnt vmcnt(0)
	buffer_wbinvl1_vol
	v_mov_b32_e32 v0, 2
	v_mov_b32_e32 v1, s4
	global_store_byte v1, v0, s[64:65]
.LBB180_89:
	s_or_b64 exec, exec, s[46:47]
	v_cmp_ne_u32_e32 vcc, 0, v167
	v_cmp_eq_u32_e64 s[4:5], 0, v167
	s_and_saveexec_b64 s[6:7], s[4:5]
	s_cbranch_execz .LBB180_91
; %bb.90:
	s_waitcnt lgkmcnt(3)
	v_mov_b32_e32 v0, 0
	ds_write_b128 v0, v[111:114]
.LBB180_91:
	s_or_b64 exec, exec, s[6:7]
	s_waitcnt lgkmcnt(3)
	v_mov_b32_e32 v0, 0
	s_waitcnt lgkmcnt(0)
	; wave barrier
	ds_read_b128 v[0:3], v0
	v_mov_b32_e32 v6, v42
	v_mov_b32_e32 v4, v40
	;; [unrolled: 1-line block ×4, first 2 shown]
	s_and_saveexec_b64 s[36:37], vcc
	s_cbranch_execz .LBB180_93
; %bb.92:
	s_waitcnt lgkmcnt(0)
	v_mov_b32_e32 v110, v3
	s_getpc_b64 s[4:5]
	s_add_u32 s4, s4, _ZZZZN2at6native31launch_logcumsumexp_cuda_kernelERKNS_10TensorBaseES3_lENKUlvE_clEvENKUlvE1_clEvENKUlN3c107complexIdEES8_E_clES8_S8_@rel32@lo+4
	s_addc_u32 s5, s5, _ZZZZN2at6native31launch_logcumsumexp_cuda_kernelERKNS_10TensorBaseES3_lENKUlvE_clEvENKUlvE1_clEvENKUlN3c107complexIdEES8_E_clES8_S8_@rel32@hi+12
	v_mov_b32_e32 v109, v2
	v_mov_b32_e32 v108, v1
	;; [unrolled: 1-line block ×11, first 2 shown]
	s_swappc_b64 s[30:31], s[4:5]
	v_mov_b32_e32 v4, v0
	v_mov_b32_e32 v5, v1
	;; [unrolled: 1-line block ×8, first 2 shown]
.LBB180_93:
	s_or_b64 exec, exec, s[36:37]
	s_getpc_b64 s[36:37]
	s_add_u32 s36, s36, _ZZZZN2at6native31launch_logcumsumexp_cuda_kernelERKNS_10TensorBaseES3_lENKUlvE_clEvENKUlvE1_clEvENKUlN3c107complexIdEES8_E_clES8_S8_@rel32@lo+4
	s_addc_u32 s37, s37, _ZZZZN2at6native31launch_logcumsumexp_cuda_kernelERKNS_10TensorBaseES3_lENKUlvE_clEvENKUlvE1_clEvENKUlN3c107complexIdEES8_E_clES8_S8_@rel32@hi+12
	s_swappc_b64 s[30:31], s[36:37]
	v_mov_b32_e32 v4, v103
	v_mov_b32_e32 v5, v104
	v_mov_b32_e32 v6, v105
	v_mov_b32_e32 v7, v106
	v_mov_b32_e32 v163, v0
	v_mov_b32_e32 v164, v1
	v_mov_b32_e32 v165, v2
	v_mov_b32_e32 v166, v3
	s_swappc_b64 s[30:31], s[36:37]
	v_mov_b32_e32 v4, v99
	v_mov_b32_e32 v5, v100
	v_mov_b32_e32 v6, v101
	v_mov_b32_e32 v7, v102
	v_mov_b32_e32 v107, v0
	v_mov_b32_e32 v108, v1
	v_mov_b32_e32 v109, v2
	v_mov_b32_e32 v110, v3
	;; [unrolled: 9-line block ×14, first 2 shown]
	s_swappc_b64 s[30:31], s[36:37]
	v_mov_b32_e32 v159, v0
	v_mov_b32_e32 v160, v1
	;; [unrolled: 1-line block ×4, first 2 shown]
	s_load_dwordx8 s[52:59], s[34:35], 0x58
	s_branch .LBB180_116
.LBB180_94:
                                        ; implicit-def: $vgpr163_vgpr164
                                        ; implicit-def: $vgpr107_vgpr108
                                        ; implicit-def: $vgpr111_vgpr112
                                        ; implicit-def: $vgpr115_vgpr116
                                        ; implicit-def: $vgpr119_vgpr120
                                        ; implicit-def: $vgpr123_vgpr124
                                        ; implicit-def: $vgpr127_vgpr128
                                        ; implicit-def: $vgpr131_vgpr132
                                        ; implicit-def: $vgpr135_vgpr136
                                        ; implicit-def: $vgpr139_vgpr140
                                        ; implicit-def: $vgpr143_vgpr144
                                        ; implicit-def: $vgpr147_vgpr148
                                        ; implicit-def: $vgpr151_vgpr152
                                        ; implicit-def: $vgpr155_vgpr156
                                        ; implicit-def: $vgpr159_vgpr160
	s_load_dwordx8 s[52:59], s[34:35], 0x58
	s_cbranch_execz .LBB180_116
; %bb.95:
	s_waitcnt lgkmcnt(0)
	s_cmp_lg_u64 s[56:57], 0
	s_cselect_b64 s[4:5], -1, 0
	v_cmp_eq_u32_e32 vcc, 0, v167
	v_cmp_ne_u32_e64 s[34:35], 0, v167
	s_and_b64 s[4:5], vcc, s[4:5]
	s_and_saveexec_b64 s[36:37], s[4:5]
	s_cbranch_execz .LBB180_97
; %bb.96:
	v_mov_b32_e32 v0, 0
	global_load_dwordx4 v[0:3], v0, s[52:53]
	s_getpc_b64 s[4:5]
	s_add_u32 s4, s4, _ZZZZN2at6native31launch_logcumsumexp_cuda_kernelERKNS_10TensorBaseES3_lENKUlvE_clEvENKUlvE1_clEvENKUlN3c107complexIdEES8_E_clES8_S8_@rel32@lo+4
	s_addc_u32 s5, s5, _ZZZZN2at6native31launch_logcumsumexp_cuda_kernelERKNS_10TensorBaseES3_lENKUlvE_clEvENKUlvE1_clEvENKUlN3c107complexIdEES8_E_clES8_S8_@rel32@hi+12
	v_mov_b32_e32 v4, v40
	v_mov_b32_e32 v5, v41
	;; [unrolled: 1-line block ×4, first 2 shown]
	s_swappc_b64 s[30:31], s[4:5]
	v_mov_b32_e32 v40, v0
	v_mov_b32_e32 v41, v1
	v_mov_b32_e32 v42, v2
	v_mov_b32_e32 v43, v3
.LBB180_97:
	s_or_b64 exec, exec, s[36:37]
	s_getpc_b64 s[36:37]
	s_add_u32 s36, s36, _ZZZZN2at6native31launch_logcumsumexp_cuda_kernelERKNS_10TensorBaseES3_lENKUlvE_clEvENKUlvE1_clEvENKUlN3c107complexIdEES8_E_clES8_S8_@rel32@lo+4
	s_addc_u32 s37, s37, _ZZZZN2at6native31launch_logcumsumexp_cuda_kernelERKNS_10TensorBaseES3_lENKUlvE_clEvENKUlvE1_clEvENKUlN3c107complexIdEES8_E_clES8_S8_@rel32@hi+12
	v_mov_b32_e32 v0, v40
	v_mov_b32_e32 v1, v41
	v_mov_b32_e32 v2, v42
	v_mov_b32_e32 v3, v43
	v_mov_b32_e32 v4, v103
	v_mov_b32_e32 v5, v104
	v_mov_b32_e32 v6, v105
	v_mov_b32_e32 v7, v106
	s_swappc_b64 s[30:31], s[36:37]
	v_mov_b32_e32 v4, v99
	v_mov_b32_e32 v5, v100
	v_mov_b32_e32 v6, v101
	v_mov_b32_e32 v7, v102
	v_mov_b32_e32 v107, v0
	v_mov_b32_e32 v108, v1
	v_mov_b32_e32 v109, v2
	v_mov_b32_e32 v110, v3
	s_swappc_b64 s[30:31], s[36:37]
	;; [unrolled: 9-line block ×14, first 2 shown]
	v_mov_b32_e32 v159, v0
	v_mbcnt_lo_u32_b32 v0, -1, 0
	v_mov_b32_e32 v161, v2
	v_mbcnt_hi_u32_b32 v163, -1, v0
	v_mov_b32_e32 v160, v1
	v_mov_b32_e32 v162, v3
	v_and_b32_e32 v164, 15, v163
	v_mov_b32_e32 v4, v159
	v_mov_b32_e32 v6, v161
	v_mov_b32_dpp v8, v159 row_shr:1 row_mask:0xf bank_mask:0xf
	v_mov_b32_dpp v9, v160 row_shr:1 row_mask:0xf bank_mask:0xf
	;; [unrolled: 1-line block ×4, first 2 shown]
	v_cmp_ne_u32_e32 vcc, 0, v164
	v_mov_b32_e32 v5, v160
	v_mov_b32_e32 v7, v162
	;; [unrolled: 1-line block ×3, first 2 shown]
	s_and_saveexec_b64 s[46:47], vcc
	s_cbranch_execz .LBB180_99
; %bb.98:
	v_mov_b32_e32 v0, v8
	v_mov_b32_e32 v1, v9
	;; [unrolled: 1-line block ×8, first 2 shown]
	s_swappc_b64 s[30:31], s[36:37]
	v_mov_b32_e32 v4, v0
	v_mov_b32_e32 v5, v1
	v_mov_b32_e32 v6, v2
	v_mov_b32_e32 v7, v3
.LBB180_99:
	s_or_b64 exec, exec, s[46:47]
	v_mov_b32_dpp v8, v0 row_shr:2 row_mask:0xf bank_mask:0xf
	v_mov_b32_dpp v9, v1 row_shr:2 row_mask:0xf bank_mask:0xf
	v_mov_b32_dpp v10, v2 row_shr:2 row_mask:0xf bank_mask:0xf
	v_mov_b32_dpp v11, v3 row_shr:2 row_mask:0xf bank_mask:0xf
	v_cmp_lt_u32_e32 vcc, 1, v164
	s_and_saveexec_b64 s[36:37], vcc
	s_cbranch_execz .LBB180_101
; %bb.100:
	s_getpc_b64 s[4:5]
	s_add_u32 s4, s4, _ZZZZN2at6native31launch_logcumsumexp_cuda_kernelERKNS_10TensorBaseES3_lENKUlvE_clEvENKUlvE1_clEvENKUlN3c107complexIdEES8_E_clES8_S8_@rel32@lo+4
	s_addc_u32 s5, s5, _ZZZZN2at6native31launch_logcumsumexp_cuda_kernelERKNS_10TensorBaseES3_lENKUlvE_clEvENKUlvE1_clEvENKUlN3c107complexIdEES8_E_clES8_S8_@rel32@hi+12
	v_mov_b32_e32 v0, v8
	v_mov_b32_e32 v1, v9
	v_mov_b32_e32 v2, v10
	v_mov_b32_e32 v3, v11
	s_swappc_b64 s[30:31], s[4:5]
	v_mov_b32_e32 v7, v3
	v_mov_b32_e32 v5, v1
	v_mov_b32_e32 v6, v2
	v_mov_b32_e32 v4, v0
.LBB180_101:
	s_or_b64 exec, exec, s[36:37]
	v_mov_b32_dpp v8, v0 row_shr:4 row_mask:0xf bank_mask:0xf
	v_mov_b32_dpp v9, v1 row_shr:4 row_mask:0xf bank_mask:0xf
	v_mov_b32_dpp v10, v2 row_shr:4 row_mask:0xf bank_mask:0xf
	v_mov_b32_dpp v11, v3 row_shr:4 row_mask:0xf bank_mask:0xf
	v_cmp_lt_u32_e32 vcc, 3, v164
	s_and_saveexec_b64 s[36:37], vcc
	s_cbranch_execz .LBB180_103
; %bb.102:
	s_getpc_b64 s[4:5]
	s_add_u32 s4, s4, _ZZZZN2at6native31launch_logcumsumexp_cuda_kernelERKNS_10TensorBaseES3_lENKUlvE_clEvENKUlvE1_clEvENKUlN3c107complexIdEES8_E_clES8_S8_@rel32@lo+4
	s_addc_u32 s5, s5, _ZZZZN2at6native31launch_logcumsumexp_cuda_kernelERKNS_10TensorBaseES3_lENKUlvE_clEvENKUlvE1_clEvENKUlN3c107complexIdEES8_E_clES8_S8_@rel32@hi+12
	v_mov_b32_e32 v0, v8
	v_mov_b32_e32 v1, v9
	v_mov_b32_e32 v2, v10
	v_mov_b32_e32 v3, v11
	s_swappc_b64 s[30:31], s[4:5]
	v_mov_b32_e32 v7, v3
	v_mov_b32_e32 v5, v1
	v_mov_b32_e32 v6, v2
	v_mov_b32_e32 v4, v0
.LBB180_103:
	;; [unrolled: 22-line block ×3, first 2 shown]
	s_or_b64 exec, exec, s[36:37]
	v_and_b32_e32 v12, 16, v163
	v_mov_b32_dpp v8, v0 row_bcast:15 row_mask:0xf bank_mask:0xf
	v_mov_b32_dpp v9, v1 row_bcast:15 row_mask:0xf bank_mask:0xf
	;; [unrolled: 1-line block ×4, first 2 shown]
	v_cmp_ne_u32_e32 vcc, 0, v12
	s_and_saveexec_b64 s[36:37], vcc
	s_cbranch_execz .LBB180_107
; %bb.106:
	s_getpc_b64 s[4:5]
	s_add_u32 s4, s4, _ZZZZN2at6native31launch_logcumsumexp_cuda_kernelERKNS_10TensorBaseES3_lENKUlvE_clEvENKUlvE1_clEvENKUlN3c107complexIdEES8_E_clES8_S8_@rel32@lo+4
	s_addc_u32 s5, s5, _ZZZZN2at6native31launch_logcumsumexp_cuda_kernelERKNS_10TensorBaseES3_lENKUlvE_clEvENKUlvE1_clEvENKUlN3c107complexIdEES8_E_clES8_S8_@rel32@hi+12
	v_mov_b32_e32 v0, v8
	v_mov_b32_e32 v1, v9
	;; [unrolled: 1-line block ×4, first 2 shown]
	s_swappc_b64 s[30:31], s[4:5]
	v_mov_b32_e32 v4, v0
	v_mov_b32_e32 v5, v1
	;; [unrolled: 1-line block ×4, first 2 shown]
.LBB180_107:
	s_or_b64 exec, exec, s[36:37]
	v_mov_b32_dpp v0, v0 row_bcast:31 row_mask:0xf bank_mask:0xf
	v_mov_b32_dpp v1, v1 row_bcast:31 row_mask:0xf bank_mask:0xf
	v_mov_b32_dpp v2, v2 row_bcast:31 row_mask:0xf bank_mask:0xf
	v_mov_b32_dpp v3, v3 row_bcast:31 row_mask:0xf bank_mask:0xf
	v_cmp_lt_u32_e32 vcc, 31, v163
	s_and_saveexec_b64 s[36:37], vcc
	s_cbranch_execz .LBB180_109
; %bb.108:
	s_getpc_b64 s[4:5]
	s_add_u32 s4, s4, _ZZZZN2at6native31launch_logcumsumexp_cuda_kernelERKNS_10TensorBaseES3_lENKUlvE_clEvENKUlvE1_clEvENKUlN3c107complexIdEES8_E_clES8_S8_@rel32@lo+4
	s_addc_u32 s5, s5, _ZZZZN2at6native31launch_logcumsumexp_cuda_kernelERKNS_10TensorBaseES3_lENKUlvE_clEvENKUlvE1_clEvENKUlN3c107complexIdEES8_E_clES8_S8_@rel32@hi+12
	s_swappc_b64 s[30:31], s[4:5]
	v_mov_b32_e32 v4, v0
	v_mov_b32_e32 v5, v1
	;; [unrolled: 1-line block ×4, first 2 shown]
.LBB180_109:
	s_or_b64 exec, exec, s[36:37]
	v_cmp_eq_u32_e64 s[36:37], 63, v167
	s_and_saveexec_b64 s[4:5], s[36:37]
; %bb.110:
	v_mov_b32_e32 v0, 0
	ds_write_b128 v0, v[4:7]
; %bb.111:
	s_or_b64 exec, exec, s[4:5]
	v_add_u32_e32 v0, -1, v163
	v_and_b32_e32 v1, 64, v163
	v_cmp_lt_i32_e32 vcc, v0, v1
	v_cndmask_b32_e32 v0, v0, v163, vcc
	v_lshlrev_b32_e32 v3, 2, v0
	ds_bpermute_b32 v0, v3, v4
	ds_bpermute_b32 v1, v3, v5
	;; [unrolled: 1-line block ×4, first 2 shown]
	s_waitcnt lgkmcnt(0)
	; wave barrier
	s_and_saveexec_b64 s[46:47], s[34:35]
	s_cbranch_execz .LBB180_113
; %bb.112:
	s_getpc_b64 s[34:35]
	s_add_u32 s34, s34, _ZZZZN2at6native31launch_logcumsumexp_cuda_kernelERKNS_10TensorBaseES3_lENKUlvE_clEvENKUlvE1_clEvENKUlN3c107complexIdEES8_E_clES8_S8_@rel32@lo+4
	s_addc_u32 s35, s35, _ZZZZN2at6native31launch_logcumsumexp_cuda_kernelERKNS_10TensorBaseES3_lENKUlvE_clEvENKUlvE1_clEvENKUlN3c107complexIdEES8_E_clES8_S8_@rel32@hi+12
	v_mov_b32_e32 v4, v40
	v_mov_b32_e32 v5, v41
	;; [unrolled: 1-line block ×4, first 2 shown]
	s_swappc_b64 s[30:31], s[34:35]
	v_mov_b32_e32 v4, v103
	v_mov_b32_e32 v5, v104
	;; [unrolled: 1-line block ×8, first 2 shown]
	;;#ASMSTART
	;;#ASMEND
	s_swappc_b64 s[30:31], s[34:35]
	v_mov_b32_e32 v4, v99
	v_mov_b32_e32 v5, v100
	v_mov_b32_e32 v6, v101
	v_mov_b32_e32 v7, v102
	v_mov_b32_e32 v107, v0
	v_mov_b32_e32 v108, v1
	v_mov_b32_e32 v109, v2
	v_mov_b32_e32 v110, v3
	s_swappc_b64 s[30:31], s[34:35]
	v_mov_b32_e32 v4, v95
	v_mov_b32_e32 v5, v96
	v_mov_b32_e32 v6, v97
	v_mov_b32_e32 v7, v98
	v_mov_b32_e32 v111, v0
	v_mov_b32_e32 v112, v1
	v_mov_b32_e32 v113, v2
	v_mov_b32_e32 v114, v3
	;; [unrolled: 9-line block ×13, first 2 shown]
	s_swappc_b64 s[30:31], s[34:35]
	v_mov_b32_e32 v159, v0
	v_mov_b32_e32 v160, v1
	;; [unrolled: 1-line block ×4, first 2 shown]
.LBB180_113:
	s_or_b64 exec, exec, s[46:47]
	s_and_saveexec_b64 s[4:5], s[36:37]
	s_cbranch_execz .LBB180_115
; %bb.114:
	v_mov_b32_e32 v0, 0
	v_mov_b32_e32 v1, 2
	global_store_dwordx4 v0, v[159:162], s[62:63] offset:1024
	s_waitcnt vmcnt(0)
	buffer_wbinvl1_vol
	global_store_byte v0, v1, s[64:65] offset:64
.LBB180_115:
	s_or_b64 exec, exec, s[4:5]
	v_mov_b32_e32 v164, v41
	v_mov_b32_e32 v166, v43
	;; [unrolled: 1-line block ×4, first 2 shown]
.LBB180_116:
	s_add_u32 s4, s48, s38
	s_addc_u32 s5, s49, s39
	s_add_u32 s4, s4, s44
	s_addc_u32 s5, s5, s45
	s_mov_b64 s[6:7], -1
	s_and_b64 vcc, exec, s[42:43]
	s_waitcnt lgkmcnt(0)
	; wave barrier
	s_cbranch_vccz .LBB180_118
; %bb.117:
	v_mov_b32_e32 v60, s5
	v_add_co_u32_e32 v61, vcc, s4, v169
	ds_write_b128 v170, v[163:166]
	ds_write_b128 v170, v[107:110] offset:16
	ds_write_b128 v170, v[111:114] offset:32
	;; [unrolled: 1-line block ×14, first 2 shown]
	s_waitcnt lgkmcnt(0)
	; wave barrier
	ds_read_b128 v[0:3], v169
	ds_read_b128 v[4:7], v169 offset:1024
	ds_read_b128 v[8:11], v169 offset:2048
	;; [unrolled: 1-line block ×14, first 2 shown]
	v_addc_co_u32_e32 v60, vcc, 0, v60, vcc
	s_movk_i32 s6, 0x1000
	s_waitcnt lgkmcnt(14)
	global_store_dwordx4 v169, v[0:3], s[4:5]
	s_waitcnt lgkmcnt(13)
	global_store_dwordx4 v169, v[4:7], s[4:5] offset:1024
	s_waitcnt lgkmcnt(12)
	global_store_dwordx4 v169, v[8:11], s[4:5] offset:2048
	;; [unrolled: 2-line block ×3, first 2 shown]
	v_add_co_u32_e32 v0, vcc, s6, v61
	v_addc_co_u32_e32 v1, vcc, 0, v60, vcc
	s_movk_i32 s6, 0x2000
	v_add_co_u32_e32 v2, vcc, s6, v61
	v_addc_co_u32_e32 v3, vcc, 0, v60, vcc
	s_waitcnt lgkmcnt(10)
	global_store_dwordx4 v[2:3], v[16:19], off offset:-4096
	s_waitcnt lgkmcnt(9)
	global_store_dwordx4 v[0:1], v[20:23], off offset:1024
	s_waitcnt lgkmcnt(8)
	global_store_dwordx4 v[0:1], v[24:27], off offset:2048
	;; [unrolled: 2-line block ×3, first 2 shown]
	s_waitcnt lgkmcnt(6)
	global_store_dwordx4 v[2:3], v[32:35], off
	s_waitcnt lgkmcnt(5)
	global_store_dwordx4 v[2:3], v[36:39], off offset:1024
	s_waitcnt lgkmcnt(4)
	global_store_dwordx4 v[2:3], v[40:43], off offset:2048
	;; [unrolled: 2-line block ×3, first 2 shown]
	v_add_co_u32_e32 v0, vcc, 0x3000, v61
	v_addc_co_u32_e32 v1, vcc, 0, v60, vcc
	s_waitcnt lgkmcnt(2)
	global_store_dwordx4 v[0:1], v[48:51], off
	s_waitcnt lgkmcnt(1)
	global_store_dwordx4 v[0:1], v[52:55], off offset:1024
	s_waitcnt lgkmcnt(0)
	global_store_dwordx4 v[0:1], v[56:59], off offset:2048
	s_mov_b64 s[6:7], 0
.LBB180_118:
	s_andn2_b64 vcc, exec, s[6:7]
	s_cbranch_vccnz .LBB180_204
; %bb.119:
	s_movk_i32 s6, 0xff20
	v_mad_i32_i24 v56, v167, s6, v170
	ds_write_b128 v170, v[163:166]
	ds_write_b128 v170, v[107:110] offset:16
	ds_write_b128 v170, v[111:114] offset:32
	;; [unrolled: 1-line block ×14, first 2 shown]
	s_waitcnt lgkmcnt(0)
	; wave barrier
	ds_read_b128 v[8:11], v56
	ds_read_b128 v[0:3], v56 offset:1024
	ds_read_b128 v[4:7], v56 offset:2048
	;; [unrolled: 1-line block ×14, first 2 shown]
	v_mov_b32_e32 v61, s5
	v_add_co_u32_e32 v60, vcc, s4, v169
	v_addc_co_u32_e32 v61, vcc, 0, v61, vcc
	v_mov_b32_e32 v168, 0
	v_cmp_gt_u32_e32 vcc, s41, v167
	s_and_saveexec_b64 s[4:5], vcc
	s_cbranch_execz .LBB180_121
; %bb.120:
	s_waitcnt lgkmcnt(14)
	global_store_dwordx4 v[60:61], v[8:11], off
.LBB180_121:
	s_or_b64 exec, exec, s[4:5]
	v_or_b32_e32 v62, 64, v167
	v_cmp_gt_u32_e32 vcc, s41, v62
	s_and_saveexec_b64 s[4:5], vcc
	s_cbranch_execz .LBB180_123
; %bb.122:
	s_waitcnt lgkmcnt(13)
	global_store_dwordx4 v[60:61], v[0:3], off offset:1024
.LBB180_123:
	s_or_b64 exec, exec, s[4:5]
	v_or_b32_e32 v62, 0x80, v167
	v_cmp_gt_u32_e32 vcc, s41, v62
	s_and_saveexec_b64 s[4:5], vcc
	s_cbranch_execz .LBB180_125
; %bb.124:
	s_waitcnt lgkmcnt(12)
	global_store_dwordx4 v[60:61], v[4:7], off offset:2048
.LBB180_125:
	;; [unrolled: 9-line block ×3, first 2 shown]
	s_or_b64 exec, exec, s[4:5]
	v_or_b32_e32 v62, 0x100, v167
	v_cmp_gt_u32_e32 vcc, s41, v62
	s_and_saveexec_b64 s[4:5], vcc
	s_cbranch_execz .LBB180_129
; %bb.128:
	v_add_co_u32_e32 v62, vcc, 0x1000, v60
	v_addc_co_u32_e32 v63, vcc, 0, v61, vcc
	s_waitcnt lgkmcnt(10)
	global_store_dwordx4 v[62:63], v[12:15], off
.LBB180_129:
	s_or_b64 exec, exec, s[4:5]
	v_or_b32_e32 v62, 0x140, v167
	v_cmp_gt_u32_e32 vcc, s41, v62
	s_and_saveexec_b64 s[4:5], vcc
	s_cbranch_execz .LBB180_131
; %bb.130:
	v_add_co_u32_e32 v62, vcc, 0x1000, v60
	v_addc_co_u32_e32 v63, vcc, 0, v61, vcc
	s_waitcnt lgkmcnt(9)
	global_store_dwordx4 v[62:63], v[20:23], off offset:1024
.LBB180_131:
	s_or_b64 exec, exec, s[4:5]
	v_or_b32_e32 v62, 0x180, v167
	v_cmp_gt_u32_e32 vcc, s41, v62
	s_and_saveexec_b64 s[4:5], vcc
	s_cbranch_execz .LBB180_133
; %bb.132:
	v_add_co_u32_e32 v62, vcc, 0x1000, v60
	v_addc_co_u32_e32 v63, vcc, 0, v61, vcc
	s_waitcnt lgkmcnt(8)
	global_store_dwordx4 v[62:63], v[24:27], off offset:2048
.LBB180_133:
	;; [unrolled: 11-line block ×3, first 2 shown]
	s_or_b64 exec, exec, s[4:5]
	v_or_b32_e32 v62, 0x200, v167
	v_cmp_gt_u32_e32 vcc, s41, v62
	s_and_saveexec_b64 s[4:5], vcc
	s_cbranch_execz .LBB180_137
; %bb.136:
	v_add_co_u32_e32 v62, vcc, 0x2000, v60
	v_addc_co_u32_e32 v63, vcc, 0, v61, vcc
	s_waitcnt lgkmcnt(6)
	global_store_dwordx4 v[62:63], v[40:43], off
.LBB180_137:
	s_or_b64 exec, exec, s[4:5]
	v_or_b32_e32 v62, 0x240, v167
	v_cmp_gt_u32_e32 vcc, s41, v62
	s_and_saveexec_b64 s[4:5], vcc
	s_cbranch_execz .LBB180_139
; %bb.138:
	v_add_co_u32_e32 v62, vcc, 0x2000, v60
	v_addc_co_u32_e32 v63, vcc, 0, v61, vcc
	s_waitcnt lgkmcnt(5)
	global_store_dwordx4 v[62:63], v[36:39], off offset:1024
.LBB180_139:
	s_or_b64 exec, exec, s[4:5]
	v_or_b32_e32 v62, 0x280, v167
	v_cmp_gt_u32_e32 vcc, s41, v62
	s_and_saveexec_b64 s[4:5], vcc
	s_cbranch_execz .LBB180_141
; %bb.140:
	v_add_co_u32_e32 v62, vcc, 0x2000, v60
	v_addc_co_u32_e32 v63, vcc, 0, v61, vcc
	s_waitcnt lgkmcnt(4)
	global_store_dwordx4 v[62:63], v[44:47], off offset:2048
.LBB180_141:
	;; [unrolled: 11-line block ×3, first 2 shown]
	s_or_b64 exec, exec, s[4:5]
	v_or_b32_e32 v62, 0x300, v167
	v_cmp_gt_u32_e32 vcc, s41, v62
	s_and_saveexec_b64 s[4:5], vcc
	s_cbranch_execz .LBB180_145
; %bb.144:
	v_add_co_u32_e32 v62, vcc, 0x3000, v60
	v_addc_co_u32_e32 v63, vcc, 0, v61, vcc
	s_waitcnt lgkmcnt(2)
	global_store_dwordx4 v[62:63], v[48:51], off
.LBB180_145:
	s_or_b64 exec, exec, s[4:5]
	v_or_b32_e32 v62, 0x340, v167
	v_cmp_gt_u32_e32 vcc, s41, v62
	s_and_saveexec_b64 s[4:5], vcc
	s_cbranch_execz .LBB180_147
; %bb.146:
	v_add_co_u32_e32 v62, vcc, 0x3000, v60
	v_addc_co_u32_e32 v63, vcc, 0, v61, vcc
	s_waitcnt lgkmcnt(1)
	global_store_dwordx4 v[62:63], v[52:55], off offset:1024
.LBB180_147:
	s_or_b64 exec, exec, s[4:5]
	v_or_b32_e32 v62, 0x380, v167
	v_cmp_gt_u32_e32 vcc, s41, v62
	s_and_saveexec_b64 s[4:5], vcc
	s_cbranch_execz .LBB180_149
; %bb.148:
	v_add_co_u32_e32 v60, vcc, 0x3000, v60
	v_addc_co_u32_e32 v61, vcc, 0, v61, vcc
	s_waitcnt lgkmcnt(0)
	global_store_dwordx4 v[60:61], v[56:59], off offset:2048
.LBB180_149:
	s_or_b64 exec, exec, s[4:5]
	v_cmp_lt_u64_e64 s[4:5], s[58:59], 2
	s_and_b64 vcc, exec, s[4:5]
	s_cbranch_vccnz .LBB180_204
; %bb.150:
	s_add_u32 s4, s41, -1
	s_addc_u32 s5, s50, -1
	s_mul_i32 s9, s5, 0x88888889
	s_mul_hi_u32 s10, s4, 0x88888889
	s_mul_hi_u32 s8, s5, 0x88888889
	s_add_u32 s9, s9, s10
	s_mul_i32 s7, s4, 0x88888888
	s_addc_u32 s8, s8, 0
	s_mul_hi_u32 s6, s4, 0x88888888
	s_add_u32 s7, s7, s9
	s_addc_u32 s6, s6, 0
	s_add_u32 s6, s8, s6
	s_addc_u32 s7, 0, 0
	s_mul_i32 s9, s5, 0x88888888
	s_mul_hi_u32 s8, s5, 0x88888888
	s_add_u32 s6, s9, s6
	s_addc_u32 s7, s8, s7
	s_lshr_b64 s[6:7], s[6:7], 3
	v_cmp_eq_u64_e32 vcc, s[6:7], v[167:168]
	s_and_saveexec_b64 s[6:7], vcc
	s_cbranch_execz .LBB180_204
; %bb.151:
	v_mul_u32_u24_e32 v60, 15, v167
	v_mul_hi_u32_u24_e32 v61, 15, v167
	v_mov_b32_e32 v62, s5
	v_sub_co_u32_e32 v60, vcc, s4, v60
	v_subb_co_u32_e32 v61, vcc, v62, v61, vcc
	v_cmp_lt_i64_e32 vcc, 7, v[60:61]
	s_and_saveexec_b64 s[4:5], vcc
	s_xor_b64 s[4:5], exec, s[4:5]
	s_cbranch_execz .LBB180_177
; %bb.152:
	v_cmp_lt_i64_e32 vcc, 10, v[60:61]
	s_and_saveexec_b64 s[6:7], vcc
	s_xor_b64 s[6:7], exec, s[6:7]
	s_cbranch_execz .LBB180_166
; %bb.153:
	;; [unrolled: 5-line block ×4, first 2 shown]
	s_waitcnt lgkmcnt(13)
	v_mov_b32_e32 v0, 0
	s_waitcnt lgkmcnt(0)
	global_store_dwordx4 v0, v[56:59], s[54:55]
                                        ; implicit-def: $vgpr52_vgpr53_vgpr54_vgpr55
.LBB180_156:
	s_andn2_saveexec_b64 s[10:11], s[10:11]
	s_cbranch_execz .LBB180_158
; %bb.157:
	s_waitcnt lgkmcnt(13)
	v_mov_b32_e32 v0, 0
	s_waitcnt lgkmcnt(1)
	global_store_dwordx4 v0, v[52:55], s[54:55]
.LBB180_158:
	s_or_b64 exec, exec, s[10:11]
                                        ; implicit-def: $vgpr32_vgpr33_vgpr34_vgpr35
                                        ; implicit-def: $vgpr60_vgpr61
                                        ; implicit-def: $vgpr48_vgpr49_vgpr50_vgpr51
.LBB180_159:
	s_andn2_saveexec_b64 s[8:9], s[8:9]
	s_cbranch_execz .LBB180_165
; %bb.160:
	v_cmp_lt_i64_e32 vcc, 11, v[60:61]
	s_and_saveexec_b64 s[10:11], vcc
	s_xor_b64 s[10:11], exec, s[10:11]
	s_cbranch_execz .LBB180_162
; %bb.161:
	s_waitcnt lgkmcnt(13)
	v_mov_b32_e32 v0, 0
	s_waitcnt lgkmcnt(2)
	global_store_dwordx4 v0, v[48:51], s[54:55]
                                        ; implicit-def: $vgpr32_vgpr33_vgpr34_vgpr35
.LBB180_162:
	s_andn2_saveexec_b64 s[10:11], s[10:11]
	s_cbranch_execz .LBB180_164
; %bb.163:
	s_waitcnt lgkmcnt(13)
	v_mov_b32_e32 v0, 0
	s_waitcnt lgkmcnt(3)
	global_store_dwordx4 v0, v[32:35], s[54:55]
.LBB180_164:
	s_or_b64 exec, exec, s[10:11]
.LBB180_165:
	s_or_b64 exec, exec, s[8:9]
                                        ; implicit-def: $vgpr40_vgpr41_vgpr42_vgpr43
                                        ; implicit-def: $vgpr60_vgpr61
                                        ; implicit-def: $vgpr36_vgpr37_vgpr38_vgpr39
                                        ; implicit-def: $vgpr44_vgpr45_vgpr46_vgpr47
.LBB180_166:
	s_andn2_saveexec_b64 s[6:7], s[6:7]
	s_cbranch_execz .LBB180_176
; %bb.167:
	v_cmp_lt_i64_e32 vcc, 8, v[60:61]
	s_and_saveexec_b64 s[8:9], vcc
	s_xor_b64 s[8:9], exec, s[8:9]
	s_cbranch_execz .LBB180_173
; %bb.168:
	v_cmp_lt_i64_e32 vcc, 9, v[60:61]
	s_and_saveexec_b64 s[10:11], vcc
	s_xor_b64 s[10:11], exec, s[10:11]
	s_cbranch_execz .LBB180_170
; %bb.169:
	s_waitcnt lgkmcnt(13)
	v_mov_b32_e32 v0, 0
	s_waitcnt lgkmcnt(4)
	global_store_dwordx4 v0, v[44:47], s[54:55]
                                        ; implicit-def: $vgpr36_vgpr37_vgpr38_vgpr39
.LBB180_170:
	s_andn2_saveexec_b64 s[10:11], s[10:11]
	s_cbranch_execz .LBB180_172
; %bb.171:
	s_waitcnt lgkmcnt(13)
	v_mov_b32_e32 v0, 0
	s_waitcnt lgkmcnt(5)
	global_store_dwordx4 v0, v[36:39], s[54:55]
.LBB180_172:
	s_or_b64 exec, exec, s[10:11]
                                        ; implicit-def: $vgpr40_vgpr41_vgpr42_vgpr43
.LBB180_173:
	s_andn2_saveexec_b64 s[8:9], s[8:9]
	s_cbranch_execz .LBB180_175
; %bb.174:
	s_waitcnt lgkmcnt(13)
	v_mov_b32_e32 v0, 0
	s_waitcnt lgkmcnt(6)
	global_store_dwordx4 v0, v[40:43], s[54:55]
.LBB180_175:
	s_or_b64 exec, exec, s[8:9]
.LBB180_176:
	s_or_b64 exec, exec, s[6:7]
                                        ; implicit-def: $vgpr0_vgpr1_vgpr2_vgpr3
                                        ; implicit-def: $vgpr4_vgpr5_vgpr6_vgpr7
                                        ; implicit-def: $vgpr16_vgpr17_vgpr18_vgpr19
                                        ; implicit-def: $vgpr12_vgpr13_vgpr14_vgpr15
                                        ; implicit-def: $vgpr20_vgpr21_vgpr22_vgpr23
                                        ; implicit-def: $vgpr24_vgpr25_vgpr26_vgpr27
                                        ; implicit-def: $vgpr28_vgpr29_vgpr30_vgpr31
                                        ; implicit-def: $vgpr60_vgpr61
                                        ; implicit-def: $vgpr8_vgpr9_vgpr10_vgpr11
.LBB180_177:
	s_andn2_saveexec_b64 s[4:5], s[4:5]
	s_cbranch_execz .LBB180_204
; %bb.178:
	v_cmp_lt_i64_e32 vcc, 3, v[60:61]
	s_and_saveexec_b64 s[4:5], vcc
	s_xor_b64 s[4:5], exec, s[4:5]
	s_cbranch_execz .LBB180_192
; %bb.179:
	v_cmp_lt_i64_e32 vcc, 5, v[60:61]
	s_and_saveexec_b64 s[6:7], vcc
	s_xor_b64 s[6:7], exec, s[6:7]
	;; [unrolled: 5-line block ×3, first 2 shown]
	s_cbranch_execz .LBB180_182
; %bb.181:
	s_waitcnt lgkmcnt(13)
	v_mov_b32_e32 v0, 0
	s_waitcnt lgkmcnt(7)
	global_store_dwordx4 v0, v[28:31], s[54:55]
                                        ; implicit-def: $vgpr24_vgpr25_vgpr26_vgpr27
.LBB180_182:
	s_andn2_saveexec_b64 s[8:9], s[8:9]
	s_cbranch_execz .LBB180_184
; %bb.183:
	s_waitcnt lgkmcnt(13)
	v_mov_b32_e32 v0, 0
	s_waitcnt lgkmcnt(8)
	global_store_dwordx4 v0, v[24:27], s[54:55]
.LBB180_184:
	s_or_b64 exec, exec, s[8:9]
                                        ; implicit-def: $vgpr12_vgpr13_vgpr14_vgpr15
                                        ; implicit-def: $vgpr60_vgpr61
                                        ; implicit-def: $vgpr20_vgpr21_vgpr22_vgpr23
.LBB180_185:
	s_andn2_saveexec_b64 s[6:7], s[6:7]
	s_cbranch_execz .LBB180_191
; %bb.186:
	v_cmp_lt_i64_e32 vcc, 4, v[60:61]
	s_and_saveexec_b64 s[8:9], vcc
	s_xor_b64 s[8:9], exec, s[8:9]
	s_cbranch_execz .LBB180_188
; %bb.187:
	s_waitcnt lgkmcnt(13)
	v_mov_b32_e32 v0, 0
	s_waitcnt lgkmcnt(9)
	global_store_dwordx4 v0, v[20:23], s[54:55]
                                        ; implicit-def: $vgpr12_vgpr13_vgpr14_vgpr15
.LBB180_188:
	s_andn2_saveexec_b64 s[8:9], s[8:9]
	s_cbranch_execz .LBB180_190
; %bb.189:
	s_waitcnt lgkmcnt(13)
	v_mov_b32_e32 v0, 0
	s_waitcnt lgkmcnt(10)
	global_store_dwordx4 v0, v[12:15], s[54:55]
.LBB180_190:
	s_or_b64 exec, exec, s[8:9]
.LBB180_191:
	s_or_b64 exec, exec, s[6:7]
                                        ; implicit-def: $vgpr60_vgpr61
                                        ; implicit-def: $vgpr0_vgpr1_vgpr2_vgpr3
                                        ; implicit-def: $vgpr4_vgpr5_vgpr6_vgpr7
                                        ; implicit-def: $vgpr8_vgpr9_vgpr10_vgpr11
                                        ; implicit-def: $vgpr16_vgpr17_vgpr18_vgpr19
.LBB180_192:
	s_andn2_saveexec_b64 s[4:5], s[4:5]
	s_cbranch_execz .LBB180_204
; %bb.193:
	v_cmp_lt_i64_e32 vcc, 1, v[60:61]
	s_and_saveexec_b64 s[4:5], vcc
	s_xor_b64 s[4:5], exec, s[4:5]
	s_cbranch_execz .LBB180_199
; %bb.194:
	v_cmp_lt_i64_e32 vcc, 2, v[60:61]
	s_and_saveexec_b64 s[6:7], vcc
	s_xor_b64 s[6:7], exec, s[6:7]
	s_cbranch_execz .LBB180_196
; %bb.195:
	s_waitcnt lgkmcnt(13)
	v_mov_b32_e32 v0, 0
	s_waitcnt lgkmcnt(11)
	global_store_dwordx4 v0, v[16:19], s[54:55]
                                        ; implicit-def: $vgpr4_vgpr5_vgpr6_vgpr7
.LBB180_196:
	s_andn2_saveexec_b64 s[6:7], s[6:7]
	s_cbranch_execz .LBB180_198
; %bb.197:
	s_waitcnt lgkmcnt(13)
	v_mov_b32_e32 v0, 0
	s_waitcnt lgkmcnt(12)
	global_store_dwordx4 v0, v[4:7], s[54:55]
.LBB180_198:
	s_or_b64 exec, exec, s[6:7]
                                        ; implicit-def: $vgpr0_vgpr1_vgpr2_vgpr3
                                        ; implicit-def: $vgpr60_vgpr61
                                        ; implicit-def: $vgpr8_vgpr9_vgpr10_vgpr11
.LBB180_199:
	s_andn2_saveexec_b64 s[4:5], s[4:5]
	s_cbranch_execz .LBB180_204
; %bb.200:
	v_cmp_ne_u64_e32 vcc, 1, v[60:61]
	s_and_saveexec_b64 s[4:5], vcc
	s_xor_b64 s[4:5], exec, s[4:5]
	s_cbranch_execz .LBB180_202
; %bb.201:
	s_waitcnt lgkmcnt(13)
	v_mov_b32_e32 v0, 0
	global_store_dwordx4 v0, v[8:11], s[54:55]
                                        ; implicit-def: $vgpr0_vgpr1_vgpr2_vgpr3
.LBB180_202:
	s_andn2_saveexec_b64 s[4:5], s[4:5]
	s_cbranch_execz .LBB180_204
; %bb.203:
	s_waitcnt lgkmcnt(12)
	v_mov_b32_e32 v4, 0
	global_store_dwordx4 v4, v[0:3], s[54:55]
.LBB180_204:
	s_endpgm
	.section	.rodata,"a",@progbits
	.p2align	6, 0x0
	.amdhsa_kernel _ZN7rocprim17ROCPRIM_400000_NS6detail17trampoline_kernelINS0_14default_configENS1_20scan_config_selectorIN3c107complexIdEEEEZZNS1_9scan_implILNS1_25lookback_scan_determinismE0ELb0ELb0ES3_PKS7_PS7_S7_ZZZN2at6native31launch_logcumsumexp_cuda_kernelERKNSE_10TensorBaseESI_lENKUlvE_clEvENKUlvE1_clEvEUlS7_S7_E_S7_EEDaPvRmT3_T4_T5_mT6_P12ihipStream_tbENKUlT_T0_E_clISt17integral_constantIbLb0EESZ_EEDaSU_SV_EUlSU_E_NS1_11comp_targetILNS1_3genE2ELNS1_11target_archE906ELNS1_3gpuE6ELNS1_3repE0EEENS1_30default_config_static_selectorELNS0_4arch9wavefront6targetE1EEEvT1_
		.amdhsa_group_segment_fixed_size 15360
		.amdhsa_private_segment_fixed_size 0
		.amdhsa_kernarg_size 128
		.amdhsa_user_sgpr_count 6
		.amdhsa_user_sgpr_private_segment_buffer 1
		.amdhsa_user_sgpr_dispatch_ptr 0
		.amdhsa_user_sgpr_queue_ptr 0
		.amdhsa_user_sgpr_kernarg_segment_ptr 1
		.amdhsa_user_sgpr_dispatch_id 0
		.amdhsa_user_sgpr_flat_scratch_init 0
		.amdhsa_user_sgpr_private_segment_size 0
		.amdhsa_uses_dynamic_stack 0
		.amdhsa_system_sgpr_private_segment_wavefront_offset 0
		.amdhsa_system_sgpr_workgroup_id_x 1
		.amdhsa_system_sgpr_workgroup_id_y 0
		.amdhsa_system_sgpr_workgroup_id_z 0
		.amdhsa_system_sgpr_workgroup_info 0
		.amdhsa_system_vgpr_workitem_id 0
		.amdhsa_next_free_vgpr 171
		.amdhsa_next_free_sgpr 98
		.amdhsa_reserve_vcc 1
		.amdhsa_reserve_flat_scratch 0
		.amdhsa_float_round_mode_32 0
		.amdhsa_float_round_mode_16_64 0
		.amdhsa_float_denorm_mode_32 3
		.amdhsa_float_denorm_mode_16_64 3
		.amdhsa_dx10_clamp 1
		.amdhsa_ieee_mode 1
		.amdhsa_fp16_overflow 0
		.amdhsa_exception_fp_ieee_invalid_op 0
		.amdhsa_exception_fp_denorm_src 0
		.amdhsa_exception_fp_ieee_div_zero 0
		.amdhsa_exception_fp_ieee_overflow 0
		.amdhsa_exception_fp_ieee_underflow 0
		.amdhsa_exception_fp_ieee_inexact 0
		.amdhsa_exception_int_div_zero 0
	.end_amdhsa_kernel
	.section	.text._ZN7rocprim17ROCPRIM_400000_NS6detail17trampoline_kernelINS0_14default_configENS1_20scan_config_selectorIN3c107complexIdEEEEZZNS1_9scan_implILNS1_25lookback_scan_determinismE0ELb0ELb0ES3_PKS7_PS7_S7_ZZZN2at6native31launch_logcumsumexp_cuda_kernelERKNSE_10TensorBaseESI_lENKUlvE_clEvENKUlvE1_clEvEUlS7_S7_E_S7_EEDaPvRmT3_T4_T5_mT6_P12ihipStream_tbENKUlT_T0_E_clISt17integral_constantIbLb0EESZ_EEDaSU_SV_EUlSU_E_NS1_11comp_targetILNS1_3genE2ELNS1_11target_archE906ELNS1_3gpuE6ELNS1_3repE0EEENS1_30default_config_static_selectorELNS0_4arch9wavefront6targetE1EEEvT1_,"axG",@progbits,_ZN7rocprim17ROCPRIM_400000_NS6detail17trampoline_kernelINS0_14default_configENS1_20scan_config_selectorIN3c107complexIdEEEEZZNS1_9scan_implILNS1_25lookback_scan_determinismE0ELb0ELb0ES3_PKS7_PS7_S7_ZZZN2at6native31launch_logcumsumexp_cuda_kernelERKNSE_10TensorBaseESI_lENKUlvE_clEvENKUlvE1_clEvEUlS7_S7_E_S7_EEDaPvRmT3_T4_T5_mT6_P12ihipStream_tbENKUlT_T0_E_clISt17integral_constantIbLb0EESZ_EEDaSU_SV_EUlSU_E_NS1_11comp_targetILNS1_3genE2ELNS1_11target_archE906ELNS1_3gpuE6ELNS1_3repE0EEENS1_30default_config_static_selectorELNS0_4arch9wavefront6targetE1EEEvT1_,comdat
.Lfunc_end180:
	.size	_ZN7rocprim17ROCPRIM_400000_NS6detail17trampoline_kernelINS0_14default_configENS1_20scan_config_selectorIN3c107complexIdEEEEZZNS1_9scan_implILNS1_25lookback_scan_determinismE0ELb0ELb0ES3_PKS7_PS7_S7_ZZZN2at6native31launch_logcumsumexp_cuda_kernelERKNSE_10TensorBaseESI_lENKUlvE_clEvENKUlvE1_clEvEUlS7_S7_E_S7_EEDaPvRmT3_T4_T5_mT6_P12ihipStream_tbENKUlT_T0_E_clISt17integral_constantIbLb0EESZ_EEDaSU_SV_EUlSU_E_NS1_11comp_targetILNS1_3genE2ELNS1_11target_archE906ELNS1_3gpuE6ELNS1_3repE0EEENS1_30default_config_static_selectorELNS0_4arch9wavefront6targetE1EEEvT1_, .Lfunc_end180-_ZN7rocprim17ROCPRIM_400000_NS6detail17trampoline_kernelINS0_14default_configENS1_20scan_config_selectorIN3c107complexIdEEEEZZNS1_9scan_implILNS1_25lookback_scan_determinismE0ELb0ELb0ES3_PKS7_PS7_S7_ZZZN2at6native31launch_logcumsumexp_cuda_kernelERKNSE_10TensorBaseESI_lENKUlvE_clEvENKUlvE1_clEvEUlS7_S7_E_S7_EEDaPvRmT3_T4_T5_mT6_P12ihipStream_tbENKUlT_T0_E_clISt17integral_constantIbLb0EESZ_EEDaSU_SV_EUlSU_E_NS1_11comp_targetILNS1_3genE2ELNS1_11target_archE906ELNS1_3gpuE6ELNS1_3repE0EEENS1_30default_config_static_selectorELNS0_4arch9wavefront6targetE1EEEvT1_
                                        ; -- End function
	.set _ZN7rocprim17ROCPRIM_400000_NS6detail17trampoline_kernelINS0_14default_configENS1_20scan_config_selectorIN3c107complexIdEEEEZZNS1_9scan_implILNS1_25lookback_scan_determinismE0ELb0ELb0ES3_PKS7_PS7_S7_ZZZN2at6native31launch_logcumsumexp_cuda_kernelERKNSE_10TensorBaseESI_lENKUlvE_clEvENKUlvE1_clEvEUlS7_S7_E_S7_EEDaPvRmT3_T4_T5_mT6_P12ihipStream_tbENKUlT_T0_E_clISt17integral_constantIbLb0EESZ_EEDaSU_SV_EUlSU_E_NS1_11comp_targetILNS1_3genE2ELNS1_11target_archE906ELNS1_3gpuE6ELNS1_3repE0EEENS1_30default_config_static_selectorELNS0_4arch9wavefront6targetE1EEEvT1_.num_vgpr, max(171, .L_ZZZZN2at6native31launch_logcumsumexp_cuda_kernelERKNS_10TensorBaseES3_lENKUlvE_clEvENKUlvE1_clEvENKUlN3c107complexIdEES8_E_clES8_S8_.num_vgpr)
	.set _ZN7rocprim17ROCPRIM_400000_NS6detail17trampoline_kernelINS0_14default_configENS1_20scan_config_selectorIN3c107complexIdEEEEZZNS1_9scan_implILNS1_25lookback_scan_determinismE0ELb0ELb0ES3_PKS7_PS7_S7_ZZZN2at6native31launch_logcumsumexp_cuda_kernelERKNSE_10TensorBaseESI_lENKUlvE_clEvENKUlvE1_clEvEUlS7_S7_E_S7_EEDaPvRmT3_T4_T5_mT6_P12ihipStream_tbENKUlT_T0_E_clISt17integral_constantIbLb0EESZ_EEDaSU_SV_EUlSU_E_NS1_11comp_targetILNS1_3genE2ELNS1_11target_archE906ELNS1_3gpuE6ELNS1_3repE0EEENS1_30default_config_static_selectorELNS0_4arch9wavefront6targetE1EEEvT1_.num_agpr, max(0, .L_ZZZZN2at6native31launch_logcumsumexp_cuda_kernelERKNS_10TensorBaseES3_lENKUlvE_clEvENKUlvE1_clEvENKUlN3c107complexIdEES8_E_clES8_S8_.num_agpr)
	.set _ZN7rocprim17ROCPRIM_400000_NS6detail17trampoline_kernelINS0_14default_configENS1_20scan_config_selectorIN3c107complexIdEEEEZZNS1_9scan_implILNS1_25lookback_scan_determinismE0ELb0ELb0ES3_PKS7_PS7_S7_ZZZN2at6native31launch_logcumsumexp_cuda_kernelERKNSE_10TensorBaseESI_lENKUlvE_clEvENKUlvE1_clEvEUlS7_S7_E_S7_EEDaPvRmT3_T4_T5_mT6_P12ihipStream_tbENKUlT_T0_E_clISt17integral_constantIbLb0EESZ_EEDaSU_SV_EUlSU_E_NS1_11comp_targetILNS1_3genE2ELNS1_11target_archE906ELNS1_3gpuE6ELNS1_3repE0EEENS1_30default_config_static_selectorELNS0_4arch9wavefront6targetE1EEEvT1_.numbered_sgpr, max(66, .L_ZZZZN2at6native31launch_logcumsumexp_cuda_kernelERKNS_10TensorBaseES3_lENKUlvE_clEvENKUlvE1_clEvENKUlN3c107complexIdEES8_E_clES8_S8_.numbered_sgpr)
	.set _ZN7rocprim17ROCPRIM_400000_NS6detail17trampoline_kernelINS0_14default_configENS1_20scan_config_selectorIN3c107complexIdEEEEZZNS1_9scan_implILNS1_25lookback_scan_determinismE0ELb0ELb0ES3_PKS7_PS7_S7_ZZZN2at6native31launch_logcumsumexp_cuda_kernelERKNSE_10TensorBaseESI_lENKUlvE_clEvENKUlvE1_clEvEUlS7_S7_E_S7_EEDaPvRmT3_T4_T5_mT6_P12ihipStream_tbENKUlT_T0_E_clISt17integral_constantIbLb0EESZ_EEDaSU_SV_EUlSU_E_NS1_11comp_targetILNS1_3genE2ELNS1_11target_archE906ELNS1_3gpuE6ELNS1_3repE0EEENS1_30default_config_static_selectorELNS0_4arch9wavefront6targetE1EEEvT1_.num_named_barrier, max(0, .L_ZZZZN2at6native31launch_logcumsumexp_cuda_kernelERKNS_10TensorBaseES3_lENKUlvE_clEvENKUlvE1_clEvENKUlN3c107complexIdEES8_E_clES8_S8_.num_named_barrier)
	.set _ZN7rocprim17ROCPRIM_400000_NS6detail17trampoline_kernelINS0_14default_configENS1_20scan_config_selectorIN3c107complexIdEEEEZZNS1_9scan_implILNS1_25lookback_scan_determinismE0ELb0ELb0ES3_PKS7_PS7_S7_ZZZN2at6native31launch_logcumsumexp_cuda_kernelERKNSE_10TensorBaseESI_lENKUlvE_clEvENKUlvE1_clEvEUlS7_S7_E_S7_EEDaPvRmT3_T4_T5_mT6_P12ihipStream_tbENKUlT_T0_E_clISt17integral_constantIbLb0EESZ_EEDaSU_SV_EUlSU_E_NS1_11comp_targetILNS1_3genE2ELNS1_11target_archE906ELNS1_3gpuE6ELNS1_3repE0EEENS1_30default_config_static_selectorELNS0_4arch9wavefront6targetE1EEEvT1_.private_seg_size, 0+max(.L_ZZZZN2at6native31launch_logcumsumexp_cuda_kernelERKNS_10TensorBaseES3_lENKUlvE_clEvENKUlvE1_clEvENKUlN3c107complexIdEES8_E_clES8_S8_.private_seg_size)
	.set _ZN7rocprim17ROCPRIM_400000_NS6detail17trampoline_kernelINS0_14default_configENS1_20scan_config_selectorIN3c107complexIdEEEEZZNS1_9scan_implILNS1_25lookback_scan_determinismE0ELb0ELb0ES3_PKS7_PS7_S7_ZZZN2at6native31launch_logcumsumexp_cuda_kernelERKNSE_10TensorBaseESI_lENKUlvE_clEvENKUlvE1_clEvEUlS7_S7_E_S7_EEDaPvRmT3_T4_T5_mT6_P12ihipStream_tbENKUlT_T0_E_clISt17integral_constantIbLb0EESZ_EEDaSU_SV_EUlSU_E_NS1_11comp_targetILNS1_3genE2ELNS1_11target_archE906ELNS1_3gpuE6ELNS1_3repE0EEENS1_30default_config_static_selectorELNS0_4arch9wavefront6targetE1EEEvT1_.uses_vcc, or(1, .L_ZZZZN2at6native31launch_logcumsumexp_cuda_kernelERKNS_10TensorBaseES3_lENKUlvE_clEvENKUlvE1_clEvENKUlN3c107complexIdEES8_E_clES8_S8_.uses_vcc)
	.set _ZN7rocprim17ROCPRIM_400000_NS6detail17trampoline_kernelINS0_14default_configENS1_20scan_config_selectorIN3c107complexIdEEEEZZNS1_9scan_implILNS1_25lookback_scan_determinismE0ELb0ELb0ES3_PKS7_PS7_S7_ZZZN2at6native31launch_logcumsumexp_cuda_kernelERKNSE_10TensorBaseESI_lENKUlvE_clEvENKUlvE1_clEvEUlS7_S7_E_S7_EEDaPvRmT3_T4_T5_mT6_P12ihipStream_tbENKUlT_T0_E_clISt17integral_constantIbLb0EESZ_EEDaSU_SV_EUlSU_E_NS1_11comp_targetILNS1_3genE2ELNS1_11target_archE906ELNS1_3gpuE6ELNS1_3repE0EEENS1_30default_config_static_selectorELNS0_4arch9wavefront6targetE1EEEvT1_.uses_flat_scratch, or(0, .L_ZZZZN2at6native31launch_logcumsumexp_cuda_kernelERKNS_10TensorBaseES3_lENKUlvE_clEvENKUlvE1_clEvENKUlN3c107complexIdEES8_E_clES8_S8_.uses_flat_scratch)
	.set _ZN7rocprim17ROCPRIM_400000_NS6detail17trampoline_kernelINS0_14default_configENS1_20scan_config_selectorIN3c107complexIdEEEEZZNS1_9scan_implILNS1_25lookback_scan_determinismE0ELb0ELb0ES3_PKS7_PS7_S7_ZZZN2at6native31launch_logcumsumexp_cuda_kernelERKNSE_10TensorBaseESI_lENKUlvE_clEvENKUlvE1_clEvEUlS7_S7_E_S7_EEDaPvRmT3_T4_T5_mT6_P12ihipStream_tbENKUlT_T0_E_clISt17integral_constantIbLb0EESZ_EEDaSU_SV_EUlSU_E_NS1_11comp_targetILNS1_3genE2ELNS1_11target_archE906ELNS1_3gpuE6ELNS1_3repE0EEENS1_30default_config_static_selectorELNS0_4arch9wavefront6targetE1EEEvT1_.has_dyn_sized_stack, or(0, .L_ZZZZN2at6native31launch_logcumsumexp_cuda_kernelERKNS_10TensorBaseES3_lENKUlvE_clEvENKUlvE1_clEvENKUlN3c107complexIdEES8_E_clES8_S8_.has_dyn_sized_stack)
	.set _ZN7rocprim17ROCPRIM_400000_NS6detail17trampoline_kernelINS0_14default_configENS1_20scan_config_selectorIN3c107complexIdEEEEZZNS1_9scan_implILNS1_25lookback_scan_determinismE0ELb0ELb0ES3_PKS7_PS7_S7_ZZZN2at6native31launch_logcumsumexp_cuda_kernelERKNSE_10TensorBaseESI_lENKUlvE_clEvENKUlvE1_clEvEUlS7_S7_E_S7_EEDaPvRmT3_T4_T5_mT6_P12ihipStream_tbENKUlT_T0_E_clISt17integral_constantIbLb0EESZ_EEDaSU_SV_EUlSU_E_NS1_11comp_targetILNS1_3genE2ELNS1_11target_archE906ELNS1_3gpuE6ELNS1_3repE0EEENS1_30default_config_static_selectorELNS0_4arch9wavefront6targetE1EEEvT1_.has_recursion, or(0, .L_ZZZZN2at6native31launch_logcumsumexp_cuda_kernelERKNS_10TensorBaseES3_lENKUlvE_clEvENKUlvE1_clEvENKUlN3c107complexIdEES8_E_clES8_S8_.has_recursion)
	.set _ZN7rocprim17ROCPRIM_400000_NS6detail17trampoline_kernelINS0_14default_configENS1_20scan_config_selectorIN3c107complexIdEEEEZZNS1_9scan_implILNS1_25lookback_scan_determinismE0ELb0ELb0ES3_PKS7_PS7_S7_ZZZN2at6native31launch_logcumsumexp_cuda_kernelERKNSE_10TensorBaseESI_lENKUlvE_clEvENKUlvE1_clEvEUlS7_S7_E_S7_EEDaPvRmT3_T4_T5_mT6_P12ihipStream_tbENKUlT_T0_E_clISt17integral_constantIbLb0EESZ_EEDaSU_SV_EUlSU_E_NS1_11comp_targetILNS1_3genE2ELNS1_11target_archE906ELNS1_3gpuE6ELNS1_3repE0EEENS1_30default_config_static_selectorELNS0_4arch9wavefront6targetE1EEEvT1_.has_indirect_call, or(0, .L_ZZZZN2at6native31launch_logcumsumexp_cuda_kernelERKNS_10TensorBaseES3_lENKUlvE_clEvENKUlvE1_clEvENKUlN3c107complexIdEES8_E_clES8_S8_.has_indirect_call)
	.section	.AMDGPU.csdata,"",@progbits
; Kernel info:
; codeLenInByte = 9688
; TotalNumSgprs: 70
; NumVgprs: 171
; ScratchSize: 0
; MemoryBound: 1
; FloatMode: 240
; IeeeMode: 1
; LDSByteSize: 15360 bytes/workgroup (compile time only)
; SGPRBlocks: 12
; VGPRBlocks: 42
; NumSGPRsForWavesPerEU: 102
; NumVGPRsForWavesPerEU: 171
; Occupancy: 1
; WaveLimiterHint : 1
; COMPUTE_PGM_RSRC2:SCRATCH_EN: 0
; COMPUTE_PGM_RSRC2:USER_SGPR: 6
; COMPUTE_PGM_RSRC2:TRAP_HANDLER: 0
; COMPUTE_PGM_RSRC2:TGID_X_EN: 1
; COMPUTE_PGM_RSRC2:TGID_Y_EN: 0
; COMPUTE_PGM_RSRC2:TGID_Z_EN: 0
; COMPUTE_PGM_RSRC2:TIDIG_COMP_CNT: 0
	.section	.text._ZN7rocprim17ROCPRIM_400000_NS6detail17trampoline_kernelINS0_14default_configENS1_20scan_config_selectorIN3c107complexIdEEEEZZNS1_9scan_implILNS1_25lookback_scan_determinismE0ELb0ELb0ES3_PKS7_PS7_S7_ZZZN2at6native31launch_logcumsumexp_cuda_kernelERKNSE_10TensorBaseESI_lENKUlvE_clEvENKUlvE1_clEvEUlS7_S7_E_S7_EEDaPvRmT3_T4_T5_mT6_P12ihipStream_tbENKUlT_T0_E_clISt17integral_constantIbLb0EESZ_EEDaSU_SV_EUlSU_E_NS1_11comp_targetILNS1_3genE10ELNS1_11target_archE1201ELNS1_3gpuE5ELNS1_3repE0EEENS1_30default_config_static_selectorELNS0_4arch9wavefront6targetE1EEEvT1_,"axG",@progbits,_ZN7rocprim17ROCPRIM_400000_NS6detail17trampoline_kernelINS0_14default_configENS1_20scan_config_selectorIN3c107complexIdEEEEZZNS1_9scan_implILNS1_25lookback_scan_determinismE0ELb0ELb0ES3_PKS7_PS7_S7_ZZZN2at6native31launch_logcumsumexp_cuda_kernelERKNSE_10TensorBaseESI_lENKUlvE_clEvENKUlvE1_clEvEUlS7_S7_E_S7_EEDaPvRmT3_T4_T5_mT6_P12ihipStream_tbENKUlT_T0_E_clISt17integral_constantIbLb0EESZ_EEDaSU_SV_EUlSU_E_NS1_11comp_targetILNS1_3genE10ELNS1_11target_archE1201ELNS1_3gpuE5ELNS1_3repE0EEENS1_30default_config_static_selectorELNS0_4arch9wavefront6targetE1EEEvT1_,comdat
	.globl	_ZN7rocprim17ROCPRIM_400000_NS6detail17trampoline_kernelINS0_14default_configENS1_20scan_config_selectorIN3c107complexIdEEEEZZNS1_9scan_implILNS1_25lookback_scan_determinismE0ELb0ELb0ES3_PKS7_PS7_S7_ZZZN2at6native31launch_logcumsumexp_cuda_kernelERKNSE_10TensorBaseESI_lENKUlvE_clEvENKUlvE1_clEvEUlS7_S7_E_S7_EEDaPvRmT3_T4_T5_mT6_P12ihipStream_tbENKUlT_T0_E_clISt17integral_constantIbLb0EESZ_EEDaSU_SV_EUlSU_E_NS1_11comp_targetILNS1_3genE10ELNS1_11target_archE1201ELNS1_3gpuE5ELNS1_3repE0EEENS1_30default_config_static_selectorELNS0_4arch9wavefront6targetE1EEEvT1_ ; -- Begin function _ZN7rocprim17ROCPRIM_400000_NS6detail17trampoline_kernelINS0_14default_configENS1_20scan_config_selectorIN3c107complexIdEEEEZZNS1_9scan_implILNS1_25lookback_scan_determinismE0ELb0ELb0ES3_PKS7_PS7_S7_ZZZN2at6native31launch_logcumsumexp_cuda_kernelERKNSE_10TensorBaseESI_lENKUlvE_clEvENKUlvE1_clEvEUlS7_S7_E_S7_EEDaPvRmT3_T4_T5_mT6_P12ihipStream_tbENKUlT_T0_E_clISt17integral_constantIbLb0EESZ_EEDaSU_SV_EUlSU_E_NS1_11comp_targetILNS1_3genE10ELNS1_11target_archE1201ELNS1_3gpuE5ELNS1_3repE0EEENS1_30default_config_static_selectorELNS0_4arch9wavefront6targetE1EEEvT1_
	.p2align	8
	.type	_ZN7rocprim17ROCPRIM_400000_NS6detail17trampoline_kernelINS0_14default_configENS1_20scan_config_selectorIN3c107complexIdEEEEZZNS1_9scan_implILNS1_25lookback_scan_determinismE0ELb0ELb0ES3_PKS7_PS7_S7_ZZZN2at6native31launch_logcumsumexp_cuda_kernelERKNSE_10TensorBaseESI_lENKUlvE_clEvENKUlvE1_clEvEUlS7_S7_E_S7_EEDaPvRmT3_T4_T5_mT6_P12ihipStream_tbENKUlT_T0_E_clISt17integral_constantIbLb0EESZ_EEDaSU_SV_EUlSU_E_NS1_11comp_targetILNS1_3genE10ELNS1_11target_archE1201ELNS1_3gpuE5ELNS1_3repE0EEENS1_30default_config_static_selectorELNS0_4arch9wavefront6targetE1EEEvT1_,@function
_ZN7rocprim17ROCPRIM_400000_NS6detail17trampoline_kernelINS0_14default_configENS1_20scan_config_selectorIN3c107complexIdEEEEZZNS1_9scan_implILNS1_25lookback_scan_determinismE0ELb0ELb0ES3_PKS7_PS7_S7_ZZZN2at6native31launch_logcumsumexp_cuda_kernelERKNSE_10TensorBaseESI_lENKUlvE_clEvENKUlvE1_clEvEUlS7_S7_E_S7_EEDaPvRmT3_T4_T5_mT6_P12ihipStream_tbENKUlT_T0_E_clISt17integral_constantIbLb0EESZ_EEDaSU_SV_EUlSU_E_NS1_11comp_targetILNS1_3genE10ELNS1_11target_archE1201ELNS1_3gpuE5ELNS1_3repE0EEENS1_30default_config_static_selectorELNS0_4arch9wavefront6targetE1EEEvT1_: ; @_ZN7rocprim17ROCPRIM_400000_NS6detail17trampoline_kernelINS0_14default_configENS1_20scan_config_selectorIN3c107complexIdEEEEZZNS1_9scan_implILNS1_25lookback_scan_determinismE0ELb0ELb0ES3_PKS7_PS7_S7_ZZZN2at6native31launch_logcumsumexp_cuda_kernelERKNSE_10TensorBaseESI_lENKUlvE_clEvENKUlvE1_clEvEUlS7_S7_E_S7_EEDaPvRmT3_T4_T5_mT6_P12ihipStream_tbENKUlT_T0_E_clISt17integral_constantIbLb0EESZ_EEDaSU_SV_EUlSU_E_NS1_11comp_targetILNS1_3genE10ELNS1_11target_archE1201ELNS1_3gpuE5ELNS1_3repE0EEENS1_30default_config_static_selectorELNS0_4arch9wavefront6targetE1EEEvT1_
; %bb.0:
	.section	.rodata,"a",@progbits
	.p2align	6, 0x0
	.amdhsa_kernel _ZN7rocprim17ROCPRIM_400000_NS6detail17trampoline_kernelINS0_14default_configENS1_20scan_config_selectorIN3c107complexIdEEEEZZNS1_9scan_implILNS1_25lookback_scan_determinismE0ELb0ELb0ES3_PKS7_PS7_S7_ZZZN2at6native31launch_logcumsumexp_cuda_kernelERKNSE_10TensorBaseESI_lENKUlvE_clEvENKUlvE1_clEvEUlS7_S7_E_S7_EEDaPvRmT3_T4_T5_mT6_P12ihipStream_tbENKUlT_T0_E_clISt17integral_constantIbLb0EESZ_EEDaSU_SV_EUlSU_E_NS1_11comp_targetILNS1_3genE10ELNS1_11target_archE1201ELNS1_3gpuE5ELNS1_3repE0EEENS1_30default_config_static_selectorELNS0_4arch9wavefront6targetE1EEEvT1_
		.amdhsa_group_segment_fixed_size 0
		.amdhsa_private_segment_fixed_size 0
		.amdhsa_kernarg_size 128
		.amdhsa_user_sgpr_count 6
		.amdhsa_user_sgpr_private_segment_buffer 1
		.amdhsa_user_sgpr_dispatch_ptr 0
		.amdhsa_user_sgpr_queue_ptr 0
		.amdhsa_user_sgpr_kernarg_segment_ptr 1
		.amdhsa_user_sgpr_dispatch_id 0
		.amdhsa_user_sgpr_flat_scratch_init 0
		.amdhsa_user_sgpr_private_segment_size 0
		.amdhsa_uses_dynamic_stack 0
		.amdhsa_system_sgpr_private_segment_wavefront_offset 0
		.amdhsa_system_sgpr_workgroup_id_x 1
		.amdhsa_system_sgpr_workgroup_id_y 0
		.amdhsa_system_sgpr_workgroup_id_z 0
		.amdhsa_system_sgpr_workgroup_info 0
		.amdhsa_system_vgpr_workitem_id 0
		.amdhsa_next_free_vgpr 1
		.amdhsa_next_free_sgpr 0
		.amdhsa_reserve_vcc 0
		.amdhsa_reserve_flat_scratch 0
		.amdhsa_float_round_mode_32 0
		.amdhsa_float_round_mode_16_64 0
		.amdhsa_float_denorm_mode_32 3
		.amdhsa_float_denorm_mode_16_64 3
		.amdhsa_dx10_clamp 1
		.amdhsa_ieee_mode 1
		.amdhsa_fp16_overflow 0
		.amdhsa_exception_fp_ieee_invalid_op 0
		.amdhsa_exception_fp_denorm_src 0
		.amdhsa_exception_fp_ieee_div_zero 0
		.amdhsa_exception_fp_ieee_overflow 0
		.amdhsa_exception_fp_ieee_underflow 0
		.amdhsa_exception_fp_ieee_inexact 0
		.amdhsa_exception_int_div_zero 0
	.end_amdhsa_kernel
	.section	.text._ZN7rocprim17ROCPRIM_400000_NS6detail17trampoline_kernelINS0_14default_configENS1_20scan_config_selectorIN3c107complexIdEEEEZZNS1_9scan_implILNS1_25lookback_scan_determinismE0ELb0ELb0ES3_PKS7_PS7_S7_ZZZN2at6native31launch_logcumsumexp_cuda_kernelERKNSE_10TensorBaseESI_lENKUlvE_clEvENKUlvE1_clEvEUlS7_S7_E_S7_EEDaPvRmT3_T4_T5_mT6_P12ihipStream_tbENKUlT_T0_E_clISt17integral_constantIbLb0EESZ_EEDaSU_SV_EUlSU_E_NS1_11comp_targetILNS1_3genE10ELNS1_11target_archE1201ELNS1_3gpuE5ELNS1_3repE0EEENS1_30default_config_static_selectorELNS0_4arch9wavefront6targetE1EEEvT1_,"axG",@progbits,_ZN7rocprim17ROCPRIM_400000_NS6detail17trampoline_kernelINS0_14default_configENS1_20scan_config_selectorIN3c107complexIdEEEEZZNS1_9scan_implILNS1_25lookback_scan_determinismE0ELb0ELb0ES3_PKS7_PS7_S7_ZZZN2at6native31launch_logcumsumexp_cuda_kernelERKNSE_10TensorBaseESI_lENKUlvE_clEvENKUlvE1_clEvEUlS7_S7_E_S7_EEDaPvRmT3_T4_T5_mT6_P12ihipStream_tbENKUlT_T0_E_clISt17integral_constantIbLb0EESZ_EEDaSU_SV_EUlSU_E_NS1_11comp_targetILNS1_3genE10ELNS1_11target_archE1201ELNS1_3gpuE5ELNS1_3repE0EEENS1_30default_config_static_selectorELNS0_4arch9wavefront6targetE1EEEvT1_,comdat
.Lfunc_end181:
	.size	_ZN7rocprim17ROCPRIM_400000_NS6detail17trampoline_kernelINS0_14default_configENS1_20scan_config_selectorIN3c107complexIdEEEEZZNS1_9scan_implILNS1_25lookback_scan_determinismE0ELb0ELb0ES3_PKS7_PS7_S7_ZZZN2at6native31launch_logcumsumexp_cuda_kernelERKNSE_10TensorBaseESI_lENKUlvE_clEvENKUlvE1_clEvEUlS7_S7_E_S7_EEDaPvRmT3_T4_T5_mT6_P12ihipStream_tbENKUlT_T0_E_clISt17integral_constantIbLb0EESZ_EEDaSU_SV_EUlSU_E_NS1_11comp_targetILNS1_3genE10ELNS1_11target_archE1201ELNS1_3gpuE5ELNS1_3repE0EEENS1_30default_config_static_selectorELNS0_4arch9wavefront6targetE1EEEvT1_, .Lfunc_end181-_ZN7rocprim17ROCPRIM_400000_NS6detail17trampoline_kernelINS0_14default_configENS1_20scan_config_selectorIN3c107complexIdEEEEZZNS1_9scan_implILNS1_25lookback_scan_determinismE0ELb0ELb0ES3_PKS7_PS7_S7_ZZZN2at6native31launch_logcumsumexp_cuda_kernelERKNSE_10TensorBaseESI_lENKUlvE_clEvENKUlvE1_clEvEUlS7_S7_E_S7_EEDaPvRmT3_T4_T5_mT6_P12ihipStream_tbENKUlT_T0_E_clISt17integral_constantIbLb0EESZ_EEDaSU_SV_EUlSU_E_NS1_11comp_targetILNS1_3genE10ELNS1_11target_archE1201ELNS1_3gpuE5ELNS1_3repE0EEENS1_30default_config_static_selectorELNS0_4arch9wavefront6targetE1EEEvT1_
                                        ; -- End function
	.set _ZN7rocprim17ROCPRIM_400000_NS6detail17trampoline_kernelINS0_14default_configENS1_20scan_config_selectorIN3c107complexIdEEEEZZNS1_9scan_implILNS1_25lookback_scan_determinismE0ELb0ELb0ES3_PKS7_PS7_S7_ZZZN2at6native31launch_logcumsumexp_cuda_kernelERKNSE_10TensorBaseESI_lENKUlvE_clEvENKUlvE1_clEvEUlS7_S7_E_S7_EEDaPvRmT3_T4_T5_mT6_P12ihipStream_tbENKUlT_T0_E_clISt17integral_constantIbLb0EESZ_EEDaSU_SV_EUlSU_E_NS1_11comp_targetILNS1_3genE10ELNS1_11target_archE1201ELNS1_3gpuE5ELNS1_3repE0EEENS1_30default_config_static_selectorELNS0_4arch9wavefront6targetE1EEEvT1_.num_vgpr, 0
	.set _ZN7rocprim17ROCPRIM_400000_NS6detail17trampoline_kernelINS0_14default_configENS1_20scan_config_selectorIN3c107complexIdEEEEZZNS1_9scan_implILNS1_25lookback_scan_determinismE0ELb0ELb0ES3_PKS7_PS7_S7_ZZZN2at6native31launch_logcumsumexp_cuda_kernelERKNSE_10TensorBaseESI_lENKUlvE_clEvENKUlvE1_clEvEUlS7_S7_E_S7_EEDaPvRmT3_T4_T5_mT6_P12ihipStream_tbENKUlT_T0_E_clISt17integral_constantIbLb0EESZ_EEDaSU_SV_EUlSU_E_NS1_11comp_targetILNS1_3genE10ELNS1_11target_archE1201ELNS1_3gpuE5ELNS1_3repE0EEENS1_30default_config_static_selectorELNS0_4arch9wavefront6targetE1EEEvT1_.num_agpr, 0
	.set _ZN7rocprim17ROCPRIM_400000_NS6detail17trampoline_kernelINS0_14default_configENS1_20scan_config_selectorIN3c107complexIdEEEEZZNS1_9scan_implILNS1_25lookback_scan_determinismE0ELb0ELb0ES3_PKS7_PS7_S7_ZZZN2at6native31launch_logcumsumexp_cuda_kernelERKNSE_10TensorBaseESI_lENKUlvE_clEvENKUlvE1_clEvEUlS7_S7_E_S7_EEDaPvRmT3_T4_T5_mT6_P12ihipStream_tbENKUlT_T0_E_clISt17integral_constantIbLb0EESZ_EEDaSU_SV_EUlSU_E_NS1_11comp_targetILNS1_3genE10ELNS1_11target_archE1201ELNS1_3gpuE5ELNS1_3repE0EEENS1_30default_config_static_selectorELNS0_4arch9wavefront6targetE1EEEvT1_.numbered_sgpr, 0
	.set _ZN7rocprim17ROCPRIM_400000_NS6detail17trampoline_kernelINS0_14default_configENS1_20scan_config_selectorIN3c107complexIdEEEEZZNS1_9scan_implILNS1_25lookback_scan_determinismE0ELb0ELb0ES3_PKS7_PS7_S7_ZZZN2at6native31launch_logcumsumexp_cuda_kernelERKNSE_10TensorBaseESI_lENKUlvE_clEvENKUlvE1_clEvEUlS7_S7_E_S7_EEDaPvRmT3_T4_T5_mT6_P12ihipStream_tbENKUlT_T0_E_clISt17integral_constantIbLb0EESZ_EEDaSU_SV_EUlSU_E_NS1_11comp_targetILNS1_3genE10ELNS1_11target_archE1201ELNS1_3gpuE5ELNS1_3repE0EEENS1_30default_config_static_selectorELNS0_4arch9wavefront6targetE1EEEvT1_.num_named_barrier, 0
	.set _ZN7rocprim17ROCPRIM_400000_NS6detail17trampoline_kernelINS0_14default_configENS1_20scan_config_selectorIN3c107complexIdEEEEZZNS1_9scan_implILNS1_25lookback_scan_determinismE0ELb0ELb0ES3_PKS7_PS7_S7_ZZZN2at6native31launch_logcumsumexp_cuda_kernelERKNSE_10TensorBaseESI_lENKUlvE_clEvENKUlvE1_clEvEUlS7_S7_E_S7_EEDaPvRmT3_T4_T5_mT6_P12ihipStream_tbENKUlT_T0_E_clISt17integral_constantIbLb0EESZ_EEDaSU_SV_EUlSU_E_NS1_11comp_targetILNS1_3genE10ELNS1_11target_archE1201ELNS1_3gpuE5ELNS1_3repE0EEENS1_30default_config_static_selectorELNS0_4arch9wavefront6targetE1EEEvT1_.private_seg_size, 0
	.set _ZN7rocprim17ROCPRIM_400000_NS6detail17trampoline_kernelINS0_14default_configENS1_20scan_config_selectorIN3c107complexIdEEEEZZNS1_9scan_implILNS1_25lookback_scan_determinismE0ELb0ELb0ES3_PKS7_PS7_S7_ZZZN2at6native31launch_logcumsumexp_cuda_kernelERKNSE_10TensorBaseESI_lENKUlvE_clEvENKUlvE1_clEvEUlS7_S7_E_S7_EEDaPvRmT3_T4_T5_mT6_P12ihipStream_tbENKUlT_T0_E_clISt17integral_constantIbLb0EESZ_EEDaSU_SV_EUlSU_E_NS1_11comp_targetILNS1_3genE10ELNS1_11target_archE1201ELNS1_3gpuE5ELNS1_3repE0EEENS1_30default_config_static_selectorELNS0_4arch9wavefront6targetE1EEEvT1_.uses_vcc, 0
	.set _ZN7rocprim17ROCPRIM_400000_NS6detail17trampoline_kernelINS0_14default_configENS1_20scan_config_selectorIN3c107complexIdEEEEZZNS1_9scan_implILNS1_25lookback_scan_determinismE0ELb0ELb0ES3_PKS7_PS7_S7_ZZZN2at6native31launch_logcumsumexp_cuda_kernelERKNSE_10TensorBaseESI_lENKUlvE_clEvENKUlvE1_clEvEUlS7_S7_E_S7_EEDaPvRmT3_T4_T5_mT6_P12ihipStream_tbENKUlT_T0_E_clISt17integral_constantIbLb0EESZ_EEDaSU_SV_EUlSU_E_NS1_11comp_targetILNS1_3genE10ELNS1_11target_archE1201ELNS1_3gpuE5ELNS1_3repE0EEENS1_30default_config_static_selectorELNS0_4arch9wavefront6targetE1EEEvT1_.uses_flat_scratch, 0
	.set _ZN7rocprim17ROCPRIM_400000_NS6detail17trampoline_kernelINS0_14default_configENS1_20scan_config_selectorIN3c107complexIdEEEEZZNS1_9scan_implILNS1_25lookback_scan_determinismE0ELb0ELb0ES3_PKS7_PS7_S7_ZZZN2at6native31launch_logcumsumexp_cuda_kernelERKNSE_10TensorBaseESI_lENKUlvE_clEvENKUlvE1_clEvEUlS7_S7_E_S7_EEDaPvRmT3_T4_T5_mT6_P12ihipStream_tbENKUlT_T0_E_clISt17integral_constantIbLb0EESZ_EEDaSU_SV_EUlSU_E_NS1_11comp_targetILNS1_3genE10ELNS1_11target_archE1201ELNS1_3gpuE5ELNS1_3repE0EEENS1_30default_config_static_selectorELNS0_4arch9wavefront6targetE1EEEvT1_.has_dyn_sized_stack, 0
	.set _ZN7rocprim17ROCPRIM_400000_NS6detail17trampoline_kernelINS0_14default_configENS1_20scan_config_selectorIN3c107complexIdEEEEZZNS1_9scan_implILNS1_25lookback_scan_determinismE0ELb0ELb0ES3_PKS7_PS7_S7_ZZZN2at6native31launch_logcumsumexp_cuda_kernelERKNSE_10TensorBaseESI_lENKUlvE_clEvENKUlvE1_clEvEUlS7_S7_E_S7_EEDaPvRmT3_T4_T5_mT6_P12ihipStream_tbENKUlT_T0_E_clISt17integral_constantIbLb0EESZ_EEDaSU_SV_EUlSU_E_NS1_11comp_targetILNS1_3genE10ELNS1_11target_archE1201ELNS1_3gpuE5ELNS1_3repE0EEENS1_30default_config_static_selectorELNS0_4arch9wavefront6targetE1EEEvT1_.has_recursion, 0
	.set _ZN7rocprim17ROCPRIM_400000_NS6detail17trampoline_kernelINS0_14default_configENS1_20scan_config_selectorIN3c107complexIdEEEEZZNS1_9scan_implILNS1_25lookback_scan_determinismE0ELb0ELb0ES3_PKS7_PS7_S7_ZZZN2at6native31launch_logcumsumexp_cuda_kernelERKNSE_10TensorBaseESI_lENKUlvE_clEvENKUlvE1_clEvEUlS7_S7_E_S7_EEDaPvRmT3_T4_T5_mT6_P12ihipStream_tbENKUlT_T0_E_clISt17integral_constantIbLb0EESZ_EEDaSU_SV_EUlSU_E_NS1_11comp_targetILNS1_3genE10ELNS1_11target_archE1201ELNS1_3gpuE5ELNS1_3repE0EEENS1_30default_config_static_selectorELNS0_4arch9wavefront6targetE1EEEvT1_.has_indirect_call, 0
	.section	.AMDGPU.csdata,"",@progbits
; Kernel info:
; codeLenInByte = 0
; TotalNumSgprs: 4
; NumVgprs: 0
; ScratchSize: 0
; MemoryBound: 0
; FloatMode: 240
; IeeeMode: 1
; LDSByteSize: 0 bytes/workgroup (compile time only)
; SGPRBlocks: 0
; VGPRBlocks: 0
; NumSGPRsForWavesPerEU: 4
; NumVGPRsForWavesPerEU: 1
; Occupancy: 10
; WaveLimiterHint : 0
; COMPUTE_PGM_RSRC2:SCRATCH_EN: 0
; COMPUTE_PGM_RSRC2:USER_SGPR: 6
; COMPUTE_PGM_RSRC2:TRAP_HANDLER: 0
; COMPUTE_PGM_RSRC2:TGID_X_EN: 1
; COMPUTE_PGM_RSRC2:TGID_Y_EN: 0
; COMPUTE_PGM_RSRC2:TGID_Z_EN: 0
; COMPUTE_PGM_RSRC2:TIDIG_COMP_CNT: 0
	.section	.text._ZN7rocprim17ROCPRIM_400000_NS6detail17trampoline_kernelINS0_14default_configENS1_20scan_config_selectorIN3c107complexIdEEEEZZNS1_9scan_implILNS1_25lookback_scan_determinismE0ELb0ELb0ES3_PKS7_PS7_S7_ZZZN2at6native31launch_logcumsumexp_cuda_kernelERKNSE_10TensorBaseESI_lENKUlvE_clEvENKUlvE1_clEvEUlS7_S7_E_S7_EEDaPvRmT3_T4_T5_mT6_P12ihipStream_tbENKUlT_T0_E_clISt17integral_constantIbLb0EESZ_EEDaSU_SV_EUlSU_E_NS1_11comp_targetILNS1_3genE10ELNS1_11target_archE1200ELNS1_3gpuE4ELNS1_3repE0EEENS1_30default_config_static_selectorELNS0_4arch9wavefront6targetE1EEEvT1_,"axG",@progbits,_ZN7rocprim17ROCPRIM_400000_NS6detail17trampoline_kernelINS0_14default_configENS1_20scan_config_selectorIN3c107complexIdEEEEZZNS1_9scan_implILNS1_25lookback_scan_determinismE0ELb0ELb0ES3_PKS7_PS7_S7_ZZZN2at6native31launch_logcumsumexp_cuda_kernelERKNSE_10TensorBaseESI_lENKUlvE_clEvENKUlvE1_clEvEUlS7_S7_E_S7_EEDaPvRmT3_T4_T5_mT6_P12ihipStream_tbENKUlT_T0_E_clISt17integral_constantIbLb0EESZ_EEDaSU_SV_EUlSU_E_NS1_11comp_targetILNS1_3genE10ELNS1_11target_archE1200ELNS1_3gpuE4ELNS1_3repE0EEENS1_30default_config_static_selectorELNS0_4arch9wavefront6targetE1EEEvT1_,comdat
	.globl	_ZN7rocprim17ROCPRIM_400000_NS6detail17trampoline_kernelINS0_14default_configENS1_20scan_config_selectorIN3c107complexIdEEEEZZNS1_9scan_implILNS1_25lookback_scan_determinismE0ELb0ELb0ES3_PKS7_PS7_S7_ZZZN2at6native31launch_logcumsumexp_cuda_kernelERKNSE_10TensorBaseESI_lENKUlvE_clEvENKUlvE1_clEvEUlS7_S7_E_S7_EEDaPvRmT3_T4_T5_mT6_P12ihipStream_tbENKUlT_T0_E_clISt17integral_constantIbLb0EESZ_EEDaSU_SV_EUlSU_E_NS1_11comp_targetILNS1_3genE10ELNS1_11target_archE1200ELNS1_3gpuE4ELNS1_3repE0EEENS1_30default_config_static_selectorELNS0_4arch9wavefront6targetE1EEEvT1_ ; -- Begin function _ZN7rocprim17ROCPRIM_400000_NS6detail17trampoline_kernelINS0_14default_configENS1_20scan_config_selectorIN3c107complexIdEEEEZZNS1_9scan_implILNS1_25lookback_scan_determinismE0ELb0ELb0ES3_PKS7_PS7_S7_ZZZN2at6native31launch_logcumsumexp_cuda_kernelERKNSE_10TensorBaseESI_lENKUlvE_clEvENKUlvE1_clEvEUlS7_S7_E_S7_EEDaPvRmT3_T4_T5_mT6_P12ihipStream_tbENKUlT_T0_E_clISt17integral_constantIbLb0EESZ_EEDaSU_SV_EUlSU_E_NS1_11comp_targetILNS1_3genE10ELNS1_11target_archE1200ELNS1_3gpuE4ELNS1_3repE0EEENS1_30default_config_static_selectorELNS0_4arch9wavefront6targetE1EEEvT1_
	.p2align	8
	.type	_ZN7rocprim17ROCPRIM_400000_NS6detail17trampoline_kernelINS0_14default_configENS1_20scan_config_selectorIN3c107complexIdEEEEZZNS1_9scan_implILNS1_25lookback_scan_determinismE0ELb0ELb0ES3_PKS7_PS7_S7_ZZZN2at6native31launch_logcumsumexp_cuda_kernelERKNSE_10TensorBaseESI_lENKUlvE_clEvENKUlvE1_clEvEUlS7_S7_E_S7_EEDaPvRmT3_T4_T5_mT6_P12ihipStream_tbENKUlT_T0_E_clISt17integral_constantIbLb0EESZ_EEDaSU_SV_EUlSU_E_NS1_11comp_targetILNS1_3genE10ELNS1_11target_archE1200ELNS1_3gpuE4ELNS1_3repE0EEENS1_30default_config_static_selectorELNS0_4arch9wavefront6targetE1EEEvT1_,@function
_ZN7rocprim17ROCPRIM_400000_NS6detail17trampoline_kernelINS0_14default_configENS1_20scan_config_selectorIN3c107complexIdEEEEZZNS1_9scan_implILNS1_25lookback_scan_determinismE0ELb0ELb0ES3_PKS7_PS7_S7_ZZZN2at6native31launch_logcumsumexp_cuda_kernelERKNSE_10TensorBaseESI_lENKUlvE_clEvENKUlvE1_clEvEUlS7_S7_E_S7_EEDaPvRmT3_T4_T5_mT6_P12ihipStream_tbENKUlT_T0_E_clISt17integral_constantIbLb0EESZ_EEDaSU_SV_EUlSU_E_NS1_11comp_targetILNS1_3genE10ELNS1_11target_archE1200ELNS1_3gpuE4ELNS1_3repE0EEENS1_30default_config_static_selectorELNS0_4arch9wavefront6targetE1EEEvT1_: ; @_ZN7rocprim17ROCPRIM_400000_NS6detail17trampoline_kernelINS0_14default_configENS1_20scan_config_selectorIN3c107complexIdEEEEZZNS1_9scan_implILNS1_25lookback_scan_determinismE0ELb0ELb0ES3_PKS7_PS7_S7_ZZZN2at6native31launch_logcumsumexp_cuda_kernelERKNSE_10TensorBaseESI_lENKUlvE_clEvENKUlvE1_clEvEUlS7_S7_E_S7_EEDaPvRmT3_T4_T5_mT6_P12ihipStream_tbENKUlT_T0_E_clISt17integral_constantIbLb0EESZ_EEDaSU_SV_EUlSU_E_NS1_11comp_targetILNS1_3genE10ELNS1_11target_archE1200ELNS1_3gpuE4ELNS1_3repE0EEENS1_30default_config_static_selectorELNS0_4arch9wavefront6targetE1EEEvT1_
; %bb.0:
	.section	.rodata,"a",@progbits
	.p2align	6, 0x0
	.amdhsa_kernel _ZN7rocprim17ROCPRIM_400000_NS6detail17trampoline_kernelINS0_14default_configENS1_20scan_config_selectorIN3c107complexIdEEEEZZNS1_9scan_implILNS1_25lookback_scan_determinismE0ELb0ELb0ES3_PKS7_PS7_S7_ZZZN2at6native31launch_logcumsumexp_cuda_kernelERKNSE_10TensorBaseESI_lENKUlvE_clEvENKUlvE1_clEvEUlS7_S7_E_S7_EEDaPvRmT3_T4_T5_mT6_P12ihipStream_tbENKUlT_T0_E_clISt17integral_constantIbLb0EESZ_EEDaSU_SV_EUlSU_E_NS1_11comp_targetILNS1_3genE10ELNS1_11target_archE1200ELNS1_3gpuE4ELNS1_3repE0EEENS1_30default_config_static_selectorELNS0_4arch9wavefront6targetE1EEEvT1_
		.amdhsa_group_segment_fixed_size 0
		.amdhsa_private_segment_fixed_size 0
		.amdhsa_kernarg_size 128
		.amdhsa_user_sgpr_count 6
		.amdhsa_user_sgpr_private_segment_buffer 1
		.amdhsa_user_sgpr_dispatch_ptr 0
		.amdhsa_user_sgpr_queue_ptr 0
		.amdhsa_user_sgpr_kernarg_segment_ptr 1
		.amdhsa_user_sgpr_dispatch_id 0
		.amdhsa_user_sgpr_flat_scratch_init 0
		.amdhsa_user_sgpr_private_segment_size 0
		.amdhsa_uses_dynamic_stack 0
		.amdhsa_system_sgpr_private_segment_wavefront_offset 0
		.amdhsa_system_sgpr_workgroup_id_x 1
		.amdhsa_system_sgpr_workgroup_id_y 0
		.amdhsa_system_sgpr_workgroup_id_z 0
		.amdhsa_system_sgpr_workgroup_info 0
		.amdhsa_system_vgpr_workitem_id 0
		.amdhsa_next_free_vgpr 1
		.amdhsa_next_free_sgpr 0
		.amdhsa_reserve_vcc 0
		.amdhsa_reserve_flat_scratch 0
		.amdhsa_float_round_mode_32 0
		.amdhsa_float_round_mode_16_64 0
		.amdhsa_float_denorm_mode_32 3
		.amdhsa_float_denorm_mode_16_64 3
		.amdhsa_dx10_clamp 1
		.amdhsa_ieee_mode 1
		.amdhsa_fp16_overflow 0
		.amdhsa_exception_fp_ieee_invalid_op 0
		.amdhsa_exception_fp_denorm_src 0
		.amdhsa_exception_fp_ieee_div_zero 0
		.amdhsa_exception_fp_ieee_overflow 0
		.amdhsa_exception_fp_ieee_underflow 0
		.amdhsa_exception_fp_ieee_inexact 0
		.amdhsa_exception_int_div_zero 0
	.end_amdhsa_kernel
	.section	.text._ZN7rocprim17ROCPRIM_400000_NS6detail17trampoline_kernelINS0_14default_configENS1_20scan_config_selectorIN3c107complexIdEEEEZZNS1_9scan_implILNS1_25lookback_scan_determinismE0ELb0ELb0ES3_PKS7_PS7_S7_ZZZN2at6native31launch_logcumsumexp_cuda_kernelERKNSE_10TensorBaseESI_lENKUlvE_clEvENKUlvE1_clEvEUlS7_S7_E_S7_EEDaPvRmT3_T4_T5_mT6_P12ihipStream_tbENKUlT_T0_E_clISt17integral_constantIbLb0EESZ_EEDaSU_SV_EUlSU_E_NS1_11comp_targetILNS1_3genE10ELNS1_11target_archE1200ELNS1_3gpuE4ELNS1_3repE0EEENS1_30default_config_static_selectorELNS0_4arch9wavefront6targetE1EEEvT1_,"axG",@progbits,_ZN7rocprim17ROCPRIM_400000_NS6detail17trampoline_kernelINS0_14default_configENS1_20scan_config_selectorIN3c107complexIdEEEEZZNS1_9scan_implILNS1_25lookback_scan_determinismE0ELb0ELb0ES3_PKS7_PS7_S7_ZZZN2at6native31launch_logcumsumexp_cuda_kernelERKNSE_10TensorBaseESI_lENKUlvE_clEvENKUlvE1_clEvEUlS7_S7_E_S7_EEDaPvRmT3_T4_T5_mT6_P12ihipStream_tbENKUlT_T0_E_clISt17integral_constantIbLb0EESZ_EEDaSU_SV_EUlSU_E_NS1_11comp_targetILNS1_3genE10ELNS1_11target_archE1200ELNS1_3gpuE4ELNS1_3repE0EEENS1_30default_config_static_selectorELNS0_4arch9wavefront6targetE1EEEvT1_,comdat
.Lfunc_end182:
	.size	_ZN7rocprim17ROCPRIM_400000_NS6detail17trampoline_kernelINS0_14default_configENS1_20scan_config_selectorIN3c107complexIdEEEEZZNS1_9scan_implILNS1_25lookback_scan_determinismE0ELb0ELb0ES3_PKS7_PS7_S7_ZZZN2at6native31launch_logcumsumexp_cuda_kernelERKNSE_10TensorBaseESI_lENKUlvE_clEvENKUlvE1_clEvEUlS7_S7_E_S7_EEDaPvRmT3_T4_T5_mT6_P12ihipStream_tbENKUlT_T0_E_clISt17integral_constantIbLb0EESZ_EEDaSU_SV_EUlSU_E_NS1_11comp_targetILNS1_3genE10ELNS1_11target_archE1200ELNS1_3gpuE4ELNS1_3repE0EEENS1_30default_config_static_selectorELNS0_4arch9wavefront6targetE1EEEvT1_, .Lfunc_end182-_ZN7rocprim17ROCPRIM_400000_NS6detail17trampoline_kernelINS0_14default_configENS1_20scan_config_selectorIN3c107complexIdEEEEZZNS1_9scan_implILNS1_25lookback_scan_determinismE0ELb0ELb0ES3_PKS7_PS7_S7_ZZZN2at6native31launch_logcumsumexp_cuda_kernelERKNSE_10TensorBaseESI_lENKUlvE_clEvENKUlvE1_clEvEUlS7_S7_E_S7_EEDaPvRmT3_T4_T5_mT6_P12ihipStream_tbENKUlT_T0_E_clISt17integral_constantIbLb0EESZ_EEDaSU_SV_EUlSU_E_NS1_11comp_targetILNS1_3genE10ELNS1_11target_archE1200ELNS1_3gpuE4ELNS1_3repE0EEENS1_30default_config_static_selectorELNS0_4arch9wavefront6targetE1EEEvT1_
                                        ; -- End function
	.set _ZN7rocprim17ROCPRIM_400000_NS6detail17trampoline_kernelINS0_14default_configENS1_20scan_config_selectorIN3c107complexIdEEEEZZNS1_9scan_implILNS1_25lookback_scan_determinismE0ELb0ELb0ES3_PKS7_PS7_S7_ZZZN2at6native31launch_logcumsumexp_cuda_kernelERKNSE_10TensorBaseESI_lENKUlvE_clEvENKUlvE1_clEvEUlS7_S7_E_S7_EEDaPvRmT3_T4_T5_mT6_P12ihipStream_tbENKUlT_T0_E_clISt17integral_constantIbLb0EESZ_EEDaSU_SV_EUlSU_E_NS1_11comp_targetILNS1_3genE10ELNS1_11target_archE1200ELNS1_3gpuE4ELNS1_3repE0EEENS1_30default_config_static_selectorELNS0_4arch9wavefront6targetE1EEEvT1_.num_vgpr, 0
	.set _ZN7rocprim17ROCPRIM_400000_NS6detail17trampoline_kernelINS0_14default_configENS1_20scan_config_selectorIN3c107complexIdEEEEZZNS1_9scan_implILNS1_25lookback_scan_determinismE0ELb0ELb0ES3_PKS7_PS7_S7_ZZZN2at6native31launch_logcumsumexp_cuda_kernelERKNSE_10TensorBaseESI_lENKUlvE_clEvENKUlvE1_clEvEUlS7_S7_E_S7_EEDaPvRmT3_T4_T5_mT6_P12ihipStream_tbENKUlT_T0_E_clISt17integral_constantIbLb0EESZ_EEDaSU_SV_EUlSU_E_NS1_11comp_targetILNS1_3genE10ELNS1_11target_archE1200ELNS1_3gpuE4ELNS1_3repE0EEENS1_30default_config_static_selectorELNS0_4arch9wavefront6targetE1EEEvT1_.num_agpr, 0
	.set _ZN7rocprim17ROCPRIM_400000_NS6detail17trampoline_kernelINS0_14default_configENS1_20scan_config_selectorIN3c107complexIdEEEEZZNS1_9scan_implILNS1_25lookback_scan_determinismE0ELb0ELb0ES3_PKS7_PS7_S7_ZZZN2at6native31launch_logcumsumexp_cuda_kernelERKNSE_10TensorBaseESI_lENKUlvE_clEvENKUlvE1_clEvEUlS7_S7_E_S7_EEDaPvRmT3_T4_T5_mT6_P12ihipStream_tbENKUlT_T0_E_clISt17integral_constantIbLb0EESZ_EEDaSU_SV_EUlSU_E_NS1_11comp_targetILNS1_3genE10ELNS1_11target_archE1200ELNS1_3gpuE4ELNS1_3repE0EEENS1_30default_config_static_selectorELNS0_4arch9wavefront6targetE1EEEvT1_.numbered_sgpr, 0
	.set _ZN7rocprim17ROCPRIM_400000_NS6detail17trampoline_kernelINS0_14default_configENS1_20scan_config_selectorIN3c107complexIdEEEEZZNS1_9scan_implILNS1_25lookback_scan_determinismE0ELb0ELb0ES3_PKS7_PS7_S7_ZZZN2at6native31launch_logcumsumexp_cuda_kernelERKNSE_10TensorBaseESI_lENKUlvE_clEvENKUlvE1_clEvEUlS7_S7_E_S7_EEDaPvRmT3_T4_T5_mT6_P12ihipStream_tbENKUlT_T0_E_clISt17integral_constantIbLb0EESZ_EEDaSU_SV_EUlSU_E_NS1_11comp_targetILNS1_3genE10ELNS1_11target_archE1200ELNS1_3gpuE4ELNS1_3repE0EEENS1_30default_config_static_selectorELNS0_4arch9wavefront6targetE1EEEvT1_.num_named_barrier, 0
	.set _ZN7rocprim17ROCPRIM_400000_NS6detail17trampoline_kernelINS0_14default_configENS1_20scan_config_selectorIN3c107complexIdEEEEZZNS1_9scan_implILNS1_25lookback_scan_determinismE0ELb0ELb0ES3_PKS7_PS7_S7_ZZZN2at6native31launch_logcumsumexp_cuda_kernelERKNSE_10TensorBaseESI_lENKUlvE_clEvENKUlvE1_clEvEUlS7_S7_E_S7_EEDaPvRmT3_T4_T5_mT6_P12ihipStream_tbENKUlT_T0_E_clISt17integral_constantIbLb0EESZ_EEDaSU_SV_EUlSU_E_NS1_11comp_targetILNS1_3genE10ELNS1_11target_archE1200ELNS1_3gpuE4ELNS1_3repE0EEENS1_30default_config_static_selectorELNS0_4arch9wavefront6targetE1EEEvT1_.private_seg_size, 0
	.set _ZN7rocprim17ROCPRIM_400000_NS6detail17trampoline_kernelINS0_14default_configENS1_20scan_config_selectorIN3c107complexIdEEEEZZNS1_9scan_implILNS1_25lookback_scan_determinismE0ELb0ELb0ES3_PKS7_PS7_S7_ZZZN2at6native31launch_logcumsumexp_cuda_kernelERKNSE_10TensorBaseESI_lENKUlvE_clEvENKUlvE1_clEvEUlS7_S7_E_S7_EEDaPvRmT3_T4_T5_mT6_P12ihipStream_tbENKUlT_T0_E_clISt17integral_constantIbLb0EESZ_EEDaSU_SV_EUlSU_E_NS1_11comp_targetILNS1_3genE10ELNS1_11target_archE1200ELNS1_3gpuE4ELNS1_3repE0EEENS1_30default_config_static_selectorELNS0_4arch9wavefront6targetE1EEEvT1_.uses_vcc, 0
	.set _ZN7rocprim17ROCPRIM_400000_NS6detail17trampoline_kernelINS0_14default_configENS1_20scan_config_selectorIN3c107complexIdEEEEZZNS1_9scan_implILNS1_25lookback_scan_determinismE0ELb0ELb0ES3_PKS7_PS7_S7_ZZZN2at6native31launch_logcumsumexp_cuda_kernelERKNSE_10TensorBaseESI_lENKUlvE_clEvENKUlvE1_clEvEUlS7_S7_E_S7_EEDaPvRmT3_T4_T5_mT6_P12ihipStream_tbENKUlT_T0_E_clISt17integral_constantIbLb0EESZ_EEDaSU_SV_EUlSU_E_NS1_11comp_targetILNS1_3genE10ELNS1_11target_archE1200ELNS1_3gpuE4ELNS1_3repE0EEENS1_30default_config_static_selectorELNS0_4arch9wavefront6targetE1EEEvT1_.uses_flat_scratch, 0
	.set _ZN7rocprim17ROCPRIM_400000_NS6detail17trampoline_kernelINS0_14default_configENS1_20scan_config_selectorIN3c107complexIdEEEEZZNS1_9scan_implILNS1_25lookback_scan_determinismE0ELb0ELb0ES3_PKS7_PS7_S7_ZZZN2at6native31launch_logcumsumexp_cuda_kernelERKNSE_10TensorBaseESI_lENKUlvE_clEvENKUlvE1_clEvEUlS7_S7_E_S7_EEDaPvRmT3_T4_T5_mT6_P12ihipStream_tbENKUlT_T0_E_clISt17integral_constantIbLb0EESZ_EEDaSU_SV_EUlSU_E_NS1_11comp_targetILNS1_3genE10ELNS1_11target_archE1200ELNS1_3gpuE4ELNS1_3repE0EEENS1_30default_config_static_selectorELNS0_4arch9wavefront6targetE1EEEvT1_.has_dyn_sized_stack, 0
	.set _ZN7rocprim17ROCPRIM_400000_NS6detail17trampoline_kernelINS0_14default_configENS1_20scan_config_selectorIN3c107complexIdEEEEZZNS1_9scan_implILNS1_25lookback_scan_determinismE0ELb0ELb0ES3_PKS7_PS7_S7_ZZZN2at6native31launch_logcumsumexp_cuda_kernelERKNSE_10TensorBaseESI_lENKUlvE_clEvENKUlvE1_clEvEUlS7_S7_E_S7_EEDaPvRmT3_T4_T5_mT6_P12ihipStream_tbENKUlT_T0_E_clISt17integral_constantIbLb0EESZ_EEDaSU_SV_EUlSU_E_NS1_11comp_targetILNS1_3genE10ELNS1_11target_archE1200ELNS1_3gpuE4ELNS1_3repE0EEENS1_30default_config_static_selectorELNS0_4arch9wavefront6targetE1EEEvT1_.has_recursion, 0
	.set _ZN7rocprim17ROCPRIM_400000_NS6detail17trampoline_kernelINS0_14default_configENS1_20scan_config_selectorIN3c107complexIdEEEEZZNS1_9scan_implILNS1_25lookback_scan_determinismE0ELb0ELb0ES3_PKS7_PS7_S7_ZZZN2at6native31launch_logcumsumexp_cuda_kernelERKNSE_10TensorBaseESI_lENKUlvE_clEvENKUlvE1_clEvEUlS7_S7_E_S7_EEDaPvRmT3_T4_T5_mT6_P12ihipStream_tbENKUlT_T0_E_clISt17integral_constantIbLb0EESZ_EEDaSU_SV_EUlSU_E_NS1_11comp_targetILNS1_3genE10ELNS1_11target_archE1200ELNS1_3gpuE4ELNS1_3repE0EEENS1_30default_config_static_selectorELNS0_4arch9wavefront6targetE1EEEvT1_.has_indirect_call, 0
	.section	.AMDGPU.csdata,"",@progbits
; Kernel info:
; codeLenInByte = 0
; TotalNumSgprs: 4
; NumVgprs: 0
; ScratchSize: 0
; MemoryBound: 0
; FloatMode: 240
; IeeeMode: 1
; LDSByteSize: 0 bytes/workgroup (compile time only)
; SGPRBlocks: 0
; VGPRBlocks: 0
; NumSGPRsForWavesPerEU: 4
; NumVGPRsForWavesPerEU: 1
; Occupancy: 10
; WaveLimiterHint : 0
; COMPUTE_PGM_RSRC2:SCRATCH_EN: 0
; COMPUTE_PGM_RSRC2:USER_SGPR: 6
; COMPUTE_PGM_RSRC2:TRAP_HANDLER: 0
; COMPUTE_PGM_RSRC2:TGID_X_EN: 1
; COMPUTE_PGM_RSRC2:TGID_Y_EN: 0
; COMPUTE_PGM_RSRC2:TGID_Z_EN: 0
; COMPUTE_PGM_RSRC2:TIDIG_COMP_CNT: 0
	.section	.text._ZN7rocprim17ROCPRIM_400000_NS6detail17trampoline_kernelINS0_14default_configENS1_20scan_config_selectorIN3c107complexIdEEEEZZNS1_9scan_implILNS1_25lookback_scan_determinismE0ELb0ELb0ES3_PKS7_PS7_S7_ZZZN2at6native31launch_logcumsumexp_cuda_kernelERKNSE_10TensorBaseESI_lENKUlvE_clEvENKUlvE1_clEvEUlS7_S7_E_S7_EEDaPvRmT3_T4_T5_mT6_P12ihipStream_tbENKUlT_T0_E_clISt17integral_constantIbLb0EESZ_EEDaSU_SV_EUlSU_E_NS1_11comp_targetILNS1_3genE9ELNS1_11target_archE1100ELNS1_3gpuE3ELNS1_3repE0EEENS1_30default_config_static_selectorELNS0_4arch9wavefront6targetE1EEEvT1_,"axG",@progbits,_ZN7rocprim17ROCPRIM_400000_NS6detail17trampoline_kernelINS0_14default_configENS1_20scan_config_selectorIN3c107complexIdEEEEZZNS1_9scan_implILNS1_25lookback_scan_determinismE0ELb0ELb0ES3_PKS7_PS7_S7_ZZZN2at6native31launch_logcumsumexp_cuda_kernelERKNSE_10TensorBaseESI_lENKUlvE_clEvENKUlvE1_clEvEUlS7_S7_E_S7_EEDaPvRmT3_T4_T5_mT6_P12ihipStream_tbENKUlT_T0_E_clISt17integral_constantIbLb0EESZ_EEDaSU_SV_EUlSU_E_NS1_11comp_targetILNS1_3genE9ELNS1_11target_archE1100ELNS1_3gpuE3ELNS1_3repE0EEENS1_30default_config_static_selectorELNS0_4arch9wavefront6targetE1EEEvT1_,comdat
	.globl	_ZN7rocprim17ROCPRIM_400000_NS6detail17trampoline_kernelINS0_14default_configENS1_20scan_config_selectorIN3c107complexIdEEEEZZNS1_9scan_implILNS1_25lookback_scan_determinismE0ELb0ELb0ES3_PKS7_PS7_S7_ZZZN2at6native31launch_logcumsumexp_cuda_kernelERKNSE_10TensorBaseESI_lENKUlvE_clEvENKUlvE1_clEvEUlS7_S7_E_S7_EEDaPvRmT3_T4_T5_mT6_P12ihipStream_tbENKUlT_T0_E_clISt17integral_constantIbLb0EESZ_EEDaSU_SV_EUlSU_E_NS1_11comp_targetILNS1_3genE9ELNS1_11target_archE1100ELNS1_3gpuE3ELNS1_3repE0EEENS1_30default_config_static_selectorELNS0_4arch9wavefront6targetE1EEEvT1_ ; -- Begin function _ZN7rocprim17ROCPRIM_400000_NS6detail17trampoline_kernelINS0_14default_configENS1_20scan_config_selectorIN3c107complexIdEEEEZZNS1_9scan_implILNS1_25lookback_scan_determinismE0ELb0ELb0ES3_PKS7_PS7_S7_ZZZN2at6native31launch_logcumsumexp_cuda_kernelERKNSE_10TensorBaseESI_lENKUlvE_clEvENKUlvE1_clEvEUlS7_S7_E_S7_EEDaPvRmT3_T4_T5_mT6_P12ihipStream_tbENKUlT_T0_E_clISt17integral_constantIbLb0EESZ_EEDaSU_SV_EUlSU_E_NS1_11comp_targetILNS1_3genE9ELNS1_11target_archE1100ELNS1_3gpuE3ELNS1_3repE0EEENS1_30default_config_static_selectorELNS0_4arch9wavefront6targetE1EEEvT1_
	.p2align	8
	.type	_ZN7rocprim17ROCPRIM_400000_NS6detail17trampoline_kernelINS0_14default_configENS1_20scan_config_selectorIN3c107complexIdEEEEZZNS1_9scan_implILNS1_25lookback_scan_determinismE0ELb0ELb0ES3_PKS7_PS7_S7_ZZZN2at6native31launch_logcumsumexp_cuda_kernelERKNSE_10TensorBaseESI_lENKUlvE_clEvENKUlvE1_clEvEUlS7_S7_E_S7_EEDaPvRmT3_T4_T5_mT6_P12ihipStream_tbENKUlT_T0_E_clISt17integral_constantIbLb0EESZ_EEDaSU_SV_EUlSU_E_NS1_11comp_targetILNS1_3genE9ELNS1_11target_archE1100ELNS1_3gpuE3ELNS1_3repE0EEENS1_30default_config_static_selectorELNS0_4arch9wavefront6targetE1EEEvT1_,@function
_ZN7rocprim17ROCPRIM_400000_NS6detail17trampoline_kernelINS0_14default_configENS1_20scan_config_selectorIN3c107complexIdEEEEZZNS1_9scan_implILNS1_25lookback_scan_determinismE0ELb0ELb0ES3_PKS7_PS7_S7_ZZZN2at6native31launch_logcumsumexp_cuda_kernelERKNSE_10TensorBaseESI_lENKUlvE_clEvENKUlvE1_clEvEUlS7_S7_E_S7_EEDaPvRmT3_T4_T5_mT6_P12ihipStream_tbENKUlT_T0_E_clISt17integral_constantIbLb0EESZ_EEDaSU_SV_EUlSU_E_NS1_11comp_targetILNS1_3genE9ELNS1_11target_archE1100ELNS1_3gpuE3ELNS1_3repE0EEENS1_30default_config_static_selectorELNS0_4arch9wavefront6targetE1EEEvT1_: ; @_ZN7rocprim17ROCPRIM_400000_NS6detail17trampoline_kernelINS0_14default_configENS1_20scan_config_selectorIN3c107complexIdEEEEZZNS1_9scan_implILNS1_25lookback_scan_determinismE0ELb0ELb0ES3_PKS7_PS7_S7_ZZZN2at6native31launch_logcumsumexp_cuda_kernelERKNSE_10TensorBaseESI_lENKUlvE_clEvENKUlvE1_clEvEUlS7_S7_E_S7_EEDaPvRmT3_T4_T5_mT6_P12ihipStream_tbENKUlT_T0_E_clISt17integral_constantIbLb0EESZ_EEDaSU_SV_EUlSU_E_NS1_11comp_targetILNS1_3genE9ELNS1_11target_archE1100ELNS1_3gpuE3ELNS1_3repE0EEENS1_30default_config_static_selectorELNS0_4arch9wavefront6targetE1EEEvT1_
; %bb.0:
	.section	.rodata,"a",@progbits
	.p2align	6, 0x0
	.amdhsa_kernel _ZN7rocprim17ROCPRIM_400000_NS6detail17trampoline_kernelINS0_14default_configENS1_20scan_config_selectorIN3c107complexIdEEEEZZNS1_9scan_implILNS1_25lookback_scan_determinismE0ELb0ELb0ES3_PKS7_PS7_S7_ZZZN2at6native31launch_logcumsumexp_cuda_kernelERKNSE_10TensorBaseESI_lENKUlvE_clEvENKUlvE1_clEvEUlS7_S7_E_S7_EEDaPvRmT3_T4_T5_mT6_P12ihipStream_tbENKUlT_T0_E_clISt17integral_constantIbLb0EESZ_EEDaSU_SV_EUlSU_E_NS1_11comp_targetILNS1_3genE9ELNS1_11target_archE1100ELNS1_3gpuE3ELNS1_3repE0EEENS1_30default_config_static_selectorELNS0_4arch9wavefront6targetE1EEEvT1_
		.amdhsa_group_segment_fixed_size 0
		.amdhsa_private_segment_fixed_size 0
		.amdhsa_kernarg_size 128
		.amdhsa_user_sgpr_count 6
		.amdhsa_user_sgpr_private_segment_buffer 1
		.amdhsa_user_sgpr_dispatch_ptr 0
		.amdhsa_user_sgpr_queue_ptr 0
		.amdhsa_user_sgpr_kernarg_segment_ptr 1
		.amdhsa_user_sgpr_dispatch_id 0
		.amdhsa_user_sgpr_flat_scratch_init 0
		.amdhsa_user_sgpr_private_segment_size 0
		.amdhsa_uses_dynamic_stack 0
		.amdhsa_system_sgpr_private_segment_wavefront_offset 0
		.amdhsa_system_sgpr_workgroup_id_x 1
		.amdhsa_system_sgpr_workgroup_id_y 0
		.amdhsa_system_sgpr_workgroup_id_z 0
		.amdhsa_system_sgpr_workgroup_info 0
		.amdhsa_system_vgpr_workitem_id 0
		.amdhsa_next_free_vgpr 1
		.amdhsa_next_free_sgpr 0
		.amdhsa_reserve_vcc 0
		.amdhsa_reserve_flat_scratch 0
		.amdhsa_float_round_mode_32 0
		.amdhsa_float_round_mode_16_64 0
		.amdhsa_float_denorm_mode_32 3
		.amdhsa_float_denorm_mode_16_64 3
		.amdhsa_dx10_clamp 1
		.amdhsa_ieee_mode 1
		.amdhsa_fp16_overflow 0
		.amdhsa_exception_fp_ieee_invalid_op 0
		.amdhsa_exception_fp_denorm_src 0
		.amdhsa_exception_fp_ieee_div_zero 0
		.amdhsa_exception_fp_ieee_overflow 0
		.amdhsa_exception_fp_ieee_underflow 0
		.amdhsa_exception_fp_ieee_inexact 0
		.amdhsa_exception_int_div_zero 0
	.end_amdhsa_kernel
	.section	.text._ZN7rocprim17ROCPRIM_400000_NS6detail17trampoline_kernelINS0_14default_configENS1_20scan_config_selectorIN3c107complexIdEEEEZZNS1_9scan_implILNS1_25lookback_scan_determinismE0ELb0ELb0ES3_PKS7_PS7_S7_ZZZN2at6native31launch_logcumsumexp_cuda_kernelERKNSE_10TensorBaseESI_lENKUlvE_clEvENKUlvE1_clEvEUlS7_S7_E_S7_EEDaPvRmT3_T4_T5_mT6_P12ihipStream_tbENKUlT_T0_E_clISt17integral_constantIbLb0EESZ_EEDaSU_SV_EUlSU_E_NS1_11comp_targetILNS1_3genE9ELNS1_11target_archE1100ELNS1_3gpuE3ELNS1_3repE0EEENS1_30default_config_static_selectorELNS0_4arch9wavefront6targetE1EEEvT1_,"axG",@progbits,_ZN7rocprim17ROCPRIM_400000_NS6detail17trampoline_kernelINS0_14default_configENS1_20scan_config_selectorIN3c107complexIdEEEEZZNS1_9scan_implILNS1_25lookback_scan_determinismE0ELb0ELb0ES3_PKS7_PS7_S7_ZZZN2at6native31launch_logcumsumexp_cuda_kernelERKNSE_10TensorBaseESI_lENKUlvE_clEvENKUlvE1_clEvEUlS7_S7_E_S7_EEDaPvRmT3_T4_T5_mT6_P12ihipStream_tbENKUlT_T0_E_clISt17integral_constantIbLb0EESZ_EEDaSU_SV_EUlSU_E_NS1_11comp_targetILNS1_3genE9ELNS1_11target_archE1100ELNS1_3gpuE3ELNS1_3repE0EEENS1_30default_config_static_selectorELNS0_4arch9wavefront6targetE1EEEvT1_,comdat
.Lfunc_end183:
	.size	_ZN7rocprim17ROCPRIM_400000_NS6detail17trampoline_kernelINS0_14default_configENS1_20scan_config_selectorIN3c107complexIdEEEEZZNS1_9scan_implILNS1_25lookback_scan_determinismE0ELb0ELb0ES3_PKS7_PS7_S7_ZZZN2at6native31launch_logcumsumexp_cuda_kernelERKNSE_10TensorBaseESI_lENKUlvE_clEvENKUlvE1_clEvEUlS7_S7_E_S7_EEDaPvRmT3_T4_T5_mT6_P12ihipStream_tbENKUlT_T0_E_clISt17integral_constantIbLb0EESZ_EEDaSU_SV_EUlSU_E_NS1_11comp_targetILNS1_3genE9ELNS1_11target_archE1100ELNS1_3gpuE3ELNS1_3repE0EEENS1_30default_config_static_selectorELNS0_4arch9wavefront6targetE1EEEvT1_, .Lfunc_end183-_ZN7rocprim17ROCPRIM_400000_NS6detail17trampoline_kernelINS0_14default_configENS1_20scan_config_selectorIN3c107complexIdEEEEZZNS1_9scan_implILNS1_25lookback_scan_determinismE0ELb0ELb0ES3_PKS7_PS7_S7_ZZZN2at6native31launch_logcumsumexp_cuda_kernelERKNSE_10TensorBaseESI_lENKUlvE_clEvENKUlvE1_clEvEUlS7_S7_E_S7_EEDaPvRmT3_T4_T5_mT6_P12ihipStream_tbENKUlT_T0_E_clISt17integral_constantIbLb0EESZ_EEDaSU_SV_EUlSU_E_NS1_11comp_targetILNS1_3genE9ELNS1_11target_archE1100ELNS1_3gpuE3ELNS1_3repE0EEENS1_30default_config_static_selectorELNS0_4arch9wavefront6targetE1EEEvT1_
                                        ; -- End function
	.set _ZN7rocprim17ROCPRIM_400000_NS6detail17trampoline_kernelINS0_14default_configENS1_20scan_config_selectorIN3c107complexIdEEEEZZNS1_9scan_implILNS1_25lookback_scan_determinismE0ELb0ELb0ES3_PKS7_PS7_S7_ZZZN2at6native31launch_logcumsumexp_cuda_kernelERKNSE_10TensorBaseESI_lENKUlvE_clEvENKUlvE1_clEvEUlS7_S7_E_S7_EEDaPvRmT3_T4_T5_mT6_P12ihipStream_tbENKUlT_T0_E_clISt17integral_constantIbLb0EESZ_EEDaSU_SV_EUlSU_E_NS1_11comp_targetILNS1_3genE9ELNS1_11target_archE1100ELNS1_3gpuE3ELNS1_3repE0EEENS1_30default_config_static_selectorELNS0_4arch9wavefront6targetE1EEEvT1_.num_vgpr, 0
	.set _ZN7rocprim17ROCPRIM_400000_NS6detail17trampoline_kernelINS0_14default_configENS1_20scan_config_selectorIN3c107complexIdEEEEZZNS1_9scan_implILNS1_25lookback_scan_determinismE0ELb0ELb0ES3_PKS7_PS7_S7_ZZZN2at6native31launch_logcumsumexp_cuda_kernelERKNSE_10TensorBaseESI_lENKUlvE_clEvENKUlvE1_clEvEUlS7_S7_E_S7_EEDaPvRmT3_T4_T5_mT6_P12ihipStream_tbENKUlT_T0_E_clISt17integral_constantIbLb0EESZ_EEDaSU_SV_EUlSU_E_NS1_11comp_targetILNS1_3genE9ELNS1_11target_archE1100ELNS1_3gpuE3ELNS1_3repE0EEENS1_30default_config_static_selectorELNS0_4arch9wavefront6targetE1EEEvT1_.num_agpr, 0
	.set _ZN7rocprim17ROCPRIM_400000_NS6detail17trampoline_kernelINS0_14default_configENS1_20scan_config_selectorIN3c107complexIdEEEEZZNS1_9scan_implILNS1_25lookback_scan_determinismE0ELb0ELb0ES3_PKS7_PS7_S7_ZZZN2at6native31launch_logcumsumexp_cuda_kernelERKNSE_10TensorBaseESI_lENKUlvE_clEvENKUlvE1_clEvEUlS7_S7_E_S7_EEDaPvRmT3_T4_T5_mT6_P12ihipStream_tbENKUlT_T0_E_clISt17integral_constantIbLb0EESZ_EEDaSU_SV_EUlSU_E_NS1_11comp_targetILNS1_3genE9ELNS1_11target_archE1100ELNS1_3gpuE3ELNS1_3repE0EEENS1_30default_config_static_selectorELNS0_4arch9wavefront6targetE1EEEvT1_.numbered_sgpr, 0
	.set _ZN7rocprim17ROCPRIM_400000_NS6detail17trampoline_kernelINS0_14default_configENS1_20scan_config_selectorIN3c107complexIdEEEEZZNS1_9scan_implILNS1_25lookback_scan_determinismE0ELb0ELb0ES3_PKS7_PS7_S7_ZZZN2at6native31launch_logcumsumexp_cuda_kernelERKNSE_10TensorBaseESI_lENKUlvE_clEvENKUlvE1_clEvEUlS7_S7_E_S7_EEDaPvRmT3_T4_T5_mT6_P12ihipStream_tbENKUlT_T0_E_clISt17integral_constantIbLb0EESZ_EEDaSU_SV_EUlSU_E_NS1_11comp_targetILNS1_3genE9ELNS1_11target_archE1100ELNS1_3gpuE3ELNS1_3repE0EEENS1_30default_config_static_selectorELNS0_4arch9wavefront6targetE1EEEvT1_.num_named_barrier, 0
	.set _ZN7rocprim17ROCPRIM_400000_NS6detail17trampoline_kernelINS0_14default_configENS1_20scan_config_selectorIN3c107complexIdEEEEZZNS1_9scan_implILNS1_25lookback_scan_determinismE0ELb0ELb0ES3_PKS7_PS7_S7_ZZZN2at6native31launch_logcumsumexp_cuda_kernelERKNSE_10TensorBaseESI_lENKUlvE_clEvENKUlvE1_clEvEUlS7_S7_E_S7_EEDaPvRmT3_T4_T5_mT6_P12ihipStream_tbENKUlT_T0_E_clISt17integral_constantIbLb0EESZ_EEDaSU_SV_EUlSU_E_NS1_11comp_targetILNS1_3genE9ELNS1_11target_archE1100ELNS1_3gpuE3ELNS1_3repE0EEENS1_30default_config_static_selectorELNS0_4arch9wavefront6targetE1EEEvT1_.private_seg_size, 0
	.set _ZN7rocprim17ROCPRIM_400000_NS6detail17trampoline_kernelINS0_14default_configENS1_20scan_config_selectorIN3c107complexIdEEEEZZNS1_9scan_implILNS1_25lookback_scan_determinismE0ELb0ELb0ES3_PKS7_PS7_S7_ZZZN2at6native31launch_logcumsumexp_cuda_kernelERKNSE_10TensorBaseESI_lENKUlvE_clEvENKUlvE1_clEvEUlS7_S7_E_S7_EEDaPvRmT3_T4_T5_mT6_P12ihipStream_tbENKUlT_T0_E_clISt17integral_constantIbLb0EESZ_EEDaSU_SV_EUlSU_E_NS1_11comp_targetILNS1_3genE9ELNS1_11target_archE1100ELNS1_3gpuE3ELNS1_3repE0EEENS1_30default_config_static_selectorELNS0_4arch9wavefront6targetE1EEEvT1_.uses_vcc, 0
	.set _ZN7rocprim17ROCPRIM_400000_NS6detail17trampoline_kernelINS0_14default_configENS1_20scan_config_selectorIN3c107complexIdEEEEZZNS1_9scan_implILNS1_25lookback_scan_determinismE0ELb0ELb0ES3_PKS7_PS7_S7_ZZZN2at6native31launch_logcumsumexp_cuda_kernelERKNSE_10TensorBaseESI_lENKUlvE_clEvENKUlvE1_clEvEUlS7_S7_E_S7_EEDaPvRmT3_T4_T5_mT6_P12ihipStream_tbENKUlT_T0_E_clISt17integral_constantIbLb0EESZ_EEDaSU_SV_EUlSU_E_NS1_11comp_targetILNS1_3genE9ELNS1_11target_archE1100ELNS1_3gpuE3ELNS1_3repE0EEENS1_30default_config_static_selectorELNS0_4arch9wavefront6targetE1EEEvT1_.uses_flat_scratch, 0
	.set _ZN7rocprim17ROCPRIM_400000_NS6detail17trampoline_kernelINS0_14default_configENS1_20scan_config_selectorIN3c107complexIdEEEEZZNS1_9scan_implILNS1_25lookback_scan_determinismE0ELb0ELb0ES3_PKS7_PS7_S7_ZZZN2at6native31launch_logcumsumexp_cuda_kernelERKNSE_10TensorBaseESI_lENKUlvE_clEvENKUlvE1_clEvEUlS7_S7_E_S7_EEDaPvRmT3_T4_T5_mT6_P12ihipStream_tbENKUlT_T0_E_clISt17integral_constantIbLb0EESZ_EEDaSU_SV_EUlSU_E_NS1_11comp_targetILNS1_3genE9ELNS1_11target_archE1100ELNS1_3gpuE3ELNS1_3repE0EEENS1_30default_config_static_selectorELNS0_4arch9wavefront6targetE1EEEvT1_.has_dyn_sized_stack, 0
	.set _ZN7rocprim17ROCPRIM_400000_NS6detail17trampoline_kernelINS0_14default_configENS1_20scan_config_selectorIN3c107complexIdEEEEZZNS1_9scan_implILNS1_25lookback_scan_determinismE0ELb0ELb0ES3_PKS7_PS7_S7_ZZZN2at6native31launch_logcumsumexp_cuda_kernelERKNSE_10TensorBaseESI_lENKUlvE_clEvENKUlvE1_clEvEUlS7_S7_E_S7_EEDaPvRmT3_T4_T5_mT6_P12ihipStream_tbENKUlT_T0_E_clISt17integral_constantIbLb0EESZ_EEDaSU_SV_EUlSU_E_NS1_11comp_targetILNS1_3genE9ELNS1_11target_archE1100ELNS1_3gpuE3ELNS1_3repE0EEENS1_30default_config_static_selectorELNS0_4arch9wavefront6targetE1EEEvT1_.has_recursion, 0
	.set _ZN7rocprim17ROCPRIM_400000_NS6detail17trampoline_kernelINS0_14default_configENS1_20scan_config_selectorIN3c107complexIdEEEEZZNS1_9scan_implILNS1_25lookback_scan_determinismE0ELb0ELb0ES3_PKS7_PS7_S7_ZZZN2at6native31launch_logcumsumexp_cuda_kernelERKNSE_10TensorBaseESI_lENKUlvE_clEvENKUlvE1_clEvEUlS7_S7_E_S7_EEDaPvRmT3_T4_T5_mT6_P12ihipStream_tbENKUlT_T0_E_clISt17integral_constantIbLb0EESZ_EEDaSU_SV_EUlSU_E_NS1_11comp_targetILNS1_3genE9ELNS1_11target_archE1100ELNS1_3gpuE3ELNS1_3repE0EEENS1_30default_config_static_selectorELNS0_4arch9wavefront6targetE1EEEvT1_.has_indirect_call, 0
	.section	.AMDGPU.csdata,"",@progbits
; Kernel info:
; codeLenInByte = 0
; TotalNumSgprs: 4
; NumVgprs: 0
; ScratchSize: 0
; MemoryBound: 0
; FloatMode: 240
; IeeeMode: 1
; LDSByteSize: 0 bytes/workgroup (compile time only)
; SGPRBlocks: 0
; VGPRBlocks: 0
; NumSGPRsForWavesPerEU: 4
; NumVGPRsForWavesPerEU: 1
; Occupancy: 10
; WaveLimiterHint : 0
; COMPUTE_PGM_RSRC2:SCRATCH_EN: 0
; COMPUTE_PGM_RSRC2:USER_SGPR: 6
; COMPUTE_PGM_RSRC2:TRAP_HANDLER: 0
; COMPUTE_PGM_RSRC2:TGID_X_EN: 1
; COMPUTE_PGM_RSRC2:TGID_Y_EN: 0
; COMPUTE_PGM_RSRC2:TGID_Z_EN: 0
; COMPUTE_PGM_RSRC2:TIDIG_COMP_CNT: 0
	.section	.text._ZN7rocprim17ROCPRIM_400000_NS6detail17trampoline_kernelINS0_14default_configENS1_20scan_config_selectorIN3c107complexIdEEEEZZNS1_9scan_implILNS1_25lookback_scan_determinismE0ELb0ELb0ES3_PKS7_PS7_S7_ZZZN2at6native31launch_logcumsumexp_cuda_kernelERKNSE_10TensorBaseESI_lENKUlvE_clEvENKUlvE1_clEvEUlS7_S7_E_S7_EEDaPvRmT3_T4_T5_mT6_P12ihipStream_tbENKUlT_T0_E_clISt17integral_constantIbLb0EESZ_EEDaSU_SV_EUlSU_E_NS1_11comp_targetILNS1_3genE8ELNS1_11target_archE1030ELNS1_3gpuE2ELNS1_3repE0EEENS1_30default_config_static_selectorELNS0_4arch9wavefront6targetE1EEEvT1_,"axG",@progbits,_ZN7rocprim17ROCPRIM_400000_NS6detail17trampoline_kernelINS0_14default_configENS1_20scan_config_selectorIN3c107complexIdEEEEZZNS1_9scan_implILNS1_25lookback_scan_determinismE0ELb0ELb0ES3_PKS7_PS7_S7_ZZZN2at6native31launch_logcumsumexp_cuda_kernelERKNSE_10TensorBaseESI_lENKUlvE_clEvENKUlvE1_clEvEUlS7_S7_E_S7_EEDaPvRmT3_T4_T5_mT6_P12ihipStream_tbENKUlT_T0_E_clISt17integral_constantIbLb0EESZ_EEDaSU_SV_EUlSU_E_NS1_11comp_targetILNS1_3genE8ELNS1_11target_archE1030ELNS1_3gpuE2ELNS1_3repE0EEENS1_30default_config_static_selectorELNS0_4arch9wavefront6targetE1EEEvT1_,comdat
	.globl	_ZN7rocprim17ROCPRIM_400000_NS6detail17trampoline_kernelINS0_14default_configENS1_20scan_config_selectorIN3c107complexIdEEEEZZNS1_9scan_implILNS1_25lookback_scan_determinismE0ELb0ELb0ES3_PKS7_PS7_S7_ZZZN2at6native31launch_logcumsumexp_cuda_kernelERKNSE_10TensorBaseESI_lENKUlvE_clEvENKUlvE1_clEvEUlS7_S7_E_S7_EEDaPvRmT3_T4_T5_mT6_P12ihipStream_tbENKUlT_T0_E_clISt17integral_constantIbLb0EESZ_EEDaSU_SV_EUlSU_E_NS1_11comp_targetILNS1_3genE8ELNS1_11target_archE1030ELNS1_3gpuE2ELNS1_3repE0EEENS1_30default_config_static_selectorELNS0_4arch9wavefront6targetE1EEEvT1_ ; -- Begin function _ZN7rocprim17ROCPRIM_400000_NS6detail17trampoline_kernelINS0_14default_configENS1_20scan_config_selectorIN3c107complexIdEEEEZZNS1_9scan_implILNS1_25lookback_scan_determinismE0ELb0ELb0ES3_PKS7_PS7_S7_ZZZN2at6native31launch_logcumsumexp_cuda_kernelERKNSE_10TensorBaseESI_lENKUlvE_clEvENKUlvE1_clEvEUlS7_S7_E_S7_EEDaPvRmT3_T4_T5_mT6_P12ihipStream_tbENKUlT_T0_E_clISt17integral_constantIbLb0EESZ_EEDaSU_SV_EUlSU_E_NS1_11comp_targetILNS1_3genE8ELNS1_11target_archE1030ELNS1_3gpuE2ELNS1_3repE0EEENS1_30default_config_static_selectorELNS0_4arch9wavefront6targetE1EEEvT1_
	.p2align	8
	.type	_ZN7rocprim17ROCPRIM_400000_NS6detail17trampoline_kernelINS0_14default_configENS1_20scan_config_selectorIN3c107complexIdEEEEZZNS1_9scan_implILNS1_25lookback_scan_determinismE0ELb0ELb0ES3_PKS7_PS7_S7_ZZZN2at6native31launch_logcumsumexp_cuda_kernelERKNSE_10TensorBaseESI_lENKUlvE_clEvENKUlvE1_clEvEUlS7_S7_E_S7_EEDaPvRmT3_T4_T5_mT6_P12ihipStream_tbENKUlT_T0_E_clISt17integral_constantIbLb0EESZ_EEDaSU_SV_EUlSU_E_NS1_11comp_targetILNS1_3genE8ELNS1_11target_archE1030ELNS1_3gpuE2ELNS1_3repE0EEENS1_30default_config_static_selectorELNS0_4arch9wavefront6targetE1EEEvT1_,@function
_ZN7rocprim17ROCPRIM_400000_NS6detail17trampoline_kernelINS0_14default_configENS1_20scan_config_selectorIN3c107complexIdEEEEZZNS1_9scan_implILNS1_25lookback_scan_determinismE0ELb0ELb0ES3_PKS7_PS7_S7_ZZZN2at6native31launch_logcumsumexp_cuda_kernelERKNSE_10TensorBaseESI_lENKUlvE_clEvENKUlvE1_clEvEUlS7_S7_E_S7_EEDaPvRmT3_T4_T5_mT6_P12ihipStream_tbENKUlT_T0_E_clISt17integral_constantIbLb0EESZ_EEDaSU_SV_EUlSU_E_NS1_11comp_targetILNS1_3genE8ELNS1_11target_archE1030ELNS1_3gpuE2ELNS1_3repE0EEENS1_30default_config_static_selectorELNS0_4arch9wavefront6targetE1EEEvT1_: ; @_ZN7rocprim17ROCPRIM_400000_NS6detail17trampoline_kernelINS0_14default_configENS1_20scan_config_selectorIN3c107complexIdEEEEZZNS1_9scan_implILNS1_25lookback_scan_determinismE0ELb0ELb0ES3_PKS7_PS7_S7_ZZZN2at6native31launch_logcumsumexp_cuda_kernelERKNSE_10TensorBaseESI_lENKUlvE_clEvENKUlvE1_clEvEUlS7_S7_E_S7_EEDaPvRmT3_T4_T5_mT6_P12ihipStream_tbENKUlT_T0_E_clISt17integral_constantIbLb0EESZ_EEDaSU_SV_EUlSU_E_NS1_11comp_targetILNS1_3genE8ELNS1_11target_archE1030ELNS1_3gpuE2ELNS1_3repE0EEENS1_30default_config_static_selectorELNS0_4arch9wavefront6targetE1EEEvT1_
; %bb.0:
	.section	.rodata,"a",@progbits
	.p2align	6, 0x0
	.amdhsa_kernel _ZN7rocprim17ROCPRIM_400000_NS6detail17trampoline_kernelINS0_14default_configENS1_20scan_config_selectorIN3c107complexIdEEEEZZNS1_9scan_implILNS1_25lookback_scan_determinismE0ELb0ELb0ES3_PKS7_PS7_S7_ZZZN2at6native31launch_logcumsumexp_cuda_kernelERKNSE_10TensorBaseESI_lENKUlvE_clEvENKUlvE1_clEvEUlS7_S7_E_S7_EEDaPvRmT3_T4_T5_mT6_P12ihipStream_tbENKUlT_T0_E_clISt17integral_constantIbLb0EESZ_EEDaSU_SV_EUlSU_E_NS1_11comp_targetILNS1_3genE8ELNS1_11target_archE1030ELNS1_3gpuE2ELNS1_3repE0EEENS1_30default_config_static_selectorELNS0_4arch9wavefront6targetE1EEEvT1_
		.amdhsa_group_segment_fixed_size 0
		.amdhsa_private_segment_fixed_size 0
		.amdhsa_kernarg_size 128
		.amdhsa_user_sgpr_count 6
		.amdhsa_user_sgpr_private_segment_buffer 1
		.amdhsa_user_sgpr_dispatch_ptr 0
		.amdhsa_user_sgpr_queue_ptr 0
		.amdhsa_user_sgpr_kernarg_segment_ptr 1
		.amdhsa_user_sgpr_dispatch_id 0
		.amdhsa_user_sgpr_flat_scratch_init 0
		.amdhsa_user_sgpr_private_segment_size 0
		.amdhsa_uses_dynamic_stack 0
		.amdhsa_system_sgpr_private_segment_wavefront_offset 0
		.amdhsa_system_sgpr_workgroup_id_x 1
		.amdhsa_system_sgpr_workgroup_id_y 0
		.amdhsa_system_sgpr_workgroup_id_z 0
		.amdhsa_system_sgpr_workgroup_info 0
		.amdhsa_system_vgpr_workitem_id 0
		.amdhsa_next_free_vgpr 1
		.amdhsa_next_free_sgpr 0
		.amdhsa_reserve_vcc 0
		.amdhsa_reserve_flat_scratch 0
		.amdhsa_float_round_mode_32 0
		.amdhsa_float_round_mode_16_64 0
		.amdhsa_float_denorm_mode_32 3
		.amdhsa_float_denorm_mode_16_64 3
		.amdhsa_dx10_clamp 1
		.amdhsa_ieee_mode 1
		.amdhsa_fp16_overflow 0
		.amdhsa_exception_fp_ieee_invalid_op 0
		.amdhsa_exception_fp_denorm_src 0
		.amdhsa_exception_fp_ieee_div_zero 0
		.amdhsa_exception_fp_ieee_overflow 0
		.amdhsa_exception_fp_ieee_underflow 0
		.amdhsa_exception_fp_ieee_inexact 0
		.amdhsa_exception_int_div_zero 0
	.end_amdhsa_kernel
	.section	.text._ZN7rocprim17ROCPRIM_400000_NS6detail17trampoline_kernelINS0_14default_configENS1_20scan_config_selectorIN3c107complexIdEEEEZZNS1_9scan_implILNS1_25lookback_scan_determinismE0ELb0ELb0ES3_PKS7_PS7_S7_ZZZN2at6native31launch_logcumsumexp_cuda_kernelERKNSE_10TensorBaseESI_lENKUlvE_clEvENKUlvE1_clEvEUlS7_S7_E_S7_EEDaPvRmT3_T4_T5_mT6_P12ihipStream_tbENKUlT_T0_E_clISt17integral_constantIbLb0EESZ_EEDaSU_SV_EUlSU_E_NS1_11comp_targetILNS1_3genE8ELNS1_11target_archE1030ELNS1_3gpuE2ELNS1_3repE0EEENS1_30default_config_static_selectorELNS0_4arch9wavefront6targetE1EEEvT1_,"axG",@progbits,_ZN7rocprim17ROCPRIM_400000_NS6detail17trampoline_kernelINS0_14default_configENS1_20scan_config_selectorIN3c107complexIdEEEEZZNS1_9scan_implILNS1_25lookback_scan_determinismE0ELb0ELb0ES3_PKS7_PS7_S7_ZZZN2at6native31launch_logcumsumexp_cuda_kernelERKNSE_10TensorBaseESI_lENKUlvE_clEvENKUlvE1_clEvEUlS7_S7_E_S7_EEDaPvRmT3_T4_T5_mT6_P12ihipStream_tbENKUlT_T0_E_clISt17integral_constantIbLb0EESZ_EEDaSU_SV_EUlSU_E_NS1_11comp_targetILNS1_3genE8ELNS1_11target_archE1030ELNS1_3gpuE2ELNS1_3repE0EEENS1_30default_config_static_selectorELNS0_4arch9wavefront6targetE1EEEvT1_,comdat
.Lfunc_end184:
	.size	_ZN7rocprim17ROCPRIM_400000_NS6detail17trampoline_kernelINS0_14default_configENS1_20scan_config_selectorIN3c107complexIdEEEEZZNS1_9scan_implILNS1_25lookback_scan_determinismE0ELb0ELb0ES3_PKS7_PS7_S7_ZZZN2at6native31launch_logcumsumexp_cuda_kernelERKNSE_10TensorBaseESI_lENKUlvE_clEvENKUlvE1_clEvEUlS7_S7_E_S7_EEDaPvRmT3_T4_T5_mT6_P12ihipStream_tbENKUlT_T0_E_clISt17integral_constantIbLb0EESZ_EEDaSU_SV_EUlSU_E_NS1_11comp_targetILNS1_3genE8ELNS1_11target_archE1030ELNS1_3gpuE2ELNS1_3repE0EEENS1_30default_config_static_selectorELNS0_4arch9wavefront6targetE1EEEvT1_, .Lfunc_end184-_ZN7rocprim17ROCPRIM_400000_NS6detail17trampoline_kernelINS0_14default_configENS1_20scan_config_selectorIN3c107complexIdEEEEZZNS1_9scan_implILNS1_25lookback_scan_determinismE0ELb0ELb0ES3_PKS7_PS7_S7_ZZZN2at6native31launch_logcumsumexp_cuda_kernelERKNSE_10TensorBaseESI_lENKUlvE_clEvENKUlvE1_clEvEUlS7_S7_E_S7_EEDaPvRmT3_T4_T5_mT6_P12ihipStream_tbENKUlT_T0_E_clISt17integral_constantIbLb0EESZ_EEDaSU_SV_EUlSU_E_NS1_11comp_targetILNS1_3genE8ELNS1_11target_archE1030ELNS1_3gpuE2ELNS1_3repE0EEENS1_30default_config_static_selectorELNS0_4arch9wavefront6targetE1EEEvT1_
                                        ; -- End function
	.set _ZN7rocprim17ROCPRIM_400000_NS6detail17trampoline_kernelINS0_14default_configENS1_20scan_config_selectorIN3c107complexIdEEEEZZNS1_9scan_implILNS1_25lookback_scan_determinismE0ELb0ELb0ES3_PKS7_PS7_S7_ZZZN2at6native31launch_logcumsumexp_cuda_kernelERKNSE_10TensorBaseESI_lENKUlvE_clEvENKUlvE1_clEvEUlS7_S7_E_S7_EEDaPvRmT3_T4_T5_mT6_P12ihipStream_tbENKUlT_T0_E_clISt17integral_constantIbLb0EESZ_EEDaSU_SV_EUlSU_E_NS1_11comp_targetILNS1_3genE8ELNS1_11target_archE1030ELNS1_3gpuE2ELNS1_3repE0EEENS1_30default_config_static_selectorELNS0_4arch9wavefront6targetE1EEEvT1_.num_vgpr, 0
	.set _ZN7rocprim17ROCPRIM_400000_NS6detail17trampoline_kernelINS0_14default_configENS1_20scan_config_selectorIN3c107complexIdEEEEZZNS1_9scan_implILNS1_25lookback_scan_determinismE0ELb0ELb0ES3_PKS7_PS7_S7_ZZZN2at6native31launch_logcumsumexp_cuda_kernelERKNSE_10TensorBaseESI_lENKUlvE_clEvENKUlvE1_clEvEUlS7_S7_E_S7_EEDaPvRmT3_T4_T5_mT6_P12ihipStream_tbENKUlT_T0_E_clISt17integral_constantIbLb0EESZ_EEDaSU_SV_EUlSU_E_NS1_11comp_targetILNS1_3genE8ELNS1_11target_archE1030ELNS1_3gpuE2ELNS1_3repE0EEENS1_30default_config_static_selectorELNS0_4arch9wavefront6targetE1EEEvT1_.num_agpr, 0
	.set _ZN7rocprim17ROCPRIM_400000_NS6detail17trampoline_kernelINS0_14default_configENS1_20scan_config_selectorIN3c107complexIdEEEEZZNS1_9scan_implILNS1_25lookback_scan_determinismE0ELb0ELb0ES3_PKS7_PS7_S7_ZZZN2at6native31launch_logcumsumexp_cuda_kernelERKNSE_10TensorBaseESI_lENKUlvE_clEvENKUlvE1_clEvEUlS7_S7_E_S7_EEDaPvRmT3_T4_T5_mT6_P12ihipStream_tbENKUlT_T0_E_clISt17integral_constantIbLb0EESZ_EEDaSU_SV_EUlSU_E_NS1_11comp_targetILNS1_3genE8ELNS1_11target_archE1030ELNS1_3gpuE2ELNS1_3repE0EEENS1_30default_config_static_selectorELNS0_4arch9wavefront6targetE1EEEvT1_.numbered_sgpr, 0
	.set _ZN7rocprim17ROCPRIM_400000_NS6detail17trampoline_kernelINS0_14default_configENS1_20scan_config_selectorIN3c107complexIdEEEEZZNS1_9scan_implILNS1_25lookback_scan_determinismE0ELb0ELb0ES3_PKS7_PS7_S7_ZZZN2at6native31launch_logcumsumexp_cuda_kernelERKNSE_10TensorBaseESI_lENKUlvE_clEvENKUlvE1_clEvEUlS7_S7_E_S7_EEDaPvRmT3_T4_T5_mT6_P12ihipStream_tbENKUlT_T0_E_clISt17integral_constantIbLb0EESZ_EEDaSU_SV_EUlSU_E_NS1_11comp_targetILNS1_3genE8ELNS1_11target_archE1030ELNS1_3gpuE2ELNS1_3repE0EEENS1_30default_config_static_selectorELNS0_4arch9wavefront6targetE1EEEvT1_.num_named_barrier, 0
	.set _ZN7rocprim17ROCPRIM_400000_NS6detail17trampoline_kernelINS0_14default_configENS1_20scan_config_selectorIN3c107complexIdEEEEZZNS1_9scan_implILNS1_25lookback_scan_determinismE0ELb0ELb0ES3_PKS7_PS7_S7_ZZZN2at6native31launch_logcumsumexp_cuda_kernelERKNSE_10TensorBaseESI_lENKUlvE_clEvENKUlvE1_clEvEUlS7_S7_E_S7_EEDaPvRmT3_T4_T5_mT6_P12ihipStream_tbENKUlT_T0_E_clISt17integral_constantIbLb0EESZ_EEDaSU_SV_EUlSU_E_NS1_11comp_targetILNS1_3genE8ELNS1_11target_archE1030ELNS1_3gpuE2ELNS1_3repE0EEENS1_30default_config_static_selectorELNS0_4arch9wavefront6targetE1EEEvT1_.private_seg_size, 0
	.set _ZN7rocprim17ROCPRIM_400000_NS6detail17trampoline_kernelINS0_14default_configENS1_20scan_config_selectorIN3c107complexIdEEEEZZNS1_9scan_implILNS1_25lookback_scan_determinismE0ELb0ELb0ES3_PKS7_PS7_S7_ZZZN2at6native31launch_logcumsumexp_cuda_kernelERKNSE_10TensorBaseESI_lENKUlvE_clEvENKUlvE1_clEvEUlS7_S7_E_S7_EEDaPvRmT3_T4_T5_mT6_P12ihipStream_tbENKUlT_T0_E_clISt17integral_constantIbLb0EESZ_EEDaSU_SV_EUlSU_E_NS1_11comp_targetILNS1_3genE8ELNS1_11target_archE1030ELNS1_3gpuE2ELNS1_3repE0EEENS1_30default_config_static_selectorELNS0_4arch9wavefront6targetE1EEEvT1_.uses_vcc, 0
	.set _ZN7rocprim17ROCPRIM_400000_NS6detail17trampoline_kernelINS0_14default_configENS1_20scan_config_selectorIN3c107complexIdEEEEZZNS1_9scan_implILNS1_25lookback_scan_determinismE0ELb0ELb0ES3_PKS7_PS7_S7_ZZZN2at6native31launch_logcumsumexp_cuda_kernelERKNSE_10TensorBaseESI_lENKUlvE_clEvENKUlvE1_clEvEUlS7_S7_E_S7_EEDaPvRmT3_T4_T5_mT6_P12ihipStream_tbENKUlT_T0_E_clISt17integral_constantIbLb0EESZ_EEDaSU_SV_EUlSU_E_NS1_11comp_targetILNS1_3genE8ELNS1_11target_archE1030ELNS1_3gpuE2ELNS1_3repE0EEENS1_30default_config_static_selectorELNS0_4arch9wavefront6targetE1EEEvT1_.uses_flat_scratch, 0
	.set _ZN7rocprim17ROCPRIM_400000_NS6detail17trampoline_kernelINS0_14default_configENS1_20scan_config_selectorIN3c107complexIdEEEEZZNS1_9scan_implILNS1_25lookback_scan_determinismE0ELb0ELb0ES3_PKS7_PS7_S7_ZZZN2at6native31launch_logcumsumexp_cuda_kernelERKNSE_10TensorBaseESI_lENKUlvE_clEvENKUlvE1_clEvEUlS7_S7_E_S7_EEDaPvRmT3_T4_T5_mT6_P12ihipStream_tbENKUlT_T0_E_clISt17integral_constantIbLb0EESZ_EEDaSU_SV_EUlSU_E_NS1_11comp_targetILNS1_3genE8ELNS1_11target_archE1030ELNS1_3gpuE2ELNS1_3repE0EEENS1_30default_config_static_selectorELNS0_4arch9wavefront6targetE1EEEvT1_.has_dyn_sized_stack, 0
	.set _ZN7rocprim17ROCPRIM_400000_NS6detail17trampoline_kernelINS0_14default_configENS1_20scan_config_selectorIN3c107complexIdEEEEZZNS1_9scan_implILNS1_25lookback_scan_determinismE0ELb0ELb0ES3_PKS7_PS7_S7_ZZZN2at6native31launch_logcumsumexp_cuda_kernelERKNSE_10TensorBaseESI_lENKUlvE_clEvENKUlvE1_clEvEUlS7_S7_E_S7_EEDaPvRmT3_T4_T5_mT6_P12ihipStream_tbENKUlT_T0_E_clISt17integral_constantIbLb0EESZ_EEDaSU_SV_EUlSU_E_NS1_11comp_targetILNS1_3genE8ELNS1_11target_archE1030ELNS1_3gpuE2ELNS1_3repE0EEENS1_30default_config_static_selectorELNS0_4arch9wavefront6targetE1EEEvT1_.has_recursion, 0
	.set _ZN7rocprim17ROCPRIM_400000_NS6detail17trampoline_kernelINS0_14default_configENS1_20scan_config_selectorIN3c107complexIdEEEEZZNS1_9scan_implILNS1_25lookback_scan_determinismE0ELb0ELb0ES3_PKS7_PS7_S7_ZZZN2at6native31launch_logcumsumexp_cuda_kernelERKNSE_10TensorBaseESI_lENKUlvE_clEvENKUlvE1_clEvEUlS7_S7_E_S7_EEDaPvRmT3_T4_T5_mT6_P12ihipStream_tbENKUlT_T0_E_clISt17integral_constantIbLb0EESZ_EEDaSU_SV_EUlSU_E_NS1_11comp_targetILNS1_3genE8ELNS1_11target_archE1030ELNS1_3gpuE2ELNS1_3repE0EEENS1_30default_config_static_selectorELNS0_4arch9wavefront6targetE1EEEvT1_.has_indirect_call, 0
	.section	.AMDGPU.csdata,"",@progbits
; Kernel info:
; codeLenInByte = 0
; TotalNumSgprs: 4
; NumVgprs: 0
; ScratchSize: 0
; MemoryBound: 0
; FloatMode: 240
; IeeeMode: 1
; LDSByteSize: 0 bytes/workgroup (compile time only)
; SGPRBlocks: 0
; VGPRBlocks: 0
; NumSGPRsForWavesPerEU: 4
; NumVGPRsForWavesPerEU: 1
; Occupancy: 10
; WaveLimiterHint : 0
; COMPUTE_PGM_RSRC2:SCRATCH_EN: 0
; COMPUTE_PGM_RSRC2:USER_SGPR: 6
; COMPUTE_PGM_RSRC2:TRAP_HANDLER: 0
; COMPUTE_PGM_RSRC2:TGID_X_EN: 1
; COMPUTE_PGM_RSRC2:TGID_Y_EN: 0
; COMPUTE_PGM_RSRC2:TGID_Z_EN: 0
; COMPUTE_PGM_RSRC2:TIDIG_COMP_CNT: 0
	.section	.text._ZN7rocprim17ROCPRIM_400000_NS6detail17trampoline_kernelINS0_14default_configENS1_25transform_config_selectorIN3c107complexIdEELb1EEEZNS1_14transform_implILb1ES3_S8_PS7_SA_NS0_8identityIS7_EEEE10hipError_tT2_T3_mT4_P12ihipStream_tbEUlT_E_NS1_11comp_targetILNS1_3genE0ELNS1_11target_archE4294967295ELNS1_3gpuE0ELNS1_3repE0EEENS1_30default_config_static_selectorELNS0_4arch9wavefront6targetE1EEEvT1_,"axG",@progbits,_ZN7rocprim17ROCPRIM_400000_NS6detail17trampoline_kernelINS0_14default_configENS1_25transform_config_selectorIN3c107complexIdEELb1EEEZNS1_14transform_implILb1ES3_S8_PS7_SA_NS0_8identityIS7_EEEE10hipError_tT2_T3_mT4_P12ihipStream_tbEUlT_E_NS1_11comp_targetILNS1_3genE0ELNS1_11target_archE4294967295ELNS1_3gpuE0ELNS1_3repE0EEENS1_30default_config_static_selectorELNS0_4arch9wavefront6targetE1EEEvT1_,comdat
	.protected	_ZN7rocprim17ROCPRIM_400000_NS6detail17trampoline_kernelINS0_14default_configENS1_25transform_config_selectorIN3c107complexIdEELb1EEEZNS1_14transform_implILb1ES3_S8_PS7_SA_NS0_8identityIS7_EEEE10hipError_tT2_T3_mT4_P12ihipStream_tbEUlT_E_NS1_11comp_targetILNS1_3genE0ELNS1_11target_archE4294967295ELNS1_3gpuE0ELNS1_3repE0EEENS1_30default_config_static_selectorELNS0_4arch9wavefront6targetE1EEEvT1_ ; -- Begin function _ZN7rocprim17ROCPRIM_400000_NS6detail17trampoline_kernelINS0_14default_configENS1_25transform_config_selectorIN3c107complexIdEELb1EEEZNS1_14transform_implILb1ES3_S8_PS7_SA_NS0_8identityIS7_EEEE10hipError_tT2_T3_mT4_P12ihipStream_tbEUlT_E_NS1_11comp_targetILNS1_3genE0ELNS1_11target_archE4294967295ELNS1_3gpuE0ELNS1_3repE0EEENS1_30default_config_static_selectorELNS0_4arch9wavefront6targetE1EEEvT1_
	.globl	_ZN7rocprim17ROCPRIM_400000_NS6detail17trampoline_kernelINS0_14default_configENS1_25transform_config_selectorIN3c107complexIdEELb1EEEZNS1_14transform_implILb1ES3_S8_PS7_SA_NS0_8identityIS7_EEEE10hipError_tT2_T3_mT4_P12ihipStream_tbEUlT_E_NS1_11comp_targetILNS1_3genE0ELNS1_11target_archE4294967295ELNS1_3gpuE0ELNS1_3repE0EEENS1_30default_config_static_selectorELNS0_4arch9wavefront6targetE1EEEvT1_
	.p2align	8
	.type	_ZN7rocprim17ROCPRIM_400000_NS6detail17trampoline_kernelINS0_14default_configENS1_25transform_config_selectorIN3c107complexIdEELb1EEEZNS1_14transform_implILb1ES3_S8_PS7_SA_NS0_8identityIS7_EEEE10hipError_tT2_T3_mT4_P12ihipStream_tbEUlT_E_NS1_11comp_targetILNS1_3genE0ELNS1_11target_archE4294967295ELNS1_3gpuE0ELNS1_3repE0EEENS1_30default_config_static_selectorELNS0_4arch9wavefront6targetE1EEEvT1_,@function
_ZN7rocprim17ROCPRIM_400000_NS6detail17trampoline_kernelINS0_14default_configENS1_25transform_config_selectorIN3c107complexIdEELb1EEEZNS1_14transform_implILb1ES3_S8_PS7_SA_NS0_8identityIS7_EEEE10hipError_tT2_T3_mT4_P12ihipStream_tbEUlT_E_NS1_11comp_targetILNS1_3genE0ELNS1_11target_archE4294967295ELNS1_3gpuE0ELNS1_3repE0EEENS1_30default_config_static_selectorELNS0_4arch9wavefront6targetE1EEEvT1_: ; @_ZN7rocprim17ROCPRIM_400000_NS6detail17trampoline_kernelINS0_14default_configENS1_25transform_config_selectorIN3c107complexIdEELb1EEEZNS1_14transform_implILb1ES3_S8_PS7_SA_NS0_8identityIS7_EEEE10hipError_tT2_T3_mT4_P12ihipStream_tbEUlT_E_NS1_11comp_targetILNS1_3genE0ELNS1_11target_archE4294967295ELNS1_3gpuE0ELNS1_3repE0EEENS1_30default_config_static_selectorELNS0_4arch9wavefront6targetE1EEEvT1_
; %bb.0:
	.section	.rodata,"a",@progbits
	.p2align	6, 0x0
	.amdhsa_kernel _ZN7rocprim17ROCPRIM_400000_NS6detail17trampoline_kernelINS0_14default_configENS1_25transform_config_selectorIN3c107complexIdEELb1EEEZNS1_14transform_implILb1ES3_S8_PS7_SA_NS0_8identityIS7_EEEE10hipError_tT2_T3_mT4_P12ihipStream_tbEUlT_E_NS1_11comp_targetILNS1_3genE0ELNS1_11target_archE4294967295ELNS1_3gpuE0ELNS1_3repE0EEENS1_30default_config_static_selectorELNS0_4arch9wavefront6targetE1EEEvT1_
		.amdhsa_group_segment_fixed_size 0
		.amdhsa_private_segment_fixed_size 0
		.amdhsa_kernarg_size 40
		.amdhsa_user_sgpr_count 6
		.amdhsa_user_sgpr_private_segment_buffer 1
		.amdhsa_user_sgpr_dispatch_ptr 0
		.amdhsa_user_sgpr_queue_ptr 0
		.amdhsa_user_sgpr_kernarg_segment_ptr 1
		.amdhsa_user_sgpr_dispatch_id 0
		.amdhsa_user_sgpr_flat_scratch_init 0
		.amdhsa_user_sgpr_private_segment_size 0
		.amdhsa_uses_dynamic_stack 0
		.amdhsa_system_sgpr_private_segment_wavefront_offset 0
		.amdhsa_system_sgpr_workgroup_id_x 1
		.amdhsa_system_sgpr_workgroup_id_y 0
		.amdhsa_system_sgpr_workgroup_id_z 0
		.amdhsa_system_sgpr_workgroup_info 0
		.amdhsa_system_vgpr_workitem_id 0
		.amdhsa_next_free_vgpr 1
		.amdhsa_next_free_sgpr 0
		.amdhsa_reserve_vcc 0
		.amdhsa_reserve_flat_scratch 0
		.amdhsa_float_round_mode_32 0
		.amdhsa_float_round_mode_16_64 0
		.amdhsa_float_denorm_mode_32 3
		.amdhsa_float_denorm_mode_16_64 3
		.amdhsa_dx10_clamp 1
		.amdhsa_ieee_mode 1
		.amdhsa_fp16_overflow 0
		.amdhsa_exception_fp_ieee_invalid_op 0
		.amdhsa_exception_fp_denorm_src 0
		.amdhsa_exception_fp_ieee_div_zero 0
		.amdhsa_exception_fp_ieee_overflow 0
		.amdhsa_exception_fp_ieee_underflow 0
		.amdhsa_exception_fp_ieee_inexact 0
		.amdhsa_exception_int_div_zero 0
	.end_amdhsa_kernel
	.section	.text._ZN7rocprim17ROCPRIM_400000_NS6detail17trampoline_kernelINS0_14default_configENS1_25transform_config_selectorIN3c107complexIdEELb1EEEZNS1_14transform_implILb1ES3_S8_PS7_SA_NS0_8identityIS7_EEEE10hipError_tT2_T3_mT4_P12ihipStream_tbEUlT_E_NS1_11comp_targetILNS1_3genE0ELNS1_11target_archE4294967295ELNS1_3gpuE0ELNS1_3repE0EEENS1_30default_config_static_selectorELNS0_4arch9wavefront6targetE1EEEvT1_,"axG",@progbits,_ZN7rocprim17ROCPRIM_400000_NS6detail17trampoline_kernelINS0_14default_configENS1_25transform_config_selectorIN3c107complexIdEELb1EEEZNS1_14transform_implILb1ES3_S8_PS7_SA_NS0_8identityIS7_EEEE10hipError_tT2_T3_mT4_P12ihipStream_tbEUlT_E_NS1_11comp_targetILNS1_3genE0ELNS1_11target_archE4294967295ELNS1_3gpuE0ELNS1_3repE0EEENS1_30default_config_static_selectorELNS0_4arch9wavefront6targetE1EEEvT1_,comdat
.Lfunc_end185:
	.size	_ZN7rocprim17ROCPRIM_400000_NS6detail17trampoline_kernelINS0_14default_configENS1_25transform_config_selectorIN3c107complexIdEELb1EEEZNS1_14transform_implILb1ES3_S8_PS7_SA_NS0_8identityIS7_EEEE10hipError_tT2_T3_mT4_P12ihipStream_tbEUlT_E_NS1_11comp_targetILNS1_3genE0ELNS1_11target_archE4294967295ELNS1_3gpuE0ELNS1_3repE0EEENS1_30default_config_static_selectorELNS0_4arch9wavefront6targetE1EEEvT1_, .Lfunc_end185-_ZN7rocprim17ROCPRIM_400000_NS6detail17trampoline_kernelINS0_14default_configENS1_25transform_config_selectorIN3c107complexIdEELb1EEEZNS1_14transform_implILb1ES3_S8_PS7_SA_NS0_8identityIS7_EEEE10hipError_tT2_T3_mT4_P12ihipStream_tbEUlT_E_NS1_11comp_targetILNS1_3genE0ELNS1_11target_archE4294967295ELNS1_3gpuE0ELNS1_3repE0EEENS1_30default_config_static_selectorELNS0_4arch9wavefront6targetE1EEEvT1_
                                        ; -- End function
	.set _ZN7rocprim17ROCPRIM_400000_NS6detail17trampoline_kernelINS0_14default_configENS1_25transform_config_selectorIN3c107complexIdEELb1EEEZNS1_14transform_implILb1ES3_S8_PS7_SA_NS0_8identityIS7_EEEE10hipError_tT2_T3_mT4_P12ihipStream_tbEUlT_E_NS1_11comp_targetILNS1_3genE0ELNS1_11target_archE4294967295ELNS1_3gpuE0ELNS1_3repE0EEENS1_30default_config_static_selectorELNS0_4arch9wavefront6targetE1EEEvT1_.num_vgpr, 0
	.set _ZN7rocprim17ROCPRIM_400000_NS6detail17trampoline_kernelINS0_14default_configENS1_25transform_config_selectorIN3c107complexIdEELb1EEEZNS1_14transform_implILb1ES3_S8_PS7_SA_NS0_8identityIS7_EEEE10hipError_tT2_T3_mT4_P12ihipStream_tbEUlT_E_NS1_11comp_targetILNS1_3genE0ELNS1_11target_archE4294967295ELNS1_3gpuE0ELNS1_3repE0EEENS1_30default_config_static_selectorELNS0_4arch9wavefront6targetE1EEEvT1_.num_agpr, 0
	.set _ZN7rocprim17ROCPRIM_400000_NS6detail17trampoline_kernelINS0_14default_configENS1_25transform_config_selectorIN3c107complexIdEELb1EEEZNS1_14transform_implILb1ES3_S8_PS7_SA_NS0_8identityIS7_EEEE10hipError_tT2_T3_mT4_P12ihipStream_tbEUlT_E_NS1_11comp_targetILNS1_3genE0ELNS1_11target_archE4294967295ELNS1_3gpuE0ELNS1_3repE0EEENS1_30default_config_static_selectorELNS0_4arch9wavefront6targetE1EEEvT1_.numbered_sgpr, 0
	.set _ZN7rocprim17ROCPRIM_400000_NS6detail17trampoline_kernelINS0_14default_configENS1_25transform_config_selectorIN3c107complexIdEELb1EEEZNS1_14transform_implILb1ES3_S8_PS7_SA_NS0_8identityIS7_EEEE10hipError_tT2_T3_mT4_P12ihipStream_tbEUlT_E_NS1_11comp_targetILNS1_3genE0ELNS1_11target_archE4294967295ELNS1_3gpuE0ELNS1_3repE0EEENS1_30default_config_static_selectorELNS0_4arch9wavefront6targetE1EEEvT1_.num_named_barrier, 0
	.set _ZN7rocprim17ROCPRIM_400000_NS6detail17trampoline_kernelINS0_14default_configENS1_25transform_config_selectorIN3c107complexIdEELb1EEEZNS1_14transform_implILb1ES3_S8_PS7_SA_NS0_8identityIS7_EEEE10hipError_tT2_T3_mT4_P12ihipStream_tbEUlT_E_NS1_11comp_targetILNS1_3genE0ELNS1_11target_archE4294967295ELNS1_3gpuE0ELNS1_3repE0EEENS1_30default_config_static_selectorELNS0_4arch9wavefront6targetE1EEEvT1_.private_seg_size, 0
	.set _ZN7rocprim17ROCPRIM_400000_NS6detail17trampoline_kernelINS0_14default_configENS1_25transform_config_selectorIN3c107complexIdEELb1EEEZNS1_14transform_implILb1ES3_S8_PS7_SA_NS0_8identityIS7_EEEE10hipError_tT2_T3_mT4_P12ihipStream_tbEUlT_E_NS1_11comp_targetILNS1_3genE0ELNS1_11target_archE4294967295ELNS1_3gpuE0ELNS1_3repE0EEENS1_30default_config_static_selectorELNS0_4arch9wavefront6targetE1EEEvT1_.uses_vcc, 0
	.set _ZN7rocprim17ROCPRIM_400000_NS6detail17trampoline_kernelINS0_14default_configENS1_25transform_config_selectorIN3c107complexIdEELb1EEEZNS1_14transform_implILb1ES3_S8_PS7_SA_NS0_8identityIS7_EEEE10hipError_tT2_T3_mT4_P12ihipStream_tbEUlT_E_NS1_11comp_targetILNS1_3genE0ELNS1_11target_archE4294967295ELNS1_3gpuE0ELNS1_3repE0EEENS1_30default_config_static_selectorELNS0_4arch9wavefront6targetE1EEEvT1_.uses_flat_scratch, 0
	.set _ZN7rocprim17ROCPRIM_400000_NS6detail17trampoline_kernelINS0_14default_configENS1_25transform_config_selectorIN3c107complexIdEELb1EEEZNS1_14transform_implILb1ES3_S8_PS7_SA_NS0_8identityIS7_EEEE10hipError_tT2_T3_mT4_P12ihipStream_tbEUlT_E_NS1_11comp_targetILNS1_3genE0ELNS1_11target_archE4294967295ELNS1_3gpuE0ELNS1_3repE0EEENS1_30default_config_static_selectorELNS0_4arch9wavefront6targetE1EEEvT1_.has_dyn_sized_stack, 0
	.set _ZN7rocprim17ROCPRIM_400000_NS6detail17trampoline_kernelINS0_14default_configENS1_25transform_config_selectorIN3c107complexIdEELb1EEEZNS1_14transform_implILb1ES3_S8_PS7_SA_NS0_8identityIS7_EEEE10hipError_tT2_T3_mT4_P12ihipStream_tbEUlT_E_NS1_11comp_targetILNS1_3genE0ELNS1_11target_archE4294967295ELNS1_3gpuE0ELNS1_3repE0EEENS1_30default_config_static_selectorELNS0_4arch9wavefront6targetE1EEEvT1_.has_recursion, 0
	.set _ZN7rocprim17ROCPRIM_400000_NS6detail17trampoline_kernelINS0_14default_configENS1_25transform_config_selectorIN3c107complexIdEELb1EEEZNS1_14transform_implILb1ES3_S8_PS7_SA_NS0_8identityIS7_EEEE10hipError_tT2_T3_mT4_P12ihipStream_tbEUlT_E_NS1_11comp_targetILNS1_3genE0ELNS1_11target_archE4294967295ELNS1_3gpuE0ELNS1_3repE0EEENS1_30default_config_static_selectorELNS0_4arch9wavefront6targetE1EEEvT1_.has_indirect_call, 0
	.section	.AMDGPU.csdata,"",@progbits
; Kernel info:
; codeLenInByte = 0
; TotalNumSgprs: 4
; NumVgprs: 0
; ScratchSize: 0
; MemoryBound: 0
; FloatMode: 240
; IeeeMode: 1
; LDSByteSize: 0 bytes/workgroup (compile time only)
; SGPRBlocks: 0
; VGPRBlocks: 0
; NumSGPRsForWavesPerEU: 4
; NumVGPRsForWavesPerEU: 1
; Occupancy: 10
; WaveLimiterHint : 0
; COMPUTE_PGM_RSRC2:SCRATCH_EN: 0
; COMPUTE_PGM_RSRC2:USER_SGPR: 6
; COMPUTE_PGM_RSRC2:TRAP_HANDLER: 0
; COMPUTE_PGM_RSRC2:TGID_X_EN: 1
; COMPUTE_PGM_RSRC2:TGID_Y_EN: 0
; COMPUTE_PGM_RSRC2:TGID_Z_EN: 0
; COMPUTE_PGM_RSRC2:TIDIG_COMP_CNT: 0
	.section	.text._ZN7rocprim17ROCPRIM_400000_NS6detail17trampoline_kernelINS0_14default_configENS1_25transform_config_selectorIN3c107complexIdEELb1EEEZNS1_14transform_implILb1ES3_S8_PS7_SA_NS0_8identityIS7_EEEE10hipError_tT2_T3_mT4_P12ihipStream_tbEUlT_E_NS1_11comp_targetILNS1_3genE10ELNS1_11target_archE1201ELNS1_3gpuE5ELNS1_3repE0EEENS1_30default_config_static_selectorELNS0_4arch9wavefront6targetE1EEEvT1_,"axG",@progbits,_ZN7rocprim17ROCPRIM_400000_NS6detail17trampoline_kernelINS0_14default_configENS1_25transform_config_selectorIN3c107complexIdEELb1EEEZNS1_14transform_implILb1ES3_S8_PS7_SA_NS0_8identityIS7_EEEE10hipError_tT2_T3_mT4_P12ihipStream_tbEUlT_E_NS1_11comp_targetILNS1_3genE10ELNS1_11target_archE1201ELNS1_3gpuE5ELNS1_3repE0EEENS1_30default_config_static_selectorELNS0_4arch9wavefront6targetE1EEEvT1_,comdat
	.protected	_ZN7rocprim17ROCPRIM_400000_NS6detail17trampoline_kernelINS0_14default_configENS1_25transform_config_selectorIN3c107complexIdEELb1EEEZNS1_14transform_implILb1ES3_S8_PS7_SA_NS0_8identityIS7_EEEE10hipError_tT2_T3_mT4_P12ihipStream_tbEUlT_E_NS1_11comp_targetILNS1_3genE10ELNS1_11target_archE1201ELNS1_3gpuE5ELNS1_3repE0EEENS1_30default_config_static_selectorELNS0_4arch9wavefront6targetE1EEEvT1_ ; -- Begin function _ZN7rocprim17ROCPRIM_400000_NS6detail17trampoline_kernelINS0_14default_configENS1_25transform_config_selectorIN3c107complexIdEELb1EEEZNS1_14transform_implILb1ES3_S8_PS7_SA_NS0_8identityIS7_EEEE10hipError_tT2_T3_mT4_P12ihipStream_tbEUlT_E_NS1_11comp_targetILNS1_3genE10ELNS1_11target_archE1201ELNS1_3gpuE5ELNS1_3repE0EEENS1_30default_config_static_selectorELNS0_4arch9wavefront6targetE1EEEvT1_
	.globl	_ZN7rocprim17ROCPRIM_400000_NS6detail17trampoline_kernelINS0_14default_configENS1_25transform_config_selectorIN3c107complexIdEELb1EEEZNS1_14transform_implILb1ES3_S8_PS7_SA_NS0_8identityIS7_EEEE10hipError_tT2_T3_mT4_P12ihipStream_tbEUlT_E_NS1_11comp_targetILNS1_3genE10ELNS1_11target_archE1201ELNS1_3gpuE5ELNS1_3repE0EEENS1_30default_config_static_selectorELNS0_4arch9wavefront6targetE1EEEvT1_
	.p2align	8
	.type	_ZN7rocprim17ROCPRIM_400000_NS6detail17trampoline_kernelINS0_14default_configENS1_25transform_config_selectorIN3c107complexIdEELb1EEEZNS1_14transform_implILb1ES3_S8_PS7_SA_NS0_8identityIS7_EEEE10hipError_tT2_T3_mT4_P12ihipStream_tbEUlT_E_NS1_11comp_targetILNS1_3genE10ELNS1_11target_archE1201ELNS1_3gpuE5ELNS1_3repE0EEENS1_30default_config_static_selectorELNS0_4arch9wavefront6targetE1EEEvT1_,@function
_ZN7rocprim17ROCPRIM_400000_NS6detail17trampoline_kernelINS0_14default_configENS1_25transform_config_selectorIN3c107complexIdEELb1EEEZNS1_14transform_implILb1ES3_S8_PS7_SA_NS0_8identityIS7_EEEE10hipError_tT2_T3_mT4_P12ihipStream_tbEUlT_E_NS1_11comp_targetILNS1_3genE10ELNS1_11target_archE1201ELNS1_3gpuE5ELNS1_3repE0EEENS1_30default_config_static_selectorELNS0_4arch9wavefront6targetE1EEEvT1_: ; @_ZN7rocprim17ROCPRIM_400000_NS6detail17trampoline_kernelINS0_14default_configENS1_25transform_config_selectorIN3c107complexIdEELb1EEEZNS1_14transform_implILb1ES3_S8_PS7_SA_NS0_8identityIS7_EEEE10hipError_tT2_T3_mT4_P12ihipStream_tbEUlT_E_NS1_11comp_targetILNS1_3genE10ELNS1_11target_archE1201ELNS1_3gpuE5ELNS1_3repE0EEENS1_30default_config_static_selectorELNS0_4arch9wavefront6targetE1EEEvT1_
; %bb.0:
	.section	.rodata,"a",@progbits
	.p2align	6, 0x0
	.amdhsa_kernel _ZN7rocprim17ROCPRIM_400000_NS6detail17trampoline_kernelINS0_14default_configENS1_25transform_config_selectorIN3c107complexIdEELb1EEEZNS1_14transform_implILb1ES3_S8_PS7_SA_NS0_8identityIS7_EEEE10hipError_tT2_T3_mT4_P12ihipStream_tbEUlT_E_NS1_11comp_targetILNS1_3genE10ELNS1_11target_archE1201ELNS1_3gpuE5ELNS1_3repE0EEENS1_30default_config_static_selectorELNS0_4arch9wavefront6targetE1EEEvT1_
		.amdhsa_group_segment_fixed_size 0
		.amdhsa_private_segment_fixed_size 0
		.amdhsa_kernarg_size 40
		.amdhsa_user_sgpr_count 6
		.amdhsa_user_sgpr_private_segment_buffer 1
		.amdhsa_user_sgpr_dispatch_ptr 0
		.amdhsa_user_sgpr_queue_ptr 0
		.amdhsa_user_sgpr_kernarg_segment_ptr 1
		.amdhsa_user_sgpr_dispatch_id 0
		.amdhsa_user_sgpr_flat_scratch_init 0
		.amdhsa_user_sgpr_private_segment_size 0
		.amdhsa_uses_dynamic_stack 0
		.amdhsa_system_sgpr_private_segment_wavefront_offset 0
		.amdhsa_system_sgpr_workgroup_id_x 1
		.amdhsa_system_sgpr_workgroup_id_y 0
		.amdhsa_system_sgpr_workgroup_id_z 0
		.amdhsa_system_sgpr_workgroup_info 0
		.amdhsa_system_vgpr_workitem_id 0
		.amdhsa_next_free_vgpr 1
		.amdhsa_next_free_sgpr 0
		.amdhsa_reserve_vcc 0
		.amdhsa_reserve_flat_scratch 0
		.amdhsa_float_round_mode_32 0
		.amdhsa_float_round_mode_16_64 0
		.amdhsa_float_denorm_mode_32 3
		.amdhsa_float_denorm_mode_16_64 3
		.amdhsa_dx10_clamp 1
		.amdhsa_ieee_mode 1
		.amdhsa_fp16_overflow 0
		.amdhsa_exception_fp_ieee_invalid_op 0
		.amdhsa_exception_fp_denorm_src 0
		.amdhsa_exception_fp_ieee_div_zero 0
		.amdhsa_exception_fp_ieee_overflow 0
		.amdhsa_exception_fp_ieee_underflow 0
		.amdhsa_exception_fp_ieee_inexact 0
		.amdhsa_exception_int_div_zero 0
	.end_amdhsa_kernel
	.section	.text._ZN7rocprim17ROCPRIM_400000_NS6detail17trampoline_kernelINS0_14default_configENS1_25transform_config_selectorIN3c107complexIdEELb1EEEZNS1_14transform_implILb1ES3_S8_PS7_SA_NS0_8identityIS7_EEEE10hipError_tT2_T3_mT4_P12ihipStream_tbEUlT_E_NS1_11comp_targetILNS1_3genE10ELNS1_11target_archE1201ELNS1_3gpuE5ELNS1_3repE0EEENS1_30default_config_static_selectorELNS0_4arch9wavefront6targetE1EEEvT1_,"axG",@progbits,_ZN7rocprim17ROCPRIM_400000_NS6detail17trampoline_kernelINS0_14default_configENS1_25transform_config_selectorIN3c107complexIdEELb1EEEZNS1_14transform_implILb1ES3_S8_PS7_SA_NS0_8identityIS7_EEEE10hipError_tT2_T3_mT4_P12ihipStream_tbEUlT_E_NS1_11comp_targetILNS1_3genE10ELNS1_11target_archE1201ELNS1_3gpuE5ELNS1_3repE0EEENS1_30default_config_static_selectorELNS0_4arch9wavefront6targetE1EEEvT1_,comdat
.Lfunc_end186:
	.size	_ZN7rocprim17ROCPRIM_400000_NS6detail17trampoline_kernelINS0_14default_configENS1_25transform_config_selectorIN3c107complexIdEELb1EEEZNS1_14transform_implILb1ES3_S8_PS7_SA_NS0_8identityIS7_EEEE10hipError_tT2_T3_mT4_P12ihipStream_tbEUlT_E_NS1_11comp_targetILNS1_3genE10ELNS1_11target_archE1201ELNS1_3gpuE5ELNS1_3repE0EEENS1_30default_config_static_selectorELNS0_4arch9wavefront6targetE1EEEvT1_, .Lfunc_end186-_ZN7rocprim17ROCPRIM_400000_NS6detail17trampoline_kernelINS0_14default_configENS1_25transform_config_selectorIN3c107complexIdEELb1EEEZNS1_14transform_implILb1ES3_S8_PS7_SA_NS0_8identityIS7_EEEE10hipError_tT2_T3_mT4_P12ihipStream_tbEUlT_E_NS1_11comp_targetILNS1_3genE10ELNS1_11target_archE1201ELNS1_3gpuE5ELNS1_3repE0EEENS1_30default_config_static_selectorELNS0_4arch9wavefront6targetE1EEEvT1_
                                        ; -- End function
	.set _ZN7rocprim17ROCPRIM_400000_NS6detail17trampoline_kernelINS0_14default_configENS1_25transform_config_selectorIN3c107complexIdEELb1EEEZNS1_14transform_implILb1ES3_S8_PS7_SA_NS0_8identityIS7_EEEE10hipError_tT2_T3_mT4_P12ihipStream_tbEUlT_E_NS1_11comp_targetILNS1_3genE10ELNS1_11target_archE1201ELNS1_3gpuE5ELNS1_3repE0EEENS1_30default_config_static_selectorELNS0_4arch9wavefront6targetE1EEEvT1_.num_vgpr, 0
	.set _ZN7rocprim17ROCPRIM_400000_NS6detail17trampoline_kernelINS0_14default_configENS1_25transform_config_selectorIN3c107complexIdEELb1EEEZNS1_14transform_implILb1ES3_S8_PS7_SA_NS0_8identityIS7_EEEE10hipError_tT2_T3_mT4_P12ihipStream_tbEUlT_E_NS1_11comp_targetILNS1_3genE10ELNS1_11target_archE1201ELNS1_3gpuE5ELNS1_3repE0EEENS1_30default_config_static_selectorELNS0_4arch9wavefront6targetE1EEEvT1_.num_agpr, 0
	.set _ZN7rocprim17ROCPRIM_400000_NS6detail17trampoline_kernelINS0_14default_configENS1_25transform_config_selectorIN3c107complexIdEELb1EEEZNS1_14transform_implILb1ES3_S8_PS7_SA_NS0_8identityIS7_EEEE10hipError_tT2_T3_mT4_P12ihipStream_tbEUlT_E_NS1_11comp_targetILNS1_3genE10ELNS1_11target_archE1201ELNS1_3gpuE5ELNS1_3repE0EEENS1_30default_config_static_selectorELNS0_4arch9wavefront6targetE1EEEvT1_.numbered_sgpr, 0
	.set _ZN7rocprim17ROCPRIM_400000_NS6detail17trampoline_kernelINS0_14default_configENS1_25transform_config_selectorIN3c107complexIdEELb1EEEZNS1_14transform_implILb1ES3_S8_PS7_SA_NS0_8identityIS7_EEEE10hipError_tT2_T3_mT4_P12ihipStream_tbEUlT_E_NS1_11comp_targetILNS1_3genE10ELNS1_11target_archE1201ELNS1_3gpuE5ELNS1_3repE0EEENS1_30default_config_static_selectorELNS0_4arch9wavefront6targetE1EEEvT1_.num_named_barrier, 0
	.set _ZN7rocprim17ROCPRIM_400000_NS6detail17trampoline_kernelINS0_14default_configENS1_25transform_config_selectorIN3c107complexIdEELb1EEEZNS1_14transform_implILb1ES3_S8_PS7_SA_NS0_8identityIS7_EEEE10hipError_tT2_T3_mT4_P12ihipStream_tbEUlT_E_NS1_11comp_targetILNS1_3genE10ELNS1_11target_archE1201ELNS1_3gpuE5ELNS1_3repE0EEENS1_30default_config_static_selectorELNS0_4arch9wavefront6targetE1EEEvT1_.private_seg_size, 0
	.set _ZN7rocprim17ROCPRIM_400000_NS6detail17trampoline_kernelINS0_14default_configENS1_25transform_config_selectorIN3c107complexIdEELb1EEEZNS1_14transform_implILb1ES3_S8_PS7_SA_NS0_8identityIS7_EEEE10hipError_tT2_T3_mT4_P12ihipStream_tbEUlT_E_NS1_11comp_targetILNS1_3genE10ELNS1_11target_archE1201ELNS1_3gpuE5ELNS1_3repE0EEENS1_30default_config_static_selectorELNS0_4arch9wavefront6targetE1EEEvT1_.uses_vcc, 0
	.set _ZN7rocprim17ROCPRIM_400000_NS6detail17trampoline_kernelINS0_14default_configENS1_25transform_config_selectorIN3c107complexIdEELb1EEEZNS1_14transform_implILb1ES3_S8_PS7_SA_NS0_8identityIS7_EEEE10hipError_tT2_T3_mT4_P12ihipStream_tbEUlT_E_NS1_11comp_targetILNS1_3genE10ELNS1_11target_archE1201ELNS1_3gpuE5ELNS1_3repE0EEENS1_30default_config_static_selectorELNS0_4arch9wavefront6targetE1EEEvT1_.uses_flat_scratch, 0
	.set _ZN7rocprim17ROCPRIM_400000_NS6detail17trampoline_kernelINS0_14default_configENS1_25transform_config_selectorIN3c107complexIdEELb1EEEZNS1_14transform_implILb1ES3_S8_PS7_SA_NS0_8identityIS7_EEEE10hipError_tT2_T3_mT4_P12ihipStream_tbEUlT_E_NS1_11comp_targetILNS1_3genE10ELNS1_11target_archE1201ELNS1_3gpuE5ELNS1_3repE0EEENS1_30default_config_static_selectorELNS0_4arch9wavefront6targetE1EEEvT1_.has_dyn_sized_stack, 0
	.set _ZN7rocprim17ROCPRIM_400000_NS6detail17trampoline_kernelINS0_14default_configENS1_25transform_config_selectorIN3c107complexIdEELb1EEEZNS1_14transform_implILb1ES3_S8_PS7_SA_NS0_8identityIS7_EEEE10hipError_tT2_T3_mT4_P12ihipStream_tbEUlT_E_NS1_11comp_targetILNS1_3genE10ELNS1_11target_archE1201ELNS1_3gpuE5ELNS1_3repE0EEENS1_30default_config_static_selectorELNS0_4arch9wavefront6targetE1EEEvT1_.has_recursion, 0
	.set _ZN7rocprim17ROCPRIM_400000_NS6detail17trampoline_kernelINS0_14default_configENS1_25transform_config_selectorIN3c107complexIdEELb1EEEZNS1_14transform_implILb1ES3_S8_PS7_SA_NS0_8identityIS7_EEEE10hipError_tT2_T3_mT4_P12ihipStream_tbEUlT_E_NS1_11comp_targetILNS1_3genE10ELNS1_11target_archE1201ELNS1_3gpuE5ELNS1_3repE0EEENS1_30default_config_static_selectorELNS0_4arch9wavefront6targetE1EEEvT1_.has_indirect_call, 0
	.section	.AMDGPU.csdata,"",@progbits
; Kernel info:
; codeLenInByte = 0
; TotalNumSgprs: 4
; NumVgprs: 0
; ScratchSize: 0
; MemoryBound: 0
; FloatMode: 240
; IeeeMode: 1
; LDSByteSize: 0 bytes/workgroup (compile time only)
; SGPRBlocks: 0
; VGPRBlocks: 0
; NumSGPRsForWavesPerEU: 4
; NumVGPRsForWavesPerEU: 1
; Occupancy: 10
; WaveLimiterHint : 0
; COMPUTE_PGM_RSRC2:SCRATCH_EN: 0
; COMPUTE_PGM_RSRC2:USER_SGPR: 6
; COMPUTE_PGM_RSRC2:TRAP_HANDLER: 0
; COMPUTE_PGM_RSRC2:TGID_X_EN: 1
; COMPUTE_PGM_RSRC2:TGID_Y_EN: 0
; COMPUTE_PGM_RSRC2:TGID_Z_EN: 0
; COMPUTE_PGM_RSRC2:TIDIG_COMP_CNT: 0
	.section	.text._ZN7rocprim17ROCPRIM_400000_NS6detail17trampoline_kernelINS0_14default_configENS1_25transform_config_selectorIN3c107complexIdEELb1EEEZNS1_14transform_implILb1ES3_S8_PS7_SA_NS0_8identityIS7_EEEE10hipError_tT2_T3_mT4_P12ihipStream_tbEUlT_E_NS1_11comp_targetILNS1_3genE5ELNS1_11target_archE942ELNS1_3gpuE9ELNS1_3repE0EEENS1_30default_config_static_selectorELNS0_4arch9wavefront6targetE1EEEvT1_,"axG",@progbits,_ZN7rocprim17ROCPRIM_400000_NS6detail17trampoline_kernelINS0_14default_configENS1_25transform_config_selectorIN3c107complexIdEELb1EEEZNS1_14transform_implILb1ES3_S8_PS7_SA_NS0_8identityIS7_EEEE10hipError_tT2_T3_mT4_P12ihipStream_tbEUlT_E_NS1_11comp_targetILNS1_3genE5ELNS1_11target_archE942ELNS1_3gpuE9ELNS1_3repE0EEENS1_30default_config_static_selectorELNS0_4arch9wavefront6targetE1EEEvT1_,comdat
	.protected	_ZN7rocprim17ROCPRIM_400000_NS6detail17trampoline_kernelINS0_14default_configENS1_25transform_config_selectorIN3c107complexIdEELb1EEEZNS1_14transform_implILb1ES3_S8_PS7_SA_NS0_8identityIS7_EEEE10hipError_tT2_T3_mT4_P12ihipStream_tbEUlT_E_NS1_11comp_targetILNS1_3genE5ELNS1_11target_archE942ELNS1_3gpuE9ELNS1_3repE0EEENS1_30default_config_static_selectorELNS0_4arch9wavefront6targetE1EEEvT1_ ; -- Begin function _ZN7rocprim17ROCPRIM_400000_NS6detail17trampoline_kernelINS0_14default_configENS1_25transform_config_selectorIN3c107complexIdEELb1EEEZNS1_14transform_implILb1ES3_S8_PS7_SA_NS0_8identityIS7_EEEE10hipError_tT2_T3_mT4_P12ihipStream_tbEUlT_E_NS1_11comp_targetILNS1_3genE5ELNS1_11target_archE942ELNS1_3gpuE9ELNS1_3repE0EEENS1_30default_config_static_selectorELNS0_4arch9wavefront6targetE1EEEvT1_
	.globl	_ZN7rocprim17ROCPRIM_400000_NS6detail17trampoline_kernelINS0_14default_configENS1_25transform_config_selectorIN3c107complexIdEELb1EEEZNS1_14transform_implILb1ES3_S8_PS7_SA_NS0_8identityIS7_EEEE10hipError_tT2_T3_mT4_P12ihipStream_tbEUlT_E_NS1_11comp_targetILNS1_3genE5ELNS1_11target_archE942ELNS1_3gpuE9ELNS1_3repE0EEENS1_30default_config_static_selectorELNS0_4arch9wavefront6targetE1EEEvT1_
	.p2align	8
	.type	_ZN7rocprim17ROCPRIM_400000_NS6detail17trampoline_kernelINS0_14default_configENS1_25transform_config_selectorIN3c107complexIdEELb1EEEZNS1_14transform_implILb1ES3_S8_PS7_SA_NS0_8identityIS7_EEEE10hipError_tT2_T3_mT4_P12ihipStream_tbEUlT_E_NS1_11comp_targetILNS1_3genE5ELNS1_11target_archE942ELNS1_3gpuE9ELNS1_3repE0EEENS1_30default_config_static_selectorELNS0_4arch9wavefront6targetE1EEEvT1_,@function
_ZN7rocprim17ROCPRIM_400000_NS6detail17trampoline_kernelINS0_14default_configENS1_25transform_config_selectorIN3c107complexIdEELb1EEEZNS1_14transform_implILb1ES3_S8_PS7_SA_NS0_8identityIS7_EEEE10hipError_tT2_T3_mT4_P12ihipStream_tbEUlT_E_NS1_11comp_targetILNS1_3genE5ELNS1_11target_archE942ELNS1_3gpuE9ELNS1_3repE0EEENS1_30default_config_static_selectorELNS0_4arch9wavefront6targetE1EEEvT1_: ; @_ZN7rocprim17ROCPRIM_400000_NS6detail17trampoline_kernelINS0_14default_configENS1_25transform_config_selectorIN3c107complexIdEELb1EEEZNS1_14transform_implILb1ES3_S8_PS7_SA_NS0_8identityIS7_EEEE10hipError_tT2_T3_mT4_P12ihipStream_tbEUlT_E_NS1_11comp_targetILNS1_3genE5ELNS1_11target_archE942ELNS1_3gpuE9ELNS1_3repE0EEENS1_30default_config_static_selectorELNS0_4arch9wavefront6targetE1EEEvT1_
; %bb.0:
	.section	.rodata,"a",@progbits
	.p2align	6, 0x0
	.amdhsa_kernel _ZN7rocprim17ROCPRIM_400000_NS6detail17trampoline_kernelINS0_14default_configENS1_25transform_config_selectorIN3c107complexIdEELb1EEEZNS1_14transform_implILb1ES3_S8_PS7_SA_NS0_8identityIS7_EEEE10hipError_tT2_T3_mT4_P12ihipStream_tbEUlT_E_NS1_11comp_targetILNS1_3genE5ELNS1_11target_archE942ELNS1_3gpuE9ELNS1_3repE0EEENS1_30default_config_static_selectorELNS0_4arch9wavefront6targetE1EEEvT1_
		.amdhsa_group_segment_fixed_size 0
		.amdhsa_private_segment_fixed_size 0
		.amdhsa_kernarg_size 40
		.amdhsa_user_sgpr_count 6
		.amdhsa_user_sgpr_private_segment_buffer 1
		.amdhsa_user_sgpr_dispatch_ptr 0
		.amdhsa_user_sgpr_queue_ptr 0
		.amdhsa_user_sgpr_kernarg_segment_ptr 1
		.amdhsa_user_sgpr_dispatch_id 0
		.amdhsa_user_sgpr_flat_scratch_init 0
		.amdhsa_user_sgpr_private_segment_size 0
		.amdhsa_uses_dynamic_stack 0
		.amdhsa_system_sgpr_private_segment_wavefront_offset 0
		.amdhsa_system_sgpr_workgroup_id_x 1
		.amdhsa_system_sgpr_workgroup_id_y 0
		.amdhsa_system_sgpr_workgroup_id_z 0
		.amdhsa_system_sgpr_workgroup_info 0
		.amdhsa_system_vgpr_workitem_id 0
		.amdhsa_next_free_vgpr 1
		.amdhsa_next_free_sgpr 0
		.amdhsa_reserve_vcc 0
		.amdhsa_reserve_flat_scratch 0
		.amdhsa_float_round_mode_32 0
		.amdhsa_float_round_mode_16_64 0
		.amdhsa_float_denorm_mode_32 3
		.amdhsa_float_denorm_mode_16_64 3
		.amdhsa_dx10_clamp 1
		.amdhsa_ieee_mode 1
		.amdhsa_fp16_overflow 0
		.amdhsa_exception_fp_ieee_invalid_op 0
		.amdhsa_exception_fp_denorm_src 0
		.amdhsa_exception_fp_ieee_div_zero 0
		.amdhsa_exception_fp_ieee_overflow 0
		.amdhsa_exception_fp_ieee_underflow 0
		.amdhsa_exception_fp_ieee_inexact 0
		.amdhsa_exception_int_div_zero 0
	.end_amdhsa_kernel
	.section	.text._ZN7rocprim17ROCPRIM_400000_NS6detail17trampoline_kernelINS0_14default_configENS1_25transform_config_selectorIN3c107complexIdEELb1EEEZNS1_14transform_implILb1ES3_S8_PS7_SA_NS0_8identityIS7_EEEE10hipError_tT2_T3_mT4_P12ihipStream_tbEUlT_E_NS1_11comp_targetILNS1_3genE5ELNS1_11target_archE942ELNS1_3gpuE9ELNS1_3repE0EEENS1_30default_config_static_selectorELNS0_4arch9wavefront6targetE1EEEvT1_,"axG",@progbits,_ZN7rocprim17ROCPRIM_400000_NS6detail17trampoline_kernelINS0_14default_configENS1_25transform_config_selectorIN3c107complexIdEELb1EEEZNS1_14transform_implILb1ES3_S8_PS7_SA_NS0_8identityIS7_EEEE10hipError_tT2_T3_mT4_P12ihipStream_tbEUlT_E_NS1_11comp_targetILNS1_3genE5ELNS1_11target_archE942ELNS1_3gpuE9ELNS1_3repE0EEENS1_30default_config_static_selectorELNS0_4arch9wavefront6targetE1EEEvT1_,comdat
.Lfunc_end187:
	.size	_ZN7rocprim17ROCPRIM_400000_NS6detail17trampoline_kernelINS0_14default_configENS1_25transform_config_selectorIN3c107complexIdEELb1EEEZNS1_14transform_implILb1ES3_S8_PS7_SA_NS0_8identityIS7_EEEE10hipError_tT2_T3_mT4_P12ihipStream_tbEUlT_E_NS1_11comp_targetILNS1_3genE5ELNS1_11target_archE942ELNS1_3gpuE9ELNS1_3repE0EEENS1_30default_config_static_selectorELNS0_4arch9wavefront6targetE1EEEvT1_, .Lfunc_end187-_ZN7rocprim17ROCPRIM_400000_NS6detail17trampoline_kernelINS0_14default_configENS1_25transform_config_selectorIN3c107complexIdEELb1EEEZNS1_14transform_implILb1ES3_S8_PS7_SA_NS0_8identityIS7_EEEE10hipError_tT2_T3_mT4_P12ihipStream_tbEUlT_E_NS1_11comp_targetILNS1_3genE5ELNS1_11target_archE942ELNS1_3gpuE9ELNS1_3repE0EEENS1_30default_config_static_selectorELNS0_4arch9wavefront6targetE1EEEvT1_
                                        ; -- End function
	.set _ZN7rocprim17ROCPRIM_400000_NS6detail17trampoline_kernelINS0_14default_configENS1_25transform_config_selectorIN3c107complexIdEELb1EEEZNS1_14transform_implILb1ES3_S8_PS7_SA_NS0_8identityIS7_EEEE10hipError_tT2_T3_mT4_P12ihipStream_tbEUlT_E_NS1_11comp_targetILNS1_3genE5ELNS1_11target_archE942ELNS1_3gpuE9ELNS1_3repE0EEENS1_30default_config_static_selectorELNS0_4arch9wavefront6targetE1EEEvT1_.num_vgpr, 0
	.set _ZN7rocprim17ROCPRIM_400000_NS6detail17trampoline_kernelINS0_14default_configENS1_25transform_config_selectorIN3c107complexIdEELb1EEEZNS1_14transform_implILb1ES3_S8_PS7_SA_NS0_8identityIS7_EEEE10hipError_tT2_T3_mT4_P12ihipStream_tbEUlT_E_NS1_11comp_targetILNS1_3genE5ELNS1_11target_archE942ELNS1_3gpuE9ELNS1_3repE0EEENS1_30default_config_static_selectorELNS0_4arch9wavefront6targetE1EEEvT1_.num_agpr, 0
	.set _ZN7rocprim17ROCPRIM_400000_NS6detail17trampoline_kernelINS0_14default_configENS1_25transform_config_selectorIN3c107complexIdEELb1EEEZNS1_14transform_implILb1ES3_S8_PS7_SA_NS0_8identityIS7_EEEE10hipError_tT2_T3_mT4_P12ihipStream_tbEUlT_E_NS1_11comp_targetILNS1_3genE5ELNS1_11target_archE942ELNS1_3gpuE9ELNS1_3repE0EEENS1_30default_config_static_selectorELNS0_4arch9wavefront6targetE1EEEvT1_.numbered_sgpr, 0
	.set _ZN7rocprim17ROCPRIM_400000_NS6detail17trampoline_kernelINS0_14default_configENS1_25transform_config_selectorIN3c107complexIdEELb1EEEZNS1_14transform_implILb1ES3_S8_PS7_SA_NS0_8identityIS7_EEEE10hipError_tT2_T3_mT4_P12ihipStream_tbEUlT_E_NS1_11comp_targetILNS1_3genE5ELNS1_11target_archE942ELNS1_3gpuE9ELNS1_3repE0EEENS1_30default_config_static_selectorELNS0_4arch9wavefront6targetE1EEEvT1_.num_named_barrier, 0
	.set _ZN7rocprim17ROCPRIM_400000_NS6detail17trampoline_kernelINS0_14default_configENS1_25transform_config_selectorIN3c107complexIdEELb1EEEZNS1_14transform_implILb1ES3_S8_PS7_SA_NS0_8identityIS7_EEEE10hipError_tT2_T3_mT4_P12ihipStream_tbEUlT_E_NS1_11comp_targetILNS1_3genE5ELNS1_11target_archE942ELNS1_3gpuE9ELNS1_3repE0EEENS1_30default_config_static_selectorELNS0_4arch9wavefront6targetE1EEEvT1_.private_seg_size, 0
	.set _ZN7rocprim17ROCPRIM_400000_NS6detail17trampoline_kernelINS0_14default_configENS1_25transform_config_selectorIN3c107complexIdEELb1EEEZNS1_14transform_implILb1ES3_S8_PS7_SA_NS0_8identityIS7_EEEE10hipError_tT2_T3_mT4_P12ihipStream_tbEUlT_E_NS1_11comp_targetILNS1_3genE5ELNS1_11target_archE942ELNS1_3gpuE9ELNS1_3repE0EEENS1_30default_config_static_selectorELNS0_4arch9wavefront6targetE1EEEvT1_.uses_vcc, 0
	.set _ZN7rocprim17ROCPRIM_400000_NS6detail17trampoline_kernelINS0_14default_configENS1_25transform_config_selectorIN3c107complexIdEELb1EEEZNS1_14transform_implILb1ES3_S8_PS7_SA_NS0_8identityIS7_EEEE10hipError_tT2_T3_mT4_P12ihipStream_tbEUlT_E_NS1_11comp_targetILNS1_3genE5ELNS1_11target_archE942ELNS1_3gpuE9ELNS1_3repE0EEENS1_30default_config_static_selectorELNS0_4arch9wavefront6targetE1EEEvT1_.uses_flat_scratch, 0
	.set _ZN7rocprim17ROCPRIM_400000_NS6detail17trampoline_kernelINS0_14default_configENS1_25transform_config_selectorIN3c107complexIdEELb1EEEZNS1_14transform_implILb1ES3_S8_PS7_SA_NS0_8identityIS7_EEEE10hipError_tT2_T3_mT4_P12ihipStream_tbEUlT_E_NS1_11comp_targetILNS1_3genE5ELNS1_11target_archE942ELNS1_3gpuE9ELNS1_3repE0EEENS1_30default_config_static_selectorELNS0_4arch9wavefront6targetE1EEEvT1_.has_dyn_sized_stack, 0
	.set _ZN7rocprim17ROCPRIM_400000_NS6detail17trampoline_kernelINS0_14default_configENS1_25transform_config_selectorIN3c107complexIdEELb1EEEZNS1_14transform_implILb1ES3_S8_PS7_SA_NS0_8identityIS7_EEEE10hipError_tT2_T3_mT4_P12ihipStream_tbEUlT_E_NS1_11comp_targetILNS1_3genE5ELNS1_11target_archE942ELNS1_3gpuE9ELNS1_3repE0EEENS1_30default_config_static_selectorELNS0_4arch9wavefront6targetE1EEEvT1_.has_recursion, 0
	.set _ZN7rocprim17ROCPRIM_400000_NS6detail17trampoline_kernelINS0_14default_configENS1_25transform_config_selectorIN3c107complexIdEELb1EEEZNS1_14transform_implILb1ES3_S8_PS7_SA_NS0_8identityIS7_EEEE10hipError_tT2_T3_mT4_P12ihipStream_tbEUlT_E_NS1_11comp_targetILNS1_3genE5ELNS1_11target_archE942ELNS1_3gpuE9ELNS1_3repE0EEENS1_30default_config_static_selectorELNS0_4arch9wavefront6targetE1EEEvT1_.has_indirect_call, 0
	.section	.AMDGPU.csdata,"",@progbits
; Kernel info:
; codeLenInByte = 0
; TotalNumSgprs: 4
; NumVgprs: 0
; ScratchSize: 0
; MemoryBound: 0
; FloatMode: 240
; IeeeMode: 1
; LDSByteSize: 0 bytes/workgroup (compile time only)
; SGPRBlocks: 0
; VGPRBlocks: 0
; NumSGPRsForWavesPerEU: 4
; NumVGPRsForWavesPerEU: 1
; Occupancy: 10
; WaveLimiterHint : 0
; COMPUTE_PGM_RSRC2:SCRATCH_EN: 0
; COMPUTE_PGM_RSRC2:USER_SGPR: 6
; COMPUTE_PGM_RSRC2:TRAP_HANDLER: 0
; COMPUTE_PGM_RSRC2:TGID_X_EN: 1
; COMPUTE_PGM_RSRC2:TGID_Y_EN: 0
; COMPUTE_PGM_RSRC2:TGID_Z_EN: 0
; COMPUTE_PGM_RSRC2:TIDIG_COMP_CNT: 0
	.section	.text._ZN7rocprim17ROCPRIM_400000_NS6detail17trampoline_kernelINS0_14default_configENS1_25transform_config_selectorIN3c107complexIdEELb1EEEZNS1_14transform_implILb1ES3_S8_PS7_SA_NS0_8identityIS7_EEEE10hipError_tT2_T3_mT4_P12ihipStream_tbEUlT_E_NS1_11comp_targetILNS1_3genE4ELNS1_11target_archE910ELNS1_3gpuE8ELNS1_3repE0EEENS1_30default_config_static_selectorELNS0_4arch9wavefront6targetE1EEEvT1_,"axG",@progbits,_ZN7rocprim17ROCPRIM_400000_NS6detail17trampoline_kernelINS0_14default_configENS1_25transform_config_selectorIN3c107complexIdEELb1EEEZNS1_14transform_implILb1ES3_S8_PS7_SA_NS0_8identityIS7_EEEE10hipError_tT2_T3_mT4_P12ihipStream_tbEUlT_E_NS1_11comp_targetILNS1_3genE4ELNS1_11target_archE910ELNS1_3gpuE8ELNS1_3repE0EEENS1_30default_config_static_selectorELNS0_4arch9wavefront6targetE1EEEvT1_,comdat
	.protected	_ZN7rocprim17ROCPRIM_400000_NS6detail17trampoline_kernelINS0_14default_configENS1_25transform_config_selectorIN3c107complexIdEELb1EEEZNS1_14transform_implILb1ES3_S8_PS7_SA_NS0_8identityIS7_EEEE10hipError_tT2_T3_mT4_P12ihipStream_tbEUlT_E_NS1_11comp_targetILNS1_3genE4ELNS1_11target_archE910ELNS1_3gpuE8ELNS1_3repE0EEENS1_30default_config_static_selectorELNS0_4arch9wavefront6targetE1EEEvT1_ ; -- Begin function _ZN7rocprim17ROCPRIM_400000_NS6detail17trampoline_kernelINS0_14default_configENS1_25transform_config_selectorIN3c107complexIdEELb1EEEZNS1_14transform_implILb1ES3_S8_PS7_SA_NS0_8identityIS7_EEEE10hipError_tT2_T3_mT4_P12ihipStream_tbEUlT_E_NS1_11comp_targetILNS1_3genE4ELNS1_11target_archE910ELNS1_3gpuE8ELNS1_3repE0EEENS1_30default_config_static_selectorELNS0_4arch9wavefront6targetE1EEEvT1_
	.globl	_ZN7rocprim17ROCPRIM_400000_NS6detail17trampoline_kernelINS0_14default_configENS1_25transform_config_selectorIN3c107complexIdEELb1EEEZNS1_14transform_implILb1ES3_S8_PS7_SA_NS0_8identityIS7_EEEE10hipError_tT2_T3_mT4_P12ihipStream_tbEUlT_E_NS1_11comp_targetILNS1_3genE4ELNS1_11target_archE910ELNS1_3gpuE8ELNS1_3repE0EEENS1_30default_config_static_selectorELNS0_4arch9wavefront6targetE1EEEvT1_
	.p2align	8
	.type	_ZN7rocprim17ROCPRIM_400000_NS6detail17trampoline_kernelINS0_14default_configENS1_25transform_config_selectorIN3c107complexIdEELb1EEEZNS1_14transform_implILb1ES3_S8_PS7_SA_NS0_8identityIS7_EEEE10hipError_tT2_T3_mT4_P12ihipStream_tbEUlT_E_NS1_11comp_targetILNS1_3genE4ELNS1_11target_archE910ELNS1_3gpuE8ELNS1_3repE0EEENS1_30default_config_static_selectorELNS0_4arch9wavefront6targetE1EEEvT1_,@function
_ZN7rocprim17ROCPRIM_400000_NS6detail17trampoline_kernelINS0_14default_configENS1_25transform_config_selectorIN3c107complexIdEELb1EEEZNS1_14transform_implILb1ES3_S8_PS7_SA_NS0_8identityIS7_EEEE10hipError_tT2_T3_mT4_P12ihipStream_tbEUlT_E_NS1_11comp_targetILNS1_3genE4ELNS1_11target_archE910ELNS1_3gpuE8ELNS1_3repE0EEENS1_30default_config_static_selectorELNS0_4arch9wavefront6targetE1EEEvT1_: ; @_ZN7rocprim17ROCPRIM_400000_NS6detail17trampoline_kernelINS0_14default_configENS1_25transform_config_selectorIN3c107complexIdEELb1EEEZNS1_14transform_implILb1ES3_S8_PS7_SA_NS0_8identityIS7_EEEE10hipError_tT2_T3_mT4_P12ihipStream_tbEUlT_E_NS1_11comp_targetILNS1_3genE4ELNS1_11target_archE910ELNS1_3gpuE8ELNS1_3repE0EEENS1_30default_config_static_selectorELNS0_4arch9wavefront6targetE1EEEvT1_
; %bb.0:
	.section	.rodata,"a",@progbits
	.p2align	6, 0x0
	.amdhsa_kernel _ZN7rocprim17ROCPRIM_400000_NS6detail17trampoline_kernelINS0_14default_configENS1_25transform_config_selectorIN3c107complexIdEELb1EEEZNS1_14transform_implILb1ES3_S8_PS7_SA_NS0_8identityIS7_EEEE10hipError_tT2_T3_mT4_P12ihipStream_tbEUlT_E_NS1_11comp_targetILNS1_3genE4ELNS1_11target_archE910ELNS1_3gpuE8ELNS1_3repE0EEENS1_30default_config_static_selectorELNS0_4arch9wavefront6targetE1EEEvT1_
		.amdhsa_group_segment_fixed_size 0
		.amdhsa_private_segment_fixed_size 0
		.amdhsa_kernarg_size 40
		.amdhsa_user_sgpr_count 6
		.amdhsa_user_sgpr_private_segment_buffer 1
		.amdhsa_user_sgpr_dispatch_ptr 0
		.amdhsa_user_sgpr_queue_ptr 0
		.amdhsa_user_sgpr_kernarg_segment_ptr 1
		.amdhsa_user_sgpr_dispatch_id 0
		.amdhsa_user_sgpr_flat_scratch_init 0
		.amdhsa_user_sgpr_private_segment_size 0
		.amdhsa_uses_dynamic_stack 0
		.amdhsa_system_sgpr_private_segment_wavefront_offset 0
		.amdhsa_system_sgpr_workgroup_id_x 1
		.amdhsa_system_sgpr_workgroup_id_y 0
		.amdhsa_system_sgpr_workgroup_id_z 0
		.amdhsa_system_sgpr_workgroup_info 0
		.amdhsa_system_vgpr_workitem_id 0
		.amdhsa_next_free_vgpr 1
		.amdhsa_next_free_sgpr 0
		.amdhsa_reserve_vcc 0
		.amdhsa_reserve_flat_scratch 0
		.amdhsa_float_round_mode_32 0
		.amdhsa_float_round_mode_16_64 0
		.amdhsa_float_denorm_mode_32 3
		.amdhsa_float_denorm_mode_16_64 3
		.amdhsa_dx10_clamp 1
		.amdhsa_ieee_mode 1
		.amdhsa_fp16_overflow 0
		.amdhsa_exception_fp_ieee_invalid_op 0
		.amdhsa_exception_fp_denorm_src 0
		.amdhsa_exception_fp_ieee_div_zero 0
		.amdhsa_exception_fp_ieee_overflow 0
		.amdhsa_exception_fp_ieee_underflow 0
		.amdhsa_exception_fp_ieee_inexact 0
		.amdhsa_exception_int_div_zero 0
	.end_amdhsa_kernel
	.section	.text._ZN7rocprim17ROCPRIM_400000_NS6detail17trampoline_kernelINS0_14default_configENS1_25transform_config_selectorIN3c107complexIdEELb1EEEZNS1_14transform_implILb1ES3_S8_PS7_SA_NS0_8identityIS7_EEEE10hipError_tT2_T3_mT4_P12ihipStream_tbEUlT_E_NS1_11comp_targetILNS1_3genE4ELNS1_11target_archE910ELNS1_3gpuE8ELNS1_3repE0EEENS1_30default_config_static_selectorELNS0_4arch9wavefront6targetE1EEEvT1_,"axG",@progbits,_ZN7rocprim17ROCPRIM_400000_NS6detail17trampoline_kernelINS0_14default_configENS1_25transform_config_selectorIN3c107complexIdEELb1EEEZNS1_14transform_implILb1ES3_S8_PS7_SA_NS0_8identityIS7_EEEE10hipError_tT2_T3_mT4_P12ihipStream_tbEUlT_E_NS1_11comp_targetILNS1_3genE4ELNS1_11target_archE910ELNS1_3gpuE8ELNS1_3repE0EEENS1_30default_config_static_selectorELNS0_4arch9wavefront6targetE1EEEvT1_,comdat
.Lfunc_end188:
	.size	_ZN7rocprim17ROCPRIM_400000_NS6detail17trampoline_kernelINS0_14default_configENS1_25transform_config_selectorIN3c107complexIdEELb1EEEZNS1_14transform_implILb1ES3_S8_PS7_SA_NS0_8identityIS7_EEEE10hipError_tT2_T3_mT4_P12ihipStream_tbEUlT_E_NS1_11comp_targetILNS1_3genE4ELNS1_11target_archE910ELNS1_3gpuE8ELNS1_3repE0EEENS1_30default_config_static_selectorELNS0_4arch9wavefront6targetE1EEEvT1_, .Lfunc_end188-_ZN7rocprim17ROCPRIM_400000_NS6detail17trampoline_kernelINS0_14default_configENS1_25transform_config_selectorIN3c107complexIdEELb1EEEZNS1_14transform_implILb1ES3_S8_PS7_SA_NS0_8identityIS7_EEEE10hipError_tT2_T3_mT4_P12ihipStream_tbEUlT_E_NS1_11comp_targetILNS1_3genE4ELNS1_11target_archE910ELNS1_3gpuE8ELNS1_3repE0EEENS1_30default_config_static_selectorELNS0_4arch9wavefront6targetE1EEEvT1_
                                        ; -- End function
	.set _ZN7rocprim17ROCPRIM_400000_NS6detail17trampoline_kernelINS0_14default_configENS1_25transform_config_selectorIN3c107complexIdEELb1EEEZNS1_14transform_implILb1ES3_S8_PS7_SA_NS0_8identityIS7_EEEE10hipError_tT2_T3_mT4_P12ihipStream_tbEUlT_E_NS1_11comp_targetILNS1_3genE4ELNS1_11target_archE910ELNS1_3gpuE8ELNS1_3repE0EEENS1_30default_config_static_selectorELNS0_4arch9wavefront6targetE1EEEvT1_.num_vgpr, 0
	.set _ZN7rocprim17ROCPRIM_400000_NS6detail17trampoline_kernelINS0_14default_configENS1_25transform_config_selectorIN3c107complexIdEELb1EEEZNS1_14transform_implILb1ES3_S8_PS7_SA_NS0_8identityIS7_EEEE10hipError_tT2_T3_mT4_P12ihipStream_tbEUlT_E_NS1_11comp_targetILNS1_3genE4ELNS1_11target_archE910ELNS1_3gpuE8ELNS1_3repE0EEENS1_30default_config_static_selectorELNS0_4arch9wavefront6targetE1EEEvT1_.num_agpr, 0
	.set _ZN7rocprim17ROCPRIM_400000_NS6detail17trampoline_kernelINS0_14default_configENS1_25transform_config_selectorIN3c107complexIdEELb1EEEZNS1_14transform_implILb1ES3_S8_PS7_SA_NS0_8identityIS7_EEEE10hipError_tT2_T3_mT4_P12ihipStream_tbEUlT_E_NS1_11comp_targetILNS1_3genE4ELNS1_11target_archE910ELNS1_3gpuE8ELNS1_3repE0EEENS1_30default_config_static_selectorELNS0_4arch9wavefront6targetE1EEEvT1_.numbered_sgpr, 0
	.set _ZN7rocprim17ROCPRIM_400000_NS6detail17trampoline_kernelINS0_14default_configENS1_25transform_config_selectorIN3c107complexIdEELb1EEEZNS1_14transform_implILb1ES3_S8_PS7_SA_NS0_8identityIS7_EEEE10hipError_tT2_T3_mT4_P12ihipStream_tbEUlT_E_NS1_11comp_targetILNS1_3genE4ELNS1_11target_archE910ELNS1_3gpuE8ELNS1_3repE0EEENS1_30default_config_static_selectorELNS0_4arch9wavefront6targetE1EEEvT1_.num_named_barrier, 0
	.set _ZN7rocprim17ROCPRIM_400000_NS6detail17trampoline_kernelINS0_14default_configENS1_25transform_config_selectorIN3c107complexIdEELb1EEEZNS1_14transform_implILb1ES3_S8_PS7_SA_NS0_8identityIS7_EEEE10hipError_tT2_T3_mT4_P12ihipStream_tbEUlT_E_NS1_11comp_targetILNS1_3genE4ELNS1_11target_archE910ELNS1_3gpuE8ELNS1_3repE0EEENS1_30default_config_static_selectorELNS0_4arch9wavefront6targetE1EEEvT1_.private_seg_size, 0
	.set _ZN7rocprim17ROCPRIM_400000_NS6detail17trampoline_kernelINS0_14default_configENS1_25transform_config_selectorIN3c107complexIdEELb1EEEZNS1_14transform_implILb1ES3_S8_PS7_SA_NS0_8identityIS7_EEEE10hipError_tT2_T3_mT4_P12ihipStream_tbEUlT_E_NS1_11comp_targetILNS1_3genE4ELNS1_11target_archE910ELNS1_3gpuE8ELNS1_3repE0EEENS1_30default_config_static_selectorELNS0_4arch9wavefront6targetE1EEEvT1_.uses_vcc, 0
	.set _ZN7rocprim17ROCPRIM_400000_NS6detail17trampoline_kernelINS0_14default_configENS1_25transform_config_selectorIN3c107complexIdEELb1EEEZNS1_14transform_implILb1ES3_S8_PS7_SA_NS0_8identityIS7_EEEE10hipError_tT2_T3_mT4_P12ihipStream_tbEUlT_E_NS1_11comp_targetILNS1_3genE4ELNS1_11target_archE910ELNS1_3gpuE8ELNS1_3repE0EEENS1_30default_config_static_selectorELNS0_4arch9wavefront6targetE1EEEvT1_.uses_flat_scratch, 0
	.set _ZN7rocprim17ROCPRIM_400000_NS6detail17trampoline_kernelINS0_14default_configENS1_25transform_config_selectorIN3c107complexIdEELb1EEEZNS1_14transform_implILb1ES3_S8_PS7_SA_NS0_8identityIS7_EEEE10hipError_tT2_T3_mT4_P12ihipStream_tbEUlT_E_NS1_11comp_targetILNS1_3genE4ELNS1_11target_archE910ELNS1_3gpuE8ELNS1_3repE0EEENS1_30default_config_static_selectorELNS0_4arch9wavefront6targetE1EEEvT1_.has_dyn_sized_stack, 0
	.set _ZN7rocprim17ROCPRIM_400000_NS6detail17trampoline_kernelINS0_14default_configENS1_25transform_config_selectorIN3c107complexIdEELb1EEEZNS1_14transform_implILb1ES3_S8_PS7_SA_NS0_8identityIS7_EEEE10hipError_tT2_T3_mT4_P12ihipStream_tbEUlT_E_NS1_11comp_targetILNS1_3genE4ELNS1_11target_archE910ELNS1_3gpuE8ELNS1_3repE0EEENS1_30default_config_static_selectorELNS0_4arch9wavefront6targetE1EEEvT1_.has_recursion, 0
	.set _ZN7rocprim17ROCPRIM_400000_NS6detail17trampoline_kernelINS0_14default_configENS1_25transform_config_selectorIN3c107complexIdEELb1EEEZNS1_14transform_implILb1ES3_S8_PS7_SA_NS0_8identityIS7_EEEE10hipError_tT2_T3_mT4_P12ihipStream_tbEUlT_E_NS1_11comp_targetILNS1_3genE4ELNS1_11target_archE910ELNS1_3gpuE8ELNS1_3repE0EEENS1_30default_config_static_selectorELNS0_4arch9wavefront6targetE1EEEvT1_.has_indirect_call, 0
	.section	.AMDGPU.csdata,"",@progbits
; Kernel info:
; codeLenInByte = 0
; TotalNumSgprs: 4
; NumVgprs: 0
; ScratchSize: 0
; MemoryBound: 0
; FloatMode: 240
; IeeeMode: 1
; LDSByteSize: 0 bytes/workgroup (compile time only)
; SGPRBlocks: 0
; VGPRBlocks: 0
; NumSGPRsForWavesPerEU: 4
; NumVGPRsForWavesPerEU: 1
; Occupancy: 10
; WaveLimiterHint : 0
; COMPUTE_PGM_RSRC2:SCRATCH_EN: 0
; COMPUTE_PGM_RSRC2:USER_SGPR: 6
; COMPUTE_PGM_RSRC2:TRAP_HANDLER: 0
; COMPUTE_PGM_RSRC2:TGID_X_EN: 1
; COMPUTE_PGM_RSRC2:TGID_Y_EN: 0
; COMPUTE_PGM_RSRC2:TGID_Z_EN: 0
; COMPUTE_PGM_RSRC2:TIDIG_COMP_CNT: 0
	.section	.text._ZN7rocprim17ROCPRIM_400000_NS6detail17trampoline_kernelINS0_14default_configENS1_25transform_config_selectorIN3c107complexIdEELb1EEEZNS1_14transform_implILb1ES3_S8_PS7_SA_NS0_8identityIS7_EEEE10hipError_tT2_T3_mT4_P12ihipStream_tbEUlT_E_NS1_11comp_targetILNS1_3genE3ELNS1_11target_archE908ELNS1_3gpuE7ELNS1_3repE0EEENS1_30default_config_static_selectorELNS0_4arch9wavefront6targetE1EEEvT1_,"axG",@progbits,_ZN7rocprim17ROCPRIM_400000_NS6detail17trampoline_kernelINS0_14default_configENS1_25transform_config_selectorIN3c107complexIdEELb1EEEZNS1_14transform_implILb1ES3_S8_PS7_SA_NS0_8identityIS7_EEEE10hipError_tT2_T3_mT4_P12ihipStream_tbEUlT_E_NS1_11comp_targetILNS1_3genE3ELNS1_11target_archE908ELNS1_3gpuE7ELNS1_3repE0EEENS1_30default_config_static_selectorELNS0_4arch9wavefront6targetE1EEEvT1_,comdat
	.protected	_ZN7rocprim17ROCPRIM_400000_NS6detail17trampoline_kernelINS0_14default_configENS1_25transform_config_selectorIN3c107complexIdEELb1EEEZNS1_14transform_implILb1ES3_S8_PS7_SA_NS0_8identityIS7_EEEE10hipError_tT2_T3_mT4_P12ihipStream_tbEUlT_E_NS1_11comp_targetILNS1_3genE3ELNS1_11target_archE908ELNS1_3gpuE7ELNS1_3repE0EEENS1_30default_config_static_selectorELNS0_4arch9wavefront6targetE1EEEvT1_ ; -- Begin function _ZN7rocprim17ROCPRIM_400000_NS6detail17trampoline_kernelINS0_14default_configENS1_25transform_config_selectorIN3c107complexIdEELb1EEEZNS1_14transform_implILb1ES3_S8_PS7_SA_NS0_8identityIS7_EEEE10hipError_tT2_T3_mT4_P12ihipStream_tbEUlT_E_NS1_11comp_targetILNS1_3genE3ELNS1_11target_archE908ELNS1_3gpuE7ELNS1_3repE0EEENS1_30default_config_static_selectorELNS0_4arch9wavefront6targetE1EEEvT1_
	.globl	_ZN7rocprim17ROCPRIM_400000_NS6detail17trampoline_kernelINS0_14default_configENS1_25transform_config_selectorIN3c107complexIdEELb1EEEZNS1_14transform_implILb1ES3_S8_PS7_SA_NS0_8identityIS7_EEEE10hipError_tT2_T3_mT4_P12ihipStream_tbEUlT_E_NS1_11comp_targetILNS1_3genE3ELNS1_11target_archE908ELNS1_3gpuE7ELNS1_3repE0EEENS1_30default_config_static_selectorELNS0_4arch9wavefront6targetE1EEEvT1_
	.p2align	8
	.type	_ZN7rocprim17ROCPRIM_400000_NS6detail17trampoline_kernelINS0_14default_configENS1_25transform_config_selectorIN3c107complexIdEELb1EEEZNS1_14transform_implILb1ES3_S8_PS7_SA_NS0_8identityIS7_EEEE10hipError_tT2_T3_mT4_P12ihipStream_tbEUlT_E_NS1_11comp_targetILNS1_3genE3ELNS1_11target_archE908ELNS1_3gpuE7ELNS1_3repE0EEENS1_30default_config_static_selectorELNS0_4arch9wavefront6targetE1EEEvT1_,@function
_ZN7rocprim17ROCPRIM_400000_NS6detail17trampoline_kernelINS0_14default_configENS1_25transform_config_selectorIN3c107complexIdEELb1EEEZNS1_14transform_implILb1ES3_S8_PS7_SA_NS0_8identityIS7_EEEE10hipError_tT2_T3_mT4_P12ihipStream_tbEUlT_E_NS1_11comp_targetILNS1_3genE3ELNS1_11target_archE908ELNS1_3gpuE7ELNS1_3repE0EEENS1_30default_config_static_selectorELNS0_4arch9wavefront6targetE1EEEvT1_: ; @_ZN7rocprim17ROCPRIM_400000_NS6detail17trampoline_kernelINS0_14default_configENS1_25transform_config_selectorIN3c107complexIdEELb1EEEZNS1_14transform_implILb1ES3_S8_PS7_SA_NS0_8identityIS7_EEEE10hipError_tT2_T3_mT4_P12ihipStream_tbEUlT_E_NS1_11comp_targetILNS1_3genE3ELNS1_11target_archE908ELNS1_3gpuE7ELNS1_3repE0EEENS1_30default_config_static_selectorELNS0_4arch9wavefront6targetE1EEEvT1_
; %bb.0:
	.section	.rodata,"a",@progbits
	.p2align	6, 0x0
	.amdhsa_kernel _ZN7rocprim17ROCPRIM_400000_NS6detail17trampoline_kernelINS0_14default_configENS1_25transform_config_selectorIN3c107complexIdEELb1EEEZNS1_14transform_implILb1ES3_S8_PS7_SA_NS0_8identityIS7_EEEE10hipError_tT2_T3_mT4_P12ihipStream_tbEUlT_E_NS1_11comp_targetILNS1_3genE3ELNS1_11target_archE908ELNS1_3gpuE7ELNS1_3repE0EEENS1_30default_config_static_selectorELNS0_4arch9wavefront6targetE1EEEvT1_
		.amdhsa_group_segment_fixed_size 0
		.amdhsa_private_segment_fixed_size 0
		.amdhsa_kernarg_size 40
		.amdhsa_user_sgpr_count 6
		.amdhsa_user_sgpr_private_segment_buffer 1
		.amdhsa_user_sgpr_dispatch_ptr 0
		.amdhsa_user_sgpr_queue_ptr 0
		.amdhsa_user_sgpr_kernarg_segment_ptr 1
		.amdhsa_user_sgpr_dispatch_id 0
		.amdhsa_user_sgpr_flat_scratch_init 0
		.amdhsa_user_sgpr_private_segment_size 0
		.amdhsa_uses_dynamic_stack 0
		.amdhsa_system_sgpr_private_segment_wavefront_offset 0
		.amdhsa_system_sgpr_workgroup_id_x 1
		.amdhsa_system_sgpr_workgroup_id_y 0
		.amdhsa_system_sgpr_workgroup_id_z 0
		.amdhsa_system_sgpr_workgroup_info 0
		.amdhsa_system_vgpr_workitem_id 0
		.amdhsa_next_free_vgpr 1
		.amdhsa_next_free_sgpr 0
		.amdhsa_reserve_vcc 0
		.amdhsa_reserve_flat_scratch 0
		.amdhsa_float_round_mode_32 0
		.amdhsa_float_round_mode_16_64 0
		.amdhsa_float_denorm_mode_32 3
		.amdhsa_float_denorm_mode_16_64 3
		.amdhsa_dx10_clamp 1
		.amdhsa_ieee_mode 1
		.amdhsa_fp16_overflow 0
		.amdhsa_exception_fp_ieee_invalid_op 0
		.amdhsa_exception_fp_denorm_src 0
		.amdhsa_exception_fp_ieee_div_zero 0
		.amdhsa_exception_fp_ieee_overflow 0
		.amdhsa_exception_fp_ieee_underflow 0
		.amdhsa_exception_fp_ieee_inexact 0
		.amdhsa_exception_int_div_zero 0
	.end_amdhsa_kernel
	.section	.text._ZN7rocprim17ROCPRIM_400000_NS6detail17trampoline_kernelINS0_14default_configENS1_25transform_config_selectorIN3c107complexIdEELb1EEEZNS1_14transform_implILb1ES3_S8_PS7_SA_NS0_8identityIS7_EEEE10hipError_tT2_T3_mT4_P12ihipStream_tbEUlT_E_NS1_11comp_targetILNS1_3genE3ELNS1_11target_archE908ELNS1_3gpuE7ELNS1_3repE0EEENS1_30default_config_static_selectorELNS0_4arch9wavefront6targetE1EEEvT1_,"axG",@progbits,_ZN7rocprim17ROCPRIM_400000_NS6detail17trampoline_kernelINS0_14default_configENS1_25transform_config_selectorIN3c107complexIdEELb1EEEZNS1_14transform_implILb1ES3_S8_PS7_SA_NS0_8identityIS7_EEEE10hipError_tT2_T3_mT4_P12ihipStream_tbEUlT_E_NS1_11comp_targetILNS1_3genE3ELNS1_11target_archE908ELNS1_3gpuE7ELNS1_3repE0EEENS1_30default_config_static_selectorELNS0_4arch9wavefront6targetE1EEEvT1_,comdat
.Lfunc_end189:
	.size	_ZN7rocprim17ROCPRIM_400000_NS6detail17trampoline_kernelINS0_14default_configENS1_25transform_config_selectorIN3c107complexIdEELb1EEEZNS1_14transform_implILb1ES3_S8_PS7_SA_NS0_8identityIS7_EEEE10hipError_tT2_T3_mT4_P12ihipStream_tbEUlT_E_NS1_11comp_targetILNS1_3genE3ELNS1_11target_archE908ELNS1_3gpuE7ELNS1_3repE0EEENS1_30default_config_static_selectorELNS0_4arch9wavefront6targetE1EEEvT1_, .Lfunc_end189-_ZN7rocprim17ROCPRIM_400000_NS6detail17trampoline_kernelINS0_14default_configENS1_25transform_config_selectorIN3c107complexIdEELb1EEEZNS1_14transform_implILb1ES3_S8_PS7_SA_NS0_8identityIS7_EEEE10hipError_tT2_T3_mT4_P12ihipStream_tbEUlT_E_NS1_11comp_targetILNS1_3genE3ELNS1_11target_archE908ELNS1_3gpuE7ELNS1_3repE0EEENS1_30default_config_static_selectorELNS0_4arch9wavefront6targetE1EEEvT1_
                                        ; -- End function
	.set _ZN7rocprim17ROCPRIM_400000_NS6detail17trampoline_kernelINS0_14default_configENS1_25transform_config_selectorIN3c107complexIdEELb1EEEZNS1_14transform_implILb1ES3_S8_PS7_SA_NS0_8identityIS7_EEEE10hipError_tT2_T3_mT4_P12ihipStream_tbEUlT_E_NS1_11comp_targetILNS1_3genE3ELNS1_11target_archE908ELNS1_3gpuE7ELNS1_3repE0EEENS1_30default_config_static_selectorELNS0_4arch9wavefront6targetE1EEEvT1_.num_vgpr, 0
	.set _ZN7rocprim17ROCPRIM_400000_NS6detail17trampoline_kernelINS0_14default_configENS1_25transform_config_selectorIN3c107complexIdEELb1EEEZNS1_14transform_implILb1ES3_S8_PS7_SA_NS0_8identityIS7_EEEE10hipError_tT2_T3_mT4_P12ihipStream_tbEUlT_E_NS1_11comp_targetILNS1_3genE3ELNS1_11target_archE908ELNS1_3gpuE7ELNS1_3repE0EEENS1_30default_config_static_selectorELNS0_4arch9wavefront6targetE1EEEvT1_.num_agpr, 0
	.set _ZN7rocprim17ROCPRIM_400000_NS6detail17trampoline_kernelINS0_14default_configENS1_25transform_config_selectorIN3c107complexIdEELb1EEEZNS1_14transform_implILb1ES3_S8_PS7_SA_NS0_8identityIS7_EEEE10hipError_tT2_T3_mT4_P12ihipStream_tbEUlT_E_NS1_11comp_targetILNS1_3genE3ELNS1_11target_archE908ELNS1_3gpuE7ELNS1_3repE0EEENS1_30default_config_static_selectorELNS0_4arch9wavefront6targetE1EEEvT1_.numbered_sgpr, 0
	.set _ZN7rocprim17ROCPRIM_400000_NS6detail17trampoline_kernelINS0_14default_configENS1_25transform_config_selectorIN3c107complexIdEELb1EEEZNS1_14transform_implILb1ES3_S8_PS7_SA_NS0_8identityIS7_EEEE10hipError_tT2_T3_mT4_P12ihipStream_tbEUlT_E_NS1_11comp_targetILNS1_3genE3ELNS1_11target_archE908ELNS1_3gpuE7ELNS1_3repE0EEENS1_30default_config_static_selectorELNS0_4arch9wavefront6targetE1EEEvT1_.num_named_barrier, 0
	.set _ZN7rocprim17ROCPRIM_400000_NS6detail17trampoline_kernelINS0_14default_configENS1_25transform_config_selectorIN3c107complexIdEELb1EEEZNS1_14transform_implILb1ES3_S8_PS7_SA_NS0_8identityIS7_EEEE10hipError_tT2_T3_mT4_P12ihipStream_tbEUlT_E_NS1_11comp_targetILNS1_3genE3ELNS1_11target_archE908ELNS1_3gpuE7ELNS1_3repE0EEENS1_30default_config_static_selectorELNS0_4arch9wavefront6targetE1EEEvT1_.private_seg_size, 0
	.set _ZN7rocprim17ROCPRIM_400000_NS6detail17trampoline_kernelINS0_14default_configENS1_25transform_config_selectorIN3c107complexIdEELb1EEEZNS1_14transform_implILb1ES3_S8_PS7_SA_NS0_8identityIS7_EEEE10hipError_tT2_T3_mT4_P12ihipStream_tbEUlT_E_NS1_11comp_targetILNS1_3genE3ELNS1_11target_archE908ELNS1_3gpuE7ELNS1_3repE0EEENS1_30default_config_static_selectorELNS0_4arch9wavefront6targetE1EEEvT1_.uses_vcc, 0
	.set _ZN7rocprim17ROCPRIM_400000_NS6detail17trampoline_kernelINS0_14default_configENS1_25transform_config_selectorIN3c107complexIdEELb1EEEZNS1_14transform_implILb1ES3_S8_PS7_SA_NS0_8identityIS7_EEEE10hipError_tT2_T3_mT4_P12ihipStream_tbEUlT_E_NS1_11comp_targetILNS1_3genE3ELNS1_11target_archE908ELNS1_3gpuE7ELNS1_3repE0EEENS1_30default_config_static_selectorELNS0_4arch9wavefront6targetE1EEEvT1_.uses_flat_scratch, 0
	.set _ZN7rocprim17ROCPRIM_400000_NS6detail17trampoline_kernelINS0_14default_configENS1_25transform_config_selectorIN3c107complexIdEELb1EEEZNS1_14transform_implILb1ES3_S8_PS7_SA_NS0_8identityIS7_EEEE10hipError_tT2_T3_mT4_P12ihipStream_tbEUlT_E_NS1_11comp_targetILNS1_3genE3ELNS1_11target_archE908ELNS1_3gpuE7ELNS1_3repE0EEENS1_30default_config_static_selectorELNS0_4arch9wavefront6targetE1EEEvT1_.has_dyn_sized_stack, 0
	.set _ZN7rocprim17ROCPRIM_400000_NS6detail17trampoline_kernelINS0_14default_configENS1_25transform_config_selectorIN3c107complexIdEELb1EEEZNS1_14transform_implILb1ES3_S8_PS7_SA_NS0_8identityIS7_EEEE10hipError_tT2_T3_mT4_P12ihipStream_tbEUlT_E_NS1_11comp_targetILNS1_3genE3ELNS1_11target_archE908ELNS1_3gpuE7ELNS1_3repE0EEENS1_30default_config_static_selectorELNS0_4arch9wavefront6targetE1EEEvT1_.has_recursion, 0
	.set _ZN7rocprim17ROCPRIM_400000_NS6detail17trampoline_kernelINS0_14default_configENS1_25transform_config_selectorIN3c107complexIdEELb1EEEZNS1_14transform_implILb1ES3_S8_PS7_SA_NS0_8identityIS7_EEEE10hipError_tT2_T3_mT4_P12ihipStream_tbEUlT_E_NS1_11comp_targetILNS1_3genE3ELNS1_11target_archE908ELNS1_3gpuE7ELNS1_3repE0EEENS1_30default_config_static_selectorELNS0_4arch9wavefront6targetE1EEEvT1_.has_indirect_call, 0
	.section	.AMDGPU.csdata,"",@progbits
; Kernel info:
; codeLenInByte = 0
; TotalNumSgprs: 4
; NumVgprs: 0
; ScratchSize: 0
; MemoryBound: 0
; FloatMode: 240
; IeeeMode: 1
; LDSByteSize: 0 bytes/workgroup (compile time only)
; SGPRBlocks: 0
; VGPRBlocks: 0
; NumSGPRsForWavesPerEU: 4
; NumVGPRsForWavesPerEU: 1
; Occupancy: 10
; WaveLimiterHint : 0
; COMPUTE_PGM_RSRC2:SCRATCH_EN: 0
; COMPUTE_PGM_RSRC2:USER_SGPR: 6
; COMPUTE_PGM_RSRC2:TRAP_HANDLER: 0
; COMPUTE_PGM_RSRC2:TGID_X_EN: 1
; COMPUTE_PGM_RSRC2:TGID_Y_EN: 0
; COMPUTE_PGM_RSRC2:TGID_Z_EN: 0
; COMPUTE_PGM_RSRC2:TIDIG_COMP_CNT: 0
	.section	.text._ZN7rocprim17ROCPRIM_400000_NS6detail17trampoline_kernelINS0_14default_configENS1_25transform_config_selectorIN3c107complexIdEELb1EEEZNS1_14transform_implILb1ES3_S8_PS7_SA_NS0_8identityIS7_EEEE10hipError_tT2_T3_mT4_P12ihipStream_tbEUlT_E_NS1_11comp_targetILNS1_3genE2ELNS1_11target_archE906ELNS1_3gpuE6ELNS1_3repE0EEENS1_30default_config_static_selectorELNS0_4arch9wavefront6targetE1EEEvT1_,"axG",@progbits,_ZN7rocprim17ROCPRIM_400000_NS6detail17trampoline_kernelINS0_14default_configENS1_25transform_config_selectorIN3c107complexIdEELb1EEEZNS1_14transform_implILb1ES3_S8_PS7_SA_NS0_8identityIS7_EEEE10hipError_tT2_T3_mT4_P12ihipStream_tbEUlT_E_NS1_11comp_targetILNS1_3genE2ELNS1_11target_archE906ELNS1_3gpuE6ELNS1_3repE0EEENS1_30default_config_static_selectorELNS0_4arch9wavefront6targetE1EEEvT1_,comdat
	.protected	_ZN7rocprim17ROCPRIM_400000_NS6detail17trampoline_kernelINS0_14default_configENS1_25transform_config_selectorIN3c107complexIdEELb1EEEZNS1_14transform_implILb1ES3_S8_PS7_SA_NS0_8identityIS7_EEEE10hipError_tT2_T3_mT4_P12ihipStream_tbEUlT_E_NS1_11comp_targetILNS1_3genE2ELNS1_11target_archE906ELNS1_3gpuE6ELNS1_3repE0EEENS1_30default_config_static_selectorELNS0_4arch9wavefront6targetE1EEEvT1_ ; -- Begin function _ZN7rocprim17ROCPRIM_400000_NS6detail17trampoline_kernelINS0_14default_configENS1_25transform_config_selectorIN3c107complexIdEELb1EEEZNS1_14transform_implILb1ES3_S8_PS7_SA_NS0_8identityIS7_EEEE10hipError_tT2_T3_mT4_P12ihipStream_tbEUlT_E_NS1_11comp_targetILNS1_3genE2ELNS1_11target_archE906ELNS1_3gpuE6ELNS1_3repE0EEENS1_30default_config_static_selectorELNS0_4arch9wavefront6targetE1EEEvT1_
	.globl	_ZN7rocprim17ROCPRIM_400000_NS6detail17trampoline_kernelINS0_14default_configENS1_25transform_config_selectorIN3c107complexIdEELb1EEEZNS1_14transform_implILb1ES3_S8_PS7_SA_NS0_8identityIS7_EEEE10hipError_tT2_T3_mT4_P12ihipStream_tbEUlT_E_NS1_11comp_targetILNS1_3genE2ELNS1_11target_archE906ELNS1_3gpuE6ELNS1_3repE0EEENS1_30default_config_static_selectorELNS0_4arch9wavefront6targetE1EEEvT1_
	.p2align	8
	.type	_ZN7rocprim17ROCPRIM_400000_NS6detail17trampoline_kernelINS0_14default_configENS1_25transform_config_selectorIN3c107complexIdEELb1EEEZNS1_14transform_implILb1ES3_S8_PS7_SA_NS0_8identityIS7_EEEE10hipError_tT2_T3_mT4_P12ihipStream_tbEUlT_E_NS1_11comp_targetILNS1_3genE2ELNS1_11target_archE906ELNS1_3gpuE6ELNS1_3repE0EEENS1_30default_config_static_selectorELNS0_4arch9wavefront6targetE1EEEvT1_,@function
_ZN7rocprim17ROCPRIM_400000_NS6detail17trampoline_kernelINS0_14default_configENS1_25transform_config_selectorIN3c107complexIdEELb1EEEZNS1_14transform_implILb1ES3_S8_PS7_SA_NS0_8identityIS7_EEEE10hipError_tT2_T3_mT4_P12ihipStream_tbEUlT_E_NS1_11comp_targetILNS1_3genE2ELNS1_11target_archE906ELNS1_3gpuE6ELNS1_3repE0EEENS1_30default_config_static_selectorELNS0_4arch9wavefront6targetE1EEEvT1_: ; @_ZN7rocprim17ROCPRIM_400000_NS6detail17trampoline_kernelINS0_14default_configENS1_25transform_config_selectorIN3c107complexIdEELb1EEEZNS1_14transform_implILb1ES3_S8_PS7_SA_NS0_8identityIS7_EEEE10hipError_tT2_T3_mT4_P12ihipStream_tbEUlT_E_NS1_11comp_targetILNS1_3genE2ELNS1_11target_archE906ELNS1_3gpuE6ELNS1_3repE0EEENS1_30default_config_static_selectorELNS0_4arch9wavefront6targetE1EEEvT1_
; %bb.0:
	s_load_dword s1, s[4:5], 0x28
	s_load_dword s7, s[4:5], 0x10
	s_lshl_b32 s0, s6, 10
	s_waitcnt lgkmcnt(0)
	s_add_i32 s1, s1, -1
	s_cmp_lg_u32 s6, s1
	s_cselect_b64 s[2:3], -1, 0
	s_sub_i32 s1, s7, s0
	v_cmp_gt_u32_e32 vcc, s1, v0
	s_or_b64 s[2:3], vcc, s[2:3]
	s_and_saveexec_b64 s[6:7], s[2:3]
	s_cbranch_execz .LBB190_2
; %bb.1:
	s_load_dwordx4 s[8:11], s[4:5], 0x0
	s_load_dwordx2 s[2:3], s[4:5], 0x18
	s_mov_b32 s1, 0
	v_lshlrev_b32_e32 v4, 4, v0
	s_waitcnt lgkmcnt(0)
	s_lshl_b64 s[4:5], s[10:11], 4
	s_add_u32 s6, s8, s4
	s_addc_u32 s7, s9, s5
	s_lshl_b64 s[0:1], s[0:1], 4
	s_add_u32 s6, s6, s0
	s_addc_u32 s7, s7, s1
	global_load_dwordx4 v[0:3], v4, s[6:7]
	s_add_u32 s2, s2, s4
	s_addc_u32 s3, s3, s5
	s_add_u32 s0, s2, s0
	s_addc_u32 s1, s3, s1
	s_waitcnt vmcnt(0)
	global_store_dwordx4 v4, v[0:3], s[0:1]
.LBB190_2:
	s_endpgm
	.section	.rodata,"a",@progbits
	.p2align	6, 0x0
	.amdhsa_kernel _ZN7rocprim17ROCPRIM_400000_NS6detail17trampoline_kernelINS0_14default_configENS1_25transform_config_selectorIN3c107complexIdEELb1EEEZNS1_14transform_implILb1ES3_S8_PS7_SA_NS0_8identityIS7_EEEE10hipError_tT2_T3_mT4_P12ihipStream_tbEUlT_E_NS1_11comp_targetILNS1_3genE2ELNS1_11target_archE906ELNS1_3gpuE6ELNS1_3repE0EEENS1_30default_config_static_selectorELNS0_4arch9wavefront6targetE1EEEvT1_
		.amdhsa_group_segment_fixed_size 0
		.amdhsa_private_segment_fixed_size 0
		.amdhsa_kernarg_size 296
		.amdhsa_user_sgpr_count 6
		.amdhsa_user_sgpr_private_segment_buffer 1
		.amdhsa_user_sgpr_dispatch_ptr 0
		.amdhsa_user_sgpr_queue_ptr 0
		.amdhsa_user_sgpr_kernarg_segment_ptr 1
		.amdhsa_user_sgpr_dispatch_id 0
		.amdhsa_user_sgpr_flat_scratch_init 0
		.amdhsa_user_sgpr_private_segment_size 0
		.amdhsa_uses_dynamic_stack 0
		.amdhsa_system_sgpr_private_segment_wavefront_offset 0
		.amdhsa_system_sgpr_workgroup_id_x 1
		.amdhsa_system_sgpr_workgroup_id_y 0
		.amdhsa_system_sgpr_workgroup_id_z 0
		.amdhsa_system_sgpr_workgroup_info 0
		.amdhsa_system_vgpr_workitem_id 0
		.amdhsa_next_free_vgpr 5
		.amdhsa_next_free_sgpr 12
		.amdhsa_reserve_vcc 1
		.amdhsa_reserve_flat_scratch 0
		.amdhsa_float_round_mode_32 0
		.amdhsa_float_round_mode_16_64 0
		.amdhsa_float_denorm_mode_32 3
		.amdhsa_float_denorm_mode_16_64 3
		.amdhsa_dx10_clamp 1
		.amdhsa_ieee_mode 1
		.amdhsa_fp16_overflow 0
		.amdhsa_exception_fp_ieee_invalid_op 0
		.amdhsa_exception_fp_denorm_src 0
		.amdhsa_exception_fp_ieee_div_zero 0
		.amdhsa_exception_fp_ieee_overflow 0
		.amdhsa_exception_fp_ieee_underflow 0
		.amdhsa_exception_fp_ieee_inexact 0
		.amdhsa_exception_int_div_zero 0
	.end_amdhsa_kernel
	.section	.text._ZN7rocprim17ROCPRIM_400000_NS6detail17trampoline_kernelINS0_14default_configENS1_25transform_config_selectorIN3c107complexIdEELb1EEEZNS1_14transform_implILb1ES3_S8_PS7_SA_NS0_8identityIS7_EEEE10hipError_tT2_T3_mT4_P12ihipStream_tbEUlT_E_NS1_11comp_targetILNS1_3genE2ELNS1_11target_archE906ELNS1_3gpuE6ELNS1_3repE0EEENS1_30default_config_static_selectorELNS0_4arch9wavefront6targetE1EEEvT1_,"axG",@progbits,_ZN7rocprim17ROCPRIM_400000_NS6detail17trampoline_kernelINS0_14default_configENS1_25transform_config_selectorIN3c107complexIdEELb1EEEZNS1_14transform_implILb1ES3_S8_PS7_SA_NS0_8identityIS7_EEEE10hipError_tT2_T3_mT4_P12ihipStream_tbEUlT_E_NS1_11comp_targetILNS1_3genE2ELNS1_11target_archE906ELNS1_3gpuE6ELNS1_3repE0EEENS1_30default_config_static_selectorELNS0_4arch9wavefront6targetE1EEEvT1_,comdat
.Lfunc_end190:
	.size	_ZN7rocprim17ROCPRIM_400000_NS6detail17trampoline_kernelINS0_14default_configENS1_25transform_config_selectorIN3c107complexIdEELb1EEEZNS1_14transform_implILb1ES3_S8_PS7_SA_NS0_8identityIS7_EEEE10hipError_tT2_T3_mT4_P12ihipStream_tbEUlT_E_NS1_11comp_targetILNS1_3genE2ELNS1_11target_archE906ELNS1_3gpuE6ELNS1_3repE0EEENS1_30default_config_static_selectorELNS0_4arch9wavefront6targetE1EEEvT1_, .Lfunc_end190-_ZN7rocprim17ROCPRIM_400000_NS6detail17trampoline_kernelINS0_14default_configENS1_25transform_config_selectorIN3c107complexIdEELb1EEEZNS1_14transform_implILb1ES3_S8_PS7_SA_NS0_8identityIS7_EEEE10hipError_tT2_T3_mT4_P12ihipStream_tbEUlT_E_NS1_11comp_targetILNS1_3genE2ELNS1_11target_archE906ELNS1_3gpuE6ELNS1_3repE0EEENS1_30default_config_static_selectorELNS0_4arch9wavefront6targetE1EEEvT1_
                                        ; -- End function
	.set _ZN7rocprim17ROCPRIM_400000_NS6detail17trampoline_kernelINS0_14default_configENS1_25transform_config_selectorIN3c107complexIdEELb1EEEZNS1_14transform_implILb1ES3_S8_PS7_SA_NS0_8identityIS7_EEEE10hipError_tT2_T3_mT4_P12ihipStream_tbEUlT_E_NS1_11comp_targetILNS1_3genE2ELNS1_11target_archE906ELNS1_3gpuE6ELNS1_3repE0EEENS1_30default_config_static_selectorELNS0_4arch9wavefront6targetE1EEEvT1_.num_vgpr, 5
	.set _ZN7rocprim17ROCPRIM_400000_NS6detail17trampoline_kernelINS0_14default_configENS1_25transform_config_selectorIN3c107complexIdEELb1EEEZNS1_14transform_implILb1ES3_S8_PS7_SA_NS0_8identityIS7_EEEE10hipError_tT2_T3_mT4_P12ihipStream_tbEUlT_E_NS1_11comp_targetILNS1_3genE2ELNS1_11target_archE906ELNS1_3gpuE6ELNS1_3repE0EEENS1_30default_config_static_selectorELNS0_4arch9wavefront6targetE1EEEvT1_.num_agpr, 0
	.set _ZN7rocprim17ROCPRIM_400000_NS6detail17trampoline_kernelINS0_14default_configENS1_25transform_config_selectorIN3c107complexIdEELb1EEEZNS1_14transform_implILb1ES3_S8_PS7_SA_NS0_8identityIS7_EEEE10hipError_tT2_T3_mT4_P12ihipStream_tbEUlT_E_NS1_11comp_targetILNS1_3genE2ELNS1_11target_archE906ELNS1_3gpuE6ELNS1_3repE0EEENS1_30default_config_static_selectorELNS0_4arch9wavefront6targetE1EEEvT1_.numbered_sgpr, 12
	.set _ZN7rocprim17ROCPRIM_400000_NS6detail17trampoline_kernelINS0_14default_configENS1_25transform_config_selectorIN3c107complexIdEELb1EEEZNS1_14transform_implILb1ES3_S8_PS7_SA_NS0_8identityIS7_EEEE10hipError_tT2_T3_mT4_P12ihipStream_tbEUlT_E_NS1_11comp_targetILNS1_3genE2ELNS1_11target_archE906ELNS1_3gpuE6ELNS1_3repE0EEENS1_30default_config_static_selectorELNS0_4arch9wavefront6targetE1EEEvT1_.num_named_barrier, 0
	.set _ZN7rocprim17ROCPRIM_400000_NS6detail17trampoline_kernelINS0_14default_configENS1_25transform_config_selectorIN3c107complexIdEELb1EEEZNS1_14transform_implILb1ES3_S8_PS7_SA_NS0_8identityIS7_EEEE10hipError_tT2_T3_mT4_P12ihipStream_tbEUlT_E_NS1_11comp_targetILNS1_3genE2ELNS1_11target_archE906ELNS1_3gpuE6ELNS1_3repE0EEENS1_30default_config_static_selectorELNS0_4arch9wavefront6targetE1EEEvT1_.private_seg_size, 0
	.set _ZN7rocprim17ROCPRIM_400000_NS6detail17trampoline_kernelINS0_14default_configENS1_25transform_config_selectorIN3c107complexIdEELb1EEEZNS1_14transform_implILb1ES3_S8_PS7_SA_NS0_8identityIS7_EEEE10hipError_tT2_T3_mT4_P12ihipStream_tbEUlT_E_NS1_11comp_targetILNS1_3genE2ELNS1_11target_archE906ELNS1_3gpuE6ELNS1_3repE0EEENS1_30default_config_static_selectorELNS0_4arch9wavefront6targetE1EEEvT1_.uses_vcc, 1
	.set _ZN7rocprim17ROCPRIM_400000_NS6detail17trampoline_kernelINS0_14default_configENS1_25transform_config_selectorIN3c107complexIdEELb1EEEZNS1_14transform_implILb1ES3_S8_PS7_SA_NS0_8identityIS7_EEEE10hipError_tT2_T3_mT4_P12ihipStream_tbEUlT_E_NS1_11comp_targetILNS1_3genE2ELNS1_11target_archE906ELNS1_3gpuE6ELNS1_3repE0EEENS1_30default_config_static_selectorELNS0_4arch9wavefront6targetE1EEEvT1_.uses_flat_scratch, 0
	.set _ZN7rocprim17ROCPRIM_400000_NS6detail17trampoline_kernelINS0_14default_configENS1_25transform_config_selectorIN3c107complexIdEELb1EEEZNS1_14transform_implILb1ES3_S8_PS7_SA_NS0_8identityIS7_EEEE10hipError_tT2_T3_mT4_P12ihipStream_tbEUlT_E_NS1_11comp_targetILNS1_3genE2ELNS1_11target_archE906ELNS1_3gpuE6ELNS1_3repE0EEENS1_30default_config_static_selectorELNS0_4arch9wavefront6targetE1EEEvT1_.has_dyn_sized_stack, 0
	.set _ZN7rocprim17ROCPRIM_400000_NS6detail17trampoline_kernelINS0_14default_configENS1_25transform_config_selectorIN3c107complexIdEELb1EEEZNS1_14transform_implILb1ES3_S8_PS7_SA_NS0_8identityIS7_EEEE10hipError_tT2_T3_mT4_P12ihipStream_tbEUlT_E_NS1_11comp_targetILNS1_3genE2ELNS1_11target_archE906ELNS1_3gpuE6ELNS1_3repE0EEENS1_30default_config_static_selectorELNS0_4arch9wavefront6targetE1EEEvT1_.has_recursion, 0
	.set _ZN7rocprim17ROCPRIM_400000_NS6detail17trampoline_kernelINS0_14default_configENS1_25transform_config_selectorIN3c107complexIdEELb1EEEZNS1_14transform_implILb1ES3_S8_PS7_SA_NS0_8identityIS7_EEEE10hipError_tT2_T3_mT4_P12ihipStream_tbEUlT_E_NS1_11comp_targetILNS1_3genE2ELNS1_11target_archE906ELNS1_3gpuE6ELNS1_3repE0EEENS1_30default_config_static_selectorELNS0_4arch9wavefront6targetE1EEEvT1_.has_indirect_call, 0
	.section	.AMDGPU.csdata,"",@progbits
; Kernel info:
; codeLenInByte = 148
; TotalNumSgprs: 16
; NumVgprs: 5
; ScratchSize: 0
; MemoryBound: 0
; FloatMode: 240
; IeeeMode: 1
; LDSByteSize: 0 bytes/workgroup (compile time only)
; SGPRBlocks: 1
; VGPRBlocks: 1
; NumSGPRsForWavesPerEU: 16
; NumVGPRsForWavesPerEU: 5
; Occupancy: 10
; WaveLimiterHint : 0
; COMPUTE_PGM_RSRC2:SCRATCH_EN: 0
; COMPUTE_PGM_RSRC2:USER_SGPR: 6
; COMPUTE_PGM_RSRC2:TRAP_HANDLER: 0
; COMPUTE_PGM_RSRC2:TGID_X_EN: 1
; COMPUTE_PGM_RSRC2:TGID_Y_EN: 0
; COMPUTE_PGM_RSRC2:TGID_Z_EN: 0
; COMPUTE_PGM_RSRC2:TIDIG_COMP_CNT: 0
	.section	.text._ZN7rocprim17ROCPRIM_400000_NS6detail17trampoline_kernelINS0_14default_configENS1_25transform_config_selectorIN3c107complexIdEELb1EEEZNS1_14transform_implILb1ES3_S8_PS7_SA_NS0_8identityIS7_EEEE10hipError_tT2_T3_mT4_P12ihipStream_tbEUlT_E_NS1_11comp_targetILNS1_3genE9ELNS1_11target_archE1100ELNS1_3gpuE3ELNS1_3repE0EEENS1_30default_config_static_selectorELNS0_4arch9wavefront6targetE1EEEvT1_,"axG",@progbits,_ZN7rocprim17ROCPRIM_400000_NS6detail17trampoline_kernelINS0_14default_configENS1_25transform_config_selectorIN3c107complexIdEELb1EEEZNS1_14transform_implILb1ES3_S8_PS7_SA_NS0_8identityIS7_EEEE10hipError_tT2_T3_mT4_P12ihipStream_tbEUlT_E_NS1_11comp_targetILNS1_3genE9ELNS1_11target_archE1100ELNS1_3gpuE3ELNS1_3repE0EEENS1_30default_config_static_selectorELNS0_4arch9wavefront6targetE1EEEvT1_,comdat
	.protected	_ZN7rocprim17ROCPRIM_400000_NS6detail17trampoline_kernelINS0_14default_configENS1_25transform_config_selectorIN3c107complexIdEELb1EEEZNS1_14transform_implILb1ES3_S8_PS7_SA_NS0_8identityIS7_EEEE10hipError_tT2_T3_mT4_P12ihipStream_tbEUlT_E_NS1_11comp_targetILNS1_3genE9ELNS1_11target_archE1100ELNS1_3gpuE3ELNS1_3repE0EEENS1_30default_config_static_selectorELNS0_4arch9wavefront6targetE1EEEvT1_ ; -- Begin function _ZN7rocprim17ROCPRIM_400000_NS6detail17trampoline_kernelINS0_14default_configENS1_25transform_config_selectorIN3c107complexIdEELb1EEEZNS1_14transform_implILb1ES3_S8_PS7_SA_NS0_8identityIS7_EEEE10hipError_tT2_T3_mT4_P12ihipStream_tbEUlT_E_NS1_11comp_targetILNS1_3genE9ELNS1_11target_archE1100ELNS1_3gpuE3ELNS1_3repE0EEENS1_30default_config_static_selectorELNS0_4arch9wavefront6targetE1EEEvT1_
	.globl	_ZN7rocprim17ROCPRIM_400000_NS6detail17trampoline_kernelINS0_14default_configENS1_25transform_config_selectorIN3c107complexIdEELb1EEEZNS1_14transform_implILb1ES3_S8_PS7_SA_NS0_8identityIS7_EEEE10hipError_tT2_T3_mT4_P12ihipStream_tbEUlT_E_NS1_11comp_targetILNS1_3genE9ELNS1_11target_archE1100ELNS1_3gpuE3ELNS1_3repE0EEENS1_30default_config_static_selectorELNS0_4arch9wavefront6targetE1EEEvT1_
	.p2align	8
	.type	_ZN7rocprim17ROCPRIM_400000_NS6detail17trampoline_kernelINS0_14default_configENS1_25transform_config_selectorIN3c107complexIdEELb1EEEZNS1_14transform_implILb1ES3_S8_PS7_SA_NS0_8identityIS7_EEEE10hipError_tT2_T3_mT4_P12ihipStream_tbEUlT_E_NS1_11comp_targetILNS1_3genE9ELNS1_11target_archE1100ELNS1_3gpuE3ELNS1_3repE0EEENS1_30default_config_static_selectorELNS0_4arch9wavefront6targetE1EEEvT1_,@function
_ZN7rocprim17ROCPRIM_400000_NS6detail17trampoline_kernelINS0_14default_configENS1_25transform_config_selectorIN3c107complexIdEELb1EEEZNS1_14transform_implILb1ES3_S8_PS7_SA_NS0_8identityIS7_EEEE10hipError_tT2_T3_mT4_P12ihipStream_tbEUlT_E_NS1_11comp_targetILNS1_3genE9ELNS1_11target_archE1100ELNS1_3gpuE3ELNS1_3repE0EEENS1_30default_config_static_selectorELNS0_4arch9wavefront6targetE1EEEvT1_: ; @_ZN7rocprim17ROCPRIM_400000_NS6detail17trampoline_kernelINS0_14default_configENS1_25transform_config_selectorIN3c107complexIdEELb1EEEZNS1_14transform_implILb1ES3_S8_PS7_SA_NS0_8identityIS7_EEEE10hipError_tT2_T3_mT4_P12ihipStream_tbEUlT_E_NS1_11comp_targetILNS1_3genE9ELNS1_11target_archE1100ELNS1_3gpuE3ELNS1_3repE0EEENS1_30default_config_static_selectorELNS0_4arch9wavefront6targetE1EEEvT1_
; %bb.0:
	.section	.rodata,"a",@progbits
	.p2align	6, 0x0
	.amdhsa_kernel _ZN7rocprim17ROCPRIM_400000_NS6detail17trampoline_kernelINS0_14default_configENS1_25transform_config_selectorIN3c107complexIdEELb1EEEZNS1_14transform_implILb1ES3_S8_PS7_SA_NS0_8identityIS7_EEEE10hipError_tT2_T3_mT4_P12ihipStream_tbEUlT_E_NS1_11comp_targetILNS1_3genE9ELNS1_11target_archE1100ELNS1_3gpuE3ELNS1_3repE0EEENS1_30default_config_static_selectorELNS0_4arch9wavefront6targetE1EEEvT1_
		.amdhsa_group_segment_fixed_size 0
		.amdhsa_private_segment_fixed_size 0
		.amdhsa_kernarg_size 40
		.amdhsa_user_sgpr_count 6
		.amdhsa_user_sgpr_private_segment_buffer 1
		.amdhsa_user_sgpr_dispatch_ptr 0
		.amdhsa_user_sgpr_queue_ptr 0
		.amdhsa_user_sgpr_kernarg_segment_ptr 1
		.amdhsa_user_sgpr_dispatch_id 0
		.amdhsa_user_sgpr_flat_scratch_init 0
		.amdhsa_user_sgpr_private_segment_size 0
		.amdhsa_uses_dynamic_stack 0
		.amdhsa_system_sgpr_private_segment_wavefront_offset 0
		.amdhsa_system_sgpr_workgroup_id_x 1
		.amdhsa_system_sgpr_workgroup_id_y 0
		.amdhsa_system_sgpr_workgroup_id_z 0
		.amdhsa_system_sgpr_workgroup_info 0
		.amdhsa_system_vgpr_workitem_id 0
		.amdhsa_next_free_vgpr 1
		.amdhsa_next_free_sgpr 0
		.amdhsa_reserve_vcc 0
		.amdhsa_reserve_flat_scratch 0
		.amdhsa_float_round_mode_32 0
		.amdhsa_float_round_mode_16_64 0
		.amdhsa_float_denorm_mode_32 3
		.amdhsa_float_denorm_mode_16_64 3
		.amdhsa_dx10_clamp 1
		.amdhsa_ieee_mode 1
		.amdhsa_fp16_overflow 0
		.amdhsa_exception_fp_ieee_invalid_op 0
		.amdhsa_exception_fp_denorm_src 0
		.amdhsa_exception_fp_ieee_div_zero 0
		.amdhsa_exception_fp_ieee_overflow 0
		.amdhsa_exception_fp_ieee_underflow 0
		.amdhsa_exception_fp_ieee_inexact 0
		.amdhsa_exception_int_div_zero 0
	.end_amdhsa_kernel
	.section	.text._ZN7rocprim17ROCPRIM_400000_NS6detail17trampoline_kernelINS0_14default_configENS1_25transform_config_selectorIN3c107complexIdEELb1EEEZNS1_14transform_implILb1ES3_S8_PS7_SA_NS0_8identityIS7_EEEE10hipError_tT2_T3_mT4_P12ihipStream_tbEUlT_E_NS1_11comp_targetILNS1_3genE9ELNS1_11target_archE1100ELNS1_3gpuE3ELNS1_3repE0EEENS1_30default_config_static_selectorELNS0_4arch9wavefront6targetE1EEEvT1_,"axG",@progbits,_ZN7rocprim17ROCPRIM_400000_NS6detail17trampoline_kernelINS0_14default_configENS1_25transform_config_selectorIN3c107complexIdEELb1EEEZNS1_14transform_implILb1ES3_S8_PS7_SA_NS0_8identityIS7_EEEE10hipError_tT2_T3_mT4_P12ihipStream_tbEUlT_E_NS1_11comp_targetILNS1_3genE9ELNS1_11target_archE1100ELNS1_3gpuE3ELNS1_3repE0EEENS1_30default_config_static_selectorELNS0_4arch9wavefront6targetE1EEEvT1_,comdat
.Lfunc_end191:
	.size	_ZN7rocprim17ROCPRIM_400000_NS6detail17trampoline_kernelINS0_14default_configENS1_25transform_config_selectorIN3c107complexIdEELb1EEEZNS1_14transform_implILb1ES3_S8_PS7_SA_NS0_8identityIS7_EEEE10hipError_tT2_T3_mT4_P12ihipStream_tbEUlT_E_NS1_11comp_targetILNS1_3genE9ELNS1_11target_archE1100ELNS1_3gpuE3ELNS1_3repE0EEENS1_30default_config_static_selectorELNS0_4arch9wavefront6targetE1EEEvT1_, .Lfunc_end191-_ZN7rocprim17ROCPRIM_400000_NS6detail17trampoline_kernelINS0_14default_configENS1_25transform_config_selectorIN3c107complexIdEELb1EEEZNS1_14transform_implILb1ES3_S8_PS7_SA_NS0_8identityIS7_EEEE10hipError_tT2_T3_mT4_P12ihipStream_tbEUlT_E_NS1_11comp_targetILNS1_3genE9ELNS1_11target_archE1100ELNS1_3gpuE3ELNS1_3repE0EEENS1_30default_config_static_selectorELNS0_4arch9wavefront6targetE1EEEvT1_
                                        ; -- End function
	.set _ZN7rocprim17ROCPRIM_400000_NS6detail17trampoline_kernelINS0_14default_configENS1_25transform_config_selectorIN3c107complexIdEELb1EEEZNS1_14transform_implILb1ES3_S8_PS7_SA_NS0_8identityIS7_EEEE10hipError_tT2_T3_mT4_P12ihipStream_tbEUlT_E_NS1_11comp_targetILNS1_3genE9ELNS1_11target_archE1100ELNS1_3gpuE3ELNS1_3repE0EEENS1_30default_config_static_selectorELNS0_4arch9wavefront6targetE1EEEvT1_.num_vgpr, 0
	.set _ZN7rocprim17ROCPRIM_400000_NS6detail17trampoline_kernelINS0_14default_configENS1_25transform_config_selectorIN3c107complexIdEELb1EEEZNS1_14transform_implILb1ES3_S8_PS7_SA_NS0_8identityIS7_EEEE10hipError_tT2_T3_mT4_P12ihipStream_tbEUlT_E_NS1_11comp_targetILNS1_3genE9ELNS1_11target_archE1100ELNS1_3gpuE3ELNS1_3repE0EEENS1_30default_config_static_selectorELNS0_4arch9wavefront6targetE1EEEvT1_.num_agpr, 0
	.set _ZN7rocprim17ROCPRIM_400000_NS6detail17trampoline_kernelINS0_14default_configENS1_25transform_config_selectorIN3c107complexIdEELb1EEEZNS1_14transform_implILb1ES3_S8_PS7_SA_NS0_8identityIS7_EEEE10hipError_tT2_T3_mT4_P12ihipStream_tbEUlT_E_NS1_11comp_targetILNS1_3genE9ELNS1_11target_archE1100ELNS1_3gpuE3ELNS1_3repE0EEENS1_30default_config_static_selectorELNS0_4arch9wavefront6targetE1EEEvT1_.numbered_sgpr, 0
	.set _ZN7rocprim17ROCPRIM_400000_NS6detail17trampoline_kernelINS0_14default_configENS1_25transform_config_selectorIN3c107complexIdEELb1EEEZNS1_14transform_implILb1ES3_S8_PS7_SA_NS0_8identityIS7_EEEE10hipError_tT2_T3_mT4_P12ihipStream_tbEUlT_E_NS1_11comp_targetILNS1_3genE9ELNS1_11target_archE1100ELNS1_3gpuE3ELNS1_3repE0EEENS1_30default_config_static_selectorELNS0_4arch9wavefront6targetE1EEEvT1_.num_named_barrier, 0
	.set _ZN7rocprim17ROCPRIM_400000_NS6detail17trampoline_kernelINS0_14default_configENS1_25transform_config_selectorIN3c107complexIdEELb1EEEZNS1_14transform_implILb1ES3_S8_PS7_SA_NS0_8identityIS7_EEEE10hipError_tT2_T3_mT4_P12ihipStream_tbEUlT_E_NS1_11comp_targetILNS1_3genE9ELNS1_11target_archE1100ELNS1_3gpuE3ELNS1_3repE0EEENS1_30default_config_static_selectorELNS0_4arch9wavefront6targetE1EEEvT1_.private_seg_size, 0
	.set _ZN7rocprim17ROCPRIM_400000_NS6detail17trampoline_kernelINS0_14default_configENS1_25transform_config_selectorIN3c107complexIdEELb1EEEZNS1_14transform_implILb1ES3_S8_PS7_SA_NS0_8identityIS7_EEEE10hipError_tT2_T3_mT4_P12ihipStream_tbEUlT_E_NS1_11comp_targetILNS1_3genE9ELNS1_11target_archE1100ELNS1_3gpuE3ELNS1_3repE0EEENS1_30default_config_static_selectorELNS0_4arch9wavefront6targetE1EEEvT1_.uses_vcc, 0
	.set _ZN7rocprim17ROCPRIM_400000_NS6detail17trampoline_kernelINS0_14default_configENS1_25transform_config_selectorIN3c107complexIdEELb1EEEZNS1_14transform_implILb1ES3_S8_PS7_SA_NS0_8identityIS7_EEEE10hipError_tT2_T3_mT4_P12ihipStream_tbEUlT_E_NS1_11comp_targetILNS1_3genE9ELNS1_11target_archE1100ELNS1_3gpuE3ELNS1_3repE0EEENS1_30default_config_static_selectorELNS0_4arch9wavefront6targetE1EEEvT1_.uses_flat_scratch, 0
	.set _ZN7rocprim17ROCPRIM_400000_NS6detail17trampoline_kernelINS0_14default_configENS1_25transform_config_selectorIN3c107complexIdEELb1EEEZNS1_14transform_implILb1ES3_S8_PS7_SA_NS0_8identityIS7_EEEE10hipError_tT2_T3_mT4_P12ihipStream_tbEUlT_E_NS1_11comp_targetILNS1_3genE9ELNS1_11target_archE1100ELNS1_3gpuE3ELNS1_3repE0EEENS1_30default_config_static_selectorELNS0_4arch9wavefront6targetE1EEEvT1_.has_dyn_sized_stack, 0
	.set _ZN7rocprim17ROCPRIM_400000_NS6detail17trampoline_kernelINS0_14default_configENS1_25transform_config_selectorIN3c107complexIdEELb1EEEZNS1_14transform_implILb1ES3_S8_PS7_SA_NS0_8identityIS7_EEEE10hipError_tT2_T3_mT4_P12ihipStream_tbEUlT_E_NS1_11comp_targetILNS1_3genE9ELNS1_11target_archE1100ELNS1_3gpuE3ELNS1_3repE0EEENS1_30default_config_static_selectorELNS0_4arch9wavefront6targetE1EEEvT1_.has_recursion, 0
	.set _ZN7rocprim17ROCPRIM_400000_NS6detail17trampoline_kernelINS0_14default_configENS1_25transform_config_selectorIN3c107complexIdEELb1EEEZNS1_14transform_implILb1ES3_S8_PS7_SA_NS0_8identityIS7_EEEE10hipError_tT2_T3_mT4_P12ihipStream_tbEUlT_E_NS1_11comp_targetILNS1_3genE9ELNS1_11target_archE1100ELNS1_3gpuE3ELNS1_3repE0EEENS1_30default_config_static_selectorELNS0_4arch9wavefront6targetE1EEEvT1_.has_indirect_call, 0
	.section	.AMDGPU.csdata,"",@progbits
; Kernel info:
; codeLenInByte = 0
; TotalNumSgprs: 4
; NumVgprs: 0
; ScratchSize: 0
; MemoryBound: 0
; FloatMode: 240
; IeeeMode: 1
; LDSByteSize: 0 bytes/workgroup (compile time only)
; SGPRBlocks: 0
; VGPRBlocks: 0
; NumSGPRsForWavesPerEU: 4
; NumVGPRsForWavesPerEU: 1
; Occupancy: 10
; WaveLimiterHint : 0
; COMPUTE_PGM_RSRC2:SCRATCH_EN: 0
; COMPUTE_PGM_RSRC2:USER_SGPR: 6
; COMPUTE_PGM_RSRC2:TRAP_HANDLER: 0
; COMPUTE_PGM_RSRC2:TGID_X_EN: 1
; COMPUTE_PGM_RSRC2:TGID_Y_EN: 0
; COMPUTE_PGM_RSRC2:TGID_Z_EN: 0
; COMPUTE_PGM_RSRC2:TIDIG_COMP_CNT: 0
	.section	.text._ZN7rocprim17ROCPRIM_400000_NS6detail17trampoline_kernelINS0_14default_configENS1_25transform_config_selectorIN3c107complexIdEELb1EEEZNS1_14transform_implILb1ES3_S8_PS7_SA_NS0_8identityIS7_EEEE10hipError_tT2_T3_mT4_P12ihipStream_tbEUlT_E_NS1_11comp_targetILNS1_3genE8ELNS1_11target_archE1030ELNS1_3gpuE2ELNS1_3repE0EEENS1_30default_config_static_selectorELNS0_4arch9wavefront6targetE1EEEvT1_,"axG",@progbits,_ZN7rocprim17ROCPRIM_400000_NS6detail17trampoline_kernelINS0_14default_configENS1_25transform_config_selectorIN3c107complexIdEELb1EEEZNS1_14transform_implILb1ES3_S8_PS7_SA_NS0_8identityIS7_EEEE10hipError_tT2_T3_mT4_P12ihipStream_tbEUlT_E_NS1_11comp_targetILNS1_3genE8ELNS1_11target_archE1030ELNS1_3gpuE2ELNS1_3repE0EEENS1_30default_config_static_selectorELNS0_4arch9wavefront6targetE1EEEvT1_,comdat
	.protected	_ZN7rocprim17ROCPRIM_400000_NS6detail17trampoline_kernelINS0_14default_configENS1_25transform_config_selectorIN3c107complexIdEELb1EEEZNS1_14transform_implILb1ES3_S8_PS7_SA_NS0_8identityIS7_EEEE10hipError_tT2_T3_mT4_P12ihipStream_tbEUlT_E_NS1_11comp_targetILNS1_3genE8ELNS1_11target_archE1030ELNS1_3gpuE2ELNS1_3repE0EEENS1_30default_config_static_selectorELNS0_4arch9wavefront6targetE1EEEvT1_ ; -- Begin function _ZN7rocprim17ROCPRIM_400000_NS6detail17trampoline_kernelINS0_14default_configENS1_25transform_config_selectorIN3c107complexIdEELb1EEEZNS1_14transform_implILb1ES3_S8_PS7_SA_NS0_8identityIS7_EEEE10hipError_tT2_T3_mT4_P12ihipStream_tbEUlT_E_NS1_11comp_targetILNS1_3genE8ELNS1_11target_archE1030ELNS1_3gpuE2ELNS1_3repE0EEENS1_30default_config_static_selectorELNS0_4arch9wavefront6targetE1EEEvT1_
	.globl	_ZN7rocprim17ROCPRIM_400000_NS6detail17trampoline_kernelINS0_14default_configENS1_25transform_config_selectorIN3c107complexIdEELb1EEEZNS1_14transform_implILb1ES3_S8_PS7_SA_NS0_8identityIS7_EEEE10hipError_tT2_T3_mT4_P12ihipStream_tbEUlT_E_NS1_11comp_targetILNS1_3genE8ELNS1_11target_archE1030ELNS1_3gpuE2ELNS1_3repE0EEENS1_30default_config_static_selectorELNS0_4arch9wavefront6targetE1EEEvT1_
	.p2align	8
	.type	_ZN7rocprim17ROCPRIM_400000_NS6detail17trampoline_kernelINS0_14default_configENS1_25transform_config_selectorIN3c107complexIdEELb1EEEZNS1_14transform_implILb1ES3_S8_PS7_SA_NS0_8identityIS7_EEEE10hipError_tT2_T3_mT4_P12ihipStream_tbEUlT_E_NS1_11comp_targetILNS1_3genE8ELNS1_11target_archE1030ELNS1_3gpuE2ELNS1_3repE0EEENS1_30default_config_static_selectorELNS0_4arch9wavefront6targetE1EEEvT1_,@function
_ZN7rocprim17ROCPRIM_400000_NS6detail17trampoline_kernelINS0_14default_configENS1_25transform_config_selectorIN3c107complexIdEELb1EEEZNS1_14transform_implILb1ES3_S8_PS7_SA_NS0_8identityIS7_EEEE10hipError_tT2_T3_mT4_P12ihipStream_tbEUlT_E_NS1_11comp_targetILNS1_3genE8ELNS1_11target_archE1030ELNS1_3gpuE2ELNS1_3repE0EEENS1_30default_config_static_selectorELNS0_4arch9wavefront6targetE1EEEvT1_: ; @_ZN7rocprim17ROCPRIM_400000_NS6detail17trampoline_kernelINS0_14default_configENS1_25transform_config_selectorIN3c107complexIdEELb1EEEZNS1_14transform_implILb1ES3_S8_PS7_SA_NS0_8identityIS7_EEEE10hipError_tT2_T3_mT4_P12ihipStream_tbEUlT_E_NS1_11comp_targetILNS1_3genE8ELNS1_11target_archE1030ELNS1_3gpuE2ELNS1_3repE0EEENS1_30default_config_static_selectorELNS0_4arch9wavefront6targetE1EEEvT1_
; %bb.0:
	.section	.rodata,"a",@progbits
	.p2align	6, 0x0
	.amdhsa_kernel _ZN7rocprim17ROCPRIM_400000_NS6detail17trampoline_kernelINS0_14default_configENS1_25transform_config_selectorIN3c107complexIdEELb1EEEZNS1_14transform_implILb1ES3_S8_PS7_SA_NS0_8identityIS7_EEEE10hipError_tT2_T3_mT4_P12ihipStream_tbEUlT_E_NS1_11comp_targetILNS1_3genE8ELNS1_11target_archE1030ELNS1_3gpuE2ELNS1_3repE0EEENS1_30default_config_static_selectorELNS0_4arch9wavefront6targetE1EEEvT1_
		.amdhsa_group_segment_fixed_size 0
		.amdhsa_private_segment_fixed_size 0
		.amdhsa_kernarg_size 40
		.amdhsa_user_sgpr_count 6
		.amdhsa_user_sgpr_private_segment_buffer 1
		.amdhsa_user_sgpr_dispatch_ptr 0
		.amdhsa_user_sgpr_queue_ptr 0
		.amdhsa_user_sgpr_kernarg_segment_ptr 1
		.amdhsa_user_sgpr_dispatch_id 0
		.amdhsa_user_sgpr_flat_scratch_init 0
		.amdhsa_user_sgpr_private_segment_size 0
		.amdhsa_uses_dynamic_stack 0
		.amdhsa_system_sgpr_private_segment_wavefront_offset 0
		.amdhsa_system_sgpr_workgroup_id_x 1
		.amdhsa_system_sgpr_workgroup_id_y 0
		.amdhsa_system_sgpr_workgroup_id_z 0
		.amdhsa_system_sgpr_workgroup_info 0
		.amdhsa_system_vgpr_workitem_id 0
		.amdhsa_next_free_vgpr 1
		.amdhsa_next_free_sgpr 0
		.amdhsa_reserve_vcc 0
		.amdhsa_reserve_flat_scratch 0
		.amdhsa_float_round_mode_32 0
		.amdhsa_float_round_mode_16_64 0
		.amdhsa_float_denorm_mode_32 3
		.amdhsa_float_denorm_mode_16_64 3
		.amdhsa_dx10_clamp 1
		.amdhsa_ieee_mode 1
		.amdhsa_fp16_overflow 0
		.amdhsa_exception_fp_ieee_invalid_op 0
		.amdhsa_exception_fp_denorm_src 0
		.amdhsa_exception_fp_ieee_div_zero 0
		.amdhsa_exception_fp_ieee_overflow 0
		.amdhsa_exception_fp_ieee_underflow 0
		.amdhsa_exception_fp_ieee_inexact 0
		.amdhsa_exception_int_div_zero 0
	.end_amdhsa_kernel
	.section	.text._ZN7rocprim17ROCPRIM_400000_NS6detail17trampoline_kernelINS0_14default_configENS1_25transform_config_selectorIN3c107complexIdEELb1EEEZNS1_14transform_implILb1ES3_S8_PS7_SA_NS0_8identityIS7_EEEE10hipError_tT2_T3_mT4_P12ihipStream_tbEUlT_E_NS1_11comp_targetILNS1_3genE8ELNS1_11target_archE1030ELNS1_3gpuE2ELNS1_3repE0EEENS1_30default_config_static_selectorELNS0_4arch9wavefront6targetE1EEEvT1_,"axG",@progbits,_ZN7rocprim17ROCPRIM_400000_NS6detail17trampoline_kernelINS0_14default_configENS1_25transform_config_selectorIN3c107complexIdEELb1EEEZNS1_14transform_implILb1ES3_S8_PS7_SA_NS0_8identityIS7_EEEE10hipError_tT2_T3_mT4_P12ihipStream_tbEUlT_E_NS1_11comp_targetILNS1_3genE8ELNS1_11target_archE1030ELNS1_3gpuE2ELNS1_3repE0EEENS1_30default_config_static_selectorELNS0_4arch9wavefront6targetE1EEEvT1_,comdat
.Lfunc_end192:
	.size	_ZN7rocprim17ROCPRIM_400000_NS6detail17trampoline_kernelINS0_14default_configENS1_25transform_config_selectorIN3c107complexIdEELb1EEEZNS1_14transform_implILb1ES3_S8_PS7_SA_NS0_8identityIS7_EEEE10hipError_tT2_T3_mT4_P12ihipStream_tbEUlT_E_NS1_11comp_targetILNS1_3genE8ELNS1_11target_archE1030ELNS1_3gpuE2ELNS1_3repE0EEENS1_30default_config_static_selectorELNS0_4arch9wavefront6targetE1EEEvT1_, .Lfunc_end192-_ZN7rocprim17ROCPRIM_400000_NS6detail17trampoline_kernelINS0_14default_configENS1_25transform_config_selectorIN3c107complexIdEELb1EEEZNS1_14transform_implILb1ES3_S8_PS7_SA_NS0_8identityIS7_EEEE10hipError_tT2_T3_mT4_P12ihipStream_tbEUlT_E_NS1_11comp_targetILNS1_3genE8ELNS1_11target_archE1030ELNS1_3gpuE2ELNS1_3repE0EEENS1_30default_config_static_selectorELNS0_4arch9wavefront6targetE1EEEvT1_
                                        ; -- End function
	.set _ZN7rocprim17ROCPRIM_400000_NS6detail17trampoline_kernelINS0_14default_configENS1_25transform_config_selectorIN3c107complexIdEELb1EEEZNS1_14transform_implILb1ES3_S8_PS7_SA_NS0_8identityIS7_EEEE10hipError_tT2_T3_mT4_P12ihipStream_tbEUlT_E_NS1_11comp_targetILNS1_3genE8ELNS1_11target_archE1030ELNS1_3gpuE2ELNS1_3repE0EEENS1_30default_config_static_selectorELNS0_4arch9wavefront6targetE1EEEvT1_.num_vgpr, 0
	.set _ZN7rocprim17ROCPRIM_400000_NS6detail17trampoline_kernelINS0_14default_configENS1_25transform_config_selectorIN3c107complexIdEELb1EEEZNS1_14transform_implILb1ES3_S8_PS7_SA_NS0_8identityIS7_EEEE10hipError_tT2_T3_mT4_P12ihipStream_tbEUlT_E_NS1_11comp_targetILNS1_3genE8ELNS1_11target_archE1030ELNS1_3gpuE2ELNS1_3repE0EEENS1_30default_config_static_selectorELNS0_4arch9wavefront6targetE1EEEvT1_.num_agpr, 0
	.set _ZN7rocprim17ROCPRIM_400000_NS6detail17trampoline_kernelINS0_14default_configENS1_25transform_config_selectorIN3c107complexIdEELb1EEEZNS1_14transform_implILb1ES3_S8_PS7_SA_NS0_8identityIS7_EEEE10hipError_tT2_T3_mT4_P12ihipStream_tbEUlT_E_NS1_11comp_targetILNS1_3genE8ELNS1_11target_archE1030ELNS1_3gpuE2ELNS1_3repE0EEENS1_30default_config_static_selectorELNS0_4arch9wavefront6targetE1EEEvT1_.numbered_sgpr, 0
	.set _ZN7rocprim17ROCPRIM_400000_NS6detail17trampoline_kernelINS0_14default_configENS1_25transform_config_selectorIN3c107complexIdEELb1EEEZNS1_14transform_implILb1ES3_S8_PS7_SA_NS0_8identityIS7_EEEE10hipError_tT2_T3_mT4_P12ihipStream_tbEUlT_E_NS1_11comp_targetILNS1_3genE8ELNS1_11target_archE1030ELNS1_3gpuE2ELNS1_3repE0EEENS1_30default_config_static_selectorELNS0_4arch9wavefront6targetE1EEEvT1_.num_named_barrier, 0
	.set _ZN7rocprim17ROCPRIM_400000_NS6detail17trampoline_kernelINS0_14default_configENS1_25transform_config_selectorIN3c107complexIdEELb1EEEZNS1_14transform_implILb1ES3_S8_PS7_SA_NS0_8identityIS7_EEEE10hipError_tT2_T3_mT4_P12ihipStream_tbEUlT_E_NS1_11comp_targetILNS1_3genE8ELNS1_11target_archE1030ELNS1_3gpuE2ELNS1_3repE0EEENS1_30default_config_static_selectorELNS0_4arch9wavefront6targetE1EEEvT1_.private_seg_size, 0
	.set _ZN7rocprim17ROCPRIM_400000_NS6detail17trampoline_kernelINS0_14default_configENS1_25transform_config_selectorIN3c107complexIdEELb1EEEZNS1_14transform_implILb1ES3_S8_PS7_SA_NS0_8identityIS7_EEEE10hipError_tT2_T3_mT4_P12ihipStream_tbEUlT_E_NS1_11comp_targetILNS1_3genE8ELNS1_11target_archE1030ELNS1_3gpuE2ELNS1_3repE0EEENS1_30default_config_static_selectorELNS0_4arch9wavefront6targetE1EEEvT1_.uses_vcc, 0
	.set _ZN7rocprim17ROCPRIM_400000_NS6detail17trampoline_kernelINS0_14default_configENS1_25transform_config_selectorIN3c107complexIdEELb1EEEZNS1_14transform_implILb1ES3_S8_PS7_SA_NS0_8identityIS7_EEEE10hipError_tT2_T3_mT4_P12ihipStream_tbEUlT_E_NS1_11comp_targetILNS1_3genE8ELNS1_11target_archE1030ELNS1_3gpuE2ELNS1_3repE0EEENS1_30default_config_static_selectorELNS0_4arch9wavefront6targetE1EEEvT1_.uses_flat_scratch, 0
	.set _ZN7rocprim17ROCPRIM_400000_NS6detail17trampoline_kernelINS0_14default_configENS1_25transform_config_selectorIN3c107complexIdEELb1EEEZNS1_14transform_implILb1ES3_S8_PS7_SA_NS0_8identityIS7_EEEE10hipError_tT2_T3_mT4_P12ihipStream_tbEUlT_E_NS1_11comp_targetILNS1_3genE8ELNS1_11target_archE1030ELNS1_3gpuE2ELNS1_3repE0EEENS1_30default_config_static_selectorELNS0_4arch9wavefront6targetE1EEEvT1_.has_dyn_sized_stack, 0
	.set _ZN7rocprim17ROCPRIM_400000_NS6detail17trampoline_kernelINS0_14default_configENS1_25transform_config_selectorIN3c107complexIdEELb1EEEZNS1_14transform_implILb1ES3_S8_PS7_SA_NS0_8identityIS7_EEEE10hipError_tT2_T3_mT4_P12ihipStream_tbEUlT_E_NS1_11comp_targetILNS1_3genE8ELNS1_11target_archE1030ELNS1_3gpuE2ELNS1_3repE0EEENS1_30default_config_static_selectorELNS0_4arch9wavefront6targetE1EEEvT1_.has_recursion, 0
	.set _ZN7rocprim17ROCPRIM_400000_NS6detail17trampoline_kernelINS0_14default_configENS1_25transform_config_selectorIN3c107complexIdEELb1EEEZNS1_14transform_implILb1ES3_S8_PS7_SA_NS0_8identityIS7_EEEE10hipError_tT2_T3_mT4_P12ihipStream_tbEUlT_E_NS1_11comp_targetILNS1_3genE8ELNS1_11target_archE1030ELNS1_3gpuE2ELNS1_3repE0EEENS1_30default_config_static_selectorELNS0_4arch9wavefront6targetE1EEEvT1_.has_indirect_call, 0
	.section	.AMDGPU.csdata,"",@progbits
; Kernel info:
; codeLenInByte = 0
; TotalNumSgprs: 4
; NumVgprs: 0
; ScratchSize: 0
; MemoryBound: 0
; FloatMode: 240
; IeeeMode: 1
; LDSByteSize: 0 bytes/workgroup (compile time only)
; SGPRBlocks: 0
; VGPRBlocks: 0
; NumSGPRsForWavesPerEU: 4
; NumVGPRsForWavesPerEU: 1
; Occupancy: 10
; WaveLimiterHint : 0
; COMPUTE_PGM_RSRC2:SCRATCH_EN: 0
; COMPUTE_PGM_RSRC2:USER_SGPR: 6
; COMPUTE_PGM_RSRC2:TRAP_HANDLER: 0
; COMPUTE_PGM_RSRC2:TGID_X_EN: 1
; COMPUTE_PGM_RSRC2:TGID_Y_EN: 0
; COMPUTE_PGM_RSRC2:TGID_Z_EN: 0
; COMPUTE_PGM_RSRC2:TIDIG_COMP_CNT: 0
	.section	.text._ZN7rocprim17ROCPRIM_400000_NS6detail17trampoline_kernelINS0_14default_configENS1_20scan_config_selectorIN3c107complexIdEEEEZZNS1_9scan_implILNS1_25lookback_scan_determinismE0ELb0ELb0ES3_PKS7_PS7_S7_ZZZN2at6native31launch_logcumsumexp_cuda_kernelERKNSE_10TensorBaseESI_lENKUlvE_clEvENKUlvE1_clEvEUlS7_S7_E_S7_EEDaPvRmT3_T4_T5_mT6_P12ihipStream_tbENKUlT_T0_E_clISt17integral_constantIbLb0EESZ_EEDaSU_SV_EUlSU_E0_NS1_11comp_targetILNS1_3genE0ELNS1_11target_archE4294967295ELNS1_3gpuE0ELNS1_3repE0EEENS1_30default_config_static_selectorELNS0_4arch9wavefront6targetE1EEEvT1_,"axG",@progbits,_ZN7rocprim17ROCPRIM_400000_NS6detail17trampoline_kernelINS0_14default_configENS1_20scan_config_selectorIN3c107complexIdEEEEZZNS1_9scan_implILNS1_25lookback_scan_determinismE0ELb0ELb0ES3_PKS7_PS7_S7_ZZZN2at6native31launch_logcumsumexp_cuda_kernelERKNSE_10TensorBaseESI_lENKUlvE_clEvENKUlvE1_clEvEUlS7_S7_E_S7_EEDaPvRmT3_T4_T5_mT6_P12ihipStream_tbENKUlT_T0_E_clISt17integral_constantIbLb0EESZ_EEDaSU_SV_EUlSU_E0_NS1_11comp_targetILNS1_3genE0ELNS1_11target_archE4294967295ELNS1_3gpuE0ELNS1_3repE0EEENS1_30default_config_static_selectorELNS0_4arch9wavefront6targetE1EEEvT1_,comdat
	.globl	_ZN7rocprim17ROCPRIM_400000_NS6detail17trampoline_kernelINS0_14default_configENS1_20scan_config_selectorIN3c107complexIdEEEEZZNS1_9scan_implILNS1_25lookback_scan_determinismE0ELb0ELb0ES3_PKS7_PS7_S7_ZZZN2at6native31launch_logcumsumexp_cuda_kernelERKNSE_10TensorBaseESI_lENKUlvE_clEvENKUlvE1_clEvEUlS7_S7_E_S7_EEDaPvRmT3_T4_T5_mT6_P12ihipStream_tbENKUlT_T0_E_clISt17integral_constantIbLb0EESZ_EEDaSU_SV_EUlSU_E0_NS1_11comp_targetILNS1_3genE0ELNS1_11target_archE4294967295ELNS1_3gpuE0ELNS1_3repE0EEENS1_30default_config_static_selectorELNS0_4arch9wavefront6targetE1EEEvT1_ ; -- Begin function _ZN7rocprim17ROCPRIM_400000_NS6detail17trampoline_kernelINS0_14default_configENS1_20scan_config_selectorIN3c107complexIdEEEEZZNS1_9scan_implILNS1_25lookback_scan_determinismE0ELb0ELb0ES3_PKS7_PS7_S7_ZZZN2at6native31launch_logcumsumexp_cuda_kernelERKNSE_10TensorBaseESI_lENKUlvE_clEvENKUlvE1_clEvEUlS7_S7_E_S7_EEDaPvRmT3_T4_T5_mT6_P12ihipStream_tbENKUlT_T0_E_clISt17integral_constantIbLb0EESZ_EEDaSU_SV_EUlSU_E0_NS1_11comp_targetILNS1_3genE0ELNS1_11target_archE4294967295ELNS1_3gpuE0ELNS1_3repE0EEENS1_30default_config_static_selectorELNS0_4arch9wavefront6targetE1EEEvT1_
	.p2align	8
	.type	_ZN7rocprim17ROCPRIM_400000_NS6detail17trampoline_kernelINS0_14default_configENS1_20scan_config_selectorIN3c107complexIdEEEEZZNS1_9scan_implILNS1_25lookback_scan_determinismE0ELb0ELb0ES3_PKS7_PS7_S7_ZZZN2at6native31launch_logcumsumexp_cuda_kernelERKNSE_10TensorBaseESI_lENKUlvE_clEvENKUlvE1_clEvEUlS7_S7_E_S7_EEDaPvRmT3_T4_T5_mT6_P12ihipStream_tbENKUlT_T0_E_clISt17integral_constantIbLb0EESZ_EEDaSU_SV_EUlSU_E0_NS1_11comp_targetILNS1_3genE0ELNS1_11target_archE4294967295ELNS1_3gpuE0ELNS1_3repE0EEENS1_30default_config_static_selectorELNS0_4arch9wavefront6targetE1EEEvT1_,@function
_ZN7rocprim17ROCPRIM_400000_NS6detail17trampoline_kernelINS0_14default_configENS1_20scan_config_selectorIN3c107complexIdEEEEZZNS1_9scan_implILNS1_25lookback_scan_determinismE0ELb0ELb0ES3_PKS7_PS7_S7_ZZZN2at6native31launch_logcumsumexp_cuda_kernelERKNSE_10TensorBaseESI_lENKUlvE_clEvENKUlvE1_clEvEUlS7_S7_E_S7_EEDaPvRmT3_T4_T5_mT6_P12ihipStream_tbENKUlT_T0_E_clISt17integral_constantIbLb0EESZ_EEDaSU_SV_EUlSU_E0_NS1_11comp_targetILNS1_3genE0ELNS1_11target_archE4294967295ELNS1_3gpuE0ELNS1_3repE0EEENS1_30default_config_static_selectorELNS0_4arch9wavefront6targetE1EEEvT1_: ; @_ZN7rocprim17ROCPRIM_400000_NS6detail17trampoline_kernelINS0_14default_configENS1_20scan_config_selectorIN3c107complexIdEEEEZZNS1_9scan_implILNS1_25lookback_scan_determinismE0ELb0ELb0ES3_PKS7_PS7_S7_ZZZN2at6native31launch_logcumsumexp_cuda_kernelERKNSE_10TensorBaseESI_lENKUlvE_clEvENKUlvE1_clEvEUlS7_S7_E_S7_EEDaPvRmT3_T4_T5_mT6_P12ihipStream_tbENKUlT_T0_E_clISt17integral_constantIbLb0EESZ_EEDaSU_SV_EUlSU_E0_NS1_11comp_targetILNS1_3genE0ELNS1_11target_archE4294967295ELNS1_3gpuE0ELNS1_3repE0EEENS1_30default_config_static_selectorELNS0_4arch9wavefront6targetE1EEEvT1_
; %bb.0:
	.section	.rodata,"a",@progbits
	.p2align	6, 0x0
	.amdhsa_kernel _ZN7rocprim17ROCPRIM_400000_NS6detail17trampoline_kernelINS0_14default_configENS1_20scan_config_selectorIN3c107complexIdEEEEZZNS1_9scan_implILNS1_25lookback_scan_determinismE0ELb0ELb0ES3_PKS7_PS7_S7_ZZZN2at6native31launch_logcumsumexp_cuda_kernelERKNSE_10TensorBaseESI_lENKUlvE_clEvENKUlvE1_clEvEUlS7_S7_E_S7_EEDaPvRmT3_T4_T5_mT6_P12ihipStream_tbENKUlT_T0_E_clISt17integral_constantIbLb0EESZ_EEDaSU_SV_EUlSU_E0_NS1_11comp_targetILNS1_3genE0ELNS1_11target_archE4294967295ELNS1_3gpuE0ELNS1_3repE0EEENS1_30default_config_static_selectorELNS0_4arch9wavefront6targetE1EEEvT1_
		.amdhsa_group_segment_fixed_size 0
		.amdhsa_private_segment_fixed_size 0
		.amdhsa_kernarg_size 48
		.amdhsa_user_sgpr_count 6
		.amdhsa_user_sgpr_private_segment_buffer 1
		.amdhsa_user_sgpr_dispatch_ptr 0
		.amdhsa_user_sgpr_queue_ptr 0
		.amdhsa_user_sgpr_kernarg_segment_ptr 1
		.amdhsa_user_sgpr_dispatch_id 0
		.amdhsa_user_sgpr_flat_scratch_init 0
		.amdhsa_user_sgpr_private_segment_size 0
		.amdhsa_uses_dynamic_stack 0
		.amdhsa_system_sgpr_private_segment_wavefront_offset 0
		.amdhsa_system_sgpr_workgroup_id_x 1
		.amdhsa_system_sgpr_workgroup_id_y 0
		.amdhsa_system_sgpr_workgroup_id_z 0
		.amdhsa_system_sgpr_workgroup_info 0
		.amdhsa_system_vgpr_workitem_id 0
		.amdhsa_next_free_vgpr 1
		.amdhsa_next_free_sgpr 0
		.amdhsa_reserve_vcc 0
		.amdhsa_reserve_flat_scratch 0
		.amdhsa_float_round_mode_32 0
		.amdhsa_float_round_mode_16_64 0
		.amdhsa_float_denorm_mode_32 3
		.amdhsa_float_denorm_mode_16_64 3
		.amdhsa_dx10_clamp 1
		.amdhsa_ieee_mode 1
		.amdhsa_fp16_overflow 0
		.amdhsa_exception_fp_ieee_invalid_op 0
		.amdhsa_exception_fp_denorm_src 0
		.amdhsa_exception_fp_ieee_div_zero 0
		.amdhsa_exception_fp_ieee_overflow 0
		.amdhsa_exception_fp_ieee_underflow 0
		.amdhsa_exception_fp_ieee_inexact 0
		.amdhsa_exception_int_div_zero 0
	.end_amdhsa_kernel
	.section	.text._ZN7rocprim17ROCPRIM_400000_NS6detail17trampoline_kernelINS0_14default_configENS1_20scan_config_selectorIN3c107complexIdEEEEZZNS1_9scan_implILNS1_25lookback_scan_determinismE0ELb0ELb0ES3_PKS7_PS7_S7_ZZZN2at6native31launch_logcumsumexp_cuda_kernelERKNSE_10TensorBaseESI_lENKUlvE_clEvENKUlvE1_clEvEUlS7_S7_E_S7_EEDaPvRmT3_T4_T5_mT6_P12ihipStream_tbENKUlT_T0_E_clISt17integral_constantIbLb0EESZ_EEDaSU_SV_EUlSU_E0_NS1_11comp_targetILNS1_3genE0ELNS1_11target_archE4294967295ELNS1_3gpuE0ELNS1_3repE0EEENS1_30default_config_static_selectorELNS0_4arch9wavefront6targetE1EEEvT1_,"axG",@progbits,_ZN7rocprim17ROCPRIM_400000_NS6detail17trampoline_kernelINS0_14default_configENS1_20scan_config_selectorIN3c107complexIdEEEEZZNS1_9scan_implILNS1_25lookback_scan_determinismE0ELb0ELb0ES3_PKS7_PS7_S7_ZZZN2at6native31launch_logcumsumexp_cuda_kernelERKNSE_10TensorBaseESI_lENKUlvE_clEvENKUlvE1_clEvEUlS7_S7_E_S7_EEDaPvRmT3_T4_T5_mT6_P12ihipStream_tbENKUlT_T0_E_clISt17integral_constantIbLb0EESZ_EEDaSU_SV_EUlSU_E0_NS1_11comp_targetILNS1_3genE0ELNS1_11target_archE4294967295ELNS1_3gpuE0ELNS1_3repE0EEENS1_30default_config_static_selectorELNS0_4arch9wavefront6targetE1EEEvT1_,comdat
.Lfunc_end193:
	.size	_ZN7rocprim17ROCPRIM_400000_NS6detail17trampoline_kernelINS0_14default_configENS1_20scan_config_selectorIN3c107complexIdEEEEZZNS1_9scan_implILNS1_25lookback_scan_determinismE0ELb0ELb0ES3_PKS7_PS7_S7_ZZZN2at6native31launch_logcumsumexp_cuda_kernelERKNSE_10TensorBaseESI_lENKUlvE_clEvENKUlvE1_clEvEUlS7_S7_E_S7_EEDaPvRmT3_T4_T5_mT6_P12ihipStream_tbENKUlT_T0_E_clISt17integral_constantIbLb0EESZ_EEDaSU_SV_EUlSU_E0_NS1_11comp_targetILNS1_3genE0ELNS1_11target_archE4294967295ELNS1_3gpuE0ELNS1_3repE0EEENS1_30default_config_static_selectorELNS0_4arch9wavefront6targetE1EEEvT1_, .Lfunc_end193-_ZN7rocprim17ROCPRIM_400000_NS6detail17trampoline_kernelINS0_14default_configENS1_20scan_config_selectorIN3c107complexIdEEEEZZNS1_9scan_implILNS1_25lookback_scan_determinismE0ELb0ELb0ES3_PKS7_PS7_S7_ZZZN2at6native31launch_logcumsumexp_cuda_kernelERKNSE_10TensorBaseESI_lENKUlvE_clEvENKUlvE1_clEvEUlS7_S7_E_S7_EEDaPvRmT3_T4_T5_mT6_P12ihipStream_tbENKUlT_T0_E_clISt17integral_constantIbLb0EESZ_EEDaSU_SV_EUlSU_E0_NS1_11comp_targetILNS1_3genE0ELNS1_11target_archE4294967295ELNS1_3gpuE0ELNS1_3repE0EEENS1_30default_config_static_selectorELNS0_4arch9wavefront6targetE1EEEvT1_
                                        ; -- End function
	.set _ZN7rocprim17ROCPRIM_400000_NS6detail17trampoline_kernelINS0_14default_configENS1_20scan_config_selectorIN3c107complexIdEEEEZZNS1_9scan_implILNS1_25lookback_scan_determinismE0ELb0ELb0ES3_PKS7_PS7_S7_ZZZN2at6native31launch_logcumsumexp_cuda_kernelERKNSE_10TensorBaseESI_lENKUlvE_clEvENKUlvE1_clEvEUlS7_S7_E_S7_EEDaPvRmT3_T4_T5_mT6_P12ihipStream_tbENKUlT_T0_E_clISt17integral_constantIbLb0EESZ_EEDaSU_SV_EUlSU_E0_NS1_11comp_targetILNS1_3genE0ELNS1_11target_archE4294967295ELNS1_3gpuE0ELNS1_3repE0EEENS1_30default_config_static_selectorELNS0_4arch9wavefront6targetE1EEEvT1_.num_vgpr, 0
	.set _ZN7rocprim17ROCPRIM_400000_NS6detail17trampoline_kernelINS0_14default_configENS1_20scan_config_selectorIN3c107complexIdEEEEZZNS1_9scan_implILNS1_25lookback_scan_determinismE0ELb0ELb0ES3_PKS7_PS7_S7_ZZZN2at6native31launch_logcumsumexp_cuda_kernelERKNSE_10TensorBaseESI_lENKUlvE_clEvENKUlvE1_clEvEUlS7_S7_E_S7_EEDaPvRmT3_T4_T5_mT6_P12ihipStream_tbENKUlT_T0_E_clISt17integral_constantIbLb0EESZ_EEDaSU_SV_EUlSU_E0_NS1_11comp_targetILNS1_3genE0ELNS1_11target_archE4294967295ELNS1_3gpuE0ELNS1_3repE0EEENS1_30default_config_static_selectorELNS0_4arch9wavefront6targetE1EEEvT1_.num_agpr, 0
	.set _ZN7rocprim17ROCPRIM_400000_NS6detail17trampoline_kernelINS0_14default_configENS1_20scan_config_selectorIN3c107complexIdEEEEZZNS1_9scan_implILNS1_25lookback_scan_determinismE0ELb0ELb0ES3_PKS7_PS7_S7_ZZZN2at6native31launch_logcumsumexp_cuda_kernelERKNSE_10TensorBaseESI_lENKUlvE_clEvENKUlvE1_clEvEUlS7_S7_E_S7_EEDaPvRmT3_T4_T5_mT6_P12ihipStream_tbENKUlT_T0_E_clISt17integral_constantIbLb0EESZ_EEDaSU_SV_EUlSU_E0_NS1_11comp_targetILNS1_3genE0ELNS1_11target_archE4294967295ELNS1_3gpuE0ELNS1_3repE0EEENS1_30default_config_static_selectorELNS0_4arch9wavefront6targetE1EEEvT1_.numbered_sgpr, 0
	.set _ZN7rocprim17ROCPRIM_400000_NS6detail17trampoline_kernelINS0_14default_configENS1_20scan_config_selectorIN3c107complexIdEEEEZZNS1_9scan_implILNS1_25lookback_scan_determinismE0ELb0ELb0ES3_PKS7_PS7_S7_ZZZN2at6native31launch_logcumsumexp_cuda_kernelERKNSE_10TensorBaseESI_lENKUlvE_clEvENKUlvE1_clEvEUlS7_S7_E_S7_EEDaPvRmT3_T4_T5_mT6_P12ihipStream_tbENKUlT_T0_E_clISt17integral_constantIbLb0EESZ_EEDaSU_SV_EUlSU_E0_NS1_11comp_targetILNS1_3genE0ELNS1_11target_archE4294967295ELNS1_3gpuE0ELNS1_3repE0EEENS1_30default_config_static_selectorELNS0_4arch9wavefront6targetE1EEEvT1_.num_named_barrier, 0
	.set _ZN7rocprim17ROCPRIM_400000_NS6detail17trampoline_kernelINS0_14default_configENS1_20scan_config_selectorIN3c107complexIdEEEEZZNS1_9scan_implILNS1_25lookback_scan_determinismE0ELb0ELb0ES3_PKS7_PS7_S7_ZZZN2at6native31launch_logcumsumexp_cuda_kernelERKNSE_10TensorBaseESI_lENKUlvE_clEvENKUlvE1_clEvEUlS7_S7_E_S7_EEDaPvRmT3_T4_T5_mT6_P12ihipStream_tbENKUlT_T0_E_clISt17integral_constantIbLb0EESZ_EEDaSU_SV_EUlSU_E0_NS1_11comp_targetILNS1_3genE0ELNS1_11target_archE4294967295ELNS1_3gpuE0ELNS1_3repE0EEENS1_30default_config_static_selectorELNS0_4arch9wavefront6targetE1EEEvT1_.private_seg_size, 0
	.set _ZN7rocprim17ROCPRIM_400000_NS6detail17trampoline_kernelINS0_14default_configENS1_20scan_config_selectorIN3c107complexIdEEEEZZNS1_9scan_implILNS1_25lookback_scan_determinismE0ELb0ELb0ES3_PKS7_PS7_S7_ZZZN2at6native31launch_logcumsumexp_cuda_kernelERKNSE_10TensorBaseESI_lENKUlvE_clEvENKUlvE1_clEvEUlS7_S7_E_S7_EEDaPvRmT3_T4_T5_mT6_P12ihipStream_tbENKUlT_T0_E_clISt17integral_constantIbLb0EESZ_EEDaSU_SV_EUlSU_E0_NS1_11comp_targetILNS1_3genE0ELNS1_11target_archE4294967295ELNS1_3gpuE0ELNS1_3repE0EEENS1_30default_config_static_selectorELNS0_4arch9wavefront6targetE1EEEvT1_.uses_vcc, 0
	.set _ZN7rocprim17ROCPRIM_400000_NS6detail17trampoline_kernelINS0_14default_configENS1_20scan_config_selectorIN3c107complexIdEEEEZZNS1_9scan_implILNS1_25lookback_scan_determinismE0ELb0ELb0ES3_PKS7_PS7_S7_ZZZN2at6native31launch_logcumsumexp_cuda_kernelERKNSE_10TensorBaseESI_lENKUlvE_clEvENKUlvE1_clEvEUlS7_S7_E_S7_EEDaPvRmT3_T4_T5_mT6_P12ihipStream_tbENKUlT_T0_E_clISt17integral_constantIbLb0EESZ_EEDaSU_SV_EUlSU_E0_NS1_11comp_targetILNS1_3genE0ELNS1_11target_archE4294967295ELNS1_3gpuE0ELNS1_3repE0EEENS1_30default_config_static_selectorELNS0_4arch9wavefront6targetE1EEEvT1_.uses_flat_scratch, 0
	.set _ZN7rocprim17ROCPRIM_400000_NS6detail17trampoline_kernelINS0_14default_configENS1_20scan_config_selectorIN3c107complexIdEEEEZZNS1_9scan_implILNS1_25lookback_scan_determinismE0ELb0ELb0ES3_PKS7_PS7_S7_ZZZN2at6native31launch_logcumsumexp_cuda_kernelERKNSE_10TensorBaseESI_lENKUlvE_clEvENKUlvE1_clEvEUlS7_S7_E_S7_EEDaPvRmT3_T4_T5_mT6_P12ihipStream_tbENKUlT_T0_E_clISt17integral_constantIbLb0EESZ_EEDaSU_SV_EUlSU_E0_NS1_11comp_targetILNS1_3genE0ELNS1_11target_archE4294967295ELNS1_3gpuE0ELNS1_3repE0EEENS1_30default_config_static_selectorELNS0_4arch9wavefront6targetE1EEEvT1_.has_dyn_sized_stack, 0
	.set _ZN7rocprim17ROCPRIM_400000_NS6detail17trampoline_kernelINS0_14default_configENS1_20scan_config_selectorIN3c107complexIdEEEEZZNS1_9scan_implILNS1_25lookback_scan_determinismE0ELb0ELb0ES3_PKS7_PS7_S7_ZZZN2at6native31launch_logcumsumexp_cuda_kernelERKNSE_10TensorBaseESI_lENKUlvE_clEvENKUlvE1_clEvEUlS7_S7_E_S7_EEDaPvRmT3_T4_T5_mT6_P12ihipStream_tbENKUlT_T0_E_clISt17integral_constantIbLb0EESZ_EEDaSU_SV_EUlSU_E0_NS1_11comp_targetILNS1_3genE0ELNS1_11target_archE4294967295ELNS1_3gpuE0ELNS1_3repE0EEENS1_30default_config_static_selectorELNS0_4arch9wavefront6targetE1EEEvT1_.has_recursion, 0
	.set _ZN7rocprim17ROCPRIM_400000_NS6detail17trampoline_kernelINS0_14default_configENS1_20scan_config_selectorIN3c107complexIdEEEEZZNS1_9scan_implILNS1_25lookback_scan_determinismE0ELb0ELb0ES3_PKS7_PS7_S7_ZZZN2at6native31launch_logcumsumexp_cuda_kernelERKNSE_10TensorBaseESI_lENKUlvE_clEvENKUlvE1_clEvEUlS7_S7_E_S7_EEDaPvRmT3_T4_T5_mT6_P12ihipStream_tbENKUlT_T0_E_clISt17integral_constantIbLb0EESZ_EEDaSU_SV_EUlSU_E0_NS1_11comp_targetILNS1_3genE0ELNS1_11target_archE4294967295ELNS1_3gpuE0ELNS1_3repE0EEENS1_30default_config_static_selectorELNS0_4arch9wavefront6targetE1EEEvT1_.has_indirect_call, 0
	.section	.AMDGPU.csdata,"",@progbits
; Kernel info:
; codeLenInByte = 0
; TotalNumSgprs: 4
; NumVgprs: 0
; ScratchSize: 0
; MemoryBound: 0
; FloatMode: 240
; IeeeMode: 1
; LDSByteSize: 0 bytes/workgroup (compile time only)
; SGPRBlocks: 0
; VGPRBlocks: 0
; NumSGPRsForWavesPerEU: 4
; NumVGPRsForWavesPerEU: 1
; Occupancy: 10
; WaveLimiterHint : 0
; COMPUTE_PGM_RSRC2:SCRATCH_EN: 0
; COMPUTE_PGM_RSRC2:USER_SGPR: 6
; COMPUTE_PGM_RSRC2:TRAP_HANDLER: 0
; COMPUTE_PGM_RSRC2:TGID_X_EN: 1
; COMPUTE_PGM_RSRC2:TGID_Y_EN: 0
; COMPUTE_PGM_RSRC2:TGID_Z_EN: 0
; COMPUTE_PGM_RSRC2:TIDIG_COMP_CNT: 0
	.section	.text._ZN7rocprim17ROCPRIM_400000_NS6detail17trampoline_kernelINS0_14default_configENS1_20scan_config_selectorIN3c107complexIdEEEEZZNS1_9scan_implILNS1_25lookback_scan_determinismE0ELb0ELb0ES3_PKS7_PS7_S7_ZZZN2at6native31launch_logcumsumexp_cuda_kernelERKNSE_10TensorBaseESI_lENKUlvE_clEvENKUlvE1_clEvEUlS7_S7_E_S7_EEDaPvRmT3_T4_T5_mT6_P12ihipStream_tbENKUlT_T0_E_clISt17integral_constantIbLb0EESZ_EEDaSU_SV_EUlSU_E0_NS1_11comp_targetILNS1_3genE5ELNS1_11target_archE942ELNS1_3gpuE9ELNS1_3repE0EEENS1_30default_config_static_selectorELNS0_4arch9wavefront6targetE1EEEvT1_,"axG",@progbits,_ZN7rocprim17ROCPRIM_400000_NS6detail17trampoline_kernelINS0_14default_configENS1_20scan_config_selectorIN3c107complexIdEEEEZZNS1_9scan_implILNS1_25lookback_scan_determinismE0ELb0ELb0ES3_PKS7_PS7_S7_ZZZN2at6native31launch_logcumsumexp_cuda_kernelERKNSE_10TensorBaseESI_lENKUlvE_clEvENKUlvE1_clEvEUlS7_S7_E_S7_EEDaPvRmT3_T4_T5_mT6_P12ihipStream_tbENKUlT_T0_E_clISt17integral_constantIbLb0EESZ_EEDaSU_SV_EUlSU_E0_NS1_11comp_targetILNS1_3genE5ELNS1_11target_archE942ELNS1_3gpuE9ELNS1_3repE0EEENS1_30default_config_static_selectorELNS0_4arch9wavefront6targetE1EEEvT1_,comdat
	.globl	_ZN7rocprim17ROCPRIM_400000_NS6detail17trampoline_kernelINS0_14default_configENS1_20scan_config_selectorIN3c107complexIdEEEEZZNS1_9scan_implILNS1_25lookback_scan_determinismE0ELb0ELb0ES3_PKS7_PS7_S7_ZZZN2at6native31launch_logcumsumexp_cuda_kernelERKNSE_10TensorBaseESI_lENKUlvE_clEvENKUlvE1_clEvEUlS7_S7_E_S7_EEDaPvRmT3_T4_T5_mT6_P12ihipStream_tbENKUlT_T0_E_clISt17integral_constantIbLb0EESZ_EEDaSU_SV_EUlSU_E0_NS1_11comp_targetILNS1_3genE5ELNS1_11target_archE942ELNS1_3gpuE9ELNS1_3repE0EEENS1_30default_config_static_selectorELNS0_4arch9wavefront6targetE1EEEvT1_ ; -- Begin function _ZN7rocprim17ROCPRIM_400000_NS6detail17trampoline_kernelINS0_14default_configENS1_20scan_config_selectorIN3c107complexIdEEEEZZNS1_9scan_implILNS1_25lookback_scan_determinismE0ELb0ELb0ES3_PKS7_PS7_S7_ZZZN2at6native31launch_logcumsumexp_cuda_kernelERKNSE_10TensorBaseESI_lENKUlvE_clEvENKUlvE1_clEvEUlS7_S7_E_S7_EEDaPvRmT3_T4_T5_mT6_P12ihipStream_tbENKUlT_T0_E_clISt17integral_constantIbLb0EESZ_EEDaSU_SV_EUlSU_E0_NS1_11comp_targetILNS1_3genE5ELNS1_11target_archE942ELNS1_3gpuE9ELNS1_3repE0EEENS1_30default_config_static_selectorELNS0_4arch9wavefront6targetE1EEEvT1_
	.p2align	8
	.type	_ZN7rocprim17ROCPRIM_400000_NS6detail17trampoline_kernelINS0_14default_configENS1_20scan_config_selectorIN3c107complexIdEEEEZZNS1_9scan_implILNS1_25lookback_scan_determinismE0ELb0ELb0ES3_PKS7_PS7_S7_ZZZN2at6native31launch_logcumsumexp_cuda_kernelERKNSE_10TensorBaseESI_lENKUlvE_clEvENKUlvE1_clEvEUlS7_S7_E_S7_EEDaPvRmT3_T4_T5_mT6_P12ihipStream_tbENKUlT_T0_E_clISt17integral_constantIbLb0EESZ_EEDaSU_SV_EUlSU_E0_NS1_11comp_targetILNS1_3genE5ELNS1_11target_archE942ELNS1_3gpuE9ELNS1_3repE0EEENS1_30default_config_static_selectorELNS0_4arch9wavefront6targetE1EEEvT1_,@function
_ZN7rocprim17ROCPRIM_400000_NS6detail17trampoline_kernelINS0_14default_configENS1_20scan_config_selectorIN3c107complexIdEEEEZZNS1_9scan_implILNS1_25lookback_scan_determinismE0ELb0ELb0ES3_PKS7_PS7_S7_ZZZN2at6native31launch_logcumsumexp_cuda_kernelERKNSE_10TensorBaseESI_lENKUlvE_clEvENKUlvE1_clEvEUlS7_S7_E_S7_EEDaPvRmT3_T4_T5_mT6_P12ihipStream_tbENKUlT_T0_E_clISt17integral_constantIbLb0EESZ_EEDaSU_SV_EUlSU_E0_NS1_11comp_targetILNS1_3genE5ELNS1_11target_archE942ELNS1_3gpuE9ELNS1_3repE0EEENS1_30default_config_static_selectorELNS0_4arch9wavefront6targetE1EEEvT1_: ; @_ZN7rocprim17ROCPRIM_400000_NS6detail17trampoline_kernelINS0_14default_configENS1_20scan_config_selectorIN3c107complexIdEEEEZZNS1_9scan_implILNS1_25lookback_scan_determinismE0ELb0ELb0ES3_PKS7_PS7_S7_ZZZN2at6native31launch_logcumsumexp_cuda_kernelERKNSE_10TensorBaseESI_lENKUlvE_clEvENKUlvE1_clEvEUlS7_S7_E_S7_EEDaPvRmT3_T4_T5_mT6_P12ihipStream_tbENKUlT_T0_E_clISt17integral_constantIbLb0EESZ_EEDaSU_SV_EUlSU_E0_NS1_11comp_targetILNS1_3genE5ELNS1_11target_archE942ELNS1_3gpuE9ELNS1_3repE0EEENS1_30default_config_static_selectorELNS0_4arch9wavefront6targetE1EEEvT1_
; %bb.0:
	.section	.rodata,"a",@progbits
	.p2align	6, 0x0
	.amdhsa_kernel _ZN7rocprim17ROCPRIM_400000_NS6detail17trampoline_kernelINS0_14default_configENS1_20scan_config_selectorIN3c107complexIdEEEEZZNS1_9scan_implILNS1_25lookback_scan_determinismE0ELb0ELb0ES3_PKS7_PS7_S7_ZZZN2at6native31launch_logcumsumexp_cuda_kernelERKNSE_10TensorBaseESI_lENKUlvE_clEvENKUlvE1_clEvEUlS7_S7_E_S7_EEDaPvRmT3_T4_T5_mT6_P12ihipStream_tbENKUlT_T0_E_clISt17integral_constantIbLb0EESZ_EEDaSU_SV_EUlSU_E0_NS1_11comp_targetILNS1_3genE5ELNS1_11target_archE942ELNS1_3gpuE9ELNS1_3repE0EEENS1_30default_config_static_selectorELNS0_4arch9wavefront6targetE1EEEvT1_
		.amdhsa_group_segment_fixed_size 0
		.amdhsa_private_segment_fixed_size 0
		.amdhsa_kernarg_size 48
		.amdhsa_user_sgpr_count 6
		.amdhsa_user_sgpr_private_segment_buffer 1
		.amdhsa_user_sgpr_dispatch_ptr 0
		.amdhsa_user_sgpr_queue_ptr 0
		.amdhsa_user_sgpr_kernarg_segment_ptr 1
		.amdhsa_user_sgpr_dispatch_id 0
		.amdhsa_user_sgpr_flat_scratch_init 0
		.amdhsa_user_sgpr_private_segment_size 0
		.amdhsa_uses_dynamic_stack 0
		.amdhsa_system_sgpr_private_segment_wavefront_offset 0
		.amdhsa_system_sgpr_workgroup_id_x 1
		.amdhsa_system_sgpr_workgroup_id_y 0
		.amdhsa_system_sgpr_workgroup_id_z 0
		.amdhsa_system_sgpr_workgroup_info 0
		.amdhsa_system_vgpr_workitem_id 0
		.amdhsa_next_free_vgpr 1
		.amdhsa_next_free_sgpr 0
		.amdhsa_reserve_vcc 0
		.amdhsa_reserve_flat_scratch 0
		.amdhsa_float_round_mode_32 0
		.amdhsa_float_round_mode_16_64 0
		.amdhsa_float_denorm_mode_32 3
		.amdhsa_float_denorm_mode_16_64 3
		.amdhsa_dx10_clamp 1
		.amdhsa_ieee_mode 1
		.amdhsa_fp16_overflow 0
		.amdhsa_exception_fp_ieee_invalid_op 0
		.amdhsa_exception_fp_denorm_src 0
		.amdhsa_exception_fp_ieee_div_zero 0
		.amdhsa_exception_fp_ieee_overflow 0
		.amdhsa_exception_fp_ieee_underflow 0
		.amdhsa_exception_fp_ieee_inexact 0
		.amdhsa_exception_int_div_zero 0
	.end_amdhsa_kernel
	.section	.text._ZN7rocprim17ROCPRIM_400000_NS6detail17trampoline_kernelINS0_14default_configENS1_20scan_config_selectorIN3c107complexIdEEEEZZNS1_9scan_implILNS1_25lookback_scan_determinismE0ELb0ELb0ES3_PKS7_PS7_S7_ZZZN2at6native31launch_logcumsumexp_cuda_kernelERKNSE_10TensorBaseESI_lENKUlvE_clEvENKUlvE1_clEvEUlS7_S7_E_S7_EEDaPvRmT3_T4_T5_mT6_P12ihipStream_tbENKUlT_T0_E_clISt17integral_constantIbLb0EESZ_EEDaSU_SV_EUlSU_E0_NS1_11comp_targetILNS1_3genE5ELNS1_11target_archE942ELNS1_3gpuE9ELNS1_3repE0EEENS1_30default_config_static_selectorELNS0_4arch9wavefront6targetE1EEEvT1_,"axG",@progbits,_ZN7rocprim17ROCPRIM_400000_NS6detail17trampoline_kernelINS0_14default_configENS1_20scan_config_selectorIN3c107complexIdEEEEZZNS1_9scan_implILNS1_25lookback_scan_determinismE0ELb0ELb0ES3_PKS7_PS7_S7_ZZZN2at6native31launch_logcumsumexp_cuda_kernelERKNSE_10TensorBaseESI_lENKUlvE_clEvENKUlvE1_clEvEUlS7_S7_E_S7_EEDaPvRmT3_T4_T5_mT6_P12ihipStream_tbENKUlT_T0_E_clISt17integral_constantIbLb0EESZ_EEDaSU_SV_EUlSU_E0_NS1_11comp_targetILNS1_3genE5ELNS1_11target_archE942ELNS1_3gpuE9ELNS1_3repE0EEENS1_30default_config_static_selectorELNS0_4arch9wavefront6targetE1EEEvT1_,comdat
.Lfunc_end194:
	.size	_ZN7rocprim17ROCPRIM_400000_NS6detail17trampoline_kernelINS0_14default_configENS1_20scan_config_selectorIN3c107complexIdEEEEZZNS1_9scan_implILNS1_25lookback_scan_determinismE0ELb0ELb0ES3_PKS7_PS7_S7_ZZZN2at6native31launch_logcumsumexp_cuda_kernelERKNSE_10TensorBaseESI_lENKUlvE_clEvENKUlvE1_clEvEUlS7_S7_E_S7_EEDaPvRmT3_T4_T5_mT6_P12ihipStream_tbENKUlT_T0_E_clISt17integral_constantIbLb0EESZ_EEDaSU_SV_EUlSU_E0_NS1_11comp_targetILNS1_3genE5ELNS1_11target_archE942ELNS1_3gpuE9ELNS1_3repE0EEENS1_30default_config_static_selectorELNS0_4arch9wavefront6targetE1EEEvT1_, .Lfunc_end194-_ZN7rocprim17ROCPRIM_400000_NS6detail17trampoline_kernelINS0_14default_configENS1_20scan_config_selectorIN3c107complexIdEEEEZZNS1_9scan_implILNS1_25lookback_scan_determinismE0ELb0ELb0ES3_PKS7_PS7_S7_ZZZN2at6native31launch_logcumsumexp_cuda_kernelERKNSE_10TensorBaseESI_lENKUlvE_clEvENKUlvE1_clEvEUlS7_S7_E_S7_EEDaPvRmT3_T4_T5_mT6_P12ihipStream_tbENKUlT_T0_E_clISt17integral_constantIbLb0EESZ_EEDaSU_SV_EUlSU_E0_NS1_11comp_targetILNS1_3genE5ELNS1_11target_archE942ELNS1_3gpuE9ELNS1_3repE0EEENS1_30default_config_static_selectorELNS0_4arch9wavefront6targetE1EEEvT1_
                                        ; -- End function
	.set _ZN7rocprim17ROCPRIM_400000_NS6detail17trampoline_kernelINS0_14default_configENS1_20scan_config_selectorIN3c107complexIdEEEEZZNS1_9scan_implILNS1_25lookback_scan_determinismE0ELb0ELb0ES3_PKS7_PS7_S7_ZZZN2at6native31launch_logcumsumexp_cuda_kernelERKNSE_10TensorBaseESI_lENKUlvE_clEvENKUlvE1_clEvEUlS7_S7_E_S7_EEDaPvRmT3_T4_T5_mT6_P12ihipStream_tbENKUlT_T0_E_clISt17integral_constantIbLb0EESZ_EEDaSU_SV_EUlSU_E0_NS1_11comp_targetILNS1_3genE5ELNS1_11target_archE942ELNS1_3gpuE9ELNS1_3repE0EEENS1_30default_config_static_selectorELNS0_4arch9wavefront6targetE1EEEvT1_.num_vgpr, 0
	.set _ZN7rocprim17ROCPRIM_400000_NS6detail17trampoline_kernelINS0_14default_configENS1_20scan_config_selectorIN3c107complexIdEEEEZZNS1_9scan_implILNS1_25lookback_scan_determinismE0ELb0ELb0ES3_PKS7_PS7_S7_ZZZN2at6native31launch_logcumsumexp_cuda_kernelERKNSE_10TensorBaseESI_lENKUlvE_clEvENKUlvE1_clEvEUlS7_S7_E_S7_EEDaPvRmT3_T4_T5_mT6_P12ihipStream_tbENKUlT_T0_E_clISt17integral_constantIbLb0EESZ_EEDaSU_SV_EUlSU_E0_NS1_11comp_targetILNS1_3genE5ELNS1_11target_archE942ELNS1_3gpuE9ELNS1_3repE0EEENS1_30default_config_static_selectorELNS0_4arch9wavefront6targetE1EEEvT1_.num_agpr, 0
	.set _ZN7rocprim17ROCPRIM_400000_NS6detail17trampoline_kernelINS0_14default_configENS1_20scan_config_selectorIN3c107complexIdEEEEZZNS1_9scan_implILNS1_25lookback_scan_determinismE0ELb0ELb0ES3_PKS7_PS7_S7_ZZZN2at6native31launch_logcumsumexp_cuda_kernelERKNSE_10TensorBaseESI_lENKUlvE_clEvENKUlvE1_clEvEUlS7_S7_E_S7_EEDaPvRmT3_T4_T5_mT6_P12ihipStream_tbENKUlT_T0_E_clISt17integral_constantIbLb0EESZ_EEDaSU_SV_EUlSU_E0_NS1_11comp_targetILNS1_3genE5ELNS1_11target_archE942ELNS1_3gpuE9ELNS1_3repE0EEENS1_30default_config_static_selectorELNS0_4arch9wavefront6targetE1EEEvT1_.numbered_sgpr, 0
	.set _ZN7rocprim17ROCPRIM_400000_NS6detail17trampoline_kernelINS0_14default_configENS1_20scan_config_selectorIN3c107complexIdEEEEZZNS1_9scan_implILNS1_25lookback_scan_determinismE0ELb0ELb0ES3_PKS7_PS7_S7_ZZZN2at6native31launch_logcumsumexp_cuda_kernelERKNSE_10TensorBaseESI_lENKUlvE_clEvENKUlvE1_clEvEUlS7_S7_E_S7_EEDaPvRmT3_T4_T5_mT6_P12ihipStream_tbENKUlT_T0_E_clISt17integral_constantIbLb0EESZ_EEDaSU_SV_EUlSU_E0_NS1_11comp_targetILNS1_3genE5ELNS1_11target_archE942ELNS1_3gpuE9ELNS1_3repE0EEENS1_30default_config_static_selectorELNS0_4arch9wavefront6targetE1EEEvT1_.num_named_barrier, 0
	.set _ZN7rocprim17ROCPRIM_400000_NS6detail17trampoline_kernelINS0_14default_configENS1_20scan_config_selectorIN3c107complexIdEEEEZZNS1_9scan_implILNS1_25lookback_scan_determinismE0ELb0ELb0ES3_PKS7_PS7_S7_ZZZN2at6native31launch_logcumsumexp_cuda_kernelERKNSE_10TensorBaseESI_lENKUlvE_clEvENKUlvE1_clEvEUlS7_S7_E_S7_EEDaPvRmT3_T4_T5_mT6_P12ihipStream_tbENKUlT_T0_E_clISt17integral_constantIbLb0EESZ_EEDaSU_SV_EUlSU_E0_NS1_11comp_targetILNS1_3genE5ELNS1_11target_archE942ELNS1_3gpuE9ELNS1_3repE0EEENS1_30default_config_static_selectorELNS0_4arch9wavefront6targetE1EEEvT1_.private_seg_size, 0
	.set _ZN7rocprim17ROCPRIM_400000_NS6detail17trampoline_kernelINS0_14default_configENS1_20scan_config_selectorIN3c107complexIdEEEEZZNS1_9scan_implILNS1_25lookback_scan_determinismE0ELb0ELb0ES3_PKS7_PS7_S7_ZZZN2at6native31launch_logcumsumexp_cuda_kernelERKNSE_10TensorBaseESI_lENKUlvE_clEvENKUlvE1_clEvEUlS7_S7_E_S7_EEDaPvRmT3_T4_T5_mT6_P12ihipStream_tbENKUlT_T0_E_clISt17integral_constantIbLb0EESZ_EEDaSU_SV_EUlSU_E0_NS1_11comp_targetILNS1_3genE5ELNS1_11target_archE942ELNS1_3gpuE9ELNS1_3repE0EEENS1_30default_config_static_selectorELNS0_4arch9wavefront6targetE1EEEvT1_.uses_vcc, 0
	.set _ZN7rocprim17ROCPRIM_400000_NS6detail17trampoline_kernelINS0_14default_configENS1_20scan_config_selectorIN3c107complexIdEEEEZZNS1_9scan_implILNS1_25lookback_scan_determinismE0ELb0ELb0ES3_PKS7_PS7_S7_ZZZN2at6native31launch_logcumsumexp_cuda_kernelERKNSE_10TensorBaseESI_lENKUlvE_clEvENKUlvE1_clEvEUlS7_S7_E_S7_EEDaPvRmT3_T4_T5_mT6_P12ihipStream_tbENKUlT_T0_E_clISt17integral_constantIbLb0EESZ_EEDaSU_SV_EUlSU_E0_NS1_11comp_targetILNS1_3genE5ELNS1_11target_archE942ELNS1_3gpuE9ELNS1_3repE0EEENS1_30default_config_static_selectorELNS0_4arch9wavefront6targetE1EEEvT1_.uses_flat_scratch, 0
	.set _ZN7rocprim17ROCPRIM_400000_NS6detail17trampoline_kernelINS0_14default_configENS1_20scan_config_selectorIN3c107complexIdEEEEZZNS1_9scan_implILNS1_25lookback_scan_determinismE0ELb0ELb0ES3_PKS7_PS7_S7_ZZZN2at6native31launch_logcumsumexp_cuda_kernelERKNSE_10TensorBaseESI_lENKUlvE_clEvENKUlvE1_clEvEUlS7_S7_E_S7_EEDaPvRmT3_T4_T5_mT6_P12ihipStream_tbENKUlT_T0_E_clISt17integral_constantIbLb0EESZ_EEDaSU_SV_EUlSU_E0_NS1_11comp_targetILNS1_3genE5ELNS1_11target_archE942ELNS1_3gpuE9ELNS1_3repE0EEENS1_30default_config_static_selectorELNS0_4arch9wavefront6targetE1EEEvT1_.has_dyn_sized_stack, 0
	.set _ZN7rocprim17ROCPRIM_400000_NS6detail17trampoline_kernelINS0_14default_configENS1_20scan_config_selectorIN3c107complexIdEEEEZZNS1_9scan_implILNS1_25lookback_scan_determinismE0ELb0ELb0ES3_PKS7_PS7_S7_ZZZN2at6native31launch_logcumsumexp_cuda_kernelERKNSE_10TensorBaseESI_lENKUlvE_clEvENKUlvE1_clEvEUlS7_S7_E_S7_EEDaPvRmT3_T4_T5_mT6_P12ihipStream_tbENKUlT_T0_E_clISt17integral_constantIbLb0EESZ_EEDaSU_SV_EUlSU_E0_NS1_11comp_targetILNS1_3genE5ELNS1_11target_archE942ELNS1_3gpuE9ELNS1_3repE0EEENS1_30default_config_static_selectorELNS0_4arch9wavefront6targetE1EEEvT1_.has_recursion, 0
	.set _ZN7rocprim17ROCPRIM_400000_NS6detail17trampoline_kernelINS0_14default_configENS1_20scan_config_selectorIN3c107complexIdEEEEZZNS1_9scan_implILNS1_25lookback_scan_determinismE0ELb0ELb0ES3_PKS7_PS7_S7_ZZZN2at6native31launch_logcumsumexp_cuda_kernelERKNSE_10TensorBaseESI_lENKUlvE_clEvENKUlvE1_clEvEUlS7_S7_E_S7_EEDaPvRmT3_T4_T5_mT6_P12ihipStream_tbENKUlT_T0_E_clISt17integral_constantIbLb0EESZ_EEDaSU_SV_EUlSU_E0_NS1_11comp_targetILNS1_3genE5ELNS1_11target_archE942ELNS1_3gpuE9ELNS1_3repE0EEENS1_30default_config_static_selectorELNS0_4arch9wavefront6targetE1EEEvT1_.has_indirect_call, 0
	.section	.AMDGPU.csdata,"",@progbits
; Kernel info:
; codeLenInByte = 0
; TotalNumSgprs: 4
; NumVgprs: 0
; ScratchSize: 0
; MemoryBound: 0
; FloatMode: 240
; IeeeMode: 1
; LDSByteSize: 0 bytes/workgroup (compile time only)
; SGPRBlocks: 0
; VGPRBlocks: 0
; NumSGPRsForWavesPerEU: 4
; NumVGPRsForWavesPerEU: 1
; Occupancy: 10
; WaveLimiterHint : 0
; COMPUTE_PGM_RSRC2:SCRATCH_EN: 0
; COMPUTE_PGM_RSRC2:USER_SGPR: 6
; COMPUTE_PGM_RSRC2:TRAP_HANDLER: 0
; COMPUTE_PGM_RSRC2:TGID_X_EN: 1
; COMPUTE_PGM_RSRC2:TGID_Y_EN: 0
; COMPUTE_PGM_RSRC2:TGID_Z_EN: 0
; COMPUTE_PGM_RSRC2:TIDIG_COMP_CNT: 0
	.section	.text._ZN7rocprim17ROCPRIM_400000_NS6detail17trampoline_kernelINS0_14default_configENS1_20scan_config_selectorIN3c107complexIdEEEEZZNS1_9scan_implILNS1_25lookback_scan_determinismE0ELb0ELb0ES3_PKS7_PS7_S7_ZZZN2at6native31launch_logcumsumexp_cuda_kernelERKNSE_10TensorBaseESI_lENKUlvE_clEvENKUlvE1_clEvEUlS7_S7_E_S7_EEDaPvRmT3_T4_T5_mT6_P12ihipStream_tbENKUlT_T0_E_clISt17integral_constantIbLb0EESZ_EEDaSU_SV_EUlSU_E0_NS1_11comp_targetILNS1_3genE4ELNS1_11target_archE910ELNS1_3gpuE8ELNS1_3repE0EEENS1_30default_config_static_selectorELNS0_4arch9wavefront6targetE1EEEvT1_,"axG",@progbits,_ZN7rocprim17ROCPRIM_400000_NS6detail17trampoline_kernelINS0_14default_configENS1_20scan_config_selectorIN3c107complexIdEEEEZZNS1_9scan_implILNS1_25lookback_scan_determinismE0ELb0ELb0ES3_PKS7_PS7_S7_ZZZN2at6native31launch_logcumsumexp_cuda_kernelERKNSE_10TensorBaseESI_lENKUlvE_clEvENKUlvE1_clEvEUlS7_S7_E_S7_EEDaPvRmT3_T4_T5_mT6_P12ihipStream_tbENKUlT_T0_E_clISt17integral_constantIbLb0EESZ_EEDaSU_SV_EUlSU_E0_NS1_11comp_targetILNS1_3genE4ELNS1_11target_archE910ELNS1_3gpuE8ELNS1_3repE0EEENS1_30default_config_static_selectorELNS0_4arch9wavefront6targetE1EEEvT1_,comdat
	.globl	_ZN7rocprim17ROCPRIM_400000_NS6detail17trampoline_kernelINS0_14default_configENS1_20scan_config_selectorIN3c107complexIdEEEEZZNS1_9scan_implILNS1_25lookback_scan_determinismE0ELb0ELb0ES3_PKS7_PS7_S7_ZZZN2at6native31launch_logcumsumexp_cuda_kernelERKNSE_10TensorBaseESI_lENKUlvE_clEvENKUlvE1_clEvEUlS7_S7_E_S7_EEDaPvRmT3_T4_T5_mT6_P12ihipStream_tbENKUlT_T0_E_clISt17integral_constantIbLb0EESZ_EEDaSU_SV_EUlSU_E0_NS1_11comp_targetILNS1_3genE4ELNS1_11target_archE910ELNS1_3gpuE8ELNS1_3repE0EEENS1_30default_config_static_selectorELNS0_4arch9wavefront6targetE1EEEvT1_ ; -- Begin function _ZN7rocprim17ROCPRIM_400000_NS6detail17trampoline_kernelINS0_14default_configENS1_20scan_config_selectorIN3c107complexIdEEEEZZNS1_9scan_implILNS1_25lookback_scan_determinismE0ELb0ELb0ES3_PKS7_PS7_S7_ZZZN2at6native31launch_logcumsumexp_cuda_kernelERKNSE_10TensorBaseESI_lENKUlvE_clEvENKUlvE1_clEvEUlS7_S7_E_S7_EEDaPvRmT3_T4_T5_mT6_P12ihipStream_tbENKUlT_T0_E_clISt17integral_constantIbLb0EESZ_EEDaSU_SV_EUlSU_E0_NS1_11comp_targetILNS1_3genE4ELNS1_11target_archE910ELNS1_3gpuE8ELNS1_3repE0EEENS1_30default_config_static_selectorELNS0_4arch9wavefront6targetE1EEEvT1_
	.p2align	8
	.type	_ZN7rocprim17ROCPRIM_400000_NS6detail17trampoline_kernelINS0_14default_configENS1_20scan_config_selectorIN3c107complexIdEEEEZZNS1_9scan_implILNS1_25lookback_scan_determinismE0ELb0ELb0ES3_PKS7_PS7_S7_ZZZN2at6native31launch_logcumsumexp_cuda_kernelERKNSE_10TensorBaseESI_lENKUlvE_clEvENKUlvE1_clEvEUlS7_S7_E_S7_EEDaPvRmT3_T4_T5_mT6_P12ihipStream_tbENKUlT_T0_E_clISt17integral_constantIbLb0EESZ_EEDaSU_SV_EUlSU_E0_NS1_11comp_targetILNS1_3genE4ELNS1_11target_archE910ELNS1_3gpuE8ELNS1_3repE0EEENS1_30default_config_static_selectorELNS0_4arch9wavefront6targetE1EEEvT1_,@function
_ZN7rocprim17ROCPRIM_400000_NS6detail17trampoline_kernelINS0_14default_configENS1_20scan_config_selectorIN3c107complexIdEEEEZZNS1_9scan_implILNS1_25lookback_scan_determinismE0ELb0ELb0ES3_PKS7_PS7_S7_ZZZN2at6native31launch_logcumsumexp_cuda_kernelERKNSE_10TensorBaseESI_lENKUlvE_clEvENKUlvE1_clEvEUlS7_S7_E_S7_EEDaPvRmT3_T4_T5_mT6_P12ihipStream_tbENKUlT_T0_E_clISt17integral_constantIbLb0EESZ_EEDaSU_SV_EUlSU_E0_NS1_11comp_targetILNS1_3genE4ELNS1_11target_archE910ELNS1_3gpuE8ELNS1_3repE0EEENS1_30default_config_static_selectorELNS0_4arch9wavefront6targetE1EEEvT1_: ; @_ZN7rocprim17ROCPRIM_400000_NS6detail17trampoline_kernelINS0_14default_configENS1_20scan_config_selectorIN3c107complexIdEEEEZZNS1_9scan_implILNS1_25lookback_scan_determinismE0ELb0ELb0ES3_PKS7_PS7_S7_ZZZN2at6native31launch_logcumsumexp_cuda_kernelERKNSE_10TensorBaseESI_lENKUlvE_clEvENKUlvE1_clEvEUlS7_S7_E_S7_EEDaPvRmT3_T4_T5_mT6_P12ihipStream_tbENKUlT_T0_E_clISt17integral_constantIbLb0EESZ_EEDaSU_SV_EUlSU_E0_NS1_11comp_targetILNS1_3genE4ELNS1_11target_archE910ELNS1_3gpuE8ELNS1_3repE0EEENS1_30default_config_static_selectorELNS0_4arch9wavefront6targetE1EEEvT1_
; %bb.0:
	.section	.rodata,"a",@progbits
	.p2align	6, 0x0
	.amdhsa_kernel _ZN7rocprim17ROCPRIM_400000_NS6detail17trampoline_kernelINS0_14default_configENS1_20scan_config_selectorIN3c107complexIdEEEEZZNS1_9scan_implILNS1_25lookback_scan_determinismE0ELb0ELb0ES3_PKS7_PS7_S7_ZZZN2at6native31launch_logcumsumexp_cuda_kernelERKNSE_10TensorBaseESI_lENKUlvE_clEvENKUlvE1_clEvEUlS7_S7_E_S7_EEDaPvRmT3_T4_T5_mT6_P12ihipStream_tbENKUlT_T0_E_clISt17integral_constantIbLb0EESZ_EEDaSU_SV_EUlSU_E0_NS1_11comp_targetILNS1_3genE4ELNS1_11target_archE910ELNS1_3gpuE8ELNS1_3repE0EEENS1_30default_config_static_selectorELNS0_4arch9wavefront6targetE1EEEvT1_
		.amdhsa_group_segment_fixed_size 0
		.amdhsa_private_segment_fixed_size 0
		.amdhsa_kernarg_size 48
		.amdhsa_user_sgpr_count 6
		.amdhsa_user_sgpr_private_segment_buffer 1
		.amdhsa_user_sgpr_dispatch_ptr 0
		.amdhsa_user_sgpr_queue_ptr 0
		.amdhsa_user_sgpr_kernarg_segment_ptr 1
		.amdhsa_user_sgpr_dispatch_id 0
		.amdhsa_user_sgpr_flat_scratch_init 0
		.amdhsa_user_sgpr_private_segment_size 0
		.amdhsa_uses_dynamic_stack 0
		.amdhsa_system_sgpr_private_segment_wavefront_offset 0
		.amdhsa_system_sgpr_workgroup_id_x 1
		.amdhsa_system_sgpr_workgroup_id_y 0
		.amdhsa_system_sgpr_workgroup_id_z 0
		.amdhsa_system_sgpr_workgroup_info 0
		.amdhsa_system_vgpr_workitem_id 0
		.amdhsa_next_free_vgpr 1
		.amdhsa_next_free_sgpr 0
		.amdhsa_reserve_vcc 0
		.amdhsa_reserve_flat_scratch 0
		.amdhsa_float_round_mode_32 0
		.amdhsa_float_round_mode_16_64 0
		.amdhsa_float_denorm_mode_32 3
		.amdhsa_float_denorm_mode_16_64 3
		.amdhsa_dx10_clamp 1
		.amdhsa_ieee_mode 1
		.amdhsa_fp16_overflow 0
		.amdhsa_exception_fp_ieee_invalid_op 0
		.amdhsa_exception_fp_denorm_src 0
		.amdhsa_exception_fp_ieee_div_zero 0
		.amdhsa_exception_fp_ieee_overflow 0
		.amdhsa_exception_fp_ieee_underflow 0
		.amdhsa_exception_fp_ieee_inexact 0
		.amdhsa_exception_int_div_zero 0
	.end_amdhsa_kernel
	.section	.text._ZN7rocprim17ROCPRIM_400000_NS6detail17trampoline_kernelINS0_14default_configENS1_20scan_config_selectorIN3c107complexIdEEEEZZNS1_9scan_implILNS1_25lookback_scan_determinismE0ELb0ELb0ES3_PKS7_PS7_S7_ZZZN2at6native31launch_logcumsumexp_cuda_kernelERKNSE_10TensorBaseESI_lENKUlvE_clEvENKUlvE1_clEvEUlS7_S7_E_S7_EEDaPvRmT3_T4_T5_mT6_P12ihipStream_tbENKUlT_T0_E_clISt17integral_constantIbLb0EESZ_EEDaSU_SV_EUlSU_E0_NS1_11comp_targetILNS1_3genE4ELNS1_11target_archE910ELNS1_3gpuE8ELNS1_3repE0EEENS1_30default_config_static_selectorELNS0_4arch9wavefront6targetE1EEEvT1_,"axG",@progbits,_ZN7rocprim17ROCPRIM_400000_NS6detail17trampoline_kernelINS0_14default_configENS1_20scan_config_selectorIN3c107complexIdEEEEZZNS1_9scan_implILNS1_25lookback_scan_determinismE0ELb0ELb0ES3_PKS7_PS7_S7_ZZZN2at6native31launch_logcumsumexp_cuda_kernelERKNSE_10TensorBaseESI_lENKUlvE_clEvENKUlvE1_clEvEUlS7_S7_E_S7_EEDaPvRmT3_T4_T5_mT6_P12ihipStream_tbENKUlT_T0_E_clISt17integral_constantIbLb0EESZ_EEDaSU_SV_EUlSU_E0_NS1_11comp_targetILNS1_3genE4ELNS1_11target_archE910ELNS1_3gpuE8ELNS1_3repE0EEENS1_30default_config_static_selectorELNS0_4arch9wavefront6targetE1EEEvT1_,comdat
.Lfunc_end195:
	.size	_ZN7rocprim17ROCPRIM_400000_NS6detail17trampoline_kernelINS0_14default_configENS1_20scan_config_selectorIN3c107complexIdEEEEZZNS1_9scan_implILNS1_25lookback_scan_determinismE0ELb0ELb0ES3_PKS7_PS7_S7_ZZZN2at6native31launch_logcumsumexp_cuda_kernelERKNSE_10TensorBaseESI_lENKUlvE_clEvENKUlvE1_clEvEUlS7_S7_E_S7_EEDaPvRmT3_T4_T5_mT6_P12ihipStream_tbENKUlT_T0_E_clISt17integral_constantIbLb0EESZ_EEDaSU_SV_EUlSU_E0_NS1_11comp_targetILNS1_3genE4ELNS1_11target_archE910ELNS1_3gpuE8ELNS1_3repE0EEENS1_30default_config_static_selectorELNS0_4arch9wavefront6targetE1EEEvT1_, .Lfunc_end195-_ZN7rocprim17ROCPRIM_400000_NS6detail17trampoline_kernelINS0_14default_configENS1_20scan_config_selectorIN3c107complexIdEEEEZZNS1_9scan_implILNS1_25lookback_scan_determinismE0ELb0ELb0ES3_PKS7_PS7_S7_ZZZN2at6native31launch_logcumsumexp_cuda_kernelERKNSE_10TensorBaseESI_lENKUlvE_clEvENKUlvE1_clEvEUlS7_S7_E_S7_EEDaPvRmT3_T4_T5_mT6_P12ihipStream_tbENKUlT_T0_E_clISt17integral_constantIbLb0EESZ_EEDaSU_SV_EUlSU_E0_NS1_11comp_targetILNS1_3genE4ELNS1_11target_archE910ELNS1_3gpuE8ELNS1_3repE0EEENS1_30default_config_static_selectorELNS0_4arch9wavefront6targetE1EEEvT1_
                                        ; -- End function
	.set _ZN7rocprim17ROCPRIM_400000_NS6detail17trampoline_kernelINS0_14default_configENS1_20scan_config_selectorIN3c107complexIdEEEEZZNS1_9scan_implILNS1_25lookback_scan_determinismE0ELb0ELb0ES3_PKS7_PS7_S7_ZZZN2at6native31launch_logcumsumexp_cuda_kernelERKNSE_10TensorBaseESI_lENKUlvE_clEvENKUlvE1_clEvEUlS7_S7_E_S7_EEDaPvRmT3_T4_T5_mT6_P12ihipStream_tbENKUlT_T0_E_clISt17integral_constantIbLb0EESZ_EEDaSU_SV_EUlSU_E0_NS1_11comp_targetILNS1_3genE4ELNS1_11target_archE910ELNS1_3gpuE8ELNS1_3repE0EEENS1_30default_config_static_selectorELNS0_4arch9wavefront6targetE1EEEvT1_.num_vgpr, 0
	.set _ZN7rocprim17ROCPRIM_400000_NS6detail17trampoline_kernelINS0_14default_configENS1_20scan_config_selectorIN3c107complexIdEEEEZZNS1_9scan_implILNS1_25lookback_scan_determinismE0ELb0ELb0ES3_PKS7_PS7_S7_ZZZN2at6native31launch_logcumsumexp_cuda_kernelERKNSE_10TensorBaseESI_lENKUlvE_clEvENKUlvE1_clEvEUlS7_S7_E_S7_EEDaPvRmT3_T4_T5_mT6_P12ihipStream_tbENKUlT_T0_E_clISt17integral_constantIbLb0EESZ_EEDaSU_SV_EUlSU_E0_NS1_11comp_targetILNS1_3genE4ELNS1_11target_archE910ELNS1_3gpuE8ELNS1_3repE0EEENS1_30default_config_static_selectorELNS0_4arch9wavefront6targetE1EEEvT1_.num_agpr, 0
	.set _ZN7rocprim17ROCPRIM_400000_NS6detail17trampoline_kernelINS0_14default_configENS1_20scan_config_selectorIN3c107complexIdEEEEZZNS1_9scan_implILNS1_25lookback_scan_determinismE0ELb0ELb0ES3_PKS7_PS7_S7_ZZZN2at6native31launch_logcumsumexp_cuda_kernelERKNSE_10TensorBaseESI_lENKUlvE_clEvENKUlvE1_clEvEUlS7_S7_E_S7_EEDaPvRmT3_T4_T5_mT6_P12ihipStream_tbENKUlT_T0_E_clISt17integral_constantIbLb0EESZ_EEDaSU_SV_EUlSU_E0_NS1_11comp_targetILNS1_3genE4ELNS1_11target_archE910ELNS1_3gpuE8ELNS1_3repE0EEENS1_30default_config_static_selectorELNS0_4arch9wavefront6targetE1EEEvT1_.numbered_sgpr, 0
	.set _ZN7rocprim17ROCPRIM_400000_NS6detail17trampoline_kernelINS0_14default_configENS1_20scan_config_selectorIN3c107complexIdEEEEZZNS1_9scan_implILNS1_25lookback_scan_determinismE0ELb0ELb0ES3_PKS7_PS7_S7_ZZZN2at6native31launch_logcumsumexp_cuda_kernelERKNSE_10TensorBaseESI_lENKUlvE_clEvENKUlvE1_clEvEUlS7_S7_E_S7_EEDaPvRmT3_T4_T5_mT6_P12ihipStream_tbENKUlT_T0_E_clISt17integral_constantIbLb0EESZ_EEDaSU_SV_EUlSU_E0_NS1_11comp_targetILNS1_3genE4ELNS1_11target_archE910ELNS1_3gpuE8ELNS1_3repE0EEENS1_30default_config_static_selectorELNS0_4arch9wavefront6targetE1EEEvT1_.num_named_barrier, 0
	.set _ZN7rocprim17ROCPRIM_400000_NS6detail17trampoline_kernelINS0_14default_configENS1_20scan_config_selectorIN3c107complexIdEEEEZZNS1_9scan_implILNS1_25lookback_scan_determinismE0ELb0ELb0ES3_PKS7_PS7_S7_ZZZN2at6native31launch_logcumsumexp_cuda_kernelERKNSE_10TensorBaseESI_lENKUlvE_clEvENKUlvE1_clEvEUlS7_S7_E_S7_EEDaPvRmT3_T4_T5_mT6_P12ihipStream_tbENKUlT_T0_E_clISt17integral_constantIbLb0EESZ_EEDaSU_SV_EUlSU_E0_NS1_11comp_targetILNS1_3genE4ELNS1_11target_archE910ELNS1_3gpuE8ELNS1_3repE0EEENS1_30default_config_static_selectorELNS0_4arch9wavefront6targetE1EEEvT1_.private_seg_size, 0
	.set _ZN7rocprim17ROCPRIM_400000_NS6detail17trampoline_kernelINS0_14default_configENS1_20scan_config_selectorIN3c107complexIdEEEEZZNS1_9scan_implILNS1_25lookback_scan_determinismE0ELb0ELb0ES3_PKS7_PS7_S7_ZZZN2at6native31launch_logcumsumexp_cuda_kernelERKNSE_10TensorBaseESI_lENKUlvE_clEvENKUlvE1_clEvEUlS7_S7_E_S7_EEDaPvRmT3_T4_T5_mT6_P12ihipStream_tbENKUlT_T0_E_clISt17integral_constantIbLb0EESZ_EEDaSU_SV_EUlSU_E0_NS1_11comp_targetILNS1_3genE4ELNS1_11target_archE910ELNS1_3gpuE8ELNS1_3repE0EEENS1_30default_config_static_selectorELNS0_4arch9wavefront6targetE1EEEvT1_.uses_vcc, 0
	.set _ZN7rocprim17ROCPRIM_400000_NS6detail17trampoline_kernelINS0_14default_configENS1_20scan_config_selectorIN3c107complexIdEEEEZZNS1_9scan_implILNS1_25lookback_scan_determinismE0ELb0ELb0ES3_PKS7_PS7_S7_ZZZN2at6native31launch_logcumsumexp_cuda_kernelERKNSE_10TensorBaseESI_lENKUlvE_clEvENKUlvE1_clEvEUlS7_S7_E_S7_EEDaPvRmT3_T4_T5_mT6_P12ihipStream_tbENKUlT_T0_E_clISt17integral_constantIbLb0EESZ_EEDaSU_SV_EUlSU_E0_NS1_11comp_targetILNS1_3genE4ELNS1_11target_archE910ELNS1_3gpuE8ELNS1_3repE0EEENS1_30default_config_static_selectorELNS0_4arch9wavefront6targetE1EEEvT1_.uses_flat_scratch, 0
	.set _ZN7rocprim17ROCPRIM_400000_NS6detail17trampoline_kernelINS0_14default_configENS1_20scan_config_selectorIN3c107complexIdEEEEZZNS1_9scan_implILNS1_25lookback_scan_determinismE0ELb0ELb0ES3_PKS7_PS7_S7_ZZZN2at6native31launch_logcumsumexp_cuda_kernelERKNSE_10TensorBaseESI_lENKUlvE_clEvENKUlvE1_clEvEUlS7_S7_E_S7_EEDaPvRmT3_T4_T5_mT6_P12ihipStream_tbENKUlT_T0_E_clISt17integral_constantIbLb0EESZ_EEDaSU_SV_EUlSU_E0_NS1_11comp_targetILNS1_3genE4ELNS1_11target_archE910ELNS1_3gpuE8ELNS1_3repE0EEENS1_30default_config_static_selectorELNS0_4arch9wavefront6targetE1EEEvT1_.has_dyn_sized_stack, 0
	.set _ZN7rocprim17ROCPRIM_400000_NS6detail17trampoline_kernelINS0_14default_configENS1_20scan_config_selectorIN3c107complexIdEEEEZZNS1_9scan_implILNS1_25lookback_scan_determinismE0ELb0ELb0ES3_PKS7_PS7_S7_ZZZN2at6native31launch_logcumsumexp_cuda_kernelERKNSE_10TensorBaseESI_lENKUlvE_clEvENKUlvE1_clEvEUlS7_S7_E_S7_EEDaPvRmT3_T4_T5_mT6_P12ihipStream_tbENKUlT_T0_E_clISt17integral_constantIbLb0EESZ_EEDaSU_SV_EUlSU_E0_NS1_11comp_targetILNS1_3genE4ELNS1_11target_archE910ELNS1_3gpuE8ELNS1_3repE0EEENS1_30default_config_static_selectorELNS0_4arch9wavefront6targetE1EEEvT1_.has_recursion, 0
	.set _ZN7rocprim17ROCPRIM_400000_NS6detail17trampoline_kernelINS0_14default_configENS1_20scan_config_selectorIN3c107complexIdEEEEZZNS1_9scan_implILNS1_25lookback_scan_determinismE0ELb0ELb0ES3_PKS7_PS7_S7_ZZZN2at6native31launch_logcumsumexp_cuda_kernelERKNSE_10TensorBaseESI_lENKUlvE_clEvENKUlvE1_clEvEUlS7_S7_E_S7_EEDaPvRmT3_T4_T5_mT6_P12ihipStream_tbENKUlT_T0_E_clISt17integral_constantIbLb0EESZ_EEDaSU_SV_EUlSU_E0_NS1_11comp_targetILNS1_3genE4ELNS1_11target_archE910ELNS1_3gpuE8ELNS1_3repE0EEENS1_30default_config_static_selectorELNS0_4arch9wavefront6targetE1EEEvT1_.has_indirect_call, 0
	.section	.AMDGPU.csdata,"",@progbits
; Kernel info:
; codeLenInByte = 0
; TotalNumSgprs: 4
; NumVgprs: 0
; ScratchSize: 0
; MemoryBound: 0
; FloatMode: 240
; IeeeMode: 1
; LDSByteSize: 0 bytes/workgroup (compile time only)
; SGPRBlocks: 0
; VGPRBlocks: 0
; NumSGPRsForWavesPerEU: 4
; NumVGPRsForWavesPerEU: 1
; Occupancy: 10
; WaveLimiterHint : 0
; COMPUTE_PGM_RSRC2:SCRATCH_EN: 0
; COMPUTE_PGM_RSRC2:USER_SGPR: 6
; COMPUTE_PGM_RSRC2:TRAP_HANDLER: 0
; COMPUTE_PGM_RSRC2:TGID_X_EN: 1
; COMPUTE_PGM_RSRC2:TGID_Y_EN: 0
; COMPUTE_PGM_RSRC2:TGID_Z_EN: 0
; COMPUTE_PGM_RSRC2:TIDIG_COMP_CNT: 0
	.section	.text._ZN7rocprim17ROCPRIM_400000_NS6detail17trampoline_kernelINS0_14default_configENS1_20scan_config_selectorIN3c107complexIdEEEEZZNS1_9scan_implILNS1_25lookback_scan_determinismE0ELb0ELb0ES3_PKS7_PS7_S7_ZZZN2at6native31launch_logcumsumexp_cuda_kernelERKNSE_10TensorBaseESI_lENKUlvE_clEvENKUlvE1_clEvEUlS7_S7_E_S7_EEDaPvRmT3_T4_T5_mT6_P12ihipStream_tbENKUlT_T0_E_clISt17integral_constantIbLb0EESZ_EEDaSU_SV_EUlSU_E0_NS1_11comp_targetILNS1_3genE3ELNS1_11target_archE908ELNS1_3gpuE7ELNS1_3repE0EEENS1_30default_config_static_selectorELNS0_4arch9wavefront6targetE1EEEvT1_,"axG",@progbits,_ZN7rocprim17ROCPRIM_400000_NS6detail17trampoline_kernelINS0_14default_configENS1_20scan_config_selectorIN3c107complexIdEEEEZZNS1_9scan_implILNS1_25lookback_scan_determinismE0ELb0ELb0ES3_PKS7_PS7_S7_ZZZN2at6native31launch_logcumsumexp_cuda_kernelERKNSE_10TensorBaseESI_lENKUlvE_clEvENKUlvE1_clEvEUlS7_S7_E_S7_EEDaPvRmT3_T4_T5_mT6_P12ihipStream_tbENKUlT_T0_E_clISt17integral_constantIbLb0EESZ_EEDaSU_SV_EUlSU_E0_NS1_11comp_targetILNS1_3genE3ELNS1_11target_archE908ELNS1_3gpuE7ELNS1_3repE0EEENS1_30default_config_static_selectorELNS0_4arch9wavefront6targetE1EEEvT1_,comdat
	.globl	_ZN7rocprim17ROCPRIM_400000_NS6detail17trampoline_kernelINS0_14default_configENS1_20scan_config_selectorIN3c107complexIdEEEEZZNS1_9scan_implILNS1_25lookback_scan_determinismE0ELb0ELb0ES3_PKS7_PS7_S7_ZZZN2at6native31launch_logcumsumexp_cuda_kernelERKNSE_10TensorBaseESI_lENKUlvE_clEvENKUlvE1_clEvEUlS7_S7_E_S7_EEDaPvRmT3_T4_T5_mT6_P12ihipStream_tbENKUlT_T0_E_clISt17integral_constantIbLb0EESZ_EEDaSU_SV_EUlSU_E0_NS1_11comp_targetILNS1_3genE3ELNS1_11target_archE908ELNS1_3gpuE7ELNS1_3repE0EEENS1_30default_config_static_selectorELNS0_4arch9wavefront6targetE1EEEvT1_ ; -- Begin function _ZN7rocprim17ROCPRIM_400000_NS6detail17trampoline_kernelINS0_14default_configENS1_20scan_config_selectorIN3c107complexIdEEEEZZNS1_9scan_implILNS1_25lookback_scan_determinismE0ELb0ELb0ES3_PKS7_PS7_S7_ZZZN2at6native31launch_logcumsumexp_cuda_kernelERKNSE_10TensorBaseESI_lENKUlvE_clEvENKUlvE1_clEvEUlS7_S7_E_S7_EEDaPvRmT3_T4_T5_mT6_P12ihipStream_tbENKUlT_T0_E_clISt17integral_constantIbLb0EESZ_EEDaSU_SV_EUlSU_E0_NS1_11comp_targetILNS1_3genE3ELNS1_11target_archE908ELNS1_3gpuE7ELNS1_3repE0EEENS1_30default_config_static_selectorELNS0_4arch9wavefront6targetE1EEEvT1_
	.p2align	8
	.type	_ZN7rocprim17ROCPRIM_400000_NS6detail17trampoline_kernelINS0_14default_configENS1_20scan_config_selectorIN3c107complexIdEEEEZZNS1_9scan_implILNS1_25lookback_scan_determinismE0ELb0ELb0ES3_PKS7_PS7_S7_ZZZN2at6native31launch_logcumsumexp_cuda_kernelERKNSE_10TensorBaseESI_lENKUlvE_clEvENKUlvE1_clEvEUlS7_S7_E_S7_EEDaPvRmT3_T4_T5_mT6_P12ihipStream_tbENKUlT_T0_E_clISt17integral_constantIbLb0EESZ_EEDaSU_SV_EUlSU_E0_NS1_11comp_targetILNS1_3genE3ELNS1_11target_archE908ELNS1_3gpuE7ELNS1_3repE0EEENS1_30default_config_static_selectorELNS0_4arch9wavefront6targetE1EEEvT1_,@function
_ZN7rocprim17ROCPRIM_400000_NS6detail17trampoline_kernelINS0_14default_configENS1_20scan_config_selectorIN3c107complexIdEEEEZZNS1_9scan_implILNS1_25lookback_scan_determinismE0ELb0ELb0ES3_PKS7_PS7_S7_ZZZN2at6native31launch_logcumsumexp_cuda_kernelERKNSE_10TensorBaseESI_lENKUlvE_clEvENKUlvE1_clEvEUlS7_S7_E_S7_EEDaPvRmT3_T4_T5_mT6_P12ihipStream_tbENKUlT_T0_E_clISt17integral_constantIbLb0EESZ_EEDaSU_SV_EUlSU_E0_NS1_11comp_targetILNS1_3genE3ELNS1_11target_archE908ELNS1_3gpuE7ELNS1_3repE0EEENS1_30default_config_static_selectorELNS0_4arch9wavefront6targetE1EEEvT1_: ; @_ZN7rocprim17ROCPRIM_400000_NS6detail17trampoline_kernelINS0_14default_configENS1_20scan_config_selectorIN3c107complexIdEEEEZZNS1_9scan_implILNS1_25lookback_scan_determinismE0ELb0ELb0ES3_PKS7_PS7_S7_ZZZN2at6native31launch_logcumsumexp_cuda_kernelERKNSE_10TensorBaseESI_lENKUlvE_clEvENKUlvE1_clEvEUlS7_S7_E_S7_EEDaPvRmT3_T4_T5_mT6_P12ihipStream_tbENKUlT_T0_E_clISt17integral_constantIbLb0EESZ_EEDaSU_SV_EUlSU_E0_NS1_11comp_targetILNS1_3genE3ELNS1_11target_archE908ELNS1_3gpuE7ELNS1_3repE0EEENS1_30default_config_static_selectorELNS0_4arch9wavefront6targetE1EEEvT1_
; %bb.0:
	.section	.rodata,"a",@progbits
	.p2align	6, 0x0
	.amdhsa_kernel _ZN7rocprim17ROCPRIM_400000_NS6detail17trampoline_kernelINS0_14default_configENS1_20scan_config_selectorIN3c107complexIdEEEEZZNS1_9scan_implILNS1_25lookback_scan_determinismE0ELb0ELb0ES3_PKS7_PS7_S7_ZZZN2at6native31launch_logcumsumexp_cuda_kernelERKNSE_10TensorBaseESI_lENKUlvE_clEvENKUlvE1_clEvEUlS7_S7_E_S7_EEDaPvRmT3_T4_T5_mT6_P12ihipStream_tbENKUlT_T0_E_clISt17integral_constantIbLb0EESZ_EEDaSU_SV_EUlSU_E0_NS1_11comp_targetILNS1_3genE3ELNS1_11target_archE908ELNS1_3gpuE7ELNS1_3repE0EEENS1_30default_config_static_selectorELNS0_4arch9wavefront6targetE1EEEvT1_
		.amdhsa_group_segment_fixed_size 0
		.amdhsa_private_segment_fixed_size 0
		.amdhsa_kernarg_size 48
		.amdhsa_user_sgpr_count 6
		.amdhsa_user_sgpr_private_segment_buffer 1
		.amdhsa_user_sgpr_dispatch_ptr 0
		.amdhsa_user_sgpr_queue_ptr 0
		.amdhsa_user_sgpr_kernarg_segment_ptr 1
		.amdhsa_user_sgpr_dispatch_id 0
		.amdhsa_user_sgpr_flat_scratch_init 0
		.amdhsa_user_sgpr_private_segment_size 0
		.amdhsa_uses_dynamic_stack 0
		.amdhsa_system_sgpr_private_segment_wavefront_offset 0
		.amdhsa_system_sgpr_workgroup_id_x 1
		.amdhsa_system_sgpr_workgroup_id_y 0
		.amdhsa_system_sgpr_workgroup_id_z 0
		.amdhsa_system_sgpr_workgroup_info 0
		.amdhsa_system_vgpr_workitem_id 0
		.amdhsa_next_free_vgpr 1
		.amdhsa_next_free_sgpr 0
		.amdhsa_reserve_vcc 0
		.amdhsa_reserve_flat_scratch 0
		.amdhsa_float_round_mode_32 0
		.amdhsa_float_round_mode_16_64 0
		.amdhsa_float_denorm_mode_32 3
		.amdhsa_float_denorm_mode_16_64 3
		.amdhsa_dx10_clamp 1
		.amdhsa_ieee_mode 1
		.amdhsa_fp16_overflow 0
		.amdhsa_exception_fp_ieee_invalid_op 0
		.amdhsa_exception_fp_denorm_src 0
		.amdhsa_exception_fp_ieee_div_zero 0
		.amdhsa_exception_fp_ieee_overflow 0
		.amdhsa_exception_fp_ieee_underflow 0
		.amdhsa_exception_fp_ieee_inexact 0
		.amdhsa_exception_int_div_zero 0
	.end_amdhsa_kernel
	.section	.text._ZN7rocprim17ROCPRIM_400000_NS6detail17trampoline_kernelINS0_14default_configENS1_20scan_config_selectorIN3c107complexIdEEEEZZNS1_9scan_implILNS1_25lookback_scan_determinismE0ELb0ELb0ES3_PKS7_PS7_S7_ZZZN2at6native31launch_logcumsumexp_cuda_kernelERKNSE_10TensorBaseESI_lENKUlvE_clEvENKUlvE1_clEvEUlS7_S7_E_S7_EEDaPvRmT3_T4_T5_mT6_P12ihipStream_tbENKUlT_T0_E_clISt17integral_constantIbLb0EESZ_EEDaSU_SV_EUlSU_E0_NS1_11comp_targetILNS1_3genE3ELNS1_11target_archE908ELNS1_3gpuE7ELNS1_3repE0EEENS1_30default_config_static_selectorELNS0_4arch9wavefront6targetE1EEEvT1_,"axG",@progbits,_ZN7rocprim17ROCPRIM_400000_NS6detail17trampoline_kernelINS0_14default_configENS1_20scan_config_selectorIN3c107complexIdEEEEZZNS1_9scan_implILNS1_25lookback_scan_determinismE0ELb0ELb0ES3_PKS7_PS7_S7_ZZZN2at6native31launch_logcumsumexp_cuda_kernelERKNSE_10TensorBaseESI_lENKUlvE_clEvENKUlvE1_clEvEUlS7_S7_E_S7_EEDaPvRmT3_T4_T5_mT6_P12ihipStream_tbENKUlT_T0_E_clISt17integral_constantIbLb0EESZ_EEDaSU_SV_EUlSU_E0_NS1_11comp_targetILNS1_3genE3ELNS1_11target_archE908ELNS1_3gpuE7ELNS1_3repE0EEENS1_30default_config_static_selectorELNS0_4arch9wavefront6targetE1EEEvT1_,comdat
.Lfunc_end196:
	.size	_ZN7rocprim17ROCPRIM_400000_NS6detail17trampoline_kernelINS0_14default_configENS1_20scan_config_selectorIN3c107complexIdEEEEZZNS1_9scan_implILNS1_25lookback_scan_determinismE0ELb0ELb0ES3_PKS7_PS7_S7_ZZZN2at6native31launch_logcumsumexp_cuda_kernelERKNSE_10TensorBaseESI_lENKUlvE_clEvENKUlvE1_clEvEUlS7_S7_E_S7_EEDaPvRmT3_T4_T5_mT6_P12ihipStream_tbENKUlT_T0_E_clISt17integral_constantIbLb0EESZ_EEDaSU_SV_EUlSU_E0_NS1_11comp_targetILNS1_3genE3ELNS1_11target_archE908ELNS1_3gpuE7ELNS1_3repE0EEENS1_30default_config_static_selectorELNS0_4arch9wavefront6targetE1EEEvT1_, .Lfunc_end196-_ZN7rocprim17ROCPRIM_400000_NS6detail17trampoline_kernelINS0_14default_configENS1_20scan_config_selectorIN3c107complexIdEEEEZZNS1_9scan_implILNS1_25lookback_scan_determinismE0ELb0ELb0ES3_PKS7_PS7_S7_ZZZN2at6native31launch_logcumsumexp_cuda_kernelERKNSE_10TensorBaseESI_lENKUlvE_clEvENKUlvE1_clEvEUlS7_S7_E_S7_EEDaPvRmT3_T4_T5_mT6_P12ihipStream_tbENKUlT_T0_E_clISt17integral_constantIbLb0EESZ_EEDaSU_SV_EUlSU_E0_NS1_11comp_targetILNS1_3genE3ELNS1_11target_archE908ELNS1_3gpuE7ELNS1_3repE0EEENS1_30default_config_static_selectorELNS0_4arch9wavefront6targetE1EEEvT1_
                                        ; -- End function
	.set _ZN7rocprim17ROCPRIM_400000_NS6detail17trampoline_kernelINS0_14default_configENS1_20scan_config_selectorIN3c107complexIdEEEEZZNS1_9scan_implILNS1_25lookback_scan_determinismE0ELb0ELb0ES3_PKS7_PS7_S7_ZZZN2at6native31launch_logcumsumexp_cuda_kernelERKNSE_10TensorBaseESI_lENKUlvE_clEvENKUlvE1_clEvEUlS7_S7_E_S7_EEDaPvRmT3_T4_T5_mT6_P12ihipStream_tbENKUlT_T0_E_clISt17integral_constantIbLb0EESZ_EEDaSU_SV_EUlSU_E0_NS1_11comp_targetILNS1_3genE3ELNS1_11target_archE908ELNS1_3gpuE7ELNS1_3repE0EEENS1_30default_config_static_selectorELNS0_4arch9wavefront6targetE1EEEvT1_.num_vgpr, 0
	.set _ZN7rocprim17ROCPRIM_400000_NS6detail17trampoline_kernelINS0_14default_configENS1_20scan_config_selectorIN3c107complexIdEEEEZZNS1_9scan_implILNS1_25lookback_scan_determinismE0ELb0ELb0ES3_PKS7_PS7_S7_ZZZN2at6native31launch_logcumsumexp_cuda_kernelERKNSE_10TensorBaseESI_lENKUlvE_clEvENKUlvE1_clEvEUlS7_S7_E_S7_EEDaPvRmT3_T4_T5_mT6_P12ihipStream_tbENKUlT_T0_E_clISt17integral_constantIbLb0EESZ_EEDaSU_SV_EUlSU_E0_NS1_11comp_targetILNS1_3genE3ELNS1_11target_archE908ELNS1_3gpuE7ELNS1_3repE0EEENS1_30default_config_static_selectorELNS0_4arch9wavefront6targetE1EEEvT1_.num_agpr, 0
	.set _ZN7rocprim17ROCPRIM_400000_NS6detail17trampoline_kernelINS0_14default_configENS1_20scan_config_selectorIN3c107complexIdEEEEZZNS1_9scan_implILNS1_25lookback_scan_determinismE0ELb0ELb0ES3_PKS7_PS7_S7_ZZZN2at6native31launch_logcumsumexp_cuda_kernelERKNSE_10TensorBaseESI_lENKUlvE_clEvENKUlvE1_clEvEUlS7_S7_E_S7_EEDaPvRmT3_T4_T5_mT6_P12ihipStream_tbENKUlT_T0_E_clISt17integral_constantIbLb0EESZ_EEDaSU_SV_EUlSU_E0_NS1_11comp_targetILNS1_3genE3ELNS1_11target_archE908ELNS1_3gpuE7ELNS1_3repE0EEENS1_30default_config_static_selectorELNS0_4arch9wavefront6targetE1EEEvT1_.numbered_sgpr, 0
	.set _ZN7rocprim17ROCPRIM_400000_NS6detail17trampoline_kernelINS0_14default_configENS1_20scan_config_selectorIN3c107complexIdEEEEZZNS1_9scan_implILNS1_25lookback_scan_determinismE0ELb0ELb0ES3_PKS7_PS7_S7_ZZZN2at6native31launch_logcumsumexp_cuda_kernelERKNSE_10TensorBaseESI_lENKUlvE_clEvENKUlvE1_clEvEUlS7_S7_E_S7_EEDaPvRmT3_T4_T5_mT6_P12ihipStream_tbENKUlT_T0_E_clISt17integral_constantIbLb0EESZ_EEDaSU_SV_EUlSU_E0_NS1_11comp_targetILNS1_3genE3ELNS1_11target_archE908ELNS1_3gpuE7ELNS1_3repE0EEENS1_30default_config_static_selectorELNS0_4arch9wavefront6targetE1EEEvT1_.num_named_barrier, 0
	.set _ZN7rocprim17ROCPRIM_400000_NS6detail17trampoline_kernelINS0_14default_configENS1_20scan_config_selectorIN3c107complexIdEEEEZZNS1_9scan_implILNS1_25lookback_scan_determinismE0ELb0ELb0ES3_PKS7_PS7_S7_ZZZN2at6native31launch_logcumsumexp_cuda_kernelERKNSE_10TensorBaseESI_lENKUlvE_clEvENKUlvE1_clEvEUlS7_S7_E_S7_EEDaPvRmT3_T4_T5_mT6_P12ihipStream_tbENKUlT_T0_E_clISt17integral_constantIbLb0EESZ_EEDaSU_SV_EUlSU_E0_NS1_11comp_targetILNS1_3genE3ELNS1_11target_archE908ELNS1_3gpuE7ELNS1_3repE0EEENS1_30default_config_static_selectorELNS0_4arch9wavefront6targetE1EEEvT1_.private_seg_size, 0
	.set _ZN7rocprim17ROCPRIM_400000_NS6detail17trampoline_kernelINS0_14default_configENS1_20scan_config_selectorIN3c107complexIdEEEEZZNS1_9scan_implILNS1_25lookback_scan_determinismE0ELb0ELb0ES3_PKS7_PS7_S7_ZZZN2at6native31launch_logcumsumexp_cuda_kernelERKNSE_10TensorBaseESI_lENKUlvE_clEvENKUlvE1_clEvEUlS7_S7_E_S7_EEDaPvRmT3_T4_T5_mT6_P12ihipStream_tbENKUlT_T0_E_clISt17integral_constantIbLb0EESZ_EEDaSU_SV_EUlSU_E0_NS1_11comp_targetILNS1_3genE3ELNS1_11target_archE908ELNS1_3gpuE7ELNS1_3repE0EEENS1_30default_config_static_selectorELNS0_4arch9wavefront6targetE1EEEvT1_.uses_vcc, 0
	.set _ZN7rocprim17ROCPRIM_400000_NS6detail17trampoline_kernelINS0_14default_configENS1_20scan_config_selectorIN3c107complexIdEEEEZZNS1_9scan_implILNS1_25lookback_scan_determinismE0ELb0ELb0ES3_PKS7_PS7_S7_ZZZN2at6native31launch_logcumsumexp_cuda_kernelERKNSE_10TensorBaseESI_lENKUlvE_clEvENKUlvE1_clEvEUlS7_S7_E_S7_EEDaPvRmT3_T4_T5_mT6_P12ihipStream_tbENKUlT_T0_E_clISt17integral_constantIbLb0EESZ_EEDaSU_SV_EUlSU_E0_NS1_11comp_targetILNS1_3genE3ELNS1_11target_archE908ELNS1_3gpuE7ELNS1_3repE0EEENS1_30default_config_static_selectorELNS0_4arch9wavefront6targetE1EEEvT1_.uses_flat_scratch, 0
	.set _ZN7rocprim17ROCPRIM_400000_NS6detail17trampoline_kernelINS0_14default_configENS1_20scan_config_selectorIN3c107complexIdEEEEZZNS1_9scan_implILNS1_25lookback_scan_determinismE0ELb0ELb0ES3_PKS7_PS7_S7_ZZZN2at6native31launch_logcumsumexp_cuda_kernelERKNSE_10TensorBaseESI_lENKUlvE_clEvENKUlvE1_clEvEUlS7_S7_E_S7_EEDaPvRmT3_T4_T5_mT6_P12ihipStream_tbENKUlT_T0_E_clISt17integral_constantIbLb0EESZ_EEDaSU_SV_EUlSU_E0_NS1_11comp_targetILNS1_3genE3ELNS1_11target_archE908ELNS1_3gpuE7ELNS1_3repE0EEENS1_30default_config_static_selectorELNS0_4arch9wavefront6targetE1EEEvT1_.has_dyn_sized_stack, 0
	.set _ZN7rocprim17ROCPRIM_400000_NS6detail17trampoline_kernelINS0_14default_configENS1_20scan_config_selectorIN3c107complexIdEEEEZZNS1_9scan_implILNS1_25lookback_scan_determinismE0ELb0ELb0ES3_PKS7_PS7_S7_ZZZN2at6native31launch_logcumsumexp_cuda_kernelERKNSE_10TensorBaseESI_lENKUlvE_clEvENKUlvE1_clEvEUlS7_S7_E_S7_EEDaPvRmT3_T4_T5_mT6_P12ihipStream_tbENKUlT_T0_E_clISt17integral_constantIbLb0EESZ_EEDaSU_SV_EUlSU_E0_NS1_11comp_targetILNS1_3genE3ELNS1_11target_archE908ELNS1_3gpuE7ELNS1_3repE0EEENS1_30default_config_static_selectorELNS0_4arch9wavefront6targetE1EEEvT1_.has_recursion, 0
	.set _ZN7rocprim17ROCPRIM_400000_NS6detail17trampoline_kernelINS0_14default_configENS1_20scan_config_selectorIN3c107complexIdEEEEZZNS1_9scan_implILNS1_25lookback_scan_determinismE0ELb0ELb0ES3_PKS7_PS7_S7_ZZZN2at6native31launch_logcumsumexp_cuda_kernelERKNSE_10TensorBaseESI_lENKUlvE_clEvENKUlvE1_clEvEUlS7_S7_E_S7_EEDaPvRmT3_T4_T5_mT6_P12ihipStream_tbENKUlT_T0_E_clISt17integral_constantIbLb0EESZ_EEDaSU_SV_EUlSU_E0_NS1_11comp_targetILNS1_3genE3ELNS1_11target_archE908ELNS1_3gpuE7ELNS1_3repE0EEENS1_30default_config_static_selectorELNS0_4arch9wavefront6targetE1EEEvT1_.has_indirect_call, 0
	.section	.AMDGPU.csdata,"",@progbits
; Kernel info:
; codeLenInByte = 0
; TotalNumSgprs: 4
; NumVgprs: 0
; ScratchSize: 0
; MemoryBound: 0
; FloatMode: 240
; IeeeMode: 1
; LDSByteSize: 0 bytes/workgroup (compile time only)
; SGPRBlocks: 0
; VGPRBlocks: 0
; NumSGPRsForWavesPerEU: 4
; NumVGPRsForWavesPerEU: 1
; Occupancy: 10
; WaveLimiterHint : 0
; COMPUTE_PGM_RSRC2:SCRATCH_EN: 0
; COMPUTE_PGM_RSRC2:USER_SGPR: 6
; COMPUTE_PGM_RSRC2:TRAP_HANDLER: 0
; COMPUTE_PGM_RSRC2:TGID_X_EN: 1
; COMPUTE_PGM_RSRC2:TGID_Y_EN: 0
; COMPUTE_PGM_RSRC2:TGID_Z_EN: 0
; COMPUTE_PGM_RSRC2:TIDIG_COMP_CNT: 0
	.section	.text._ZN7rocprim17ROCPRIM_400000_NS6detail17trampoline_kernelINS0_14default_configENS1_20scan_config_selectorIN3c107complexIdEEEEZZNS1_9scan_implILNS1_25lookback_scan_determinismE0ELb0ELb0ES3_PKS7_PS7_S7_ZZZN2at6native31launch_logcumsumexp_cuda_kernelERKNSE_10TensorBaseESI_lENKUlvE_clEvENKUlvE1_clEvEUlS7_S7_E_S7_EEDaPvRmT3_T4_T5_mT6_P12ihipStream_tbENKUlT_T0_E_clISt17integral_constantIbLb0EESZ_EEDaSU_SV_EUlSU_E0_NS1_11comp_targetILNS1_3genE2ELNS1_11target_archE906ELNS1_3gpuE6ELNS1_3repE0EEENS1_30default_config_static_selectorELNS0_4arch9wavefront6targetE1EEEvT1_,"axG",@progbits,_ZN7rocprim17ROCPRIM_400000_NS6detail17trampoline_kernelINS0_14default_configENS1_20scan_config_selectorIN3c107complexIdEEEEZZNS1_9scan_implILNS1_25lookback_scan_determinismE0ELb0ELb0ES3_PKS7_PS7_S7_ZZZN2at6native31launch_logcumsumexp_cuda_kernelERKNSE_10TensorBaseESI_lENKUlvE_clEvENKUlvE1_clEvEUlS7_S7_E_S7_EEDaPvRmT3_T4_T5_mT6_P12ihipStream_tbENKUlT_T0_E_clISt17integral_constantIbLb0EESZ_EEDaSU_SV_EUlSU_E0_NS1_11comp_targetILNS1_3genE2ELNS1_11target_archE906ELNS1_3gpuE6ELNS1_3repE0EEENS1_30default_config_static_selectorELNS0_4arch9wavefront6targetE1EEEvT1_,comdat
	.globl	_ZN7rocprim17ROCPRIM_400000_NS6detail17trampoline_kernelINS0_14default_configENS1_20scan_config_selectorIN3c107complexIdEEEEZZNS1_9scan_implILNS1_25lookback_scan_determinismE0ELb0ELb0ES3_PKS7_PS7_S7_ZZZN2at6native31launch_logcumsumexp_cuda_kernelERKNSE_10TensorBaseESI_lENKUlvE_clEvENKUlvE1_clEvEUlS7_S7_E_S7_EEDaPvRmT3_T4_T5_mT6_P12ihipStream_tbENKUlT_T0_E_clISt17integral_constantIbLb0EESZ_EEDaSU_SV_EUlSU_E0_NS1_11comp_targetILNS1_3genE2ELNS1_11target_archE906ELNS1_3gpuE6ELNS1_3repE0EEENS1_30default_config_static_selectorELNS0_4arch9wavefront6targetE1EEEvT1_ ; -- Begin function _ZN7rocprim17ROCPRIM_400000_NS6detail17trampoline_kernelINS0_14default_configENS1_20scan_config_selectorIN3c107complexIdEEEEZZNS1_9scan_implILNS1_25lookback_scan_determinismE0ELb0ELb0ES3_PKS7_PS7_S7_ZZZN2at6native31launch_logcumsumexp_cuda_kernelERKNSE_10TensorBaseESI_lENKUlvE_clEvENKUlvE1_clEvEUlS7_S7_E_S7_EEDaPvRmT3_T4_T5_mT6_P12ihipStream_tbENKUlT_T0_E_clISt17integral_constantIbLb0EESZ_EEDaSU_SV_EUlSU_E0_NS1_11comp_targetILNS1_3genE2ELNS1_11target_archE906ELNS1_3gpuE6ELNS1_3repE0EEENS1_30default_config_static_selectorELNS0_4arch9wavefront6targetE1EEEvT1_
	.p2align	8
	.type	_ZN7rocprim17ROCPRIM_400000_NS6detail17trampoline_kernelINS0_14default_configENS1_20scan_config_selectorIN3c107complexIdEEEEZZNS1_9scan_implILNS1_25lookback_scan_determinismE0ELb0ELb0ES3_PKS7_PS7_S7_ZZZN2at6native31launch_logcumsumexp_cuda_kernelERKNSE_10TensorBaseESI_lENKUlvE_clEvENKUlvE1_clEvEUlS7_S7_E_S7_EEDaPvRmT3_T4_T5_mT6_P12ihipStream_tbENKUlT_T0_E_clISt17integral_constantIbLb0EESZ_EEDaSU_SV_EUlSU_E0_NS1_11comp_targetILNS1_3genE2ELNS1_11target_archE906ELNS1_3gpuE6ELNS1_3repE0EEENS1_30default_config_static_selectorELNS0_4arch9wavefront6targetE1EEEvT1_,@function
_ZN7rocprim17ROCPRIM_400000_NS6detail17trampoline_kernelINS0_14default_configENS1_20scan_config_selectorIN3c107complexIdEEEEZZNS1_9scan_implILNS1_25lookback_scan_determinismE0ELb0ELb0ES3_PKS7_PS7_S7_ZZZN2at6native31launch_logcumsumexp_cuda_kernelERKNSE_10TensorBaseESI_lENKUlvE_clEvENKUlvE1_clEvEUlS7_S7_E_S7_EEDaPvRmT3_T4_T5_mT6_P12ihipStream_tbENKUlT_T0_E_clISt17integral_constantIbLb0EESZ_EEDaSU_SV_EUlSU_E0_NS1_11comp_targetILNS1_3genE2ELNS1_11target_archE906ELNS1_3gpuE6ELNS1_3repE0EEENS1_30default_config_static_selectorELNS0_4arch9wavefront6targetE1EEEvT1_: ; @_ZN7rocprim17ROCPRIM_400000_NS6detail17trampoline_kernelINS0_14default_configENS1_20scan_config_selectorIN3c107complexIdEEEEZZNS1_9scan_implILNS1_25lookback_scan_determinismE0ELb0ELb0ES3_PKS7_PS7_S7_ZZZN2at6native31launch_logcumsumexp_cuda_kernelERKNSE_10TensorBaseESI_lENKUlvE_clEvENKUlvE1_clEvEUlS7_S7_E_S7_EEDaPvRmT3_T4_T5_mT6_P12ihipStream_tbENKUlT_T0_E_clISt17integral_constantIbLb0EESZ_EEDaSU_SV_EUlSU_E0_NS1_11comp_targetILNS1_3genE2ELNS1_11target_archE906ELNS1_3gpuE6ELNS1_3repE0EEENS1_30default_config_static_selectorELNS0_4arch9wavefront6targetE1EEEvT1_
; %bb.0:
	s_add_u32 s0, s0, s7
	s_mov_b64 s[66:67], s[4:5]
	s_load_dwordx4 s[4:7], s[4:5], 0x0
	v_mov_b32_e32 v163, v0
	s_addc_u32 s1, s1, 0
	v_lshlrev_b32_e32 v164, 4, v163
	s_mov_b32 s32, 0
	s_waitcnt lgkmcnt(0)
	s_load_dwordx4 s[8:11], s[4:5], 0x0
	v_cmp_gt_u32_e64 s[34:35], s6, v163
	s_waitcnt lgkmcnt(0)
	v_mov_b32_e32 v2, s10
	v_mov_b32_e32 v0, s8
	;; [unrolled: 1-line block ×4, first 2 shown]
	s_and_saveexec_b64 s[12:13], s[34:35]
	s_cbranch_execz .LBB197_2
; %bb.1:
	global_load_dwordx4 v[0:3], v164, s[4:5]
.LBB197_2:
	s_or_b64 exec, exec, s[12:13]
	v_or_b32_e32 v4, 64, v163
	v_cmp_gt_u32_e64 s[36:37], s6, v4
	v_mov_b32_e32 v6, s10
	v_mov_b32_e32 v4, s8
	v_mov_b32_e32 v7, s11
	v_mov_b32_e32 v5, s9
	s_and_saveexec_b64 s[12:13], s[36:37]
	s_cbranch_execz .LBB197_4
; %bb.3:
	global_load_dwordx4 v[4:7], v164, s[4:5] offset:1024
.LBB197_4:
	s_or_b64 exec, exec, s[12:13]
	v_or_b32_e32 v8, 0x80, v163
	v_cmp_gt_u32_e64 s[38:39], s6, v8
	v_mov_b32_e32 v10, s10
	v_mov_b32_e32 v8, s8
	v_mov_b32_e32 v11, s11
	v_mov_b32_e32 v9, s9
	s_and_saveexec_b64 s[12:13], s[38:39]
	s_cbranch_execz .LBB197_6
; %bb.5:
	global_load_dwordx4 v[8:11], v164, s[4:5] offset:2048
.LBB197_6:
	;; [unrolled: 12-line block ×3, first 2 shown]
	s_or_b64 exec, exec, s[12:13]
	v_or_b32_e32 v20, 0x100, v163
	v_mov_b32_e32 v19, s11
	v_mov_b32_e32 v17, s9
	v_cmp_gt_u32_e64 s[44:45], s6, v20
	v_mov_b32_e32 v18, s10
	v_mov_b32_e32 v16, s8
	s_and_saveexec_b64 s[12:13], s[44:45]
	s_cbranch_execz .LBB197_10
; %bb.9:
	v_lshlrev_b32_e32 v16, 4, v20
	global_load_dwordx4 v[16:19], v16, s[4:5]
.LBB197_10:
	s_or_b64 exec, exec, s[12:13]
	v_or_b32_e32 v24, 0x140, v163
	v_mov_b32_e32 v23, s11
	v_mov_b32_e32 v21, s9
	v_cmp_gt_u32_e64 s[46:47], s6, v24
	v_mov_b32_e32 v22, s10
	v_mov_b32_e32 v20, s8
	s_and_saveexec_b64 s[12:13], s[46:47]
	s_cbranch_execz .LBB197_12
; %bb.11:
	v_lshlrev_b32_e32 v20, 4, v24
	global_load_dwordx4 v[20:23], v20, s[4:5]
.LBB197_12:
	s_or_b64 exec, exec, s[12:13]
	v_or_b32_e32 v28, 0x180, v163
	v_mov_b32_e32 v27, s11
	v_mov_b32_e32 v25, s9
	v_cmp_gt_u32_e64 s[48:49], s6, v28
	v_mov_b32_e32 v26, s10
	v_mov_b32_e32 v24, s8
	s_and_saveexec_b64 s[12:13], s[48:49]
	s_cbranch_execz .LBB197_14
; %bb.13:
	v_lshlrev_b32_e32 v24, 4, v28
	global_load_dwordx4 v[24:27], v24, s[4:5]
.LBB197_14:
	s_or_b64 exec, exec, s[12:13]
	v_or_b32_e32 v32, 0x1c0, v163
	v_mov_b32_e32 v31, s11
	v_mov_b32_e32 v29, s9
	v_cmp_gt_u32_e64 s[50:51], s6, v32
	v_mov_b32_e32 v30, s10
	v_mov_b32_e32 v28, s8
	s_and_saveexec_b64 s[12:13], s[50:51]
	s_cbranch_execz .LBB197_16
; %bb.15:
	v_lshlrev_b32_e32 v28, 4, v32
	global_load_dwordx4 v[28:31], v28, s[4:5]
.LBB197_16:
	s_or_b64 exec, exec, s[12:13]
	v_or_b32_e32 v36, 0x200, v163
	v_mov_b32_e32 v35, s11
	v_mov_b32_e32 v33, s9
	v_cmp_gt_u32_e64 s[52:53], s6, v36
	v_mov_b32_e32 v34, s10
	v_mov_b32_e32 v32, s8
	s_and_saveexec_b64 s[12:13], s[52:53]
	s_cbranch_execz .LBB197_18
; %bb.17:
	v_lshlrev_b32_e32 v32, 4, v36
	global_load_dwordx4 v[32:35], v32, s[4:5]
.LBB197_18:
	s_or_b64 exec, exec, s[12:13]
	v_or_b32_e32 v40, 0x240, v163
	v_mov_b32_e32 v39, s11
	v_mov_b32_e32 v37, s9
	v_cmp_gt_u32_e64 s[54:55], s6, v40
	v_mov_b32_e32 v38, s10
	v_mov_b32_e32 v36, s8
	s_and_saveexec_b64 s[12:13], s[54:55]
	s_cbranch_execz .LBB197_20
; %bb.19:
	v_lshlrev_b32_e32 v36, 4, v40
	global_load_dwordx4 v[36:39], v36, s[4:5]
.LBB197_20:
	s_or_b64 exec, exec, s[12:13]
	v_or_b32_e32 v44, 0x280, v163
	v_mov_b32_e32 v43, s11
	v_mov_b32_e32 v41, s9
	v_cmp_gt_u32_e64 s[56:57], s6, v44
	v_mov_b32_e32 v42, s10
	v_mov_b32_e32 v40, s8
	s_and_saveexec_b64 s[12:13], s[56:57]
	s_cbranch_execz .LBB197_22
; %bb.21:
	v_lshlrev_b32_e32 v40, 4, v44
	global_load_dwordx4 v[40:43], v40, s[4:5]
.LBB197_22:
	s_or_b64 exec, exec, s[12:13]
	v_or_b32_e32 v48, 0x2c0, v163
	v_mov_b32_e32 v47, s11
	v_mov_b32_e32 v45, s9
	v_cmp_gt_u32_e64 s[58:59], s6, v48
	v_mov_b32_e32 v46, s10
	v_mov_b32_e32 v44, s8
	s_and_saveexec_b64 s[12:13], s[58:59]
	s_cbranch_execz .LBB197_24
; %bb.23:
	v_lshlrev_b32_e32 v44, 4, v48
	global_load_dwordx4 v[44:47], v44, s[4:5]
.LBB197_24:
	s_or_b64 exec, exec, s[12:13]
	v_or_b32_e32 v52, 0x300, v163
	v_mov_b32_e32 v51, s11
	v_mov_b32_e32 v49, s9
	v_cmp_gt_u32_e64 s[60:61], s6, v52
	v_mov_b32_e32 v50, s10
	v_mov_b32_e32 v48, s8
	s_and_saveexec_b64 s[12:13], s[60:61]
	s_cbranch_execz .LBB197_26
; %bb.25:
	v_lshlrev_b32_e32 v48, 4, v52
	global_load_dwordx4 v[48:51], v48, s[4:5]
.LBB197_26:
	s_or_b64 exec, exec, s[12:13]
	v_or_b32_e32 v56, 0x340, v163
	v_mov_b32_e32 v55, s11
	v_mov_b32_e32 v53, s9
	v_cmp_gt_u32_e64 s[62:63], s6, v56
	v_mov_b32_e32 v54, s10
	v_mov_b32_e32 v52, s8
	s_and_saveexec_b64 s[12:13], s[62:63]
	s_cbranch_execz .LBB197_28
; %bb.27:
	v_lshlrev_b32_e32 v52, 4, v56
	global_load_dwordx4 v[52:55], v52, s[4:5]
.LBB197_28:
	s_or_b64 exec, exec, s[12:13]
	v_or_b32_e32 v60, 0x380, v163
	v_mov_b32_e32 v59, s11
	v_mov_b32_e32 v57, s9
	v_cmp_gt_u32_e64 s[64:65], s6, v60
	v_mov_b32_e32 v58, s10
	v_mov_b32_e32 v56, s8
	s_and_saveexec_b64 s[6:7], s[64:65]
	s_cbranch_execz .LBB197_30
; %bb.29:
	v_lshlrev_b32_e32 v56, 4, v60
	global_load_dwordx4 v[56:59], v56, s[4:5]
.LBB197_30:
	s_or_b64 exec, exec, s[6:7]
	s_movk_i32 s4, 0xe0
	s_waitcnt vmcnt(0)
	ds_write_b128 v164, v[0:3]
	ds_write_b128 v164, v[4:7] offset:1024
	ds_write_b128 v164, v[8:11] offset:2048
	;; [unrolled: 1-line block ×14, first 2 shown]
	v_mad_u32_u24 v0, v163, s4, v164
	s_waitcnt lgkmcnt(0)
	; wave barrier
	ds_read_b128 v[40:43], v0
	ds_read_b128 v[131:134], v0 offset:16
	ds_read_b128 v[127:130], v0 offset:32
	;; [unrolled: 1-line block ×14, first 2 shown]
	s_getpc_b64 s[68:69]
	s_add_u32 s68, s68, _ZZZZN2at6native31launch_logcumsumexp_cuda_kernelERKNS_10TensorBaseES3_lENKUlvE_clEvENKUlvE1_clEvENKUlN3c107complexIdEES8_E_clES8_S8_@rel32@lo+4
	s_addc_u32 s69, s69, _ZZZZN2at6native31launch_logcumsumexp_cuda_kernelERKNS_10TensorBaseES3_lENKUlvE_clEvENKUlvE1_clEvENKUlN3c107complexIdEES8_E_clES8_S8_@rel32@hi+12
	s_waitcnt lgkmcnt(14)
	v_mov_b32_e32 v0, v40
	v_mov_b32_e32 v1, v41
	;; [unrolled: 1-line block ×4, first 2 shown]
	s_waitcnt lgkmcnt(13)
	v_mov_b32_e32 v4, v131
	v_mov_b32_e32 v5, v132
	;; [unrolled: 1-line block ×4, first 2 shown]
	s_waitcnt lgkmcnt(0)
	; wave barrier
	s_swappc_b64 s[30:31], s[68:69]
	v_mov_b32_e32 v4, v127
	v_mov_b32_e32 v5, v128
	v_mov_b32_e32 v6, v129
	v_mov_b32_e32 v7, v130
	v_mov_b32_e32 v44, v0
	v_mov_b32_e32 v45, v1
	v_mov_b32_e32 v46, v2
	v_mov_b32_e32 v47, v3
	s_swappc_b64 s[30:31], s[68:69]
	v_mov_b32_e32 v4, v119
	v_mov_b32_e32 v5, v120
	v_mov_b32_e32 v6, v121
	v_mov_b32_e32 v7, v122
	v_mov_b32_e32 v63, v0
	v_mov_b32_e32 v64, v1
	v_mov_b32_e32 v65, v2
	v_mov_b32_e32 v66, v3
	;; [unrolled: 9-line block ×13, first 2 shown]
	s_swappc_b64 s[30:31], s[68:69]
	v_mov_b32_e32 v159, v0
	v_mbcnt_lo_u32_b32 v0, -1, 0
	v_mov_b32_e32 v161, v2
	v_mbcnt_hi_u32_b32 v165, -1, v0
	v_mov_b32_e32 v160, v1
	v_mov_b32_e32 v162, v3
	v_and_b32_e32 v166, 15, v165
	v_mov_b32_e32 v4, v159
	v_mov_b32_e32 v6, v161
	v_mov_b32_dpp v8, v159 row_shr:1 row_mask:0xf bank_mask:0xf
	v_mov_b32_dpp v9, v160 row_shr:1 row_mask:0xf bank_mask:0xf
	;; [unrolled: 1-line block ×4, first 2 shown]
	v_cmp_ne_u32_e32 vcc, 0, v166
	v_mov_b32_e32 v5, v160
	v_mov_b32_e32 v7, v162
	;; [unrolled: 1-line block ×3, first 2 shown]
	s_and_saveexec_b64 s[70:71], vcc
	s_cbranch_execz .LBB197_32
; %bb.31:
	v_mov_b32_e32 v0, v8
	v_mov_b32_e32 v1, v9
	;; [unrolled: 1-line block ×8, first 2 shown]
	s_swappc_b64 s[30:31], s[68:69]
	v_mov_b32_e32 v4, v0
	v_mov_b32_e32 v5, v1
	;; [unrolled: 1-line block ×4, first 2 shown]
.LBB197_32:
	s_or_b64 exec, exec, s[70:71]
	v_mov_b32_dpp v8, v0 row_shr:2 row_mask:0xf bank_mask:0xf
	v_mov_b32_dpp v9, v1 row_shr:2 row_mask:0xf bank_mask:0xf
	v_mov_b32_dpp v10, v2 row_shr:2 row_mask:0xf bank_mask:0xf
	v_mov_b32_dpp v11, v3 row_shr:2 row_mask:0xf bank_mask:0xf
	v_cmp_lt_u32_e32 vcc, 1, v166
	s_and_saveexec_b64 s[68:69], vcc
	s_cbranch_execz .LBB197_34
; %bb.33:
	s_getpc_b64 s[4:5]
	s_add_u32 s4, s4, _ZZZZN2at6native31launch_logcumsumexp_cuda_kernelERKNS_10TensorBaseES3_lENKUlvE_clEvENKUlvE1_clEvENKUlN3c107complexIdEES8_E_clES8_S8_@rel32@lo+4
	s_addc_u32 s5, s5, _ZZZZN2at6native31launch_logcumsumexp_cuda_kernelERKNS_10TensorBaseES3_lENKUlvE_clEvENKUlvE1_clEvENKUlN3c107complexIdEES8_E_clES8_S8_@rel32@hi+12
	v_mov_b32_e32 v0, v8
	v_mov_b32_e32 v1, v9
	v_mov_b32_e32 v2, v10
	v_mov_b32_e32 v3, v11
	s_swappc_b64 s[30:31], s[4:5]
	v_mov_b32_e32 v7, v3
	v_mov_b32_e32 v5, v1
	v_mov_b32_e32 v6, v2
	v_mov_b32_e32 v4, v0
.LBB197_34:
	s_or_b64 exec, exec, s[68:69]
	v_mov_b32_dpp v8, v0 row_shr:4 row_mask:0xf bank_mask:0xf
	v_mov_b32_dpp v9, v1 row_shr:4 row_mask:0xf bank_mask:0xf
	v_mov_b32_dpp v10, v2 row_shr:4 row_mask:0xf bank_mask:0xf
	v_mov_b32_dpp v11, v3 row_shr:4 row_mask:0xf bank_mask:0xf
	v_cmp_lt_u32_e32 vcc, 3, v166
	s_and_saveexec_b64 s[68:69], vcc
	s_cbranch_execz .LBB197_36
; %bb.35:
	s_getpc_b64 s[4:5]
	s_add_u32 s4, s4, _ZZZZN2at6native31launch_logcumsumexp_cuda_kernelERKNS_10TensorBaseES3_lENKUlvE_clEvENKUlvE1_clEvENKUlN3c107complexIdEES8_E_clES8_S8_@rel32@lo+4
	s_addc_u32 s5, s5, _ZZZZN2at6native31launch_logcumsumexp_cuda_kernelERKNS_10TensorBaseES3_lENKUlvE_clEvENKUlvE1_clEvENKUlN3c107complexIdEES8_E_clES8_S8_@rel32@hi+12
	v_mov_b32_e32 v0, v8
	v_mov_b32_e32 v1, v9
	v_mov_b32_e32 v2, v10
	v_mov_b32_e32 v3, v11
	s_swappc_b64 s[30:31], s[4:5]
	v_mov_b32_e32 v7, v3
	v_mov_b32_e32 v5, v1
	v_mov_b32_e32 v6, v2
	v_mov_b32_e32 v4, v0
.LBB197_36:
	s_or_b64 exec, exec, s[68:69]
	v_mov_b32_dpp v8, v0 row_shr:8 row_mask:0xf bank_mask:0xf
	v_mov_b32_dpp v9, v1 row_shr:8 row_mask:0xf bank_mask:0xf
	v_mov_b32_dpp v10, v2 row_shr:8 row_mask:0xf bank_mask:0xf
	v_mov_b32_dpp v11, v3 row_shr:8 row_mask:0xf bank_mask:0xf
	v_cmp_lt_u32_e32 vcc, 7, v166
	s_and_saveexec_b64 s[68:69], vcc
	s_cbranch_execz .LBB197_38
; %bb.37:
	s_getpc_b64 s[4:5]
	s_add_u32 s4, s4, _ZZZZN2at6native31launch_logcumsumexp_cuda_kernelERKNS_10TensorBaseES3_lENKUlvE_clEvENKUlvE1_clEvENKUlN3c107complexIdEES8_E_clES8_S8_@rel32@lo+4
	s_addc_u32 s5, s5, _ZZZZN2at6native31launch_logcumsumexp_cuda_kernelERKNS_10TensorBaseES3_lENKUlvE_clEvENKUlvE1_clEvENKUlN3c107complexIdEES8_E_clES8_S8_@rel32@hi+12
	v_mov_b32_e32 v0, v8
	v_mov_b32_e32 v1, v9
	v_mov_b32_e32 v2, v10
	v_mov_b32_e32 v3, v11
	s_swappc_b64 s[30:31], s[4:5]
	v_mov_b32_e32 v7, v3
	v_mov_b32_e32 v5, v1
	v_mov_b32_e32 v6, v2
	v_mov_b32_e32 v4, v0
.LBB197_38:
	s_or_b64 exec, exec, s[68:69]
	v_and_b32_e32 v12, 16, v165
	v_mov_b32_dpp v8, v0 row_bcast:15 row_mask:0xf bank_mask:0xf
	v_mov_b32_dpp v9, v1 row_bcast:15 row_mask:0xf bank_mask:0xf
	;; [unrolled: 1-line block ×4, first 2 shown]
	v_cmp_ne_u32_e32 vcc, 0, v12
	s_and_saveexec_b64 s[68:69], vcc
	s_cbranch_execz .LBB197_40
; %bb.39:
	s_getpc_b64 s[4:5]
	s_add_u32 s4, s4, _ZZZZN2at6native31launch_logcumsumexp_cuda_kernelERKNS_10TensorBaseES3_lENKUlvE_clEvENKUlvE1_clEvENKUlN3c107complexIdEES8_E_clES8_S8_@rel32@lo+4
	s_addc_u32 s5, s5, _ZZZZN2at6native31launch_logcumsumexp_cuda_kernelERKNS_10TensorBaseES3_lENKUlvE_clEvENKUlvE1_clEvENKUlN3c107complexIdEES8_E_clES8_S8_@rel32@hi+12
	v_mov_b32_e32 v0, v8
	v_mov_b32_e32 v1, v9
	;; [unrolled: 1-line block ×4, first 2 shown]
	s_swappc_b64 s[30:31], s[4:5]
	v_mov_b32_e32 v4, v0
	v_mov_b32_e32 v5, v1
	;; [unrolled: 1-line block ×4, first 2 shown]
.LBB197_40:
	s_or_b64 exec, exec, s[68:69]
	v_mov_b32_dpp v0, v0 row_bcast:31 row_mask:0xf bank_mask:0xf
	v_mov_b32_dpp v1, v1 row_bcast:31 row_mask:0xf bank_mask:0xf
	;; [unrolled: 1-line block ×4, first 2 shown]
	v_cmp_lt_u32_e32 vcc, 31, v165
	s_and_saveexec_b64 s[68:69], vcc
	s_cbranch_execz .LBB197_42
; %bb.41:
	s_getpc_b64 s[4:5]
	s_add_u32 s4, s4, _ZZZZN2at6native31launch_logcumsumexp_cuda_kernelERKNS_10TensorBaseES3_lENKUlvE_clEvENKUlvE1_clEvENKUlN3c107complexIdEES8_E_clES8_S8_@rel32@lo+4
	s_addc_u32 s5, s5, _ZZZZN2at6native31launch_logcumsumexp_cuda_kernelERKNS_10TensorBaseES3_lENKUlvE_clEvENKUlvE1_clEvENKUlN3c107complexIdEES8_E_clES8_S8_@rel32@hi+12
	s_swappc_b64 s[30:31], s[4:5]
	v_mov_b32_e32 v4, v0
	v_mov_b32_e32 v5, v1
	;; [unrolled: 1-line block ×4, first 2 shown]
.LBB197_42:
	s_or_b64 exec, exec, s[68:69]
	s_load_dwordx2 s[66:67], s[66:67], 0x28
	v_cmp_eq_u32_e32 vcc, 63, v163
	s_and_saveexec_b64 s[4:5], vcc
; %bb.43:
	v_mov_b32_e32 v0, 0
	ds_write_b128 v0, v[4:7]
; %bb.44:
	s_or_b64 exec, exec, s[4:5]
	v_add_u32_e32 v0, -1, v165
	v_and_b32_e32 v1, 64, v165
	v_cmp_lt_i32_e32 vcc, v0, v1
	v_cndmask_b32_e32 v0, v0, v165, vcc
	v_lshlrev_b32_e32 v3, 2, v0
	ds_bpermute_b32 v0, v3, v4
	ds_bpermute_b32 v1, v3, v5
	;; [unrolled: 1-line block ×4, first 2 shown]
	v_mul_u32_u24_e32 v165, 0xe0, v163
	v_cmp_ne_u32_e32 vcc, 0, v163
	s_waitcnt lgkmcnt(0)
	; wave barrier
	s_and_saveexec_b64 s[68:69], vcc
	s_cbranch_execz .LBB197_46
; %bb.45:
	s_getpc_b64 s[70:71]
	s_add_u32 s70, s70, _ZZZZN2at6native31launch_logcumsumexp_cuda_kernelERKNS_10TensorBaseES3_lENKUlvE_clEvENKUlvE1_clEvENKUlN3c107complexIdEES8_E_clES8_S8_@rel32@lo+4
	s_addc_u32 s71, s71, _ZZZZN2at6native31launch_logcumsumexp_cuda_kernelERKNS_10TensorBaseES3_lENKUlvE_clEvENKUlvE1_clEvENKUlN3c107complexIdEES8_E_clES8_S8_@rel32@hi+12
	v_mov_b32_e32 v4, v40
	v_mov_b32_e32 v5, v41
	v_mov_b32_e32 v6, v42
	v_mov_b32_e32 v7, v43
	s_swappc_b64 s[30:31], s[70:71]
	v_mov_b32_e32 v4, v131
	v_mov_b32_e32 v5, v132
	;; [unrolled: 1-line block ×8, first 2 shown]
	;;#ASMSTART
	;;#ASMEND
	s_swappc_b64 s[30:31], s[70:71]
	v_mov_b32_e32 v4, v127
	v_mov_b32_e32 v5, v128
	v_mov_b32_e32 v6, v129
	v_mov_b32_e32 v7, v130
	v_mov_b32_e32 v44, v0
	v_mov_b32_e32 v45, v1
	v_mov_b32_e32 v46, v2
	v_mov_b32_e32 v47, v3
	s_swappc_b64 s[30:31], s[70:71]
	v_mov_b32_e32 v4, v119
	v_mov_b32_e32 v5, v120
	v_mov_b32_e32 v6, v121
	v_mov_b32_e32 v7, v122
	v_mov_b32_e32 v63, v0
	v_mov_b32_e32 v64, v1
	v_mov_b32_e32 v65, v2
	v_mov_b32_e32 v66, v3
	;; [unrolled: 9-line block ×13, first 2 shown]
	s_swappc_b64 s[30:31], s[70:71]
	v_mov_b32_e32 v159, v0
	v_mov_b32_e32 v160, v1
	v_mov_b32_e32 v161, v2
	v_mov_b32_e32 v162, v3
.LBB197_46:
	s_or_b64 exec, exec, s[68:69]
	v_add_u32_e32 v0, v164, v165
	; wave barrier
	ds_write_b128 v0, v[40:43]
	ds_write_b128 v0, v[44:47] offset:16
	ds_write_b128 v0, v[63:66] offset:32
	;; [unrolled: 1-line block ×14, first 2 shown]
	s_waitcnt lgkmcnt(0)
	; wave barrier
	ds_read_b128 v[52:55], v164 offset:1024
	ds_read_b128 v[48:51], v164 offset:2048
	;; [unrolled: 1-line block ×14, first 2 shown]
	v_mov_b32_e32 v57, s67
	v_add_co_u32_e32 v56, vcc, s66, v164
	v_addc_co_u32_e32 v57, vcc, 0, v57, vcc
	s_and_saveexec_b64 s[4:5], s[34:35]
	s_cbranch_execnz .LBB197_62
; %bb.47:
	s_or_b64 exec, exec, s[4:5]
	s_and_saveexec_b64 s[4:5], s[36:37]
	s_cbranch_execnz .LBB197_63
.LBB197_48:
	s_or_b64 exec, exec, s[4:5]
	s_and_saveexec_b64 s[4:5], s[38:39]
	s_cbranch_execnz .LBB197_64
.LBB197_49:
	s_or_b64 exec, exec, s[4:5]
	s_and_saveexec_b64 s[4:5], s[42:43]
	s_cbranch_execnz .LBB197_65
.LBB197_50:
	s_or_b64 exec, exec, s[4:5]
	s_and_saveexec_b64 s[4:5], s[44:45]
	s_cbranch_execnz .LBB197_66
.LBB197_51:
	s_or_b64 exec, exec, s[4:5]
	s_and_saveexec_b64 s[4:5], s[46:47]
	s_cbranch_execnz .LBB197_67
.LBB197_52:
	s_or_b64 exec, exec, s[4:5]
	s_and_saveexec_b64 s[4:5], s[48:49]
	s_cbranch_execnz .LBB197_68
.LBB197_53:
	s_or_b64 exec, exec, s[4:5]
	s_and_saveexec_b64 s[4:5], s[50:51]
	s_cbranch_execnz .LBB197_69
.LBB197_54:
	s_or_b64 exec, exec, s[4:5]
	s_and_saveexec_b64 s[4:5], s[52:53]
	s_cbranch_execnz .LBB197_70
.LBB197_55:
	s_or_b64 exec, exec, s[4:5]
	s_and_saveexec_b64 s[4:5], s[54:55]
	s_cbranch_execnz .LBB197_71
.LBB197_56:
	s_or_b64 exec, exec, s[4:5]
	s_and_saveexec_b64 s[4:5], s[56:57]
	s_cbranch_execnz .LBB197_72
.LBB197_57:
	s_or_b64 exec, exec, s[4:5]
	s_and_saveexec_b64 s[4:5], s[58:59]
	s_cbranch_execnz .LBB197_73
.LBB197_58:
	s_or_b64 exec, exec, s[4:5]
	s_and_saveexec_b64 s[4:5], s[60:61]
	s_cbranch_execnz .LBB197_74
.LBB197_59:
	s_or_b64 exec, exec, s[4:5]
	s_and_saveexec_b64 s[4:5], s[62:63]
	s_cbranch_execnz .LBB197_75
.LBB197_60:
	s_or_b64 exec, exec, s[4:5]
	s_and_saveexec_b64 s[4:5], s[64:65]
	s_cbranch_execnz .LBB197_76
.LBB197_61:
	s_endpgm
.LBB197_62:
	ds_read_b128 v[58:61], v164
	s_waitcnt lgkmcnt(0)
	global_store_dwordx4 v[56:57], v[58:61], off
	s_or_b64 exec, exec, s[4:5]
	s_and_saveexec_b64 s[4:5], s[36:37]
	s_cbranch_execz .LBB197_48
.LBB197_63:
	s_waitcnt lgkmcnt(13)
	global_store_dwordx4 v[56:57], v[52:55], off offset:1024
	s_or_b64 exec, exec, s[4:5]
	s_and_saveexec_b64 s[4:5], s[38:39]
	s_cbranch_execz .LBB197_49
.LBB197_64:
	s_waitcnt lgkmcnt(12)
	global_store_dwordx4 v[56:57], v[48:51], off offset:2048
	s_or_b64 exec, exec, s[4:5]
	s_and_saveexec_b64 s[4:5], s[42:43]
	s_cbranch_execz .LBB197_50
.LBB197_65:
	s_waitcnt lgkmcnt(11)
	global_store_dwordx4 v[56:57], v[44:47], off offset:3072
	s_or_b64 exec, exec, s[4:5]
	s_and_saveexec_b64 s[4:5], s[44:45]
	s_cbranch_execz .LBB197_51
.LBB197_66:
	s_waitcnt lgkmcnt(11)
	v_add_co_u32_e32 v44, vcc, 0x1000, v56
	v_addc_co_u32_e32 v45, vcc, 0, v57, vcc
	s_waitcnt lgkmcnt(10)
	global_store_dwordx4 v[44:45], v[40:43], off
	s_or_b64 exec, exec, s[4:5]
	s_and_saveexec_b64 s[4:5], s[46:47]
	s_cbranch_execz .LBB197_52
.LBB197_67:
	s_waitcnt lgkmcnt(10)
	v_add_co_u32_e32 v40, vcc, 0x1000, v56
	v_addc_co_u32_e32 v41, vcc, 0, v57, vcc
	s_waitcnt lgkmcnt(9)
	global_store_dwordx4 v[40:41], v[36:39], off offset:1024
	s_or_b64 exec, exec, s[4:5]
	s_and_saveexec_b64 s[4:5], s[48:49]
	s_cbranch_execz .LBB197_53
.LBB197_68:
	s_waitcnt lgkmcnt(9)
	v_add_co_u32_e32 v36, vcc, 0x1000, v56
	v_addc_co_u32_e32 v37, vcc, 0, v57, vcc
	s_waitcnt lgkmcnt(8)
	global_store_dwordx4 v[36:37], v[32:35], off offset:2048
	s_or_b64 exec, exec, s[4:5]
	s_and_saveexec_b64 s[4:5], s[50:51]
	s_cbranch_execz .LBB197_54
.LBB197_69:
	s_waitcnt lgkmcnt(8)
	v_add_co_u32_e32 v32, vcc, 0x1000, v56
	v_addc_co_u32_e32 v33, vcc, 0, v57, vcc
	s_waitcnt lgkmcnt(7)
	global_store_dwordx4 v[32:33], v[28:31], off offset:3072
	s_or_b64 exec, exec, s[4:5]
	s_and_saveexec_b64 s[4:5], s[52:53]
	s_cbranch_execz .LBB197_55
.LBB197_70:
	s_waitcnt lgkmcnt(7)
	v_add_co_u32_e32 v28, vcc, 0x2000, v56
	v_addc_co_u32_e32 v29, vcc, 0, v57, vcc
	s_waitcnt lgkmcnt(6)
	global_store_dwordx4 v[28:29], v[24:27], off
	s_or_b64 exec, exec, s[4:5]
	s_and_saveexec_b64 s[4:5], s[54:55]
	s_cbranch_execz .LBB197_56
.LBB197_71:
	s_waitcnt lgkmcnt(6)
	v_add_co_u32_e32 v24, vcc, 0x2000, v56
	v_addc_co_u32_e32 v25, vcc, 0, v57, vcc
	s_waitcnt lgkmcnt(5)
	global_store_dwordx4 v[24:25], v[20:23], off offset:1024
	s_or_b64 exec, exec, s[4:5]
	s_and_saveexec_b64 s[4:5], s[56:57]
	s_cbranch_execz .LBB197_57
.LBB197_72:
	s_waitcnt lgkmcnt(5)
	v_add_co_u32_e32 v20, vcc, 0x2000, v56
	v_addc_co_u32_e32 v21, vcc, 0, v57, vcc
	s_waitcnt lgkmcnt(4)
	global_store_dwordx4 v[20:21], v[16:19], off offset:2048
	s_or_b64 exec, exec, s[4:5]
	s_and_saveexec_b64 s[4:5], s[58:59]
	s_cbranch_execz .LBB197_58
.LBB197_73:
	s_waitcnt lgkmcnt(4)
	v_add_co_u32_e32 v16, vcc, 0x2000, v56
	v_addc_co_u32_e32 v17, vcc, 0, v57, vcc
	s_waitcnt lgkmcnt(3)
	global_store_dwordx4 v[16:17], v[12:15], off offset:3072
	s_or_b64 exec, exec, s[4:5]
	s_and_saveexec_b64 s[4:5], s[60:61]
	s_cbranch_execz .LBB197_59
.LBB197_74:
	s_waitcnt lgkmcnt(3)
	v_add_co_u32_e32 v12, vcc, 0x3000, v56
	v_addc_co_u32_e32 v13, vcc, 0, v57, vcc
	s_waitcnt lgkmcnt(2)
	global_store_dwordx4 v[12:13], v[8:11], off
	s_or_b64 exec, exec, s[4:5]
	s_and_saveexec_b64 s[4:5], s[62:63]
	s_cbranch_execz .LBB197_60
.LBB197_75:
	s_waitcnt lgkmcnt(2)
	v_add_co_u32_e32 v8, vcc, 0x3000, v56
	v_addc_co_u32_e32 v9, vcc, 0, v57, vcc
	s_waitcnt lgkmcnt(1)
	global_store_dwordx4 v[8:9], v[4:7], off offset:1024
	s_or_b64 exec, exec, s[4:5]
	s_and_saveexec_b64 s[4:5], s[64:65]
	s_cbranch_execz .LBB197_61
.LBB197_76:
	s_waitcnt lgkmcnt(1)
	v_add_co_u32_e32 v4, vcc, 0x3000, v56
	v_addc_co_u32_e32 v5, vcc, 0, v57, vcc
	s_waitcnt lgkmcnt(0)
	global_store_dwordx4 v[4:5], v[0:3], off offset:2048
	s_endpgm
	.section	.rodata,"a",@progbits
	.p2align	6, 0x0
	.amdhsa_kernel _ZN7rocprim17ROCPRIM_400000_NS6detail17trampoline_kernelINS0_14default_configENS1_20scan_config_selectorIN3c107complexIdEEEEZZNS1_9scan_implILNS1_25lookback_scan_determinismE0ELb0ELb0ES3_PKS7_PS7_S7_ZZZN2at6native31launch_logcumsumexp_cuda_kernelERKNSE_10TensorBaseESI_lENKUlvE_clEvENKUlvE1_clEvEUlS7_S7_E_S7_EEDaPvRmT3_T4_T5_mT6_P12ihipStream_tbENKUlT_T0_E_clISt17integral_constantIbLb0EESZ_EEDaSU_SV_EUlSU_E0_NS1_11comp_targetILNS1_3genE2ELNS1_11target_archE906ELNS1_3gpuE6ELNS1_3repE0EEENS1_30default_config_static_selectorELNS0_4arch9wavefront6targetE1EEEvT1_
		.amdhsa_group_segment_fixed_size 15360
		.amdhsa_private_segment_fixed_size 0
		.amdhsa_kernarg_size 48
		.amdhsa_user_sgpr_count 6
		.amdhsa_user_sgpr_private_segment_buffer 1
		.amdhsa_user_sgpr_dispatch_ptr 0
		.amdhsa_user_sgpr_queue_ptr 0
		.amdhsa_user_sgpr_kernarg_segment_ptr 1
		.amdhsa_user_sgpr_dispatch_id 0
		.amdhsa_user_sgpr_flat_scratch_init 0
		.amdhsa_user_sgpr_private_segment_size 0
		.amdhsa_uses_dynamic_stack 0
		.amdhsa_system_sgpr_private_segment_wavefront_offset 0
		.amdhsa_system_sgpr_workgroup_id_x 1
		.amdhsa_system_sgpr_workgroup_id_y 0
		.amdhsa_system_sgpr_workgroup_id_z 0
		.amdhsa_system_sgpr_workgroup_info 0
		.amdhsa_system_vgpr_workitem_id 0
		.amdhsa_next_free_vgpr 167
		.amdhsa_next_free_sgpr 98
		.amdhsa_reserve_vcc 1
		.amdhsa_reserve_flat_scratch 0
		.amdhsa_float_round_mode_32 0
		.amdhsa_float_round_mode_16_64 0
		.amdhsa_float_denorm_mode_32 3
		.amdhsa_float_denorm_mode_16_64 3
		.amdhsa_dx10_clamp 1
		.amdhsa_ieee_mode 1
		.amdhsa_fp16_overflow 0
		.amdhsa_exception_fp_ieee_invalid_op 0
		.amdhsa_exception_fp_denorm_src 0
		.amdhsa_exception_fp_ieee_div_zero 0
		.amdhsa_exception_fp_ieee_overflow 0
		.amdhsa_exception_fp_ieee_underflow 0
		.amdhsa_exception_fp_ieee_inexact 0
		.amdhsa_exception_int_div_zero 0
	.end_amdhsa_kernel
	.section	.text._ZN7rocprim17ROCPRIM_400000_NS6detail17trampoline_kernelINS0_14default_configENS1_20scan_config_selectorIN3c107complexIdEEEEZZNS1_9scan_implILNS1_25lookback_scan_determinismE0ELb0ELb0ES3_PKS7_PS7_S7_ZZZN2at6native31launch_logcumsumexp_cuda_kernelERKNSE_10TensorBaseESI_lENKUlvE_clEvENKUlvE1_clEvEUlS7_S7_E_S7_EEDaPvRmT3_T4_T5_mT6_P12ihipStream_tbENKUlT_T0_E_clISt17integral_constantIbLb0EESZ_EEDaSU_SV_EUlSU_E0_NS1_11comp_targetILNS1_3genE2ELNS1_11target_archE906ELNS1_3gpuE6ELNS1_3repE0EEENS1_30default_config_static_selectorELNS0_4arch9wavefront6targetE1EEEvT1_,"axG",@progbits,_ZN7rocprim17ROCPRIM_400000_NS6detail17trampoline_kernelINS0_14default_configENS1_20scan_config_selectorIN3c107complexIdEEEEZZNS1_9scan_implILNS1_25lookback_scan_determinismE0ELb0ELb0ES3_PKS7_PS7_S7_ZZZN2at6native31launch_logcumsumexp_cuda_kernelERKNSE_10TensorBaseESI_lENKUlvE_clEvENKUlvE1_clEvEUlS7_S7_E_S7_EEDaPvRmT3_T4_T5_mT6_P12ihipStream_tbENKUlT_T0_E_clISt17integral_constantIbLb0EESZ_EEDaSU_SV_EUlSU_E0_NS1_11comp_targetILNS1_3genE2ELNS1_11target_archE906ELNS1_3gpuE6ELNS1_3repE0EEENS1_30default_config_static_selectorELNS0_4arch9wavefront6targetE1EEEvT1_,comdat
.Lfunc_end197:
	.size	_ZN7rocprim17ROCPRIM_400000_NS6detail17trampoline_kernelINS0_14default_configENS1_20scan_config_selectorIN3c107complexIdEEEEZZNS1_9scan_implILNS1_25lookback_scan_determinismE0ELb0ELb0ES3_PKS7_PS7_S7_ZZZN2at6native31launch_logcumsumexp_cuda_kernelERKNSE_10TensorBaseESI_lENKUlvE_clEvENKUlvE1_clEvEUlS7_S7_E_S7_EEDaPvRmT3_T4_T5_mT6_P12ihipStream_tbENKUlT_T0_E_clISt17integral_constantIbLb0EESZ_EEDaSU_SV_EUlSU_E0_NS1_11comp_targetILNS1_3genE2ELNS1_11target_archE906ELNS1_3gpuE6ELNS1_3repE0EEENS1_30default_config_static_selectorELNS0_4arch9wavefront6targetE1EEEvT1_, .Lfunc_end197-_ZN7rocprim17ROCPRIM_400000_NS6detail17trampoline_kernelINS0_14default_configENS1_20scan_config_selectorIN3c107complexIdEEEEZZNS1_9scan_implILNS1_25lookback_scan_determinismE0ELb0ELb0ES3_PKS7_PS7_S7_ZZZN2at6native31launch_logcumsumexp_cuda_kernelERKNSE_10TensorBaseESI_lENKUlvE_clEvENKUlvE1_clEvEUlS7_S7_E_S7_EEDaPvRmT3_T4_T5_mT6_P12ihipStream_tbENKUlT_T0_E_clISt17integral_constantIbLb0EESZ_EEDaSU_SV_EUlSU_E0_NS1_11comp_targetILNS1_3genE2ELNS1_11target_archE906ELNS1_3gpuE6ELNS1_3repE0EEENS1_30default_config_static_selectorELNS0_4arch9wavefront6targetE1EEEvT1_
                                        ; -- End function
	.set _ZN7rocprim17ROCPRIM_400000_NS6detail17trampoline_kernelINS0_14default_configENS1_20scan_config_selectorIN3c107complexIdEEEEZZNS1_9scan_implILNS1_25lookback_scan_determinismE0ELb0ELb0ES3_PKS7_PS7_S7_ZZZN2at6native31launch_logcumsumexp_cuda_kernelERKNSE_10TensorBaseESI_lENKUlvE_clEvENKUlvE1_clEvEUlS7_S7_E_S7_EEDaPvRmT3_T4_T5_mT6_P12ihipStream_tbENKUlT_T0_E_clISt17integral_constantIbLb0EESZ_EEDaSU_SV_EUlSU_E0_NS1_11comp_targetILNS1_3genE2ELNS1_11target_archE906ELNS1_3gpuE6ELNS1_3repE0EEENS1_30default_config_static_selectorELNS0_4arch9wavefront6targetE1EEEvT1_.num_vgpr, max(167, .L_ZZZZN2at6native31launch_logcumsumexp_cuda_kernelERKNS_10TensorBaseES3_lENKUlvE_clEvENKUlvE1_clEvENKUlN3c107complexIdEES8_E_clES8_S8_.num_vgpr)
	.set _ZN7rocprim17ROCPRIM_400000_NS6detail17trampoline_kernelINS0_14default_configENS1_20scan_config_selectorIN3c107complexIdEEEEZZNS1_9scan_implILNS1_25lookback_scan_determinismE0ELb0ELb0ES3_PKS7_PS7_S7_ZZZN2at6native31launch_logcumsumexp_cuda_kernelERKNSE_10TensorBaseESI_lENKUlvE_clEvENKUlvE1_clEvEUlS7_S7_E_S7_EEDaPvRmT3_T4_T5_mT6_P12ihipStream_tbENKUlT_T0_E_clISt17integral_constantIbLb0EESZ_EEDaSU_SV_EUlSU_E0_NS1_11comp_targetILNS1_3genE2ELNS1_11target_archE906ELNS1_3gpuE6ELNS1_3repE0EEENS1_30default_config_static_selectorELNS0_4arch9wavefront6targetE1EEEvT1_.num_agpr, max(0, .L_ZZZZN2at6native31launch_logcumsumexp_cuda_kernelERKNS_10TensorBaseES3_lENKUlvE_clEvENKUlvE1_clEvENKUlN3c107complexIdEES8_E_clES8_S8_.num_agpr)
	.set _ZN7rocprim17ROCPRIM_400000_NS6detail17trampoline_kernelINS0_14default_configENS1_20scan_config_selectorIN3c107complexIdEEEEZZNS1_9scan_implILNS1_25lookback_scan_determinismE0ELb0ELb0ES3_PKS7_PS7_S7_ZZZN2at6native31launch_logcumsumexp_cuda_kernelERKNSE_10TensorBaseESI_lENKUlvE_clEvENKUlvE1_clEvEUlS7_S7_E_S7_EEDaPvRmT3_T4_T5_mT6_P12ihipStream_tbENKUlT_T0_E_clISt17integral_constantIbLb0EESZ_EEDaSU_SV_EUlSU_E0_NS1_11comp_targetILNS1_3genE2ELNS1_11target_archE906ELNS1_3gpuE6ELNS1_3repE0EEENS1_30default_config_static_selectorELNS0_4arch9wavefront6targetE1EEEvT1_.numbered_sgpr, max(72, .L_ZZZZN2at6native31launch_logcumsumexp_cuda_kernelERKNS_10TensorBaseES3_lENKUlvE_clEvENKUlvE1_clEvENKUlN3c107complexIdEES8_E_clES8_S8_.numbered_sgpr)
	.set _ZN7rocprim17ROCPRIM_400000_NS6detail17trampoline_kernelINS0_14default_configENS1_20scan_config_selectorIN3c107complexIdEEEEZZNS1_9scan_implILNS1_25lookback_scan_determinismE0ELb0ELb0ES3_PKS7_PS7_S7_ZZZN2at6native31launch_logcumsumexp_cuda_kernelERKNSE_10TensorBaseESI_lENKUlvE_clEvENKUlvE1_clEvEUlS7_S7_E_S7_EEDaPvRmT3_T4_T5_mT6_P12ihipStream_tbENKUlT_T0_E_clISt17integral_constantIbLb0EESZ_EEDaSU_SV_EUlSU_E0_NS1_11comp_targetILNS1_3genE2ELNS1_11target_archE906ELNS1_3gpuE6ELNS1_3repE0EEENS1_30default_config_static_selectorELNS0_4arch9wavefront6targetE1EEEvT1_.num_named_barrier, max(0, .L_ZZZZN2at6native31launch_logcumsumexp_cuda_kernelERKNS_10TensorBaseES3_lENKUlvE_clEvENKUlvE1_clEvENKUlN3c107complexIdEES8_E_clES8_S8_.num_named_barrier)
	.set _ZN7rocprim17ROCPRIM_400000_NS6detail17trampoline_kernelINS0_14default_configENS1_20scan_config_selectorIN3c107complexIdEEEEZZNS1_9scan_implILNS1_25lookback_scan_determinismE0ELb0ELb0ES3_PKS7_PS7_S7_ZZZN2at6native31launch_logcumsumexp_cuda_kernelERKNSE_10TensorBaseESI_lENKUlvE_clEvENKUlvE1_clEvEUlS7_S7_E_S7_EEDaPvRmT3_T4_T5_mT6_P12ihipStream_tbENKUlT_T0_E_clISt17integral_constantIbLb0EESZ_EEDaSU_SV_EUlSU_E0_NS1_11comp_targetILNS1_3genE2ELNS1_11target_archE906ELNS1_3gpuE6ELNS1_3repE0EEENS1_30default_config_static_selectorELNS0_4arch9wavefront6targetE1EEEvT1_.private_seg_size, 0+max(.L_ZZZZN2at6native31launch_logcumsumexp_cuda_kernelERKNS_10TensorBaseES3_lENKUlvE_clEvENKUlvE1_clEvENKUlN3c107complexIdEES8_E_clES8_S8_.private_seg_size)
	.set _ZN7rocprim17ROCPRIM_400000_NS6detail17trampoline_kernelINS0_14default_configENS1_20scan_config_selectorIN3c107complexIdEEEEZZNS1_9scan_implILNS1_25lookback_scan_determinismE0ELb0ELb0ES3_PKS7_PS7_S7_ZZZN2at6native31launch_logcumsumexp_cuda_kernelERKNSE_10TensorBaseESI_lENKUlvE_clEvENKUlvE1_clEvEUlS7_S7_E_S7_EEDaPvRmT3_T4_T5_mT6_P12ihipStream_tbENKUlT_T0_E_clISt17integral_constantIbLb0EESZ_EEDaSU_SV_EUlSU_E0_NS1_11comp_targetILNS1_3genE2ELNS1_11target_archE906ELNS1_3gpuE6ELNS1_3repE0EEENS1_30default_config_static_selectorELNS0_4arch9wavefront6targetE1EEEvT1_.uses_vcc, or(1, .L_ZZZZN2at6native31launch_logcumsumexp_cuda_kernelERKNS_10TensorBaseES3_lENKUlvE_clEvENKUlvE1_clEvENKUlN3c107complexIdEES8_E_clES8_S8_.uses_vcc)
	.set _ZN7rocprim17ROCPRIM_400000_NS6detail17trampoline_kernelINS0_14default_configENS1_20scan_config_selectorIN3c107complexIdEEEEZZNS1_9scan_implILNS1_25lookback_scan_determinismE0ELb0ELb0ES3_PKS7_PS7_S7_ZZZN2at6native31launch_logcumsumexp_cuda_kernelERKNSE_10TensorBaseESI_lENKUlvE_clEvENKUlvE1_clEvEUlS7_S7_E_S7_EEDaPvRmT3_T4_T5_mT6_P12ihipStream_tbENKUlT_T0_E_clISt17integral_constantIbLb0EESZ_EEDaSU_SV_EUlSU_E0_NS1_11comp_targetILNS1_3genE2ELNS1_11target_archE906ELNS1_3gpuE6ELNS1_3repE0EEENS1_30default_config_static_selectorELNS0_4arch9wavefront6targetE1EEEvT1_.uses_flat_scratch, or(0, .L_ZZZZN2at6native31launch_logcumsumexp_cuda_kernelERKNS_10TensorBaseES3_lENKUlvE_clEvENKUlvE1_clEvENKUlN3c107complexIdEES8_E_clES8_S8_.uses_flat_scratch)
	.set _ZN7rocprim17ROCPRIM_400000_NS6detail17trampoline_kernelINS0_14default_configENS1_20scan_config_selectorIN3c107complexIdEEEEZZNS1_9scan_implILNS1_25lookback_scan_determinismE0ELb0ELb0ES3_PKS7_PS7_S7_ZZZN2at6native31launch_logcumsumexp_cuda_kernelERKNSE_10TensorBaseESI_lENKUlvE_clEvENKUlvE1_clEvEUlS7_S7_E_S7_EEDaPvRmT3_T4_T5_mT6_P12ihipStream_tbENKUlT_T0_E_clISt17integral_constantIbLb0EESZ_EEDaSU_SV_EUlSU_E0_NS1_11comp_targetILNS1_3genE2ELNS1_11target_archE906ELNS1_3gpuE6ELNS1_3repE0EEENS1_30default_config_static_selectorELNS0_4arch9wavefront6targetE1EEEvT1_.has_dyn_sized_stack, or(0, .L_ZZZZN2at6native31launch_logcumsumexp_cuda_kernelERKNS_10TensorBaseES3_lENKUlvE_clEvENKUlvE1_clEvENKUlN3c107complexIdEES8_E_clES8_S8_.has_dyn_sized_stack)
	.set _ZN7rocprim17ROCPRIM_400000_NS6detail17trampoline_kernelINS0_14default_configENS1_20scan_config_selectorIN3c107complexIdEEEEZZNS1_9scan_implILNS1_25lookback_scan_determinismE0ELb0ELb0ES3_PKS7_PS7_S7_ZZZN2at6native31launch_logcumsumexp_cuda_kernelERKNSE_10TensorBaseESI_lENKUlvE_clEvENKUlvE1_clEvEUlS7_S7_E_S7_EEDaPvRmT3_T4_T5_mT6_P12ihipStream_tbENKUlT_T0_E_clISt17integral_constantIbLb0EESZ_EEDaSU_SV_EUlSU_E0_NS1_11comp_targetILNS1_3genE2ELNS1_11target_archE906ELNS1_3gpuE6ELNS1_3repE0EEENS1_30default_config_static_selectorELNS0_4arch9wavefront6targetE1EEEvT1_.has_recursion, or(0, .L_ZZZZN2at6native31launch_logcumsumexp_cuda_kernelERKNS_10TensorBaseES3_lENKUlvE_clEvENKUlvE1_clEvENKUlN3c107complexIdEES8_E_clES8_S8_.has_recursion)
	.set _ZN7rocprim17ROCPRIM_400000_NS6detail17trampoline_kernelINS0_14default_configENS1_20scan_config_selectorIN3c107complexIdEEEEZZNS1_9scan_implILNS1_25lookback_scan_determinismE0ELb0ELb0ES3_PKS7_PS7_S7_ZZZN2at6native31launch_logcumsumexp_cuda_kernelERKNSE_10TensorBaseESI_lENKUlvE_clEvENKUlvE1_clEvEUlS7_S7_E_S7_EEDaPvRmT3_T4_T5_mT6_P12ihipStream_tbENKUlT_T0_E_clISt17integral_constantIbLb0EESZ_EEDaSU_SV_EUlSU_E0_NS1_11comp_targetILNS1_3genE2ELNS1_11target_archE906ELNS1_3gpuE6ELNS1_3repE0EEENS1_30default_config_static_selectorELNS0_4arch9wavefront6targetE1EEEvT1_.has_indirect_call, or(0, .L_ZZZZN2at6native31launch_logcumsumexp_cuda_kernelERKNS_10TensorBaseES3_lENKUlvE_clEvENKUlvE1_clEvENKUlN3c107complexIdEES8_E_clES8_S8_.has_indirect_call)
	.section	.AMDGPU.csdata,"",@progbits
; Kernel info:
; codeLenInByte = 3960
; TotalNumSgprs: 76
; NumVgprs: 167
; ScratchSize: 0
; MemoryBound: 1
; FloatMode: 240
; IeeeMode: 1
; LDSByteSize: 15360 bytes/workgroup (compile time only)
; SGPRBlocks: 12
; VGPRBlocks: 41
; NumSGPRsForWavesPerEU: 102
; NumVGPRsForWavesPerEU: 167
; Occupancy: 1
; WaveLimiterHint : 0
; COMPUTE_PGM_RSRC2:SCRATCH_EN: 0
; COMPUTE_PGM_RSRC2:USER_SGPR: 6
; COMPUTE_PGM_RSRC2:TRAP_HANDLER: 0
; COMPUTE_PGM_RSRC2:TGID_X_EN: 1
; COMPUTE_PGM_RSRC2:TGID_Y_EN: 0
; COMPUTE_PGM_RSRC2:TGID_Z_EN: 0
; COMPUTE_PGM_RSRC2:TIDIG_COMP_CNT: 0
	.section	.text._ZN7rocprim17ROCPRIM_400000_NS6detail17trampoline_kernelINS0_14default_configENS1_20scan_config_selectorIN3c107complexIdEEEEZZNS1_9scan_implILNS1_25lookback_scan_determinismE0ELb0ELb0ES3_PKS7_PS7_S7_ZZZN2at6native31launch_logcumsumexp_cuda_kernelERKNSE_10TensorBaseESI_lENKUlvE_clEvENKUlvE1_clEvEUlS7_S7_E_S7_EEDaPvRmT3_T4_T5_mT6_P12ihipStream_tbENKUlT_T0_E_clISt17integral_constantIbLb0EESZ_EEDaSU_SV_EUlSU_E0_NS1_11comp_targetILNS1_3genE10ELNS1_11target_archE1201ELNS1_3gpuE5ELNS1_3repE0EEENS1_30default_config_static_selectorELNS0_4arch9wavefront6targetE1EEEvT1_,"axG",@progbits,_ZN7rocprim17ROCPRIM_400000_NS6detail17trampoline_kernelINS0_14default_configENS1_20scan_config_selectorIN3c107complexIdEEEEZZNS1_9scan_implILNS1_25lookback_scan_determinismE0ELb0ELb0ES3_PKS7_PS7_S7_ZZZN2at6native31launch_logcumsumexp_cuda_kernelERKNSE_10TensorBaseESI_lENKUlvE_clEvENKUlvE1_clEvEUlS7_S7_E_S7_EEDaPvRmT3_T4_T5_mT6_P12ihipStream_tbENKUlT_T0_E_clISt17integral_constantIbLb0EESZ_EEDaSU_SV_EUlSU_E0_NS1_11comp_targetILNS1_3genE10ELNS1_11target_archE1201ELNS1_3gpuE5ELNS1_3repE0EEENS1_30default_config_static_selectorELNS0_4arch9wavefront6targetE1EEEvT1_,comdat
	.globl	_ZN7rocprim17ROCPRIM_400000_NS6detail17trampoline_kernelINS0_14default_configENS1_20scan_config_selectorIN3c107complexIdEEEEZZNS1_9scan_implILNS1_25lookback_scan_determinismE0ELb0ELb0ES3_PKS7_PS7_S7_ZZZN2at6native31launch_logcumsumexp_cuda_kernelERKNSE_10TensorBaseESI_lENKUlvE_clEvENKUlvE1_clEvEUlS7_S7_E_S7_EEDaPvRmT3_T4_T5_mT6_P12ihipStream_tbENKUlT_T0_E_clISt17integral_constantIbLb0EESZ_EEDaSU_SV_EUlSU_E0_NS1_11comp_targetILNS1_3genE10ELNS1_11target_archE1201ELNS1_3gpuE5ELNS1_3repE0EEENS1_30default_config_static_selectorELNS0_4arch9wavefront6targetE1EEEvT1_ ; -- Begin function _ZN7rocprim17ROCPRIM_400000_NS6detail17trampoline_kernelINS0_14default_configENS1_20scan_config_selectorIN3c107complexIdEEEEZZNS1_9scan_implILNS1_25lookback_scan_determinismE0ELb0ELb0ES3_PKS7_PS7_S7_ZZZN2at6native31launch_logcumsumexp_cuda_kernelERKNSE_10TensorBaseESI_lENKUlvE_clEvENKUlvE1_clEvEUlS7_S7_E_S7_EEDaPvRmT3_T4_T5_mT6_P12ihipStream_tbENKUlT_T0_E_clISt17integral_constantIbLb0EESZ_EEDaSU_SV_EUlSU_E0_NS1_11comp_targetILNS1_3genE10ELNS1_11target_archE1201ELNS1_3gpuE5ELNS1_3repE0EEENS1_30default_config_static_selectorELNS0_4arch9wavefront6targetE1EEEvT1_
	.p2align	8
	.type	_ZN7rocprim17ROCPRIM_400000_NS6detail17trampoline_kernelINS0_14default_configENS1_20scan_config_selectorIN3c107complexIdEEEEZZNS1_9scan_implILNS1_25lookback_scan_determinismE0ELb0ELb0ES3_PKS7_PS7_S7_ZZZN2at6native31launch_logcumsumexp_cuda_kernelERKNSE_10TensorBaseESI_lENKUlvE_clEvENKUlvE1_clEvEUlS7_S7_E_S7_EEDaPvRmT3_T4_T5_mT6_P12ihipStream_tbENKUlT_T0_E_clISt17integral_constantIbLb0EESZ_EEDaSU_SV_EUlSU_E0_NS1_11comp_targetILNS1_3genE10ELNS1_11target_archE1201ELNS1_3gpuE5ELNS1_3repE0EEENS1_30default_config_static_selectorELNS0_4arch9wavefront6targetE1EEEvT1_,@function
_ZN7rocprim17ROCPRIM_400000_NS6detail17trampoline_kernelINS0_14default_configENS1_20scan_config_selectorIN3c107complexIdEEEEZZNS1_9scan_implILNS1_25lookback_scan_determinismE0ELb0ELb0ES3_PKS7_PS7_S7_ZZZN2at6native31launch_logcumsumexp_cuda_kernelERKNSE_10TensorBaseESI_lENKUlvE_clEvENKUlvE1_clEvEUlS7_S7_E_S7_EEDaPvRmT3_T4_T5_mT6_P12ihipStream_tbENKUlT_T0_E_clISt17integral_constantIbLb0EESZ_EEDaSU_SV_EUlSU_E0_NS1_11comp_targetILNS1_3genE10ELNS1_11target_archE1201ELNS1_3gpuE5ELNS1_3repE0EEENS1_30default_config_static_selectorELNS0_4arch9wavefront6targetE1EEEvT1_: ; @_ZN7rocprim17ROCPRIM_400000_NS6detail17trampoline_kernelINS0_14default_configENS1_20scan_config_selectorIN3c107complexIdEEEEZZNS1_9scan_implILNS1_25lookback_scan_determinismE0ELb0ELb0ES3_PKS7_PS7_S7_ZZZN2at6native31launch_logcumsumexp_cuda_kernelERKNSE_10TensorBaseESI_lENKUlvE_clEvENKUlvE1_clEvEUlS7_S7_E_S7_EEDaPvRmT3_T4_T5_mT6_P12ihipStream_tbENKUlT_T0_E_clISt17integral_constantIbLb0EESZ_EEDaSU_SV_EUlSU_E0_NS1_11comp_targetILNS1_3genE10ELNS1_11target_archE1201ELNS1_3gpuE5ELNS1_3repE0EEENS1_30default_config_static_selectorELNS0_4arch9wavefront6targetE1EEEvT1_
; %bb.0:
	.section	.rodata,"a",@progbits
	.p2align	6, 0x0
	.amdhsa_kernel _ZN7rocprim17ROCPRIM_400000_NS6detail17trampoline_kernelINS0_14default_configENS1_20scan_config_selectorIN3c107complexIdEEEEZZNS1_9scan_implILNS1_25lookback_scan_determinismE0ELb0ELb0ES3_PKS7_PS7_S7_ZZZN2at6native31launch_logcumsumexp_cuda_kernelERKNSE_10TensorBaseESI_lENKUlvE_clEvENKUlvE1_clEvEUlS7_S7_E_S7_EEDaPvRmT3_T4_T5_mT6_P12ihipStream_tbENKUlT_T0_E_clISt17integral_constantIbLb0EESZ_EEDaSU_SV_EUlSU_E0_NS1_11comp_targetILNS1_3genE10ELNS1_11target_archE1201ELNS1_3gpuE5ELNS1_3repE0EEENS1_30default_config_static_selectorELNS0_4arch9wavefront6targetE1EEEvT1_
		.amdhsa_group_segment_fixed_size 0
		.amdhsa_private_segment_fixed_size 0
		.amdhsa_kernarg_size 48
		.amdhsa_user_sgpr_count 6
		.amdhsa_user_sgpr_private_segment_buffer 1
		.amdhsa_user_sgpr_dispatch_ptr 0
		.amdhsa_user_sgpr_queue_ptr 0
		.amdhsa_user_sgpr_kernarg_segment_ptr 1
		.amdhsa_user_sgpr_dispatch_id 0
		.amdhsa_user_sgpr_flat_scratch_init 0
		.amdhsa_user_sgpr_private_segment_size 0
		.amdhsa_uses_dynamic_stack 0
		.amdhsa_system_sgpr_private_segment_wavefront_offset 0
		.amdhsa_system_sgpr_workgroup_id_x 1
		.amdhsa_system_sgpr_workgroup_id_y 0
		.amdhsa_system_sgpr_workgroup_id_z 0
		.amdhsa_system_sgpr_workgroup_info 0
		.amdhsa_system_vgpr_workitem_id 0
		.amdhsa_next_free_vgpr 1
		.amdhsa_next_free_sgpr 0
		.amdhsa_reserve_vcc 0
		.amdhsa_reserve_flat_scratch 0
		.amdhsa_float_round_mode_32 0
		.amdhsa_float_round_mode_16_64 0
		.amdhsa_float_denorm_mode_32 3
		.amdhsa_float_denorm_mode_16_64 3
		.amdhsa_dx10_clamp 1
		.amdhsa_ieee_mode 1
		.amdhsa_fp16_overflow 0
		.amdhsa_exception_fp_ieee_invalid_op 0
		.amdhsa_exception_fp_denorm_src 0
		.amdhsa_exception_fp_ieee_div_zero 0
		.amdhsa_exception_fp_ieee_overflow 0
		.amdhsa_exception_fp_ieee_underflow 0
		.amdhsa_exception_fp_ieee_inexact 0
		.amdhsa_exception_int_div_zero 0
	.end_amdhsa_kernel
	.section	.text._ZN7rocprim17ROCPRIM_400000_NS6detail17trampoline_kernelINS0_14default_configENS1_20scan_config_selectorIN3c107complexIdEEEEZZNS1_9scan_implILNS1_25lookback_scan_determinismE0ELb0ELb0ES3_PKS7_PS7_S7_ZZZN2at6native31launch_logcumsumexp_cuda_kernelERKNSE_10TensorBaseESI_lENKUlvE_clEvENKUlvE1_clEvEUlS7_S7_E_S7_EEDaPvRmT3_T4_T5_mT6_P12ihipStream_tbENKUlT_T0_E_clISt17integral_constantIbLb0EESZ_EEDaSU_SV_EUlSU_E0_NS1_11comp_targetILNS1_3genE10ELNS1_11target_archE1201ELNS1_3gpuE5ELNS1_3repE0EEENS1_30default_config_static_selectorELNS0_4arch9wavefront6targetE1EEEvT1_,"axG",@progbits,_ZN7rocprim17ROCPRIM_400000_NS6detail17trampoline_kernelINS0_14default_configENS1_20scan_config_selectorIN3c107complexIdEEEEZZNS1_9scan_implILNS1_25lookback_scan_determinismE0ELb0ELb0ES3_PKS7_PS7_S7_ZZZN2at6native31launch_logcumsumexp_cuda_kernelERKNSE_10TensorBaseESI_lENKUlvE_clEvENKUlvE1_clEvEUlS7_S7_E_S7_EEDaPvRmT3_T4_T5_mT6_P12ihipStream_tbENKUlT_T0_E_clISt17integral_constantIbLb0EESZ_EEDaSU_SV_EUlSU_E0_NS1_11comp_targetILNS1_3genE10ELNS1_11target_archE1201ELNS1_3gpuE5ELNS1_3repE0EEENS1_30default_config_static_selectorELNS0_4arch9wavefront6targetE1EEEvT1_,comdat
.Lfunc_end198:
	.size	_ZN7rocprim17ROCPRIM_400000_NS6detail17trampoline_kernelINS0_14default_configENS1_20scan_config_selectorIN3c107complexIdEEEEZZNS1_9scan_implILNS1_25lookback_scan_determinismE0ELb0ELb0ES3_PKS7_PS7_S7_ZZZN2at6native31launch_logcumsumexp_cuda_kernelERKNSE_10TensorBaseESI_lENKUlvE_clEvENKUlvE1_clEvEUlS7_S7_E_S7_EEDaPvRmT3_T4_T5_mT6_P12ihipStream_tbENKUlT_T0_E_clISt17integral_constantIbLb0EESZ_EEDaSU_SV_EUlSU_E0_NS1_11comp_targetILNS1_3genE10ELNS1_11target_archE1201ELNS1_3gpuE5ELNS1_3repE0EEENS1_30default_config_static_selectorELNS0_4arch9wavefront6targetE1EEEvT1_, .Lfunc_end198-_ZN7rocprim17ROCPRIM_400000_NS6detail17trampoline_kernelINS0_14default_configENS1_20scan_config_selectorIN3c107complexIdEEEEZZNS1_9scan_implILNS1_25lookback_scan_determinismE0ELb0ELb0ES3_PKS7_PS7_S7_ZZZN2at6native31launch_logcumsumexp_cuda_kernelERKNSE_10TensorBaseESI_lENKUlvE_clEvENKUlvE1_clEvEUlS7_S7_E_S7_EEDaPvRmT3_T4_T5_mT6_P12ihipStream_tbENKUlT_T0_E_clISt17integral_constantIbLb0EESZ_EEDaSU_SV_EUlSU_E0_NS1_11comp_targetILNS1_3genE10ELNS1_11target_archE1201ELNS1_3gpuE5ELNS1_3repE0EEENS1_30default_config_static_selectorELNS0_4arch9wavefront6targetE1EEEvT1_
                                        ; -- End function
	.set _ZN7rocprim17ROCPRIM_400000_NS6detail17trampoline_kernelINS0_14default_configENS1_20scan_config_selectorIN3c107complexIdEEEEZZNS1_9scan_implILNS1_25lookback_scan_determinismE0ELb0ELb0ES3_PKS7_PS7_S7_ZZZN2at6native31launch_logcumsumexp_cuda_kernelERKNSE_10TensorBaseESI_lENKUlvE_clEvENKUlvE1_clEvEUlS7_S7_E_S7_EEDaPvRmT3_T4_T5_mT6_P12ihipStream_tbENKUlT_T0_E_clISt17integral_constantIbLb0EESZ_EEDaSU_SV_EUlSU_E0_NS1_11comp_targetILNS1_3genE10ELNS1_11target_archE1201ELNS1_3gpuE5ELNS1_3repE0EEENS1_30default_config_static_selectorELNS0_4arch9wavefront6targetE1EEEvT1_.num_vgpr, 0
	.set _ZN7rocprim17ROCPRIM_400000_NS6detail17trampoline_kernelINS0_14default_configENS1_20scan_config_selectorIN3c107complexIdEEEEZZNS1_9scan_implILNS1_25lookback_scan_determinismE0ELb0ELb0ES3_PKS7_PS7_S7_ZZZN2at6native31launch_logcumsumexp_cuda_kernelERKNSE_10TensorBaseESI_lENKUlvE_clEvENKUlvE1_clEvEUlS7_S7_E_S7_EEDaPvRmT3_T4_T5_mT6_P12ihipStream_tbENKUlT_T0_E_clISt17integral_constantIbLb0EESZ_EEDaSU_SV_EUlSU_E0_NS1_11comp_targetILNS1_3genE10ELNS1_11target_archE1201ELNS1_3gpuE5ELNS1_3repE0EEENS1_30default_config_static_selectorELNS0_4arch9wavefront6targetE1EEEvT1_.num_agpr, 0
	.set _ZN7rocprim17ROCPRIM_400000_NS6detail17trampoline_kernelINS0_14default_configENS1_20scan_config_selectorIN3c107complexIdEEEEZZNS1_9scan_implILNS1_25lookback_scan_determinismE0ELb0ELb0ES3_PKS7_PS7_S7_ZZZN2at6native31launch_logcumsumexp_cuda_kernelERKNSE_10TensorBaseESI_lENKUlvE_clEvENKUlvE1_clEvEUlS7_S7_E_S7_EEDaPvRmT3_T4_T5_mT6_P12ihipStream_tbENKUlT_T0_E_clISt17integral_constantIbLb0EESZ_EEDaSU_SV_EUlSU_E0_NS1_11comp_targetILNS1_3genE10ELNS1_11target_archE1201ELNS1_3gpuE5ELNS1_3repE0EEENS1_30default_config_static_selectorELNS0_4arch9wavefront6targetE1EEEvT1_.numbered_sgpr, 0
	.set _ZN7rocprim17ROCPRIM_400000_NS6detail17trampoline_kernelINS0_14default_configENS1_20scan_config_selectorIN3c107complexIdEEEEZZNS1_9scan_implILNS1_25lookback_scan_determinismE0ELb0ELb0ES3_PKS7_PS7_S7_ZZZN2at6native31launch_logcumsumexp_cuda_kernelERKNSE_10TensorBaseESI_lENKUlvE_clEvENKUlvE1_clEvEUlS7_S7_E_S7_EEDaPvRmT3_T4_T5_mT6_P12ihipStream_tbENKUlT_T0_E_clISt17integral_constantIbLb0EESZ_EEDaSU_SV_EUlSU_E0_NS1_11comp_targetILNS1_3genE10ELNS1_11target_archE1201ELNS1_3gpuE5ELNS1_3repE0EEENS1_30default_config_static_selectorELNS0_4arch9wavefront6targetE1EEEvT1_.num_named_barrier, 0
	.set _ZN7rocprim17ROCPRIM_400000_NS6detail17trampoline_kernelINS0_14default_configENS1_20scan_config_selectorIN3c107complexIdEEEEZZNS1_9scan_implILNS1_25lookback_scan_determinismE0ELb0ELb0ES3_PKS7_PS7_S7_ZZZN2at6native31launch_logcumsumexp_cuda_kernelERKNSE_10TensorBaseESI_lENKUlvE_clEvENKUlvE1_clEvEUlS7_S7_E_S7_EEDaPvRmT3_T4_T5_mT6_P12ihipStream_tbENKUlT_T0_E_clISt17integral_constantIbLb0EESZ_EEDaSU_SV_EUlSU_E0_NS1_11comp_targetILNS1_3genE10ELNS1_11target_archE1201ELNS1_3gpuE5ELNS1_3repE0EEENS1_30default_config_static_selectorELNS0_4arch9wavefront6targetE1EEEvT1_.private_seg_size, 0
	.set _ZN7rocprim17ROCPRIM_400000_NS6detail17trampoline_kernelINS0_14default_configENS1_20scan_config_selectorIN3c107complexIdEEEEZZNS1_9scan_implILNS1_25lookback_scan_determinismE0ELb0ELb0ES3_PKS7_PS7_S7_ZZZN2at6native31launch_logcumsumexp_cuda_kernelERKNSE_10TensorBaseESI_lENKUlvE_clEvENKUlvE1_clEvEUlS7_S7_E_S7_EEDaPvRmT3_T4_T5_mT6_P12ihipStream_tbENKUlT_T0_E_clISt17integral_constantIbLb0EESZ_EEDaSU_SV_EUlSU_E0_NS1_11comp_targetILNS1_3genE10ELNS1_11target_archE1201ELNS1_3gpuE5ELNS1_3repE0EEENS1_30default_config_static_selectorELNS0_4arch9wavefront6targetE1EEEvT1_.uses_vcc, 0
	.set _ZN7rocprim17ROCPRIM_400000_NS6detail17trampoline_kernelINS0_14default_configENS1_20scan_config_selectorIN3c107complexIdEEEEZZNS1_9scan_implILNS1_25lookback_scan_determinismE0ELb0ELb0ES3_PKS7_PS7_S7_ZZZN2at6native31launch_logcumsumexp_cuda_kernelERKNSE_10TensorBaseESI_lENKUlvE_clEvENKUlvE1_clEvEUlS7_S7_E_S7_EEDaPvRmT3_T4_T5_mT6_P12ihipStream_tbENKUlT_T0_E_clISt17integral_constantIbLb0EESZ_EEDaSU_SV_EUlSU_E0_NS1_11comp_targetILNS1_3genE10ELNS1_11target_archE1201ELNS1_3gpuE5ELNS1_3repE0EEENS1_30default_config_static_selectorELNS0_4arch9wavefront6targetE1EEEvT1_.uses_flat_scratch, 0
	.set _ZN7rocprim17ROCPRIM_400000_NS6detail17trampoline_kernelINS0_14default_configENS1_20scan_config_selectorIN3c107complexIdEEEEZZNS1_9scan_implILNS1_25lookback_scan_determinismE0ELb0ELb0ES3_PKS7_PS7_S7_ZZZN2at6native31launch_logcumsumexp_cuda_kernelERKNSE_10TensorBaseESI_lENKUlvE_clEvENKUlvE1_clEvEUlS7_S7_E_S7_EEDaPvRmT3_T4_T5_mT6_P12ihipStream_tbENKUlT_T0_E_clISt17integral_constantIbLb0EESZ_EEDaSU_SV_EUlSU_E0_NS1_11comp_targetILNS1_3genE10ELNS1_11target_archE1201ELNS1_3gpuE5ELNS1_3repE0EEENS1_30default_config_static_selectorELNS0_4arch9wavefront6targetE1EEEvT1_.has_dyn_sized_stack, 0
	.set _ZN7rocprim17ROCPRIM_400000_NS6detail17trampoline_kernelINS0_14default_configENS1_20scan_config_selectorIN3c107complexIdEEEEZZNS1_9scan_implILNS1_25lookback_scan_determinismE0ELb0ELb0ES3_PKS7_PS7_S7_ZZZN2at6native31launch_logcumsumexp_cuda_kernelERKNSE_10TensorBaseESI_lENKUlvE_clEvENKUlvE1_clEvEUlS7_S7_E_S7_EEDaPvRmT3_T4_T5_mT6_P12ihipStream_tbENKUlT_T0_E_clISt17integral_constantIbLb0EESZ_EEDaSU_SV_EUlSU_E0_NS1_11comp_targetILNS1_3genE10ELNS1_11target_archE1201ELNS1_3gpuE5ELNS1_3repE0EEENS1_30default_config_static_selectorELNS0_4arch9wavefront6targetE1EEEvT1_.has_recursion, 0
	.set _ZN7rocprim17ROCPRIM_400000_NS6detail17trampoline_kernelINS0_14default_configENS1_20scan_config_selectorIN3c107complexIdEEEEZZNS1_9scan_implILNS1_25lookback_scan_determinismE0ELb0ELb0ES3_PKS7_PS7_S7_ZZZN2at6native31launch_logcumsumexp_cuda_kernelERKNSE_10TensorBaseESI_lENKUlvE_clEvENKUlvE1_clEvEUlS7_S7_E_S7_EEDaPvRmT3_T4_T5_mT6_P12ihipStream_tbENKUlT_T0_E_clISt17integral_constantIbLb0EESZ_EEDaSU_SV_EUlSU_E0_NS1_11comp_targetILNS1_3genE10ELNS1_11target_archE1201ELNS1_3gpuE5ELNS1_3repE0EEENS1_30default_config_static_selectorELNS0_4arch9wavefront6targetE1EEEvT1_.has_indirect_call, 0
	.section	.AMDGPU.csdata,"",@progbits
; Kernel info:
; codeLenInByte = 0
; TotalNumSgprs: 4
; NumVgprs: 0
; ScratchSize: 0
; MemoryBound: 0
; FloatMode: 240
; IeeeMode: 1
; LDSByteSize: 0 bytes/workgroup (compile time only)
; SGPRBlocks: 0
; VGPRBlocks: 0
; NumSGPRsForWavesPerEU: 4
; NumVGPRsForWavesPerEU: 1
; Occupancy: 10
; WaveLimiterHint : 0
; COMPUTE_PGM_RSRC2:SCRATCH_EN: 0
; COMPUTE_PGM_RSRC2:USER_SGPR: 6
; COMPUTE_PGM_RSRC2:TRAP_HANDLER: 0
; COMPUTE_PGM_RSRC2:TGID_X_EN: 1
; COMPUTE_PGM_RSRC2:TGID_Y_EN: 0
; COMPUTE_PGM_RSRC2:TGID_Z_EN: 0
; COMPUTE_PGM_RSRC2:TIDIG_COMP_CNT: 0
	.section	.text._ZN7rocprim17ROCPRIM_400000_NS6detail17trampoline_kernelINS0_14default_configENS1_20scan_config_selectorIN3c107complexIdEEEEZZNS1_9scan_implILNS1_25lookback_scan_determinismE0ELb0ELb0ES3_PKS7_PS7_S7_ZZZN2at6native31launch_logcumsumexp_cuda_kernelERKNSE_10TensorBaseESI_lENKUlvE_clEvENKUlvE1_clEvEUlS7_S7_E_S7_EEDaPvRmT3_T4_T5_mT6_P12ihipStream_tbENKUlT_T0_E_clISt17integral_constantIbLb0EESZ_EEDaSU_SV_EUlSU_E0_NS1_11comp_targetILNS1_3genE10ELNS1_11target_archE1200ELNS1_3gpuE4ELNS1_3repE0EEENS1_30default_config_static_selectorELNS0_4arch9wavefront6targetE1EEEvT1_,"axG",@progbits,_ZN7rocprim17ROCPRIM_400000_NS6detail17trampoline_kernelINS0_14default_configENS1_20scan_config_selectorIN3c107complexIdEEEEZZNS1_9scan_implILNS1_25lookback_scan_determinismE0ELb0ELb0ES3_PKS7_PS7_S7_ZZZN2at6native31launch_logcumsumexp_cuda_kernelERKNSE_10TensorBaseESI_lENKUlvE_clEvENKUlvE1_clEvEUlS7_S7_E_S7_EEDaPvRmT3_T4_T5_mT6_P12ihipStream_tbENKUlT_T0_E_clISt17integral_constantIbLb0EESZ_EEDaSU_SV_EUlSU_E0_NS1_11comp_targetILNS1_3genE10ELNS1_11target_archE1200ELNS1_3gpuE4ELNS1_3repE0EEENS1_30default_config_static_selectorELNS0_4arch9wavefront6targetE1EEEvT1_,comdat
	.globl	_ZN7rocprim17ROCPRIM_400000_NS6detail17trampoline_kernelINS0_14default_configENS1_20scan_config_selectorIN3c107complexIdEEEEZZNS1_9scan_implILNS1_25lookback_scan_determinismE0ELb0ELb0ES3_PKS7_PS7_S7_ZZZN2at6native31launch_logcumsumexp_cuda_kernelERKNSE_10TensorBaseESI_lENKUlvE_clEvENKUlvE1_clEvEUlS7_S7_E_S7_EEDaPvRmT3_T4_T5_mT6_P12ihipStream_tbENKUlT_T0_E_clISt17integral_constantIbLb0EESZ_EEDaSU_SV_EUlSU_E0_NS1_11comp_targetILNS1_3genE10ELNS1_11target_archE1200ELNS1_3gpuE4ELNS1_3repE0EEENS1_30default_config_static_selectorELNS0_4arch9wavefront6targetE1EEEvT1_ ; -- Begin function _ZN7rocprim17ROCPRIM_400000_NS6detail17trampoline_kernelINS0_14default_configENS1_20scan_config_selectorIN3c107complexIdEEEEZZNS1_9scan_implILNS1_25lookback_scan_determinismE0ELb0ELb0ES3_PKS7_PS7_S7_ZZZN2at6native31launch_logcumsumexp_cuda_kernelERKNSE_10TensorBaseESI_lENKUlvE_clEvENKUlvE1_clEvEUlS7_S7_E_S7_EEDaPvRmT3_T4_T5_mT6_P12ihipStream_tbENKUlT_T0_E_clISt17integral_constantIbLb0EESZ_EEDaSU_SV_EUlSU_E0_NS1_11comp_targetILNS1_3genE10ELNS1_11target_archE1200ELNS1_3gpuE4ELNS1_3repE0EEENS1_30default_config_static_selectorELNS0_4arch9wavefront6targetE1EEEvT1_
	.p2align	8
	.type	_ZN7rocprim17ROCPRIM_400000_NS6detail17trampoline_kernelINS0_14default_configENS1_20scan_config_selectorIN3c107complexIdEEEEZZNS1_9scan_implILNS1_25lookback_scan_determinismE0ELb0ELb0ES3_PKS7_PS7_S7_ZZZN2at6native31launch_logcumsumexp_cuda_kernelERKNSE_10TensorBaseESI_lENKUlvE_clEvENKUlvE1_clEvEUlS7_S7_E_S7_EEDaPvRmT3_T4_T5_mT6_P12ihipStream_tbENKUlT_T0_E_clISt17integral_constantIbLb0EESZ_EEDaSU_SV_EUlSU_E0_NS1_11comp_targetILNS1_3genE10ELNS1_11target_archE1200ELNS1_3gpuE4ELNS1_3repE0EEENS1_30default_config_static_selectorELNS0_4arch9wavefront6targetE1EEEvT1_,@function
_ZN7rocprim17ROCPRIM_400000_NS6detail17trampoline_kernelINS0_14default_configENS1_20scan_config_selectorIN3c107complexIdEEEEZZNS1_9scan_implILNS1_25lookback_scan_determinismE0ELb0ELb0ES3_PKS7_PS7_S7_ZZZN2at6native31launch_logcumsumexp_cuda_kernelERKNSE_10TensorBaseESI_lENKUlvE_clEvENKUlvE1_clEvEUlS7_S7_E_S7_EEDaPvRmT3_T4_T5_mT6_P12ihipStream_tbENKUlT_T0_E_clISt17integral_constantIbLb0EESZ_EEDaSU_SV_EUlSU_E0_NS1_11comp_targetILNS1_3genE10ELNS1_11target_archE1200ELNS1_3gpuE4ELNS1_3repE0EEENS1_30default_config_static_selectorELNS0_4arch9wavefront6targetE1EEEvT1_: ; @_ZN7rocprim17ROCPRIM_400000_NS6detail17trampoline_kernelINS0_14default_configENS1_20scan_config_selectorIN3c107complexIdEEEEZZNS1_9scan_implILNS1_25lookback_scan_determinismE0ELb0ELb0ES3_PKS7_PS7_S7_ZZZN2at6native31launch_logcumsumexp_cuda_kernelERKNSE_10TensorBaseESI_lENKUlvE_clEvENKUlvE1_clEvEUlS7_S7_E_S7_EEDaPvRmT3_T4_T5_mT6_P12ihipStream_tbENKUlT_T0_E_clISt17integral_constantIbLb0EESZ_EEDaSU_SV_EUlSU_E0_NS1_11comp_targetILNS1_3genE10ELNS1_11target_archE1200ELNS1_3gpuE4ELNS1_3repE0EEENS1_30default_config_static_selectorELNS0_4arch9wavefront6targetE1EEEvT1_
; %bb.0:
	.section	.rodata,"a",@progbits
	.p2align	6, 0x0
	.amdhsa_kernel _ZN7rocprim17ROCPRIM_400000_NS6detail17trampoline_kernelINS0_14default_configENS1_20scan_config_selectorIN3c107complexIdEEEEZZNS1_9scan_implILNS1_25lookback_scan_determinismE0ELb0ELb0ES3_PKS7_PS7_S7_ZZZN2at6native31launch_logcumsumexp_cuda_kernelERKNSE_10TensorBaseESI_lENKUlvE_clEvENKUlvE1_clEvEUlS7_S7_E_S7_EEDaPvRmT3_T4_T5_mT6_P12ihipStream_tbENKUlT_T0_E_clISt17integral_constantIbLb0EESZ_EEDaSU_SV_EUlSU_E0_NS1_11comp_targetILNS1_3genE10ELNS1_11target_archE1200ELNS1_3gpuE4ELNS1_3repE0EEENS1_30default_config_static_selectorELNS0_4arch9wavefront6targetE1EEEvT1_
		.amdhsa_group_segment_fixed_size 0
		.amdhsa_private_segment_fixed_size 0
		.amdhsa_kernarg_size 48
		.amdhsa_user_sgpr_count 6
		.amdhsa_user_sgpr_private_segment_buffer 1
		.amdhsa_user_sgpr_dispatch_ptr 0
		.amdhsa_user_sgpr_queue_ptr 0
		.amdhsa_user_sgpr_kernarg_segment_ptr 1
		.amdhsa_user_sgpr_dispatch_id 0
		.amdhsa_user_sgpr_flat_scratch_init 0
		.amdhsa_user_sgpr_private_segment_size 0
		.amdhsa_uses_dynamic_stack 0
		.amdhsa_system_sgpr_private_segment_wavefront_offset 0
		.amdhsa_system_sgpr_workgroup_id_x 1
		.amdhsa_system_sgpr_workgroup_id_y 0
		.amdhsa_system_sgpr_workgroup_id_z 0
		.amdhsa_system_sgpr_workgroup_info 0
		.amdhsa_system_vgpr_workitem_id 0
		.amdhsa_next_free_vgpr 1
		.amdhsa_next_free_sgpr 0
		.amdhsa_reserve_vcc 0
		.amdhsa_reserve_flat_scratch 0
		.amdhsa_float_round_mode_32 0
		.amdhsa_float_round_mode_16_64 0
		.amdhsa_float_denorm_mode_32 3
		.amdhsa_float_denorm_mode_16_64 3
		.amdhsa_dx10_clamp 1
		.amdhsa_ieee_mode 1
		.amdhsa_fp16_overflow 0
		.amdhsa_exception_fp_ieee_invalid_op 0
		.amdhsa_exception_fp_denorm_src 0
		.amdhsa_exception_fp_ieee_div_zero 0
		.amdhsa_exception_fp_ieee_overflow 0
		.amdhsa_exception_fp_ieee_underflow 0
		.amdhsa_exception_fp_ieee_inexact 0
		.amdhsa_exception_int_div_zero 0
	.end_amdhsa_kernel
	.section	.text._ZN7rocprim17ROCPRIM_400000_NS6detail17trampoline_kernelINS0_14default_configENS1_20scan_config_selectorIN3c107complexIdEEEEZZNS1_9scan_implILNS1_25lookback_scan_determinismE0ELb0ELb0ES3_PKS7_PS7_S7_ZZZN2at6native31launch_logcumsumexp_cuda_kernelERKNSE_10TensorBaseESI_lENKUlvE_clEvENKUlvE1_clEvEUlS7_S7_E_S7_EEDaPvRmT3_T4_T5_mT6_P12ihipStream_tbENKUlT_T0_E_clISt17integral_constantIbLb0EESZ_EEDaSU_SV_EUlSU_E0_NS1_11comp_targetILNS1_3genE10ELNS1_11target_archE1200ELNS1_3gpuE4ELNS1_3repE0EEENS1_30default_config_static_selectorELNS0_4arch9wavefront6targetE1EEEvT1_,"axG",@progbits,_ZN7rocprim17ROCPRIM_400000_NS6detail17trampoline_kernelINS0_14default_configENS1_20scan_config_selectorIN3c107complexIdEEEEZZNS1_9scan_implILNS1_25lookback_scan_determinismE0ELb0ELb0ES3_PKS7_PS7_S7_ZZZN2at6native31launch_logcumsumexp_cuda_kernelERKNSE_10TensorBaseESI_lENKUlvE_clEvENKUlvE1_clEvEUlS7_S7_E_S7_EEDaPvRmT3_T4_T5_mT6_P12ihipStream_tbENKUlT_T0_E_clISt17integral_constantIbLb0EESZ_EEDaSU_SV_EUlSU_E0_NS1_11comp_targetILNS1_3genE10ELNS1_11target_archE1200ELNS1_3gpuE4ELNS1_3repE0EEENS1_30default_config_static_selectorELNS0_4arch9wavefront6targetE1EEEvT1_,comdat
.Lfunc_end199:
	.size	_ZN7rocprim17ROCPRIM_400000_NS6detail17trampoline_kernelINS0_14default_configENS1_20scan_config_selectorIN3c107complexIdEEEEZZNS1_9scan_implILNS1_25lookback_scan_determinismE0ELb0ELb0ES3_PKS7_PS7_S7_ZZZN2at6native31launch_logcumsumexp_cuda_kernelERKNSE_10TensorBaseESI_lENKUlvE_clEvENKUlvE1_clEvEUlS7_S7_E_S7_EEDaPvRmT3_T4_T5_mT6_P12ihipStream_tbENKUlT_T0_E_clISt17integral_constantIbLb0EESZ_EEDaSU_SV_EUlSU_E0_NS1_11comp_targetILNS1_3genE10ELNS1_11target_archE1200ELNS1_3gpuE4ELNS1_3repE0EEENS1_30default_config_static_selectorELNS0_4arch9wavefront6targetE1EEEvT1_, .Lfunc_end199-_ZN7rocprim17ROCPRIM_400000_NS6detail17trampoline_kernelINS0_14default_configENS1_20scan_config_selectorIN3c107complexIdEEEEZZNS1_9scan_implILNS1_25lookback_scan_determinismE0ELb0ELb0ES3_PKS7_PS7_S7_ZZZN2at6native31launch_logcumsumexp_cuda_kernelERKNSE_10TensorBaseESI_lENKUlvE_clEvENKUlvE1_clEvEUlS7_S7_E_S7_EEDaPvRmT3_T4_T5_mT6_P12ihipStream_tbENKUlT_T0_E_clISt17integral_constantIbLb0EESZ_EEDaSU_SV_EUlSU_E0_NS1_11comp_targetILNS1_3genE10ELNS1_11target_archE1200ELNS1_3gpuE4ELNS1_3repE0EEENS1_30default_config_static_selectorELNS0_4arch9wavefront6targetE1EEEvT1_
                                        ; -- End function
	.set _ZN7rocprim17ROCPRIM_400000_NS6detail17trampoline_kernelINS0_14default_configENS1_20scan_config_selectorIN3c107complexIdEEEEZZNS1_9scan_implILNS1_25lookback_scan_determinismE0ELb0ELb0ES3_PKS7_PS7_S7_ZZZN2at6native31launch_logcumsumexp_cuda_kernelERKNSE_10TensorBaseESI_lENKUlvE_clEvENKUlvE1_clEvEUlS7_S7_E_S7_EEDaPvRmT3_T4_T5_mT6_P12ihipStream_tbENKUlT_T0_E_clISt17integral_constantIbLb0EESZ_EEDaSU_SV_EUlSU_E0_NS1_11comp_targetILNS1_3genE10ELNS1_11target_archE1200ELNS1_3gpuE4ELNS1_3repE0EEENS1_30default_config_static_selectorELNS0_4arch9wavefront6targetE1EEEvT1_.num_vgpr, 0
	.set _ZN7rocprim17ROCPRIM_400000_NS6detail17trampoline_kernelINS0_14default_configENS1_20scan_config_selectorIN3c107complexIdEEEEZZNS1_9scan_implILNS1_25lookback_scan_determinismE0ELb0ELb0ES3_PKS7_PS7_S7_ZZZN2at6native31launch_logcumsumexp_cuda_kernelERKNSE_10TensorBaseESI_lENKUlvE_clEvENKUlvE1_clEvEUlS7_S7_E_S7_EEDaPvRmT3_T4_T5_mT6_P12ihipStream_tbENKUlT_T0_E_clISt17integral_constantIbLb0EESZ_EEDaSU_SV_EUlSU_E0_NS1_11comp_targetILNS1_3genE10ELNS1_11target_archE1200ELNS1_3gpuE4ELNS1_3repE0EEENS1_30default_config_static_selectorELNS0_4arch9wavefront6targetE1EEEvT1_.num_agpr, 0
	.set _ZN7rocprim17ROCPRIM_400000_NS6detail17trampoline_kernelINS0_14default_configENS1_20scan_config_selectorIN3c107complexIdEEEEZZNS1_9scan_implILNS1_25lookback_scan_determinismE0ELb0ELb0ES3_PKS7_PS7_S7_ZZZN2at6native31launch_logcumsumexp_cuda_kernelERKNSE_10TensorBaseESI_lENKUlvE_clEvENKUlvE1_clEvEUlS7_S7_E_S7_EEDaPvRmT3_T4_T5_mT6_P12ihipStream_tbENKUlT_T0_E_clISt17integral_constantIbLb0EESZ_EEDaSU_SV_EUlSU_E0_NS1_11comp_targetILNS1_3genE10ELNS1_11target_archE1200ELNS1_3gpuE4ELNS1_3repE0EEENS1_30default_config_static_selectorELNS0_4arch9wavefront6targetE1EEEvT1_.numbered_sgpr, 0
	.set _ZN7rocprim17ROCPRIM_400000_NS6detail17trampoline_kernelINS0_14default_configENS1_20scan_config_selectorIN3c107complexIdEEEEZZNS1_9scan_implILNS1_25lookback_scan_determinismE0ELb0ELb0ES3_PKS7_PS7_S7_ZZZN2at6native31launch_logcumsumexp_cuda_kernelERKNSE_10TensorBaseESI_lENKUlvE_clEvENKUlvE1_clEvEUlS7_S7_E_S7_EEDaPvRmT3_T4_T5_mT6_P12ihipStream_tbENKUlT_T0_E_clISt17integral_constantIbLb0EESZ_EEDaSU_SV_EUlSU_E0_NS1_11comp_targetILNS1_3genE10ELNS1_11target_archE1200ELNS1_3gpuE4ELNS1_3repE0EEENS1_30default_config_static_selectorELNS0_4arch9wavefront6targetE1EEEvT1_.num_named_barrier, 0
	.set _ZN7rocprim17ROCPRIM_400000_NS6detail17trampoline_kernelINS0_14default_configENS1_20scan_config_selectorIN3c107complexIdEEEEZZNS1_9scan_implILNS1_25lookback_scan_determinismE0ELb0ELb0ES3_PKS7_PS7_S7_ZZZN2at6native31launch_logcumsumexp_cuda_kernelERKNSE_10TensorBaseESI_lENKUlvE_clEvENKUlvE1_clEvEUlS7_S7_E_S7_EEDaPvRmT3_T4_T5_mT6_P12ihipStream_tbENKUlT_T0_E_clISt17integral_constantIbLb0EESZ_EEDaSU_SV_EUlSU_E0_NS1_11comp_targetILNS1_3genE10ELNS1_11target_archE1200ELNS1_3gpuE4ELNS1_3repE0EEENS1_30default_config_static_selectorELNS0_4arch9wavefront6targetE1EEEvT1_.private_seg_size, 0
	.set _ZN7rocprim17ROCPRIM_400000_NS6detail17trampoline_kernelINS0_14default_configENS1_20scan_config_selectorIN3c107complexIdEEEEZZNS1_9scan_implILNS1_25lookback_scan_determinismE0ELb0ELb0ES3_PKS7_PS7_S7_ZZZN2at6native31launch_logcumsumexp_cuda_kernelERKNSE_10TensorBaseESI_lENKUlvE_clEvENKUlvE1_clEvEUlS7_S7_E_S7_EEDaPvRmT3_T4_T5_mT6_P12ihipStream_tbENKUlT_T0_E_clISt17integral_constantIbLb0EESZ_EEDaSU_SV_EUlSU_E0_NS1_11comp_targetILNS1_3genE10ELNS1_11target_archE1200ELNS1_3gpuE4ELNS1_3repE0EEENS1_30default_config_static_selectorELNS0_4arch9wavefront6targetE1EEEvT1_.uses_vcc, 0
	.set _ZN7rocprim17ROCPRIM_400000_NS6detail17trampoline_kernelINS0_14default_configENS1_20scan_config_selectorIN3c107complexIdEEEEZZNS1_9scan_implILNS1_25lookback_scan_determinismE0ELb0ELb0ES3_PKS7_PS7_S7_ZZZN2at6native31launch_logcumsumexp_cuda_kernelERKNSE_10TensorBaseESI_lENKUlvE_clEvENKUlvE1_clEvEUlS7_S7_E_S7_EEDaPvRmT3_T4_T5_mT6_P12ihipStream_tbENKUlT_T0_E_clISt17integral_constantIbLb0EESZ_EEDaSU_SV_EUlSU_E0_NS1_11comp_targetILNS1_3genE10ELNS1_11target_archE1200ELNS1_3gpuE4ELNS1_3repE0EEENS1_30default_config_static_selectorELNS0_4arch9wavefront6targetE1EEEvT1_.uses_flat_scratch, 0
	.set _ZN7rocprim17ROCPRIM_400000_NS6detail17trampoline_kernelINS0_14default_configENS1_20scan_config_selectorIN3c107complexIdEEEEZZNS1_9scan_implILNS1_25lookback_scan_determinismE0ELb0ELb0ES3_PKS7_PS7_S7_ZZZN2at6native31launch_logcumsumexp_cuda_kernelERKNSE_10TensorBaseESI_lENKUlvE_clEvENKUlvE1_clEvEUlS7_S7_E_S7_EEDaPvRmT3_T4_T5_mT6_P12ihipStream_tbENKUlT_T0_E_clISt17integral_constantIbLb0EESZ_EEDaSU_SV_EUlSU_E0_NS1_11comp_targetILNS1_3genE10ELNS1_11target_archE1200ELNS1_3gpuE4ELNS1_3repE0EEENS1_30default_config_static_selectorELNS0_4arch9wavefront6targetE1EEEvT1_.has_dyn_sized_stack, 0
	.set _ZN7rocprim17ROCPRIM_400000_NS6detail17trampoline_kernelINS0_14default_configENS1_20scan_config_selectorIN3c107complexIdEEEEZZNS1_9scan_implILNS1_25lookback_scan_determinismE0ELb0ELb0ES3_PKS7_PS7_S7_ZZZN2at6native31launch_logcumsumexp_cuda_kernelERKNSE_10TensorBaseESI_lENKUlvE_clEvENKUlvE1_clEvEUlS7_S7_E_S7_EEDaPvRmT3_T4_T5_mT6_P12ihipStream_tbENKUlT_T0_E_clISt17integral_constantIbLb0EESZ_EEDaSU_SV_EUlSU_E0_NS1_11comp_targetILNS1_3genE10ELNS1_11target_archE1200ELNS1_3gpuE4ELNS1_3repE0EEENS1_30default_config_static_selectorELNS0_4arch9wavefront6targetE1EEEvT1_.has_recursion, 0
	.set _ZN7rocprim17ROCPRIM_400000_NS6detail17trampoline_kernelINS0_14default_configENS1_20scan_config_selectorIN3c107complexIdEEEEZZNS1_9scan_implILNS1_25lookback_scan_determinismE0ELb0ELb0ES3_PKS7_PS7_S7_ZZZN2at6native31launch_logcumsumexp_cuda_kernelERKNSE_10TensorBaseESI_lENKUlvE_clEvENKUlvE1_clEvEUlS7_S7_E_S7_EEDaPvRmT3_T4_T5_mT6_P12ihipStream_tbENKUlT_T0_E_clISt17integral_constantIbLb0EESZ_EEDaSU_SV_EUlSU_E0_NS1_11comp_targetILNS1_3genE10ELNS1_11target_archE1200ELNS1_3gpuE4ELNS1_3repE0EEENS1_30default_config_static_selectorELNS0_4arch9wavefront6targetE1EEEvT1_.has_indirect_call, 0
	.section	.AMDGPU.csdata,"",@progbits
; Kernel info:
; codeLenInByte = 0
; TotalNumSgprs: 4
; NumVgprs: 0
; ScratchSize: 0
; MemoryBound: 0
; FloatMode: 240
; IeeeMode: 1
; LDSByteSize: 0 bytes/workgroup (compile time only)
; SGPRBlocks: 0
; VGPRBlocks: 0
; NumSGPRsForWavesPerEU: 4
; NumVGPRsForWavesPerEU: 1
; Occupancy: 10
; WaveLimiterHint : 0
; COMPUTE_PGM_RSRC2:SCRATCH_EN: 0
; COMPUTE_PGM_RSRC2:USER_SGPR: 6
; COMPUTE_PGM_RSRC2:TRAP_HANDLER: 0
; COMPUTE_PGM_RSRC2:TGID_X_EN: 1
; COMPUTE_PGM_RSRC2:TGID_Y_EN: 0
; COMPUTE_PGM_RSRC2:TGID_Z_EN: 0
; COMPUTE_PGM_RSRC2:TIDIG_COMP_CNT: 0
	.section	.text._ZN7rocprim17ROCPRIM_400000_NS6detail17trampoline_kernelINS0_14default_configENS1_20scan_config_selectorIN3c107complexIdEEEEZZNS1_9scan_implILNS1_25lookback_scan_determinismE0ELb0ELb0ES3_PKS7_PS7_S7_ZZZN2at6native31launch_logcumsumexp_cuda_kernelERKNSE_10TensorBaseESI_lENKUlvE_clEvENKUlvE1_clEvEUlS7_S7_E_S7_EEDaPvRmT3_T4_T5_mT6_P12ihipStream_tbENKUlT_T0_E_clISt17integral_constantIbLb0EESZ_EEDaSU_SV_EUlSU_E0_NS1_11comp_targetILNS1_3genE9ELNS1_11target_archE1100ELNS1_3gpuE3ELNS1_3repE0EEENS1_30default_config_static_selectorELNS0_4arch9wavefront6targetE1EEEvT1_,"axG",@progbits,_ZN7rocprim17ROCPRIM_400000_NS6detail17trampoline_kernelINS0_14default_configENS1_20scan_config_selectorIN3c107complexIdEEEEZZNS1_9scan_implILNS1_25lookback_scan_determinismE0ELb0ELb0ES3_PKS7_PS7_S7_ZZZN2at6native31launch_logcumsumexp_cuda_kernelERKNSE_10TensorBaseESI_lENKUlvE_clEvENKUlvE1_clEvEUlS7_S7_E_S7_EEDaPvRmT3_T4_T5_mT6_P12ihipStream_tbENKUlT_T0_E_clISt17integral_constantIbLb0EESZ_EEDaSU_SV_EUlSU_E0_NS1_11comp_targetILNS1_3genE9ELNS1_11target_archE1100ELNS1_3gpuE3ELNS1_3repE0EEENS1_30default_config_static_selectorELNS0_4arch9wavefront6targetE1EEEvT1_,comdat
	.globl	_ZN7rocprim17ROCPRIM_400000_NS6detail17trampoline_kernelINS0_14default_configENS1_20scan_config_selectorIN3c107complexIdEEEEZZNS1_9scan_implILNS1_25lookback_scan_determinismE0ELb0ELb0ES3_PKS7_PS7_S7_ZZZN2at6native31launch_logcumsumexp_cuda_kernelERKNSE_10TensorBaseESI_lENKUlvE_clEvENKUlvE1_clEvEUlS7_S7_E_S7_EEDaPvRmT3_T4_T5_mT6_P12ihipStream_tbENKUlT_T0_E_clISt17integral_constantIbLb0EESZ_EEDaSU_SV_EUlSU_E0_NS1_11comp_targetILNS1_3genE9ELNS1_11target_archE1100ELNS1_3gpuE3ELNS1_3repE0EEENS1_30default_config_static_selectorELNS0_4arch9wavefront6targetE1EEEvT1_ ; -- Begin function _ZN7rocprim17ROCPRIM_400000_NS6detail17trampoline_kernelINS0_14default_configENS1_20scan_config_selectorIN3c107complexIdEEEEZZNS1_9scan_implILNS1_25lookback_scan_determinismE0ELb0ELb0ES3_PKS7_PS7_S7_ZZZN2at6native31launch_logcumsumexp_cuda_kernelERKNSE_10TensorBaseESI_lENKUlvE_clEvENKUlvE1_clEvEUlS7_S7_E_S7_EEDaPvRmT3_T4_T5_mT6_P12ihipStream_tbENKUlT_T0_E_clISt17integral_constantIbLb0EESZ_EEDaSU_SV_EUlSU_E0_NS1_11comp_targetILNS1_3genE9ELNS1_11target_archE1100ELNS1_3gpuE3ELNS1_3repE0EEENS1_30default_config_static_selectorELNS0_4arch9wavefront6targetE1EEEvT1_
	.p2align	8
	.type	_ZN7rocprim17ROCPRIM_400000_NS6detail17trampoline_kernelINS0_14default_configENS1_20scan_config_selectorIN3c107complexIdEEEEZZNS1_9scan_implILNS1_25lookback_scan_determinismE0ELb0ELb0ES3_PKS7_PS7_S7_ZZZN2at6native31launch_logcumsumexp_cuda_kernelERKNSE_10TensorBaseESI_lENKUlvE_clEvENKUlvE1_clEvEUlS7_S7_E_S7_EEDaPvRmT3_T4_T5_mT6_P12ihipStream_tbENKUlT_T0_E_clISt17integral_constantIbLb0EESZ_EEDaSU_SV_EUlSU_E0_NS1_11comp_targetILNS1_3genE9ELNS1_11target_archE1100ELNS1_3gpuE3ELNS1_3repE0EEENS1_30default_config_static_selectorELNS0_4arch9wavefront6targetE1EEEvT1_,@function
_ZN7rocprim17ROCPRIM_400000_NS6detail17trampoline_kernelINS0_14default_configENS1_20scan_config_selectorIN3c107complexIdEEEEZZNS1_9scan_implILNS1_25lookback_scan_determinismE0ELb0ELb0ES3_PKS7_PS7_S7_ZZZN2at6native31launch_logcumsumexp_cuda_kernelERKNSE_10TensorBaseESI_lENKUlvE_clEvENKUlvE1_clEvEUlS7_S7_E_S7_EEDaPvRmT3_T4_T5_mT6_P12ihipStream_tbENKUlT_T0_E_clISt17integral_constantIbLb0EESZ_EEDaSU_SV_EUlSU_E0_NS1_11comp_targetILNS1_3genE9ELNS1_11target_archE1100ELNS1_3gpuE3ELNS1_3repE0EEENS1_30default_config_static_selectorELNS0_4arch9wavefront6targetE1EEEvT1_: ; @_ZN7rocprim17ROCPRIM_400000_NS6detail17trampoline_kernelINS0_14default_configENS1_20scan_config_selectorIN3c107complexIdEEEEZZNS1_9scan_implILNS1_25lookback_scan_determinismE0ELb0ELb0ES3_PKS7_PS7_S7_ZZZN2at6native31launch_logcumsumexp_cuda_kernelERKNSE_10TensorBaseESI_lENKUlvE_clEvENKUlvE1_clEvEUlS7_S7_E_S7_EEDaPvRmT3_T4_T5_mT6_P12ihipStream_tbENKUlT_T0_E_clISt17integral_constantIbLb0EESZ_EEDaSU_SV_EUlSU_E0_NS1_11comp_targetILNS1_3genE9ELNS1_11target_archE1100ELNS1_3gpuE3ELNS1_3repE0EEENS1_30default_config_static_selectorELNS0_4arch9wavefront6targetE1EEEvT1_
; %bb.0:
	.section	.rodata,"a",@progbits
	.p2align	6, 0x0
	.amdhsa_kernel _ZN7rocprim17ROCPRIM_400000_NS6detail17trampoline_kernelINS0_14default_configENS1_20scan_config_selectorIN3c107complexIdEEEEZZNS1_9scan_implILNS1_25lookback_scan_determinismE0ELb0ELb0ES3_PKS7_PS7_S7_ZZZN2at6native31launch_logcumsumexp_cuda_kernelERKNSE_10TensorBaseESI_lENKUlvE_clEvENKUlvE1_clEvEUlS7_S7_E_S7_EEDaPvRmT3_T4_T5_mT6_P12ihipStream_tbENKUlT_T0_E_clISt17integral_constantIbLb0EESZ_EEDaSU_SV_EUlSU_E0_NS1_11comp_targetILNS1_3genE9ELNS1_11target_archE1100ELNS1_3gpuE3ELNS1_3repE0EEENS1_30default_config_static_selectorELNS0_4arch9wavefront6targetE1EEEvT1_
		.amdhsa_group_segment_fixed_size 0
		.amdhsa_private_segment_fixed_size 0
		.amdhsa_kernarg_size 48
		.amdhsa_user_sgpr_count 6
		.amdhsa_user_sgpr_private_segment_buffer 1
		.amdhsa_user_sgpr_dispatch_ptr 0
		.amdhsa_user_sgpr_queue_ptr 0
		.amdhsa_user_sgpr_kernarg_segment_ptr 1
		.amdhsa_user_sgpr_dispatch_id 0
		.amdhsa_user_sgpr_flat_scratch_init 0
		.amdhsa_user_sgpr_private_segment_size 0
		.amdhsa_uses_dynamic_stack 0
		.amdhsa_system_sgpr_private_segment_wavefront_offset 0
		.amdhsa_system_sgpr_workgroup_id_x 1
		.amdhsa_system_sgpr_workgroup_id_y 0
		.amdhsa_system_sgpr_workgroup_id_z 0
		.amdhsa_system_sgpr_workgroup_info 0
		.amdhsa_system_vgpr_workitem_id 0
		.amdhsa_next_free_vgpr 1
		.amdhsa_next_free_sgpr 0
		.amdhsa_reserve_vcc 0
		.amdhsa_reserve_flat_scratch 0
		.amdhsa_float_round_mode_32 0
		.amdhsa_float_round_mode_16_64 0
		.amdhsa_float_denorm_mode_32 3
		.amdhsa_float_denorm_mode_16_64 3
		.amdhsa_dx10_clamp 1
		.amdhsa_ieee_mode 1
		.amdhsa_fp16_overflow 0
		.amdhsa_exception_fp_ieee_invalid_op 0
		.amdhsa_exception_fp_denorm_src 0
		.amdhsa_exception_fp_ieee_div_zero 0
		.amdhsa_exception_fp_ieee_overflow 0
		.amdhsa_exception_fp_ieee_underflow 0
		.amdhsa_exception_fp_ieee_inexact 0
		.amdhsa_exception_int_div_zero 0
	.end_amdhsa_kernel
	.section	.text._ZN7rocprim17ROCPRIM_400000_NS6detail17trampoline_kernelINS0_14default_configENS1_20scan_config_selectorIN3c107complexIdEEEEZZNS1_9scan_implILNS1_25lookback_scan_determinismE0ELb0ELb0ES3_PKS7_PS7_S7_ZZZN2at6native31launch_logcumsumexp_cuda_kernelERKNSE_10TensorBaseESI_lENKUlvE_clEvENKUlvE1_clEvEUlS7_S7_E_S7_EEDaPvRmT3_T4_T5_mT6_P12ihipStream_tbENKUlT_T0_E_clISt17integral_constantIbLb0EESZ_EEDaSU_SV_EUlSU_E0_NS1_11comp_targetILNS1_3genE9ELNS1_11target_archE1100ELNS1_3gpuE3ELNS1_3repE0EEENS1_30default_config_static_selectorELNS0_4arch9wavefront6targetE1EEEvT1_,"axG",@progbits,_ZN7rocprim17ROCPRIM_400000_NS6detail17trampoline_kernelINS0_14default_configENS1_20scan_config_selectorIN3c107complexIdEEEEZZNS1_9scan_implILNS1_25lookback_scan_determinismE0ELb0ELb0ES3_PKS7_PS7_S7_ZZZN2at6native31launch_logcumsumexp_cuda_kernelERKNSE_10TensorBaseESI_lENKUlvE_clEvENKUlvE1_clEvEUlS7_S7_E_S7_EEDaPvRmT3_T4_T5_mT6_P12ihipStream_tbENKUlT_T0_E_clISt17integral_constantIbLb0EESZ_EEDaSU_SV_EUlSU_E0_NS1_11comp_targetILNS1_3genE9ELNS1_11target_archE1100ELNS1_3gpuE3ELNS1_3repE0EEENS1_30default_config_static_selectorELNS0_4arch9wavefront6targetE1EEEvT1_,comdat
.Lfunc_end200:
	.size	_ZN7rocprim17ROCPRIM_400000_NS6detail17trampoline_kernelINS0_14default_configENS1_20scan_config_selectorIN3c107complexIdEEEEZZNS1_9scan_implILNS1_25lookback_scan_determinismE0ELb0ELb0ES3_PKS7_PS7_S7_ZZZN2at6native31launch_logcumsumexp_cuda_kernelERKNSE_10TensorBaseESI_lENKUlvE_clEvENKUlvE1_clEvEUlS7_S7_E_S7_EEDaPvRmT3_T4_T5_mT6_P12ihipStream_tbENKUlT_T0_E_clISt17integral_constantIbLb0EESZ_EEDaSU_SV_EUlSU_E0_NS1_11comp_targetILNS1_3genE9ELNS1_11target_archE1100ELNS1_3gpuE3ELNS1_3repE0EEENS1_30default_config_static_selectorELNS0_4arch9wavefront6targetE1EEEvT1_, .Lfunc_end200-_ZN7rocprim17ROCPRIM_400000_NS6detail17trampoline_kernelINS0_14default_configENS1_20scan_config_selectorIN3c107complexIdEEEEZZNS1_9scan_implILNS1_25lookback_scan_determinismE0ELb0ELb0ES3_PKS7_PS7_S7_ZZZN2at6native31launch_logcumsumexp_cuda_kernelERKNSE_10TensorBaseESI_lENKUlvE_clEvENKUlvE1_clEvEUlS7_S7_E_S7_EEDaPvRmT3_T4_T5_mT6_P12ihipStream_tbENKUlT_T0_E_clISt17integral_constantIbLb0EESZ_EEDaSU_SV_EUlSU_E0_NS1_11comp_targetILNS1_3genE9ELNS1_11target_archE1100ELNS1_3gpuE3ELNS1_3repE0EEENS1_30default_config_static_selectorELNS0_4arch9wavefront6targetE1EEEvT1_
                                        ; -- End function
	.set _ZN7rocprim17ROCPRIM_400000_NS6detail17trampoline_kernelINS0_14default_configENS1_20scan_config_selectorIN3c107complexIdEEEEZZNS1_9scan_implILNS1_25lookback_scan_determinismE0ELb0ELb0ES3_PKS7_PS7_S7_ZZZN2at6native31launch_logcumsumexp_cuda_kernelERKNSE_10TensorBaseESI_lENKUlvE_clEvENKUlvE1_clEvEUlS7_S7_E_S7_EEDaPvRmT3_T4_T5_mT6_P12ihipStream_tbENKUlT_T0_E_clISt17integral_constantIbLb0EESZ_EEDaSU_SV_EUlSU_E0_NS1_11comp_targetILNS1_3genE9ELNS1_11target_archE1100ELNS1_3gpuE3ELNS1_3repE0EEENS1_30default_config_static_selectorELNS0_4arch9wavefront6targetE1EEEvT1_.num_vgpr, 0
	.set _ZN7rocprim17ROCPRIM_400000_NS6detail17trampoline_kernelINS0_14default_configENS1_20scan_config_selectorIN3c107complexIdEEEEZZNS1_9scan_implILNS1_25lookback_scan_determinismE0ELb0ELb0ES3_PKS7_PS7_S7_ZZZN2at6native31launch_logcumsumexp_cuda_kernelERKNSE_10TensorBaseESI_lENKUlvE_clEvENKUlvE1_clEvEUlS7_S7_E_S7_EEDaPvRmT3_T4_T5_mT6_P12ihipStream_tbENKUlT_T0_E_clISt17integral_constantIbLb0EESZ_EEDaSU_SV_EUlSU_E0_NS1_11comp_targetILNS1_3genE9ELNS1_11target_archE1100ELNS1_3gpuE3ELNS1_3repE0EEENS1_30default_config_static_selectorELNS0_4arch9wavefront6targetE1EEEvT1_.num_agpr, 0
	.set _ZN7rocprim17ROCPRIM_400000_NS6detail17trampoline_kernelINS0_14default_configENS1_20scan_config_selectorIN3c107complexIdEEEEZZNS1_9scan_implILNS1_25lookback_scan_determinismE0ELb0ELb0ES3_PKS7_PS7_S7_ZZZN2at6native31launch_logcumsumexp_cuda_kernelERKNSE_10TensorBaseESI_lENKUlvE_clEvENKUlvE1_clEvEUlS7_S7_E_S7_EEDaPvRmT3_T4_T5_mT6_P12ihipStream_tbENKUlT_T0_E_clISt17integral_constantIbLb0EESZ_EEDaSU_SV_EUlSU_E0_NS1_11comp_targetILNS1_3genE9ELNS1_11target_archE1100ELNS1_3gpuE3ELNS1_3repE0EEENS1_30default_config_static_selectorELNS0_4arch9wavefront6targetE1EEEvT1_.numbered_sgpr, 0
	.set _ZN7rocprim17ROCPRIM_400000_NS6detail17trampoline_kernelINS0_14default_configENS1_20scan_config_selectorIN3c107complexIdEEEEZZNS1_9scan_implILNS1_25lookback_scan_determinismE0ELb0ELb0ES3_PKS7_PS7_S7_ZZZN2at6native31launch_logcumsumexp_cuda_kernelERKNSE_10TensorBaseESI_lENKUlvE_clEvENKUlvE1_clEvEUlS7_S7_E_S7_EEDaPvRmT3_T4_T5_mT6_P12ihipStream_tbENKUlT_T0_E_clISt17integral_constantIbLb0EESZ_EEDaSU_SV_EUlSU_E0_NS1_11comp_targetILNS1_3genE9ELNS1_11target_archE1100ELNS1_3gpuE3ELNS1_3repE0EEENS1_30default_config_static_selectorELNS0_4arch9wavefront6targetE1EEEvT1_.num_named_barrier, 0
	.set _ZN7rocprim17ROCPRIM_400000_NS6detail17trampoline_kernelINS0_14default_configENS1_20scan_config_selectorIN3c107complexIdEEEEZZNS1_9scan_implILNS1_25lookback_scan_determinismE0ELb0ELb0ES3_PKS7_PS7_S7_ZZZN2at6native31launch_logcumsumexp_cuda_kernelERKNSE_10TensorBaseESI_lENKUlvE_clEvENKUlvE1_clEvEUlS7_S7_E_S7_EEDaPvRmT3_T4_T5_mT6_P12ihipStream_tbENKUlT_T0_E_clISt17integral_constantIbLb0EESZ_EEDaSU_SV_EUlSU_E0_NS1_11comp_targetILNS1_3genE9ELNS1_11target_archE1100ELNS1_3gpuE3ELNS1_3repE0EEENS1_30default_config_static_selectorELNS0_4arch9wavefront6targetE1EEEvT1_.private_seg_size, 0
	.set _ZN7rocprim17ROCPRIM_400000_NS6detail17trampoline_kernelINS0_14default_configENS1_20scan_config_selectorIN3c107complexIdEEEEZZNS1_9scan_implILNS1_25lookback_scan_determinismE0ELb0ELb0ES3_PKS7_PS7_S7_ZZZN2at6native31launch_logcumsumexp_cuda_kernelERKNSE_10TensorBaseESI_lENKUlvE_clEvENKUlvE1_clEvEUlS7_S7_E_S7_EEDaPvRmT3_T4_T5_mT6_P12ihipStream_tbENKUlT_T0_E_clISt17integral_constantIbLb0EESZ_EEDaSU_SV_EUlSU_E0_NS1_11comp_targetILNS1_3genE9ELNS1_11target_archE1100ELNS1_3gpuE3ELNS1_3repE0EEENS1_30default_config_static_selectorELNS0_4arch9wavefront6targetE1EEEvT1_.uses_vcc, 0
	.set _ZN7rocprim17ROCPRIM_400000_NS6detail17trampoline_kernelINS0_14default_configENS1_20scan_config_selectorIN3c107complexIdEEEEZZNS1_9scan_implILNS1_25lookback_scan_determinismE0ELb0ELb0ES3_PKS7_PS7_S7_ZZZN2at6native31launch_logcumsumexp_cuda_kernelERKNSE_10TensorBaseESI_lENKUlvE_clEvENKUlvE1_clEvEUlS7_S7_E_S7_EEDaPvRmT3_T4_T5_mT6_P12ihipStream_tbENKUlT_T0_E_clISt17integral_constantIbLb0EESZ_EEDaSU_SV_EUlSU_E0_NS1_11comp_targetILNS1_3genE9ELNS1_11target_archE1100ELNS1_3gpuE3ELNS1_3repE0EEENS1_30default_config_static_selectorELNS0_4arch9wavefront6targetE1EEEvT1_.uses_flat_scratch, 0
	.set _ZN7rocprim17ROCPRIM_400000_NS6detail17trampoline_kernelINS0_14default_configENS1_20scan_config_selectorIN3c107complexIdEEEEZZNS1_9scan_implILNS1_25lookback_scan_determinismE0ELb0ELb0ES3_PKS7_PS7_S7_ZZZN2at6native31launch_logcumsumexp_cuda_kernelERKNSE_10TensorBaseESI_lENKUlvE_clEvENKUlvE1_clEvEUlS7_S7_E_S7_EEDaPvRmT3_T4_T5_mT6_P12ihipStream_tbENKUlT_T0_E_clISt17integral_constantIbLb0EESZ_EEDaSU_SV_EUlSU_E0_NS1_11comp_targetILNS1_3genE9ELNS1_11target_archE1100ELNS1_3gpuE3ELNS1_3repE0EEENS1_30default_config_static_selectorELNS0_4arch9wavefront6targetE1EEEvT1_.has_dyn_sized_stack, 0
	.set _ZN7rocprim17ROCPRIM_400000_NS6detail17trampoline_kernelINS0_14default_configENS1_20scan_config_selectorIN3c107complexIdEEEEZZNS1_9scan_implILNS1_25lookback_scan_determinismE0ELb0ELb0ES3_PKS7_PS7_S7_ZZZN2at6native31launch_logcumsumexp_cuda_kernelERKNSE_10TensorBaseESI_lENKUlvE_clEvENKUlvE1_clEvEUlS7_S7_E_S7_EEDaPvRmT3_T4_T5_mT6_P12ihipStream_tbENKUlT_T0_E_clISt17integral_constantIbLb0EESZ_EEDaSU_SV_EUlSU_E0_NS1_11comp_targetILNS1_3genE9ELNS1_11target_archE1100ELNS1_3gpuE3ELNS1_3repE0EEENS1_30default_config_static_selectorELNS0_4arch9wavefront6targetE1EEEvT1_.has_recursion, 0
	.set _ZN7rocprim17ROCPRIM_400000_NS6detail17trampoline_kernelINS0_14default_configENS1_20scan_config_selectorIN3c107complexIdEEEEZZNS1_9scan_implILNS1_25lookback_scan_determinismE0ELb0ELb0ES3_PKS7_PS7_S7_ZZZN2at6native31launch_logcumsumexp_cuda_kernelERKNSE_10TensorBaseESI_lENKUlvE_clEvENKUlvE1_clEvEUlS7_S7_E_S7_EEDaPvRmT3_T4_T5_mT6_P12ihipStream_tbENKUlT_T0_E_clISt17integral_constantIbLb0EESZ_EEDaSU_SV_EUlSU_E0_NS1_11comp_targetILNS1_3genE9ELNS1_11target_archE1100ELNS1_3gpuE3ELNS1_3repE0EEENS1_30default_config_static_selectorELNS0_4arch9wavefront6targetE1EEEvT1_.has_indirect_call, 0
	.section	.AMDGPU.csdata,"",@progbits
; Kernel info:
; codeLenInByte = 0
; TotalNumSgprs: 4
; NumVgprs: 0
; ScratchSize: 0
; MemoryBound: 0
; FloatMode: 240
; IeeeMode: 1
; LDSByteSize: 0 bytes/workgroup (compile time only)
; SGPRBlocks: 0
; VGPRBlocks: 0
; NumSGPRsForWavesPerEU: 4
; NumVGPRsForWavesPerEU: 1
; Occupancy: 10
; WaveLimiterHint : 0
; COMPUTE_PGM_RSRC2:SCRATCH_EN: 0
; COMPUTE_PGM_RSRC2:USER_SGPR: 6
; COMPUTE_PGM_RSRC2:TRAP_HANDLER: 0
; COMPUTE_PGM_RSRC2:TGID_X_EN: 1
; COMPUTE_PGM_RSRC2:TGID_Y_EN: 0
; COMPUTE_PGM_RSRC2:TGID_Z_EN: 0
; COMPUTE_PGM_RSRC2:TIDIG_COMP_CNT: 0
	.section	.text._ZN7rocprim17ROCPRIM_400000_NS6detail17trampoline_kernelINS0_14default_configENS1_20scan_config_selectorIN3c107complexIdEEEEZZNS1_9scan_implILNS1_25lookback_scan_determinismE0ELb0ELb0ES3_PKS7_PS7_S7_ZZZN2at6native31launch_logcumsumexp_cuda_kernelERKNSE_10TensorBaseESI_lENKUlvE_clEvENKUlvE1_clEvEUlS7_S7_E_S7_EEDaPvRmT3_T4_T5_mT6_P12ihipStream_tbENKUlT_T0_E_clISt17integral_constantIbLb0EESZ_EEDaSU_SV_EUlSU_E0_NS1_11comp_targetILNS1_3genE8ELNS1_11target_archE1030ELNS1_3gpuE2ELNS1_3repE0EEENS1_30default_config_static_selectorELNS0_4arch9wavefront6targetE1EEEvT1_,"axG",@progbits,_ZN7rocprim17ROCPRIM_400000_NS6detail17trampoline_kernelINS0_14default_configENS1_20scan_config_selectorIN3c107complexIdEEEEZZNS1_9scan_implILNS1_25lookback_scan_determinismE0ELb0ELb0ES3_PKS7_PS7_S7_ZZZN2at6native31launch_logcumsumexp_cuda_kernelERKNSE_10TensorBaseESI_lENKUlvE_clEvENKUlvE1_clEvEUlS7_S7_E_S7_EEDaPvRmT3_T4_T5_mT6_P12ihipStream_tbENKUlT_T0_E_clISt17integral_constantIbLb0EESZ_EEDaSU_SV_EUlSU_E0_NS1_11comp_targetILNS1_3genE8ELNS1_11target_archE1030ELNS1_3gpuE2ELNS1_3repE0EEENS1_30default_config_static_selectorELNS0_4arch9wavefront6targetE1EEEvT1_,comdat
	.globl	_ZN7rocprim17ROCPRIM_400000_NS6detail17trampoline_kernelINS0_14default_configENS1_20scan_config_selectorIN3c107complexIdEEEEZZNS1_9scan_implILNS1_25lookback_scan_determinismE0ELb0ELb0ES3_PKS7_PS7_S7_ZZZN2at6native31launch_logcumsumexp_cuda_kernelERKNSE_10TensorBaseESI_lENKUlvE_clEvENKUlvE1_clEvEUlS7_S7_E_S7_EEDaPvRmT3_T4_T5_mT6_P12ihipStream_tbENKUlT_T0_E_clISt17integral_constantIbLb0EESZ_EEDaSU_SV_EUlSU_E0_NS1_11comp_targetILNS1_3genE8ELNS1_11target_archE1030ELNS1_3gpuE2ELNS1_3repE0EEENS1_30default_config_static_selectorELNS0_4arch9wavefront6targetE1EEEvT1_ ; -- Begin function _ZN7rocprim17ROCPRIM_400000_NS6detail17trampoline_kernelINS0_14default_configENS1_20scan_config_selectorIN3c107complexIdEEEEZZNS1_9scan_implILNS1_25lookback_scan_determinismE0ELb0ELb0ES3_PKS7_PS7_S7_ZZZN2at6native31launch_logcumsumexp_cuda_kernelERKNSE_10TensorBaseESI_lENKUlvE_clEvENKUlvE1_clEvEUlS7_S7_E_S7_EEDaPvRmT3_T4_T5_mT6_P12ihipStream_tbENKUlT_T0_E_clISt17integral_constantIbLb0EESZ_EEDaSU_SV_EUlSU_E0_NS1_11comp_targetILNS1_3genE8ELNS1_11target_archE1030ELNS1_3gpuE2ELNS1_3repE0EEENS1_30default_config_static_selectorELNS0_4arch9wavefront6targetE1EEEvT1_
	.p2align	8
	.type	_ZN7rocprim17ROCPRIM_400000_NS6detail17trampoline_kernelINS0_14default_configENS1_20scan_config_selectorIN3c107complexIdEEEEZZNS1_9scan_implILNS1_25lookback_scan_determinismE0ELb0ELb0ES3_PKS7_PS7_S7_ZZZN2at6native31launch_logcumsumexp_cuda_kernelERKNSE_10TensorBaseESI_lENKUlvE_clEvENKUlvE1_clEvEUlS7_S7_E_S7_EEDaPvRmT3_T4_T5_mT6_P12ihipStream_tbENKUlT_T0_E_clISt17integral_constantIbLb0EESZ_EEDaSU_SV_EUlSU_E0_NS1_11comp_targetILNS1_3genE8ELNS1_11target_archE1030ELNS1_3gpuE2ELNS1_3repE0EEENS1_30default_config_static_selectorELNS0_4arch9wavefront6targetE1EEEvT1_,@function
_ZN7rocprim17ROCPRIM_400000_NS6detail17trampoline_kernelINS0_14default_configENS1_20scan_config_selectorIN3c107complexIdEEEEZZNS1_9scan_implILNS1_25lookback_scan_determinismE0ELb0ELb0ES3_PKS7_PS7_S7_ZZZN2at6native31launch_logcumsumexp_cuda_kernelERKNSE_10TensorBaseESI_lENKUlvE_clEvENKUlvE1_clEvEUlS7_S7_E_S7_EEDaPvRmT3_T4_T5_mT6_P12ihipStream_tbENKUlT_T0_E_clISt17integral_constantIbLb0EESZ_EEDaSU_SV_EUlSU_E0_NS1_11comp_targetILNS1_3genE8ELNS1_11target_archE1030ELNS1_3gpuE2ELNS1_3repE0EEENS1_30default_config_static_selectorELNS0_4arch9wavefront6targetE1EEEvT1_: ; @_ZN7rocprim17ROCPRIM_400000_NS6detail17trampoline_kernelINS0_14default_configENS1_20scan_config_selectorIN3c107complexIdEEEEZZNS1_9scan_implILNS1_25lookback_scan_determinismE0ELb0ELb0ES3_PKS7_PS7_S7_ZZZN2at6native31launch_logcumsumexp_cuda_kernelERKNSE_10TensorBaseESI_lENKUlvE_clEvENKUlvE1_clEvEUlS7_S7_E_S7_EEDaPvRmT3_T4_T5_mT6_P12ihipStream_tbENKUlT_T0_E_clISt17integral_constantIbLb0EESZ_EEDaSU_SV_EUlSU_E0_NS1_11comp_targetILNS1_3genE8ELNS1_11target_archE1030ELNS1_3gpuE2ELNS1_3repE0EEENS1_30default_config_static_selectorELNS0_4arch9wavefront6targetE1EEEvT1_
; %bb.0:
	.section	.rodata,"a",@progbits
	.p2align	6, 0x0
	.amdhsa_kernel _ZN7rocprim17ROCPRIM_400000_NS6detail17trampoline_kernelINS0_14default_configENS1_20scan_config_selectorIN3c107complexIdEEEEZZNS1_9scan_implILNS1_25lookback_scan_determinismE0ELb0ELb0ES3_PKS7_PS7_S7_ZZZN2at6native31launch_logcumsumexp_cuda_kernelERKNSE_10TensorBaseESI_lENKUlvE_clEvENKUlvE1_clEvEUlS7_S7_E_S7_EEDaPvRmT3_T4_T5_mT6_P12ihipStream_tbENKUlT_T0_E_clISt17integral_constantIbLb0EESZ_EEDaSU_SV_EUlSU_E0_NS1_11comp_targetILNS1_3genE8ELNS1_11target_archE1030ELNS1_3gpuE2ELNS1_3repE0EEENS1_30default_config_static_selectorELNS0_4arch9wavefront6targetE1EEEvT1_
		.amdhsa_group_segment_fixed_size 0
		.amdhsa_private_segment_fixed_size 0
		.amdhsa_kernarg_size 48
		.amdhsa_user_sgpr_count 6
		.amdhsa_user_sgpr_private_segment_buffer 1
		.amdhsa_user_sgpr_dispatch_ptr 0
		.amdhsa_user_sgpr_queue_ptr 0
		.amdhsa_user_sgpr_kernarg_segment_ptr 1
		.amdhsa_user_sgpr_dispatch_id 0
		.amdhsa_user_sgpr_flat_scratch_init 0
		.amdhsa_user_sgpr_private_segment_size 0
		.amdhsa_uses_dynamic_stack 0
		.amdhsa_system_sgpr_private_segment_wavefront_offset 0
		.amdhsa_system_sgpr_workgroup_id_x 1
		.amdhsa_system_sgpr_workgroup_id_y 0
		.amdhsa_system_sgpr_workgroup_id_z 0
		.amdhsa_system_sgpr_workgroup_info 0
		.amdhsa_system_vgpr_workitem_id 0
		.amdhsa_next_free_vgpr 1
		.amdhsa_next_free_sgpr 0
		.amdhsa_reserve_vcc 0
		.amdhsa_reserve_flat_scratch 0
		.amdhsa_float_round_mode_32 0
		.amdhsa_float_round_mode_16_64 0
		.amdhsa_float_denorm_mode_32 3
		.amdhsa_float_denorm_mode_16_64 3
		.amdhsa_dx10_clamp 1
		.amdhsa_ieee_mode 1
		.amdhsa_fp16_overflow 0
		.amdhsa_exception_fp_ieee_invalid_op 0
		.amdhsa_exception_fp_denorm_src 0
		.amdhsa_exception_fp_ieee_div_zero 0
		.amdhsa_exception_fp_ieee_overflow 0
		.amdhsa_exception_fp_ieee_underflow 0
		.amdhsa_exception_fp_ieee_inexact 0
		.amdhsa_exception_int_div_zero 0
	.end_amdhsa_kernel
	.section	.text._ZN7rocprim17ROCPRIM_400000_NS6detail17trampoline_kernelINS0_14default_configENS1_20scan_config_selectorIN3c107complexIdEEEEZZNS1_9scan_implILNS1_25lookback_scan_determinismE0ELb0ELb0ES3_PKS7_PS7_S7_ZZZN2at6native31launch_logcumsumexp_cuda_kernelERKNSE_10TensorBaseESI_lENKUlvE_clEvENKUlvE1_clEvEUlS7_S7_E_S7_EEDaPvRmT3_T4_T5_mT6_P12ihipStream_tbENKUlT_T0_E_clISt17integral_constantIbLb0EESZ_EEDaSU_SV_EUlSU_E0_NS1_11comp_targetILNS1_3genE8ELNS1_11target_archE1030ELNS1_3gpuE2ELNS1_3repE0EEENS1_30default_config_static_selectorELNS0_4arch9wavefront6targetE1EEEvT1_,"axG",@progbits,_ZN7rocprim17ROCPRIM_400000_NS6detail17trampoline_kernelINS0_14default_configENS1_20scan_config_selectorIN3c107complexIdEEEEZZNS1_9scan_implILNS1_25lookback_scan_determinismE0ELb0ELb0ES3_PKS7_PS7_S7_ZZZN2at6native31launch_logcumsumexp_cuda_kernelERKNSE_10TensorBaseESI_lENKUlvE_clEvENKUlvE1_clEvEUlS7_S7_E_S7_EEDaPvRmT3_T4_T5_mT6_P12ihipStream_tbENKUlT_T0_E_clISt17integral_constantIbLb0EESZ_EEDaSU_SV_EUlSU_E0_NS1_11comp_targetILNS1_3genE8ELNS1_11target_archE1030ELNS1_3gpuE2ELNS1_3repE0EEENS1_30default_config_static_selectorELNS0_4arch9wavefront6targetE1EEEvT1_,comdat
.Lfunc_end201:
	.size	_ZN7rocprim17ROCPRIM_400000_NS6detail17trampoline_kernelINS0_14default_configENS1_20scan_config_selectorIN3c107complexIdEEEEZZNS1_9scan_implILNS1_25lookback_scan_determinismE0ELb0ELb0ES3_PKS7_PS7_S7_ZZZN2at6native31launch_logcumsumexp_cuda_kernelERKNSE_10TensorBaseESI_lENKUlvE_clEvENKUlvE1_clEvEUlS7_S7_E_S7_EEDaPvRmT3_T4_T5_mT6_P12ihipStream_tbENKUlT_T0_E_clISt17integral_constantIbLb0EESZ_EEDaSU_SV_EUlSU_E0_NS1_11comp_targetILNS1_3genE8ELNS1_11target_archE1030ELNS1_3gpuE2ELNS1_3repE0EEENS1_30default_config_static_selectorELNS0_4arch9wavefront6targetE1EEEvT1_, .Lfunc_end201-_ZN7rocprim17ROCPRIM_400000_NS6detail17trampoline_kernelINS0_14default_configENS1_20scan_config_selectorIN3c107complexIdEEEEZZNS1_9scan_implILNS1_25lookback_scan_determinismE0ELb0ELb0ES3_PKS7_PS7_S7_ZZZN2at6native31launch_logcumsumexp_cuda_kernelERKNSE_10TensorBaseESI_lENKUlvE_clEvENKUlvE1_clEvEUlS7_S7_E_S7_EEDaPvRmT3_T4_T5_mT6_P12ihipStream_tbENKUlT_T0_E_clISt17integral_constantIbLb0EESZ_EEDaSU_SV_EUlSU_E0_NS1_11comp_targetILNS1_3genE8ELNS1_11target_archE1030ELNS1_3gpuE2ELNS1_3repE0EEENS1_30default_config_static_selectorELNS0_4arch9wavefront6targetE1EEEvT1_
                                        ; -- End function
	.set _ZN7rocprim17ROCPRIM_400000_NS6detail17trampoline_kernelINS0_14default_configENS1_20scan_config_selectorIN3c107complexIdEEEEZZNS1_9scan_implILNS1_25lookback_scan_determinismE0ELb0ELb0ES3_PKS7_PS7_S7_ZZZN2at6native31launch_logcumsumexp_cuda_kernelERKNSE_10TensorBaseESI_lENKUlvE_clEvENKUlvE1_clEvEUlS7_S7_E_S7_EEDaPvRmT3_T4_T5_mT6_P12ihipStream_tbENKUlT_T0_E_clISt17integral_constantIbLb0EESZ_EEDaSU_SV_EUlSU_E0_NS1_11comp_targetILNS1_3genE8ELNS1_11target_archE1030ELNS1_3gpuE2ELNS1_3repE0EEENS1_30default_config_static_selectorELNS0_4arch9wavefront6targetE1EEEvT1_.num_vgpr, 0
	.set _ZN7rocprim17ROCPRIM_400000_NS6detail17trampoline_kernelINS0_14default_configENS1_20scan_config_selectorIN3c107complexIdEEEEZZNS1_9scan_implILNS1_25lookback_scan_determinismE0ELb0ELb0ES3_PKS7_PS7_S7_ZZZN2at6native31launch_logcumsumexp_cuda_kernelERKNSE_10TensorBaseESI_lENKUlvE_clEvENKUlvE1_clEvEUlS7_S7_E_S7_EEDaPvRmT3_T4_T5_mT6_P12ihipStream_tbENKUlT_T0_E_clISt17integral_constantIbLb0EESZ_EEDaSU_SV_EUlSU_E0_NS1_11comp_targetILNS1_3genE8ELNS1_11target_archE1030ELNS1_3gpuE2ELNS1_3repE0EEENS1_30default_config_static_selectorELNS0_4arch9wavefront6targetE1EEEvT1_.num_agpr, 0
	.set _ZN7rocprim17ROCPRIM_400000_NS6detail17trampoline_kernelINS0_14default_configENS1_20scan_config_selectorIN3c107complexIdEEEEZZNS1_9scan_implILNS1_25lookback_scan_determinismE0ELb0ELb0ES3_PKS7_PS7_S7_ZZZN2at6native31launch_logcumsumexp_cuda_kernelERKNSE_10TensorBaseESI_lENKUlvE_clEvENKUlvE1_clEvEUlS7_S7_E_S7_EEDaPvRmT3_T4_T5_mT6_P12ihipStream_tbENKUlT_T0_E_clISt17integral_constantIbLb0EESZ_EEDaSU_SV_EUlSU_E0_NS1_11comp_targetILNS1_3genE8ELNS1_11target_archE1030ELNS1_3gpuE2ELNS1_3repE0EEENS1_30default_config_static_selectorELNS0_4arch9wavefront6targetE1EEEvT1_.numbered_sgpr, 0
	.set _ZN7rocprim17ROCPRIM_400000_NS6detail17trampoline_kernelINS0_14default_configENS1_20scan_config_selectorIN3c107complexIdEEEEZZNS1_9scan_implILNS1_25lookback_scan_determinismE0ELb0ELb0ES3_PKS7_PS7_S7_ZZZN2at6native31launch_logcumsumexp_cuda_kernelERKNSE_10TensorBaseESI_lENKUlvE_clEvENKUlvE1_clEvEUlS7_S7_E_S7_EEDaPvRmT3_T4_T5_mT6_P12ihipStream_tbENKUlT_T0_E_clISt17integral_constantIbLb0EESZ_EEDaSU_SV_EUlSU_E0_NS1_11comp_targetILNS1_3genE8ELNS1_11target_archE1030ELNS1_3gpuE2ELNS1_3repE0EEENS1_30default_config_static_selectorELNS0_4arch9wavefront6targetE1EEEvT1_.num_named_barrier, 0
	.set _ZN7rocprim17ROCPRIM_400000_NS6detail17trampoline_kernelINS0_14default_configENS1_20scan_config_selectorIN3c107complexIdEEEEZZNS1_9scan_implILNS1_25lookback_scan_determinismE0ELb0ELb0ES3_PKS7_PS7_S7_ZZZN2at6native31launch_logcumsumexp_cuda_kernelERKNSE_10TensorBaseESI_lENKUlvE_clEvENKUlvE1_clEvEUlS7_S7_E_S7_EEDaPvRmT3_T4_T5_mT6_P12ihipStream_tbENKUlT_T0_E_clISt17integral_constantIbLb0EESZ_EEDaSU_SV_EUlSU_E0_NS1_11comp_targetILNS1_3genE8ELNS1_11target_archE1030ELNS1_3gpuE2ELNS1_3repE0EEENS1_30default_config_static_selectorELNS0_4arch9wavefront6targetE1EEEvT1_.private_seg_size, 0
	.set _ZN7rocprim17ROCPRIM_400000_NS6detail17trampoline_kernelINS0_14default_configENS1_20scan_config_selectorIN3c107complexIdEEEEZZNS1_9scan_implILNS1_25lookback_scan_determinismE0ELb0ELb0ES3_PKS7_PS7_S7_ZZZN2at6native31launch_logcumsumexp_cuda_kernelERKNSE_10TensorBaseESI_lENKUlvE_clEvENKUlvE1_clEvEUlS7_S7_E_S7_EEDaPvRmT3_T4_T5_mT6_P12ihipStream_tbENKUlT_T0_E_clISt17integral_constantIbLb0EESZ_EEDaSU_SV_EUlSU_E0_NS1_11comp_targetILNS1_3genE8ELNS1_11target_archE1030ELNS1_3gpuE2ELNS1_3repE0EEENS1_30default_config_static_selectorELNS0_4arch9wavefront6targetE1EEEvT1_.uses_vcc, 0
	.set _ZN7rocprim17ROCPRIM_400000_NS6detail17trampoline_kernelINS0_14default_configENS1_20scan_config_selectorIN3c107complexIdEEEEZZNS1_9scan_implILNS1_25lookback_scan_determinismE0ELb0ELb0ES3_PKS7_PS7_S7_ZZZN2at6native31launch_logcumsumexp_cuda_kernelERKNSE_10TensorBaseESI_lENKUlvE_clEvENKUlvE1_clEvEUlS7_S7_E_S7_EEDaPvRmT3_T4_T5_mT6_P12ihipStream_tbENKUlT_T0_E_clISt17integral_constantIbLb0EESZ_EEDaSU_SV_EUlSU_E0_NS1_11comp_targetILNS1_3genE8ELNS1_11target_archE1030ELNS1_3gpuE2ELNS1_3repE0EEENS1_30default_config_static_selectorELNS0_4arch9wavefront6targetE1EEEvT1_.uses_flat_scratch, 0
	.set _ZN7rocprim17ROCPRIM_400000_NS6detail17trampoline_kernelINS0_14default_configENS1_20scan_config_selectorIN3c107complexIdEEEEZZNS1_9scan_implILNS1_25lookback_scan_determinismE0ELb0ELb0ES3_PKS7_PS7_S7_ZZZN2at6native31launch_logcumsumexp_cuda_kernelERKNSE_10TensorBaseESI_lENKUlvE_clEvENKUlvE1_clEvEUlS7_S7_E_S7_EEDaPvRmT3_T4_T5_mT6_P12ihipStream_tbENKUlT_T0_E_clISt17integral_constantIbLb0EESZ_EEDaSU_SV_EUlSU_E0_NS1_11comp_targetILNS1_3genE8ELNS1_11target_archE1030ELNS1_3gpuE2ELNS1_3repE0EEENS1_30default_config_static_selectorELNS0_4arch9wavefront6targetE1EEEvT1_.has_dyn_sized_stack, 0
	.set _ZN7rocprim17ROCPRIM_400000_NS6detail17trampoline_kernelINS0_14default_configENS1_20scan_config_selectorIN3c107complexIdEEEEZZNS1_9scan_implILNS1_25lookback_scan_determinismE0ELb0ELb0ES3_PKS7_PS7_S7_ZZZN2at6native31launch_logcumsumexp_cuda_kernelERKNSE_10TensorBaseESI_lENKUlvE_clEvENKUlvE1_clEvEUlS7_S7_E_S7_EEDaPvRmT3_T4_T5_mT6_P12ihipStream_tbENKUlT_T0_E_clISt17integral_constantIbLb0EESZ_EEDaSU_SV_EUlSU_E0_NS1_11comp_targetILNS1_3genE8ELNS1_11target_archE1030ELNS1_3gpuE2ELNS1_3repE0EEENS1_30default_config_static_selectorELNS0_4arch9wavefront6targetE1EEEvT1_.has_recursion, 0
	.set _ZN7rocprim17ROCPRIM_400000_NS6detail17trampoline_kernelINS0_14default_configENS1_20scan_config_selectorIN3c107complexIdEEEEZZNS1_9scan_implILNS1_25lookback_scan_determinismE0ELb0ELb0ES3_PKS7_PS7_S7_ZZZN2at6native31launch_logcumsumexp_cuda_kernelERKNSE_10TensorBaseESI_lENKUlvE_clEvENKUlvE1_clEvEUlS7_S7_E_S7_EEDaPvRmT3_T4_T5_mT6_P12ihipStream_tbENKUlT_T0_E_clISt17integral_constantIbLb0EESZ_EEDaSU_SV_EUlSU_E0_NS1_11comp_targetILNS1_3genE8ELNS1_11target_archE1030ELNS1_3gpuE2ELNS1_3repE0EEENS1_30default_config_static_selectorELNS0_4arch9wavefront6targetE1EEEvT1_.has_indirect_call, 0
	.section	.AMDGPU.csdata,"",@progbits
; Kernel info:
; codeLenInByte = 0
; TotalNumSgprs: 4
; NumVgprs: 0
; ScratchSize: 0
; MemoryBound: 0
; FloatMode: 240
; IeeeMode: 1
; LDSByteSize: 0 bytes/workgroup (compile time only)
; SGPRBlocks: 0
; VGPRBlocks: 0
; NumSGPRsForWavesPerEU: 4
; NumVGPRsForWavesPerEU: 1
; Occupancy: 10
; WaveLimiterHint : 0
; COMPUTE_PGM_RSRC2:SCRATCH_EN: 0
; COMPUTE_PGM_RSRC2:USER_SGPR: 6
; COMPUTE_PGM_RSRC2:TRAP_HANDLER: 0
; COMPUTE_PGM_RSRC2:TGID_X_EN: 1
; COMPUTE_PGM_RSRC2:TGID_Y_EN: 0
; COMPUTE_PGM_RSRC2:TGID_Z_EN: 0
; COMPUTE_PGM_RSRC2:TIDIG_COMP_CNT: 0
	.section	.text._ZN7rocprim17ROCPRIM_400000_NS6detail31init_lookback_scan_state_kernelINS1_19lookback_scan_stateIN3c107complexIdEELb1ELb0EEENS1_16block_id_wrapperIjLb1EEEEEvT_jT0_jPNSA_10value_typeE,"axG",@progbits,_ZN7rocprim17ROCPRIM_400000_NS6detail31init_lookback_scan_state_kernelINS1_19lookback_scan_stateIN3c107complexIdEELb1ELb0EEENS1_16block_id_wrapperIjLb1EEEEEvT_jT0_jPNSA_10value_typeE,comdat
	.protected	_ZN7rocprim17ROCPRIM_400000_NS6detail31init_lookback_scan_state_kernelINS1_19lookback_scan_stateIN3c107complexIdEELb1ELb0EEENS1_16block_id_wrapperIjLb1EEEEEvT_jT0_jPNSA_10value_typeE ; -- Begin function _ZN7rocprim17ROCPRIM_400000_NS6detail31init_lookback_scan_state_kernelINS1_19lookback_scan_stateIN3c107complexIdEELb1ELb0EEENS1_16block_id_wrapperIjLb1EEEEEvT_jT0_jPNSA_10value_typeE
	.globl	_ZN7rocprim17ROCPRIM_400000_NS6detail31init_lookback_scan_state_kernelINS1_19lookback_scan_stateIN3c107complexIdEELb1ELb0EEENS1_16block_id_wrapperIjLb1EEEEEvT_jT0_jPNSA_10value_typeE
	.p2align	8
	.type	_ZN7rocprim17ROCPRIM_400000_NS6detail31init_lookback_scan_state_kernelINS1_19lookback_scan_stateIN3c107complexIdEELb1ELb0EEENS1_16block_id_wrapperIjLb1EEEEEvT_jT0_jPNSA_10value_typeE,@function
_ZN7rocprim17ROCPRIM_400000_NS6detail31init_lookback_scan_state_kernelINS1_19lookback_scan_stateIN3c107complexIdEELb1ELb0EEENS1_16block_id_wrapperIjLb1EEEEEvT_jT0_jPNSA_10value_typeE: ; @_ZN7rocprim17ROCPRIM_400000_NS6detail31init_lookback_scan_state_kernelINS1_19lookback_scan_stateIN3c107complexIdEELb1ELb0EEENS1_16block_id_wrapperIjLb1EEEEEvT_jT0_jPNSA_10value_typeE
; %bb.0:
	s_load_dword s0, s[4:5], 0x44
	s_load_dwordx2 s[10:11], s[4:5], 0x30
	s_load_dwordx2 s[8:9], s[4:5], 0x10
	s_load_dword s16, s[4:5], 0x18
	s_waitcnt lgkmcnt(0)
	s_and_b32 s0, s0, 0xffff
	s_mul_i32 s6, s6, s0
	s_cmp_eq_u64 s[10:11], 0
	v_add_u32_e32 v0, s6, v0
	s_cbranch_scc1 .LBB202_9
; %bb.1:
	s_load_dword s0, s[4:5], 0x28
	s_mov_b32 s13, 0
	s_waitcnt lgkmcnt(0)
	s_cmp_lt_u32 s0, s16
	s_cselect_b32 s1, s0, 0
	v_cmp_eq_u32_e32 vcc, s1, v0
	s_and_saveexec_b64 s[6:7], vcc
	s_cbranch_execz .LBB202_8
; %bb.2:
	s_add_i32 s12, s0, 64
	v_mov_b32_e32 v1, s12
	global_load_ubyte v2, v1, s[8:9] glc
	s_load_dwordx4 s[0:3], s[4:5], 0x0
	v_mov_b32_e32 v1, 0
	s_add_u32 s14, s8, s12
	s_addc_u32 s15, s9, 0
	s_waitcnt vmcnt(0)
	v_cmp_ne_u32_sdwa s[18:19], v2, v1 src0_sel:WORD_0 src1_sel:DWORD
	s_and_b64 vcc, exec, s[18:19]
	v_readfirstlane_b32 s18, v2
	s_cbranch_vccnz .LBB202_7
; %bb.3:
	s_mov_b32 s17, 1
.LBB202_4:                              ; =>This Loop Header: Depth=1
                                        ;     Child Loop BB202_5 Depth 2
	s_mov_b32 s18, s17
.LBB202_5:                              ;   Parent Loop BB202_4 Depth=1
                                        ; =>  This Inner Loop Header: Depth=2
	s_add_i32 s18, s18, -1
	s_cmp_eq_u32 s18, 0
	s_sleep 1
	s_cbranch_scc0 .LBB202_5
; %bb.6:                                ;   in Loop: Header=BB202_4 Depth=1
	global_load_ubyte v2, v1, s[14:15] glc
	s_cmp_lt_u32 s17, 32
	s_cselect_b64 s[18:19], -1, 0
	s_cmp_lg_u64 s[18:19], 0
	s_addc_u32 s17, s17, 0
	s_waitcnt vmcnt(0)
	v_cmp_ne_u32_sdwa s[18:19], v2, v1 src0_sel:WORD_0 src1_sel:DWORD
	s_and_b64 vcc, exec, s[18:19]
	v_readfirstlane_b32 s18, v2
	s_cbranch_vccz .LBB202_4
.LBB202_7:
	s_and_b32 s14, 0xffff, s18
	s_cmp_eq_u32 s14, 1
	s_waitcnt lgkmcnt(0)
	s_cselect_b32 s3, s1, s3
	s_cselect_b32 s2, s0, s2
	s_lshl_b64 s[0:1], s[12:13], 4
	s_add_u32 s0, s2, s0
	s_addc_u32 s1, s3, s1
	v_mov_b32_e32 v5, 0
	buffer_wbinvl1_vol
	global_load_dwordx4 v[1:4], v5, s[0:1]
	s_waitcnt vmcnt(0)
	global_store_dwordx4 v5, v[1:4], s[10:11]
.LBB202_8:
	s_or_b64 exec, exec, s[6:7]
.LBB202_9:
	v_cmp_eq_u32_e32 vcc, 0, v0
	s_and_saveexec_b64 s[0:1], vcc
	s_cbranch_execnz .LBB202_13
; %bb.10:
	s_or_b64 exec, exec, s[0:1]
	v_cmp_gt_u32_e32 vcc, s16, v0
	s_and_saveexec_b64 s[0:1], vcc
	s_cbranch_execnz .LBB202_14
.LBB202_11:
	s_or_b64 exec, exec, s[0:1]
	v_cmp_gt_u32_e32 vcc, 64, v0
	s_and_saveexec_b64 s[0:1], vcc
	s_cbranch_execnz .LBB202_15
.LBB202_12:
	s_endpgm
.LBB202_13:
	s_load_dwordx2 s[2:3], s[4:5], 0x20
	v_mov_b32_e32 v1, 0
	s_waitcnt lgkmcnt(0)
	global_store_dword v1, v1, s[2:3]
	s_or_b64 exec, exec, s[0:1]
	v_cmp_gt_u32_e32 vcc, s16, v0
	s_and_saveexec_b64 s[0:1], vcc
	s_cbranch_execz .LBB202_11
.LBB202_14:
	v_add_u32_e32 v1, 64, v0
	v_mov_b32_e32 v2, 0
	global_store_byte v1, v2, s[8:9]
	s_or_b64 exec, exec, s[0:1]
	v_cmp_gt_u32_e32 vcc, 64, v0
	s_and_saveexec_b64 s[0:1], vcc
	s_cbranch_execz .LBB202_12
.LBB202_15:
	v_mov_b32_e32 v1, 0xff
	global_store_byte v0, v1, s[8:9]
	s_endpgm
	.section	.rodata,"a",@progbits
	.p2align	6, 0x0
	.amdhsa_kernel _ZN7rocprim17ROCPRIM_400000_NS6detail31init_lookback_scan_state_kernelINS1_19lookback_scan_stateIN3c107complexIdEELb1ELb0EEENS1_16block_id_wrapperIjLb1EEEEEvT_jT0_jPNSA_10value_typeE
		.amdhsa_group_segment_fixed_size 0
		.amdhsa_private_segment_fixed_size 0
		.amdhsa_kernarg_size 312
		.amdhsa_user_sgpr_count 6
		.amdhsa_user_sgpr_private_segment_buffer 1
		.amdhsa_user_sgpr_dispatch_ptr 0
		.amdhsa_user_sgpr_queue_ptr 0
		.amdhsa_user_sgpr_kernarg_segment_ptr 1
		.amdhsa_user_sgpr_dispatch_id 0
		.amdhsa_user_sgpr_flat_scratch_init 0
		.amdhsa_user_sgpr_private_segment_size 0
		.amdhsa_uses_dynamic_stack 0
		.amdhsa_system_sgpr_private_segment_wavefront_offset 0
		.amdhsa_system_sgpr_workgroup_id_x 1
		.amdhsa_system_sgpr_workgroup_id_y 0
		.amdhsa_system_sgpr_workgroup_id_z 0
		.amdhsa_system_sgpr_workgroup_info 0
		.amdhsa_system_vgpr_workitem_id 0
		.amdhsa_next_free_vgpr 6
		.amdhsa_next_free_sgpr 20
		.amdhsa_reserve_vcc 1
		.amdhsa_reserve_flat_scratch 0
		.amdhsa_float_round_mode_32 0
		.amdhsa_float_round_mode_16_64 0
		.amdhsa_float_denorm_mode_32 3
		.amdhsa_float_denorm_mode_16_64 3
		.amdhsa_dx10_clamp 1
		.amdhsa_ieee_mode 1
		.amdhsa_fp16_overflow 0
		.amdhsa_exception_fp_ieee_invalid_op 0
		.amdhsa_exception_fp_denorm_src 0
		.amdhsa_exception_fp_ieee_div_zero 0
		.amdhsa_exception_fp_ieee_overflow 0
		.amdhsa_exception_fp_ieee_underflow 0
		.amdhsa_exception_fp_ieee_inexact 0
		.amdhsa_exception_int_div_zero 0
	.end_amdhsa_kernel
	.section	.text._ZN7rocprim17ROCPRIM_400000_NS6detail31init_lookback_scan_state_kernelINS1_19lookback_scan_stateIN3c107complexIdEELb1ELb0EEENS1_16block_id_wrapperIjLb1EEEEEvT_jT0_jPNSA_10value_typeE,"axG",@progbits,_ZN7rocprim17ROCPRIM_400000_NS6detail31init_lookback_scan_state_kernelINS1_19lookback_scan_stateIN3c107complexIdEELb1ELb0EEENS1_16block_id_wrapperIjLb1EEEEEvT_jT0_jPNSA_10value_typeE,comdat
.Lfunc_end202:
	.size	_ZN7rocprim17ROCPRIM_400000_NS6detail31init_lookback_scan_state_kernelINS1_19lookback_scan_stateIN3c107complexIdEELb1ELb0EEENS1_16block_id_wrapperIjLb1EEEEEvT_jT0_jPNSA_10value_typeE, .Lfunc_end202-_ZN7rocprim17ROCPRIM_400000_NS6detail31init_lookback_scan_state_kernelINS1_19lookback_scan_stateIN3c107complexIdEELb1ELb0EEENS1_16block_id_wrapperIjLb1EEEEEvT_jT0_jPNSA_10value_typeE
                                        ; -- End function
	.set _ZN7rocprim17ROCPRIM_400000_NS6detail31init_lookback_scan_state_kernelINS1_19lookback_scan_stateIN3c107complexIdEELb1ELb0EEENS1_16block_id_wrapperIjLb1EEEEEvT_jT0_jPNSA_10value_typeE.num_vgpr, 6
	.set _ZN7rocprim17ROCPRIM_400000_NS6detail31init_lookback_scan_state_kernelINS1_19lookback_scan_stateIN3c107complexIdEELb1ELb0EEENS1_16block_id_wrapperIjLb1EEEEEvT_jT0_jPNSA_10value_typeE.num_agpr, 0
	.set _ZN7rocprim17ROCPRIM_400000_NS6detail31init_lookback_scan_state_kernelINS1_19lookback_scan_stateIN3c107complexIdEELb1ELb0EEENS1_16block_id_wrapperIjLb1EEEEEvT_jT0_jPNSA_10value_typeE.numbered_sgpr, 20
	.set _ZN7rocprim17ROCPRIM_400000_NS6detail31init_lookback_scan_state_kernelINS1_19lookback_scan_stateIN3c107complexIdEELb1ELb0EEENS1_16block_id_wrapperIjLb1EEEEEvT_jT0_jPNSA_10value_typeE.num_named_barrier, 0
	.set _ZN7rocprim17ROCPRIM_400000_NS6detail31init_lookback_scan_state_kernelINS1_19lookback_scan_stateIN3c107complexIdEELb1ELb0EEENS1_16block_id_wrapperIjLb1EEEEEvT_jT0_jPNSA_10value_typeE.private_seg_size, 0
	.set _ZN7rocprim17ROCPRIM_400000_NS6detail31init_lookback_scan_state_kernelINS1_19lookback_scan_stateIN3c107complexIdEELb1ELb0EEENS1_16block_id_wrapperIjLb1EEEEEvT_jT0_jPNSA_10value_typeE.uses_vcc, 1
	.set _ZN7rocprim17ROCPRIM_400000_NS6detail31init_lookback_scan_state_kernelINS1_19lookback_scan_stateIN3c107complexIdEELb1ELb0EEENS1_16block_id_wrapperIjLb1EEEEEvT_jT0_jPNSA_10value_typeE.uses_flat_scratch, 0
	.set _ZN7rocprim17ROCPRIM_400000_NS6detail31init_lookback_scan_state_kernelINS1_19lookback_scan_stateIN3c107complexIdEELb1ELb0EEENS1_16block_id_wrapperIjLb1EEEEEvT_jT0_jPNSA_10value_typeE.has_dyn_sized_stack, 0
	.set _ZN7rocprim17ROCPRIM_400000_NS6detail31init_lookback_scan_state_kernelINS1_19lookback_scan_stateIN3c107complexIdEELb1ELb0EEENS1_16block_id_wrapperIjLb1EEEEEvT_jT0_jPNSA_10value_typeE.has_recursion, 0
	.set _ZN7rocprim17ROCPRIM_400000_NS6detail31init_lookback_scan_state_kernelINS1_19lookback_scan_stateIN3c107complexIdEELb1ELb0EEENS1_16block_id_wrapperIjLb1EEEEEvT_jT0_jPNSA_10value_typeE.has_indirect_call, 0
	.section	.AMDGPU.csdata,"",@progbits
; Kernel info:
; codeLenInByte = 440
; TotalNumSgprs: 24
; NumVgprs: 6
; ScratchSize: 0
; MemoryBound: 0
; FloatMode: 240
; IeeeMode: 1
; LDSByteSize: 0 bytes/workgroup (compile time only)
; SGPRBlocks: 2
; VGPRBlocks: 1
; NumSGPRsForWavesPerEU: 24
; NumVGPRsForWavesPerEU: 6
; Occupancy: 10
; WaveLimiterHint : 0
; COMPUTE_PGM_RSRC2:SCRATCH_EN: 0
; COMPUTE_PGM_RSRC2:USER_SGPR: 6
; COMPUTE_PGM_RSRC2:TRAP_HANDLER: 0
; COMPUTE_PGM_RSRC2:TGID_X_EN: 1
; COMPUTE_PGM_RSRC2:TGID_Y_EN: 0
; COMPUTE_PGM_RSRC2:TGID_Z_EN: 0
; COMPUTE_PGM_RSRC2:TIDIG_COMP_CNT: 0
	.section	.text._ZN7rocprim17ROCPRIM_400000_NS6detail17trampoline_kernelINS0_14default_configENS1_20scan_config_selectorIN3c107complexIdEEEEZZNS1_9scan_implILNS1_25lookback_scan_determinismE0ELb0ELb0ES3_PKS7_PS7_S7_ZZZN2at6native31launch_logcumsumexp_cuda_kernelERKNSE_10TensorBaseESI_lENKUlvE_clEvENKUlvE1_clEvEUlS7_S7_E_S7_EEDaPvRmT3_T4_T5_mT6_P12ihipStream_tbENKUlT_T0_E_clISt17integral_constantIbLb1EESZ_EEDaSU_SV_EUlSU_E_NS1_11comp_targetILNS1_3genE0ELNS1_11target_archE4294967295ELNS1_3gpuE0ELNS1_3repE0EEENS1_30default_config_static_selectorELNS0_4arch9wavefront6targetE1EEEvT1_,"axG",@progbits,_ZN7rocprim17ROCPRIM_400000_NS6detail17trampoline_kernelINS0_14default_configENS1_20scan_config_selectorIN3c107complexIdEEEEZZNS1_9scan_implILNS1_25lookback_scan_determinismE0ELb0ELb0ES3_PKS7_PS7_S7_ZZZN2at6native31launch_logcumsumexp_cuda_kernelERKNSE_10TensorBaseESI_lENKUlvE_clEvENKUlvE1_clEvEUlS7_S7_E_S7_EEDaPvRmT3_T4_T5_mT6_P12ihipStream_tbENKUlT_T0_E_clISt17integral_constantIbLb1EESZ_EEDaSU_SV_EUlSU_E_NS1_11comp_targetILNS1_3genE0ELNS1_11target_archE4294967295ELNS1_3gpuE0ELNS1_3repE0EEENS1_30default_config_static_selectorELNS0_4arch9wavefront6targetE1EEEvT1_,comdat
	.globl	_ZN7rocprim17ROCPRIM_400000_NS6detail17trampoline_kernelINS0_14default_configENS1_20scan_config_selectorIN3c107complexIdEEEEZZNS1_9scan_implILNS1_25lookback_scan_determinismE0ELb0ELb0ES3_PKS7_PS7_S7_ZZZN2at6native31launch_logcumsumexp_cuda_kernelERKNSE_10TensorBaseESI_lENKUlvE_clEvENKUlvE1_clEvEUlS7_S7_E_S7_EEDaPvRmT3_T4_T5_mT6_P12ihipStream_tbENKUlT_T0_E_clISt17integral_constantIbLb1EESZ_EEDaSU_SV_EUlSU_E_NS1_11comp_targetILNS1_3genE0ELNS1_11target_archE4294967295ELNS1_3gpuE0ELNS1_3repE0EEENS1_30default_config_static_selectorELNS0_4arch9wavefront6targetE1EEEvT1_ ; -- Begin function _ZN7rocprim17ROCPRIM_400000_NS6detail17trampoline_kernelINS0_14default_configENS1_20scan_config_selectorIN3c107complexIdEEEEZZNS1_9scan_implILNS1_25lookback_scan_determinismE0ELb0ELb0ES3_PKS7_PS7_S7_ZZZN2at6native31launch_logcumsumexp_cuda_kernelERKNSE_10TensorBaseESI_lENKUlvE_clEvENKUlvE1_clEvEUlS7_S7_E_S7_EEDaPvRmT3_T4_T5_mT6_P12ihipStream_tbENKUlT_T0_E_clISt17integral_constantIbLb1EESZ_EEDaSU_SV_EUlSU_E_NS1_11comp_targetILNS1_3genE0ELNS1_11target_archE4294967295ELNS1_3gpuE0ELNS1_3repE0EEENS1_30default_config_static_selectorELNS0_4arch9wavefront6targetE1EEEvT1_
	.p2align	8
	.type	_ZN7rocprim17ROCPRIM_400000_NS6detail17trampoline_kernelINS0_14default_configENS1_20scan_config_selectorIN3c107complexIdEEEEZZNS1_9scan_implILNS1_25lookback_scan_determinismE0ELb0ELb0ES3_PKS7_PS7_S7_ZZZN2at6native31launch_logcumsumexp_cuda_kernelERKNSE_10TensorBaseESI_lENKUlvE_clEvENKUlvE1_clEvEUlS7_S7_E_S7_EEDaPvRmT3_T4_T5_mT6_P12ihipStream_tbENKUlT_T0_E_clISt17integral_constantIbLb1EESZ_EEDaSU_SV_EUlSU_E_NS1_11comp_targetILNS1_3genE0ELNS1_11target_archE4294967295ELNS1_3gpuE0ELNS1_3repE0EEENS1_30default_config_static_selectorELNS0_4arch9wavefront6targetE1EEEvT1_,@function
_ZN7rocprim17ROCPRIM_400000_NS6detail17trampoline_kernelINS0_14default_configENS1_20scan_config_selectorIN3c107complexIdEEEEZZNS1_9scan_implILNS1_25lookback_scan_determinismE0ELb0ELb0ES3_PKS7_PS7_S7_ZZZN2at6native31launch_logcumsumexp_cuda_kernelERKNSE_10TensorBaseESI_lENKUlvE_clEvENKUlvE1_clEvEUlS7_S7_E_S7_EEDaPvRmT3_T4_T5_mT6_P12ihipStream_tbENKUlT_T0_E_clISt17integral_constantIbLb1EESZ_EEDaSU_SV_EUlSU_E_NS1_11comp_targetILNS1_3genE0ELNS1_11target_archE4294967295ELNS1_3gpuE0ELNS1_3repE0EEENS1_30default_config_static_selectorELNS0_4arch9wavefront6targetE1EEEvT1_: ; @_ZN7rocprim17ROCPRIM_400000_NS6detail17trampoline_kernelINS0_14default_configENS1_20scan_config_selectorIN3c107complexIdEEEEZZNS1_9scan_implILNS1_25lookback_scan_determinismE0ELb0ELb0ES3_PKS7_PS7_S7_ZZZN2at6native31launch_logcumsumexp_cuda_kernelERKNSE_10TensorBaseESI_lENKUlvE_clEvENKUlvE1_clEvEUlS7_S7_E_S7_EEDaPvRmT3_T4_T5_mT6_P12ihipStream_tbENKUlT_T0_E_clISt17integral_constantIbLb1EESZ_EEDaSU_SV_EUlSU_E_NS1_11comp_targetILNS1_3genE0ELNS1_11target_archE4294967295ELNS1_3gpuE0ELNS1_3repE0EEENS1_30default_config_static_selectorELNS0_4arch9wavefront6targetE1EEEvT1_
; %bb.0:
	.section	.rodata,"a",@progbits
	.p2align	6, 0x0
	.amdhsa_kernel _ZN7rocprim17ROCPRIM_400000_NS6detail17trampoline_kernelINS0_14default_configENS1_20scan_config_selectorIN3c107complexIdEEEEZZNS1_9scan_implILNS1_25lookback_scan_determinismE0ELb0ELb0ES3_PKS7_PS7_S7_ZZZN2at6native31launch_logcumsumexp_cuda_kernelERKNSE_10TensorBaseESI_lENKUlvE_clEvENKUlvE1_clEvEUlS7_S7_E_S7_EEDaPvRmT3_T4_T5_mT6_P12ihipStream_tbENKUlT_T0_E_clISt17integral_constantIbLb1EESZ_EEDaSU_SV_EUlSU_E_NS1_11comp_targetILNS1_3genE0ELNS1_11target_archE4294967295ELNS1_3gpuE0ELNS1_3repE0EEENS1_30default_config_static_selectorELNS0_4arch9wavefront6targetE1EEEvT1_
		.amdhsa_group_segment_fixed_size 0
		.amdhsa_private_segment_fixed_size 0
		.amdhsa_kernarg_size 128
		.amdhsa_user_sgpr_count 6
		.amdhsa_user_sgpr_private_segment_buffer 1
		.amdhsa_user_sgpr_dispatch_ptr 0
		.amdhsa_user_sgpr_queue_ptr 0
		.amdhsa_user_sgpr_kernarg_segment_ptr 1
		.amdhsa_user_sgpr_dispatch_id 0
		.amdhsa_user_sgpr_flat_scratch_init 0
		.amdhsa_user_sgpr_private_segment_size 0
		.amdhsa_uses_dynamic_stack 0
		.amdhsa_system_sgpr_private_segment_wavefront_offset 0
		.amdhsa_system_sgpr_workgroup_id_x 1
		.amdhsa_system_sgpr_workgroup_id_y 0
		.amdhsa_system_sgpr_workgroup_id_z 0
		.amdhsa_system_sgpr_workgroup_info 0
		.amdhsa_system_vgpr_workitem_id 0
		.amdhsa_next_free_vgpr 1
		.amdhsa_next_free_sgpr 0
		.amdhsa_reserve_vcc 0
		.amdhsa_reserve_flat_scratch 0
		.amdhsa_float_round_mode_32 0
		.amdhsa_float_round_mode_16_64 0
		.amdhsa_float_denorm_mode_32 3
		.amdhsa_float_denorm_mode_16_64 3
		.amdhsa_dx10_clamp 1
		.amdhsa_ieee_mode 1
		.amdhsa_fp16_overflow 0
		.amdhsa_exception_fp_ieee_invalid_op 0
		.amdhsa_exception_fp_denorm_src 0
		.amdhsa_exception_fp_ieee_div_zero 0
		.amdhsa_exception_fp_ieee_overflow 0
		.amdhsa_exception_fp_ieee_underflow 0
		.amdhsa_exception_fp_ieee_inexact 0
		.amdhsa_exception_int_div_zero 0
	.end_amdhsa_kernel
	.section	.text._ZN7rocprim17ROCPRIM_400000_NS6detail17trampoline_kernelINS0_14default_configENS1_20scan_config_selectorIN3c107complexIdEEEEZZNS1_9scan_implILNS1_25lookback_scan_determinismE0ELb0ELb0ES3_PKS7_PS7_S7_ZZZN2at6native31launch_logcumsumexp_cuda_kernelERKNSE_10TensorBaseESI_lENKUlvE_clEvENKUlvE1_clEvEUlS7_S7_E_S7_EEDaPvRmT3_T4_T5_mT6_P12ihipStream_tbENKUlT_T0_E_clISt17integral_constantIbLb1EESZ_EEDaSU_SV_EUlSU_E_NS1_11comp_targetILNS1_3genE0ELNS1_11target_archE4294967295ELNS1_3gpuE0ELNS1_3repE0EEENS1_30default_config_static_selectorELNS0_4arch9wavefront6targetE1EEEvT1_,"axG",@progbits,_ZN7rocprim17ROCPRIM_400000_NS6detail17trampoline_kernelINS0_14default_configENS1_20scan_config_selectorIN3c107complexIdEEEEZZNS1_9scan_implILNS1_25lookback_scan_determinismE0ELb0ELb0ES3_PKS7_PS7_S7_ZZZN2at6native31launch_logcumsumexp_cuda_kernelERKNSE_10TensorBaseESI_lENKUlvE_clEvENKUlvE1_clEvEUlS7_S7_E_S7_EEDaPvRmT3_T4_T5_mT6_P12ihipStream_tbENKUlT_T0_E_clISt17integral_constantIbLb1EESZ_EEDaSU_SV_EUlSU_E_NS1_11comp_targetILNS1_3genE0ELNS1_11target_archE4294967295ELNS1_3gpuE0ELNS1_3repE0EEENS1_30default_config_static_selectorELNS0_4arch9wavefront6targetE1EEEvT1_,comdat
.Lfunc_end203:
	.size	_ZN7rocprim17ROCPRIM_400000_NS6detail17trampoline_kernelINS0_14default_configENS1_20scan_config_selectorIN3c107complexIdEEEEZZNS1_9scan_implILNS1_25lookback_scan_determinismE0ELb0ELb0ES3_PKS7_PS7_S7_ZZZN2at6native31launch_logcumsumexp_cuda_kernelERKNSE_10TensorBaseESI_lENKUlvE_clEvENKUlvE1_clEvEUlS7_S7_E_S7_EEDaPvRmT3_T4_T5_mT6_P12ihipStream_tbENKUlT_T0_E_clISt17integral_constantIbLb1EESZ_EEDaSU_SV_EUlSU_E_NS1_11comp_targetILNS1_3genE0ELNS1_11target_archE4294967295ELNS1_3gpuE0ELNS1_3repE0EEENS1_30default_config_static_selectorELNS0_4arch9wavefront6targetE1EEEvT1_, .Lfunc_end203-_ZN7rocprim17ROCPRIM_400000_NS6detail17trampoline_kernelINS0_14default_configENS1_20scan_config_selectorIN3c107complexIdEEEEZZNS1_9scan_implILNS1_25lookback_scan_determinismE0ELb0ELb0ES3_PKS7_PS7_S7_ZZZN2at6native31launch_logcumsumexp_cuda_kernelERKNSE_10TensorBaseESI_lENKUlvE_clEvENKUlvE1_clEvEUlS7_S7_E_S7_EEDaPvRmT3_T4_T5_mT6_P12ihipStream_tbENKUlT_T0_E_clISt17integral_constantIbLb1EESZ_EEDaSU_SV_EUlSU_E_NS1_11comp_targetILNS1_3genE0ELNS1_11target_archE4294967295ELNS1_3gpuE0ELNS1_3repE0EEENS1_30default_config_static_selectorELNS0_4arch9wavefront6targetE1EEEvT1_
                                        ; -- End function
	.set _ZN7rocprim17ROCPRIM_400000_NS6detail17trampoline_kernelINS0_14default_configENS1_20scan_config_selectorIN3c107complexIdEEEEZZNS1_9scan_implILNS1_25lookback_scan_determinismE0ELb0ELb0ES3_PKS7_PS7_S7_ZZZN2at6native31launch_logcumsumexp_cuda_kernelERKNSE_10TensorBaseESI_lENKUlvE_clEvENKUlvE1_clEvEUlS7_S7_E_S7_EEDaPvRmT3_T4_T5_mT6_P12ihipStream_tbENKUlT_T0_E_clISt17integral_constantIbLb1EESZ_EEDaSU_SV_EUlSU_E_NS1_11comp_targetILNS1_3genE0ELNS1_11target_archE4294967295ELNS1_3gpuE0ELNS1_3repE0EEENS1_30default_config_static_selectorELNS0_4arch9wavefront6targetE1EEEvT1_.num_vgpr, 0
	.set _ZN7rocprim17ROCPRIM_400000_NS6detail17trampoline_kernelINS0_14default_configENS1_20scan_config_selectorIN3c107complexIdEEEEZZNS1_9scan_implILNS1_25lookback_scan_determinismE0ELb0ELb0ES3_PKS7_PS7_S7_ZZZN2at6native31launch_logcumsumexp_cuda_kernelERKNSE_10TensorBaseESI_lENKUlvE_clEvENKUlvE1_clEvEUlS7_S7_E_S7_EEDaPvRmT3_T4_T5_mT6_P12ihipStream_tbENKUlT_T0_E_clISt17integral_constantIbLb1EESZ_EEDaSU_SV_EUlSU_E_NS1_11comp_targetILNS1_3genE0ELNS1_11target_archE4294967295ELNS1_3gpuE0ELNS1_3repE0EEENS1_30default_config_static_selectorELNS0_4arch9wavefront6targetE1EEEvT1_.num_agpr, 0
	.set _ZN7rocprim17ROCPRIM_400000_NS6detail17trampoline_kernelINS0_14default_configENS1_20scan_config_selectorIN3c107complexIdEEEEZZNS1_9scan_implILNS1_25lookback_scan_determinismE0ELb0ELb0ES3_PKS7_PS7_S7_ZZZN2at6native31launch_logcumsumexp_cuda_kernelERKNSE_10TensorBaseESI_lENKUlvE_clEvENKUlvE1_clEvEUlS7_S7_E_S7_EEDaPvRmT3_T4_T5_mT6_P12ihipStream_tbENKUlT_T0_E_clISt17integral_constantIbLb1EESZ_EEDaSU_SV_EUlSU_E_NS1_11comp_targetILNS1_3genE0ELNS1_11target_archE4294967295ELNS1_3gpuE0ELNS1_3repE0EEENS1_30default_config_static_selectorELNS0_4arch9wavefront6targetE1EEEvT1_.numbered_sgpr, 0
	.set _ZN7rocprim17ROCPRIM_400000_NS6detail17trampoline_kernelINS0_14default_configENS1_20scan_config_selectorIN3c107complexIdEEEEZZNS1_9scan_implILNS1_25lookback_scan_determinismE0ELb0ELb0ES3_PKS7_PS7_S7_ZZZN2at6native31launch_logcumsumexp_cuda_kernelERKNSE_10TensorBaseESI_lENKUlvE_clEvENKUlvE1_clEvEUlS7_S7_E_S7_EEDaPvRmT3_T4_T5_mT6_P12ihipStream_tbENKUlT_T0_E_clISt17integral_constantIbLb1EESZ_EEDaSU_SV_EUlSU_E_NS1_11comp_targetILNS1_3genE0ELNS1_11target_archE4294967295ELNS1_3gpuE0ELNS1_3repE0EEENS1_30default_config_static_selectorELNS0_4arch9wavefront6targetE1EEEvT1_.num_named_barrier, 0
	.set _ZN7rocprim17ROCPRIM_400000_NS6detail17trampoline_kernelINS0_14default_configENS1_20scan_config_selectorIN3c107complexIdEEEEZZNS1_9scan_implILNS1_25lookback_scan_determinismE0ELb0ELb0ES3_PKS7_PS7_S7_ZZZN2at6native31launch_logcumsumexp_cuda_kernelERKNSE_10TensorBaseESI_lENKUlvE_clEvENKUlvE1_clEvEUlS7_S7_E_S7_EEDaPvRmT3_T4_T5_mT6_P12ihipStream_tbENKUlT_T0_E_clISt17integral_constantIbLb1EESZ_EEDaSU_SV_EUlSU_E_NS1_11comp_targetILNS1_3genE0ELNS1_11target_archE4294967295ELNS1_3gpuE0ELNS1_3repE0EEENS1_30default_config_static_selectorELNS0_4arch9wavefront6targetE1EEEvT1_.private_seg_size, 0
	.set _ZN7rocprim17ROCPRIM_400000_NS6detail17trampoline_kernelINS0_14default_configENS1_20scan_config_selectorIN3c107complexIdEEEEZZNS1_9scan_implILNS1_25lookback_scan_determinismE0ELb0ELb0ES3_PKS7_PS7_S7_ZZZN2at6native31launch_logcumsumexp_cuda_kernelERKNSE_10TensorBaseESI_lENKUlvE_clEvENKUlvE1_clEvEUlS7_S7_E_S7_EEDaPvRmT3_T4_T5_mT6_P12ihipStream_tbENKUlT_T0_E_clISt17integral_constantIbLb1EESZ_EEDaSU_SV_EUlSU_E_NS1_11comp_targetILNS1_3genE0ELNS1_11target_archE4294967295ELNS1_3gpuE0ELNS1_3repE0EEENS1_30default_config_static_selectorELNS0_4arch9wavefront6targetE1EEEvT1_.uses_vcc, 0
	.set _ZN7rocprim17ROCPRIM_400000_NS6detail17trampoline_kernelINS0_14default_configENS1_20scan_config_selectorIN3c107complexIdEEEEZZNS1_9scan_implILNS1_25lookback_scan_determinismE0ELb0ELb0ES3_PKS7_PS7_S7_ZZZN2at6native31launch_logcumsumexp_cuda_kernelERKNSE_10TensorBaseESI_lENKUlvE_clEvENKUlvE1_clEvEUlS7_S7_E_S7_EEDaPvRmT3_T4_T5_mT6_P12ihipStream_tbENKUlT_T0_E_clISt17integral_constantIbLb1EESZ_EEDaSU_SV_EUlSU_E_NS1_11comp_targetILNS1_3genE0ELNS1_11target_archE4294967295ELNS1_3gpuE0ELNS1_3repE0EEENS1_30default_config_static_selectorELNS0_4arch9wavefront6targetE1EEEvT1_.uses_flat_scratch, 0
	.set _ZN7rocprim17ROCPRIM_400000_NS6detail17trampoline_kernelINS0_14default_configENS1_20scan_config_selectorIN3c107complexIdEEEEZZNS1_9scan_implILNS1_25lookback_scan_determinismE0ELb0ELb0ES3_PKS7_PS7_S7_ZZZN2at6native31launch_logcumsumexp_cuda_kernelERKNSE_10TensorBaseESI_lENKUlvE_clEvENKUlvE1_clEvEUlS7_S7_E_S7_EEDaPvRmT3_T4_T5_mT6_P12ihipStream_tbENKUlT_T0_E_clISt17integral_constantIbLb1EESZ_EEDaSU_SV_EUlSU_E_NS1_11comp_targetILNS1_3genE0ELNS1_11target_archE4294967295ELNS1_3gpuE0ELNS1_3repE0EEENS1_30default_config_static_selectorELNS0_4arch9wavefront6targetE1EEEvT1_.has_dyn_sized_stack, 0
	.set _ZN7rocprim17ROCPRIM_400000_NS6detail17trampoline_kernelINS0_14default_configENS1_20scan_config_selectorIN3c107complexIdEEEEZZNS1_9scan_implILNS1_25lookback_scan_determinismE0ELb0ELb0ES3_PKS7_PS7_S7_ZZZN2at6native31launch_logcumsumexp_cuda_kernelERKNSE_10TensorBaseESI_lENKUlvE_clEvENKUlvE1_clEvEUlS7_S7_E_S7_EEDaPvRmT3_T4_T5_mT6_P12ihipStream_tbENKUlT_T0_E_clISt17integral_constantIbLb1EESZ_EEDaSU_SV_EUlSU_E_NS1_11comp_targetILNS1_3genE0ELNS1_11target_archE4294967295ELNS1_3gpuE0ELNS1_3repE0EEENS1_30default_config_static_selectorELNS0_4arch9wavefront6targetE1EEEvT1_.has_recursion, 0
	.set _ZN7rocprim17ROCPRIM_400000_NS6detail17trampoline_kernelINS0_14default_configENS1_20scan_config_selectorIN3c107complexIdEEEEZZNS1_9scan_implILNS1_25lookback_scan_determinismE0ELb0ELb0ES3_PKS7_PS7_S7_ZZZN2at6native31launch_logcumsumexp_cuda_kernelERKNSE_10TensorBaseESI_lENKUlvE_clEvENKUlvE1_clEvEUlS7_S7_E_S7_EEDaPvRmT3_T4_T5_mT6_P12ihipStream_tbENKUlT_T0_E_clISt17integral_constantIbLb1EESZ_EEDaSU_SV_EUlSU_E_NS1_11comp_targetILNS1_3genE0ELNS1_11target_archE4294967295ELNS1_3gpuE0ELNS1_3repE0EEENS1_30default_config_static_selectorELNS0_4arch9wavefront6targetE1EEEvT1_.has_indirect_call, 0
	.section	.AMDGPU.csdata,"",@progbits
; Kernel info:
; codeLenInByte = 0
; TotalNumSgprs: 4
; NumVgprs: 0
; ScratchSize: 0
; MemoryBound: 0
; FloatMode: 240
; IeeeMode: 1
; LDSByteSize: 0 bytes/workgroup (compile time only)
; SGPRBlocks: 0
; VGPRBlocks: 0
; NumSGPRsForWavesPerEU: 4
; NumVGPRsForWavesPerEU: 1
; Occupancy: 10
; WaveLimiterHint : 0
; COMPUTE_PGM_RSRC2:SCRATCH_EN: 0
; COMPUTE_PGM_RSRC2:USER_SGPR: 6
; COMPUTE_PGM_RSRC2:TRAP_HANDLER: 0
; COMPUTE_PGM_RSRC2:TGID_X_EN: 1
; COMPUTE_PGM_RSRC2:TGID_Y_EN: 0
; COMPUTE_PGM_RSRC2:TGID_Z_EN: 0
; COMPUTE_PGM_RSRC2:TIDIG_COMP_CNT: 0
	.section	.text._ZN7rocprim17ROCPRIM_400000_NS6detail17trampoline_kernelINS0_14default_configENS1_20scan_config_selectorIN3c107complexIdEEEEZZNS1_9scan_implILNS1_25lookback_scan_determinismE0ELb0ELb0ES3_PKS7_PS7_S7_ZZZN2at6native31launch_logcumsumexp_cuda_kernelERKNSE_10TensorBaseESI_lENKUlvE_clEvENKUlvE1_clEvEUlS7_S7_E_S7_EEDaPvRmT3_T4_T5_mT6_P12ihipStream_tbENKUlT_T0_E_clISt17integral_constantIbLb1EESZ_EEDaSU_SV_EUlSU_E_NS1_11comp_targetILNS1_3genE5ELNS1_11target_archE942ELNS1_3gpuE9ELNS1_3repE0EEENS1_30default_config_static_selectorELNS0_4arch9wavefront6targetE1EEEvT1_,"axG",@progbits,_ZN7rocprim17ROCPRIM_400000_NS6detail17trampoline_kernelINS0_14default_configENS1_20scan_config_selectorIN3c107complexIdEEEEZZNS1_9scan_implILNS1_25lookback_scan_determinismE0ELb0ELb0ES3_PKS7_PS7_S7_ZZZN2at6native31launch_logcumsumexp_cuda_kernelERKNSE_10TensorBaseESI_lENKUlvE_clEvENKUlvE1_clEvEUlS7_S7_E_S7_EEDaPvRmT3_T4_T5_mT6_P12ihipStream_tbENKUlT_T0_E_clISt17integral_constantIbLb1EESZ_EEDaSU_SV_EUlSU_E_NS1_11comp_targetILNS1_3genE5ELNS1_11target_archE942ELNS1_3gpuE9ELNS1_3repE0EEENS1_30default_config_static_selectorELNS0_4arch9wavefront6targetE1EEEvT1_,comdat
	.globl	_ZN7rocprim17ROCPRIM_400000_NS6detail17trampoline_kernelINS0_14default_configENS1_20scan_config_selectorIN3c107complexIdEEEEZZNS1_9scan_implILNS1_25lookback_scan_determinismE0ELb0ELb0ES3_PKS7_PS7_S7_ZZZN2at6native31launch_logcumsumexp_cuda_kernelERKNSE_10TensorBaseESI_lENKUlvE_clEvENKUlvE1_clEvEUlS7_S7_E_S7_EEDaPvRmT3_T4_T5_mT6_P12ihipStream_tbENKUlT_T0_E_clISt17integral_constantIbLb1EESZ_EEDaSU_SV_EUlSU_E_NS1_11comp_targetILNS1_3genE5ELNS1_11target_archE942ELNS1_3gpuE9ELNS1_3repE0EEENS1_30default_config_static_selectorELNS0_4arch9wavefront6targetE1EEEvT1_ ; -- Begin function _ZN7rocprim17ROCPRIM_400000_NS6detail17trampoline_kernelINS0_14default_configENS1_20scan_config_selectorIN3c107complexIdEEEEZZNS1_9scan_implILNS1_25lookback_scan_determinismE0ELb0ELb0ES3_PKS7_PS7_S7_ZZZN2at6native31launch_logcumsumexp_cuda_kernelERKNSE_10TensorBaseESI_lENKUlvE_clEvENKUlvE1_clEvEUlS7_S7_E_S7_EEDaPvRmT3_T4_T5_mT6_P12ihipStream_tbENKUlT_T0_E_clISt17integral_constantIbLb1EESZ_EEDaSU_SV_EUlSU_E_NS1_11comp_targetILNS1_3genE5ELNS1_11target_archE942ELNS1_3gpuE9ELNS1_3repE0EEENS1_30default_config_static_selectorELNS0_4arch9wavefront6targetE1EEEvT1_
	.p2align	8
	.type	_ZN7rocprim17ROCPRIM_400000_NS6detail17trampoline_kernelINS0_14default_configENS1_20scan_config_selectorIN3c107complexIdEEEEZZNS1_9scan_implILNS1_25lookback_scan_determinismE0ELb0ELb0ES3_PKS7_PS7_S7_ZZZN2at6native31launch_logcumsumexp_cuda_kernelERKNSE_10TensorBaseESI_lENKUlvE_clEvENKUlvE1_clEvEUlS7_S7_E_S7_EEDaPvRmT3_T4_T5_mT6_P12ihipStream_tbENKUlT_T0_E_clISt17integral_constantIbLb1EESZ_EEDaSU_SV_EUlSU_E_NS1_11comp_targetILNS1_3genE5ELNS1_11target_archE942ELNS1_3gpuE9ELNS1_3repE0EEENS1_30default_config_static_selectorELNS0_4arch9wavefront6targetE1EEEvT1_,@function
_ZN7rocprim17ROCPRIM_400000_NS6detail17trampoline_kernelINS0_14default_configENS1_20scan_config_selectorIN3c107complexIdEEEEZZNS1_9scan_implILNS1_25lookback_scan_determinismE0ELb0ELb0ES3_PKS7_PS7_S7_ZZZN2at6native31launch_logcumsumexp_cuda_kernelERKNSE_10TensorBaseESI_lENKUlvE_clEvENKUlvE1_clEvEUlS7_S7_E_S7_EEDaPvRmT3_T4_T5_mT6_P12ihipStream_tbENKUlT_T0_E_clISt17integral_constantIbLb1EESZ_EEDaSU_SV_EUlSU_E_NS1_11comp_targetILNS1_3genE5ELNS1_11target_archE942ELNS1_3gpuE9ELNS1_3repE0EEENS1_30default_config_static_selectorELNS0_4arch9wavefront6targetE1EEEvT1_: ; @_ZN7rocprim17ROCPRIM_400000_NS6detail17trampoline_kernelINS0_14default_configENS1_20scan_config_selectorIN3c107complexIdEEEEZZNS1_9scan_implILNS1_25lookback_scan_determinismE0ELb0ELb0ES3_PKS7_PS7_S7_ZZZN2at6native31launch_logcumsumexp_cuda_kernelERKNSE_10TensorBaseESI_lENKUlvE_clEvENKUlvE1_clEvEUlS7_S7_E_S7_EEDaPvRmT3_T4_T5_mT6_P12ihipStream_tbENKUlT_T0_E_clISt17integral_constantIbLb1EESZ_EEDaSU_SV_EUlSU_E_NS1_11comp_targetILNS1_3genE5ELNS1_11target_archE942ELNS1_3gpuE9ELNS1_3repE0EEENS1_30default_config_static_selectorELNS0_4arch9wavefront6targetE1EEEvT1_
; %bb.0:
	.section	.rodata,"a",@progbits
	.p2align	6, 0x0
	.amdhsa_kernel _ZN7rocprim17ROCPRIM_400000_NS6detail17trampoline_kernelINS0_14default_configENS1_20scan_config_selectorIN3c107complexIdEEEEZZNS1_9scan_implILNS1_25lookback_scan_determinismE0ELb0ELb0ES3_PKS7_PS7_S7_ZZZN2at6native31launch_logcumsumexp_cuda_kernelERKNSE_10TensorBaseESI_lENKUlvE_clEvENKUlvE1_clEvEUlS7_S7_E_S7_EEDaPvRmT3_T4_T5_mT6_P12ihipStream_tbENKUlT_T0_E_clISt17integral_constantIbLb1EESZ_EEDaSU_SV_EUlSU_E_NS1_11comp_targetILNS1_3genE5ELNS1_11target_archE942ELNS1_3gpuE9ELNS1_3repE0EEENS1_30default_config_static_selectorELNS0_4arch9wavefront6targetE1EEEvT1_
		.amdhsa_group_segment_fixed_size 0
		.amdhsa_private_segment_fixed_size 0
		.amdhsa_kernarg_size 128
		.amdhsa_user_sgpr_count 6
		.amdhsa_user_sgpr_private_segment_buffer 1
		.amdhsa_user_sgpr_dispatch_ptr 0
		.amdhsa_user_sgpr_queue_ptr 0
		.amdhsa_user_sgpr_kernarg_segment_ptr 1
		.amdhsa_user_sgpr_dispatch_id 0
		.amdhsa_user_sgpr_flat_scratch_init 0
		.amdhsa_user_sgpr_private_segment_size 0
		.amdhsa_uses_dynamic_stack 0
		.amdhsa_system_sgpr_private_segment_wavefront_offset 0
		.amdhsa_system_sgpr_workgroup_id_x 1
		.amdhsa_system_sgpr_workgroup_id_y 0
		.amdhsa_system_sgpr_workgroup_id_z 0
		.amdhsa_system_sgpr_workgroup_info 0
		.amdhsa_system_vgpr_workitem_id 0
		.amdhsa_next_free_vgpr 1
		.amdhsa_next_free_sgpr 0
		.amdhsa_reserve_vcc 0
		.amdhsa_reserve_flat_scratch 0
		.amdhsa_float_round_mode_32 0
		.amdhsa_float_round_mode_16_64 0
		.amdhsa_float_denorm_mode_32 3
		.amdhsa_float_denorm_mode_16_64 3
		.amdhsa_dx10_clamp 1
		.amdhsa_ieee_mode 1
		.amdhsa_fp16_overflow 0
		.amdhsa_exception_fp_ieee_invalid_op 0
		.amdhsa_exception_fp_denorm_src 0
		.amdhsa_exception_fp_ieee_div_zero 0
		.amdhsa_exception_fp_ieee_overflow 0
		.amdhsa_exception_fp_ieee_underflow 0
		.amdhsa_exception_fp_ieee_inexact 0
		.amdhsa_exception_int_div_zero 0
	.end_amdhsa_kernel
	.section	.text._ZN7rocprim17ROCPRIM_400000_NS6detail17trampoline_kernelINS0_14default_configENS1_20scan_config_selectorIN3c107complexIdEEEEZZNS1_9scan_implILNS1_25lookback_scan_determinismE0ELb0ELb0ES3_PKS7_PS7_S7_ZZZN2at6native31launch_logcumsumexp_cuda_kernelERKNSE_10TensorBaseESI_lENKUlvE_clEvENKUlvE1_clEvEUlS7_S7_E_S7_EEDaPvRmT3_T4_T5_mT6_P12ihipStream_tbENKUlT_T0_E_clISt17integral_constantIbLb1EESZ_EEDaSU_SV_EUlSU_E_NS1_11comp_targetILNS1_3genE5ELNS1_11target_archE942ELNS1_3gpuE9ELNS1_3repE0EEENS1_30default_config_static_selectorELNS0_4arch9wavefront6targetE1EEEvT1_,"axG",@progbits,_ZN7rocprim17ROCPRIM_400000_NS6detail17trampoline_kernelINS0_14default_configENS1_20scan_config_selectorIN3c107complexIdEEEEZZNS1_9scan_implILNS1_25lookback_scan_determinismE0ELb0ELb0ES3_PKS7_PS7_S7_ZZZN2at6native31launch_logcumsumexp_cuda_kernelERKNSE_10TensorBaseESI_lENKUlvE_clEvENKUlvE1_clEvEUlS7_S7_E_S7_EEDaPvRmT3_T4_T5_mT6_P12ihipStream_tbENKUlT_T0_E_clISt17integral_constantIbLb1EESZ_EEDaSU_SV_EUlSU_E_NS1_11comp_targetILNS1_3genE5ELNS1_11target_archE942ELNS1_3gpuE9ELNS1_3repE0EEENS1_30default_config_static_selectorELNS0_4arch9wavefront6targetE1EEEvT1_,comdat
.Lfunc_end204:
	.size	_ZN7rocprim17ROCPRIM_400000_NS6detail17trampoline_kernelINS0_14default_configENS1_20scan_config_selectorIN3c107complexIdEEEEZZNS1_9scan_implILNS1_25lookback_scan_determinismE0ELb0ELb0ES3_PKS7_PS7_S7_ZZZN2at6native31launch_logcumsumexp_cuda_kernelERKNSE_10TensorBaseESI_lENKUlvE_clEvENKUlvE1_clEvEUlS7_S7_E_S7_EEDaPvRmT3_T4_T5_mT6_P12ihipStream_tbENKUlT_T0_E_clISt17integral_constantIbLb1EESZ_EEDaSU_SV_EUlSU_E_NS1_11comp_targetILNS1_3genE5ELNS1_11target_archE942ELNS1_3gpuE9ELNS1_3repE0EEENS1_30default_config_static_selectorELNS0_4arch9wavefront6targetE1EEEvT1_, .Lfunc_end204-_ZN7rocprim17ROCPRIM_400000_NS6detail17trampoline_kernelINS0_14default_configENS1_20scan_config_selectorIN3c107complexIdEEEEZZNS1_9scan_implILNS1_25lookback_scan_determinismE0ELb0ELb0ES3_PKS7_PS7_S7_ZZZN2at6native31launch_logcumsumexp_cuda_kernelERKNSE_10TensorBaseESI_lENKUlvE_clEvENKUlvE1_clEvEUlS7_S7_E_S7_EEDaPvRmT3_T4_T5_mT6_P12ihipStream_tbENKUlT_T0_E_clISt17integral_constantIbLb1EESZ_EEDaSU_SV_EUlSU_E_NS1_11comp_targetILNS1_3genE5ELNS1_11target_archE942ELNS1_3gpuE9ELNS1_3repE0EEENS1_30default_config_static_selectorELNS0_4arch9wavefront6targetE1EEEvT1_
                                        ; -- End function
	.set _ZN7rocprim17ROCPRIM_400000_NS6detail17trampoline_kernelINS0_14default_configENS1_20scan_config_selectorIN3c107complexIdEEEEZZNS1_9scan_implILNS1_25lookback_scan_determinismE0ELb0ELb0ES3_PKS7_PS7_S7_ZZZN2at6native31launch_logcumsumexp_cuda_kernelERKNSE_10TensorBaseESI_lENKUlvE_clEvENKUlvE1_clEvEUlS7_S7_E_S7_EEDaPvRmT3_T4_T5_mT6_P12ihipStream_tbENKUlT_T0_E_clISt17integral_constantIbLb1EESZ_EEDaSU_SV_EUlSU_E_NS1_11comp_targetILNS1_3genE5ELNS1_11target_archE942ELNS1_3gpuE9ELNS1_3repE0EEENS1_30default_config_static_selectorELNS0_4arch9wavefront6targetE1EEEvT1_.num_vgpr, 0
	.set _ZN7rocprim17ROCPRIM_400000_NS6detail17trampoline_kernelINS0_14default_configENS1_20scan_config_selectorIN3c107complexIdEEEEZZNS1_9scan_implILNS1_25lookback_scan_determinismE0ELb0ELb0ES3_PKS7_PS7_S7_ZZZN2at6native31launch_logcumsumexp_cuda_kernelERKNSE_10TensorBaseESI_lENKUlvE_clEvENKUlvE1_clEvEUlS7_S7_E_S7_EEDaPvRmT3_T4_T5_mT6_P12ihipStream_tbENKUlT_T0_E_clISt17integral_constantIbLb1EESZ_EEDaSU_SV_EUlSU_E_NS1_11comp_targetILNS1_3genE5ELNS1_11target_archE942ELNS1_3gpuE9ELNS1_3repE0EEENS1_30default_config_static_selectorELNS0_4arch9wavefront6targetE1EEEvT1_.num_agpr, 0
	.set _ZN7rocprim17ROCPRIM_400000_NS6detail17trampoline_kernelINS0_14default_configENS1_20scan_config_selectorIN3c107complexIdEEEEZZNS1_9scan_implILNS1_25lookback_scan_determinismE0ELb0ELb0ES3_PKS7_PS7_S7_ZZZN2at6native31launch_logcumsumexp_cuda_kernelERKNSE_10TensorBaseESI_lENKUlvE_clEvENKUlvE1_clEvEUlS7_S7_E_S7_EEDaPvRmT3_T4_T5_mT6_P12ihipStream_tbENKUlT_T0_E_clISt17integral_constantIbLb1EESZ_EEDaSU_SV_EUlSU_E_NS1_11comp_targetILNS1_3genE5ELNS1_11target_archE942ELNS1_3gpuE9ELNS1_3repE0EEENS1_30default_config_static_selectorELNS0_4arch9wavefront6targetE1EEEvT1_.numbered_sgpr, 0
	.set _ZN7rocprim17ROCPRIM_400000_NS6detail17trampoline_kernelINS0_14default_configENS1_20scan_config_selectorIN3c107complexIdEEEEZZNS1_9scan_implILNS1_25lookback_scan_determinismE0ELb0ELb0ES3_PKS7_PS7_S7_ZZZN2at6native31launch_logcumsumexp_cuda_kernelERKNSE_10TensorBaseESI_lENKUlvE_clEvENKUlvE1_clEvEUlS7_S7_E_S7_EEDaPvRmT3_T4_T5_mT6_P12ihipStream_tbENKUlT_T0_E_clISt17integral_constantIbLb1EESZ_EEDaSU_SV_EUlSU_E_NS1_11comp_targetILNS1_3genE5ELNS1_11target_archE942ELNS1_3gpuE9ELNS1_3repE0EEENS1_30default_config_static_selectorELNS0_4arch9wavefront6targetE1EEEvT1_.num_named_barrier, 0
	.set _ZN7rocprim17ROCPRIM_400000_NS6detail17trampoline_kernelINS0_14default_configENS1_20scan_config_selectorIN3c107complexIdEEEEZZNS1_9scan_implILNS1_25lookback_scan_determinismE0ELb0ELb0ES3_PKS7_PS7_S7_ZZZN2at6native31launch_logcumsumexp_cuda_kernelERKNSE_10TensorBaseESI_lENKUlvE_clEvENKUlvE1_clEvEUlS7_S7_E_S7_EEDaPvRmT3_T4_T5_mT6_P12ihipStream_tbENKUlT_T0_E_clISt17integral_constantIbLb1EESZ_EEDaSU_SV_EUlSU_E_NS1_11comp_targetILNS1_3genE5ELNS1_11target_archE942ELNS1_3gpuE9ELNS1_3repE0EEENS1_30default_config_static_selectorELNS0_4arch9wavefront6targetE1EEEvT1_.private_seg_size, 0
	.set _ZN7rocprim17ROCPRIM_400000_NS6detail17trampoline_kernelINS0_14default_configENS1_20scan_config_selectorIN3c107complexIdEEEEZZNS1_9scan_implILNS1_25lookback_scan_determinismE0ELb0ELb0ES3_PKS7_PS7_S7_ZZZN2at6native31launch_logcumsumexp_cuda_kernelERKNSE_10TensorBaseESI_lENKUlvE_clEvENKUlvE1_clEvEUlS7_S7_E_S7_EEDaPvRmT3_T4_T5_mT6_P12ihipStream_tbENKUlT_T0_E_clISt17integral_constantIbLb1EESZ_EEDaSU_SV_EUlSU_E_NS1_11comp_targetILNS1_3genE5ELNS1_11target_archE942ELNS1_3gpuE9ELNS1_3repE0EEENS1_30default_config_static_selectorELNS0_4arch9wavefront6targetE1EEEvT1_.uses_vcc, 0
	.set _ZN7rocprim17ROCPRIM_400000_NS6detail17trampoline_kernelINS0_14default_configENS1_20scan_config_selectorIN3c107complexIdEEEEZZNS1_9scan_implILNS1_25lookback_scan_determinismE0ELb0ELb0ES3_PKS7_PS7_S7_ZZZN2at6native31launch_logcumsumexp_cuda_kernelERKNSE_10TensorBaseESI_lENKUlvE_clEvENKUlvE1_clEvEUlS7_S7_E_S7_EEDaPvRmT3_T4_T5_mT6_P12ihipStream_tbENKUlT_T0_E_clISt17integral_constantIbLb1EESZ_EEDaSU_SV_EUlSU_E_NS1_11comp_targetILNS1_3genE5ELNS1_11target_archE942ELNS1_3gpuE9ELNS1_3repE0EEENS1_30default_config_static_selectorELNS0_4arch9wavefront6targetE1EEEvT1_.uses_flat_scratch, 0
	.set _ZN7rocprim17ROCPRIM_400000_NS6detail17trampoline_kernelINS0_14default_configENS1_20scan_config_selectorIN3c107complexIdEEEEZZNS1_9scan_implILNS1_25lookback_scan_determinismE0ELb0ELb0ES3_PKS7_PS7_S7_ZZZN2at6native31launch_logcumsumexp_cuda_kernelERKNSE_10TensorBaseESI_lENKUlvE_clEvENKUlvE1_clEvEUlS7_S7_E_S7_EEDaPvRmT3_T4_T5_mT6_P12ihipStream_tbENKUlT_T0_E_clISt17integral_constantIbLb1EESZ_EEDaSU_SV_EUlSU_E_NS1_11comp_targetILNS1_3genE5ELNS1_11target_archE942ELNS1_3gpuE9ELNS1_3repE0EEENS1_30default_config_static_selectorELNS0_4arch9wavefront6targetE1EEEvT1_.has_dyn_sized_stack, 0
	.set _ZN7rocprim17ROCPRIM_400000_NS6detail17trampoline_kernelINS0_14default_configENS1_20scan_config_selectorIN3c107complexIdEEEEZZNS1_9scan_implILNS1_25lookback_scan_determinismE0ELb0ELb0ES3_PKS7_PS7_S7_ZZZN2at6native31launch_logcumsumexp_cuda_kernelERKNSE_10TensorBaseESI_lENKUlvE_clEvENKUlvE1_clEvEUlS7_S7_E_S7_EEDaPvRmT3_T4_T5_mT6_P12ihipStream_tbENKUlT_T0_E_clISt17integral_constantIbLb1EESZ_EEDaSU_SV_EUlSU_E_NS1_11comp_targetILNS1_3genE5ELNS1_11target_archE942ELNS1_3gpuE9ELNS1_3repE0EEENS1_30default_config_static_selectorELNS0_4arch9wavefront6targetE1EEEvT1_.has_recursion, 0
	.set _ZN7rocprim17ROCPRIM_400000_NS6detail17trampoline_kernelINS0_14default_configENS1_20scan_config_selectorIN3c107complexIdEEEEZZNS1_9scan_implILNS1_25lookback_scan_determinismE0ELb0ELb0ES3_PKS7_PS7_S7_ZZZN2at6native31launch_logcumsumexp_cuda_kernelERKNSE_10TensorBaseESI_lENKUlvE_clEvENKUlvE1_clEvEUlS7_S7_E_S7_EEDaPvRmT3_T4_T5_mT6_P12ihipStream_tbENKUlT_T0_E_clISt17integral_constantIbLb1EESZ_EEDaSU_SV_EUlSU_E_NS1_11comp_targetILNS1_3genE5ELNS1_11target_archE942ELNS1_3gpuE9ELNS1_3repE0EEENS1_30default_config_static_selectorELNS0_4arch9wavefront6targetE1EEEvT1_.has_indirect_call, 0
	.section	.AMDGPU.csdata,"",@progbits
; Kernel info:
; codeLenInByte = 0
; TotalNumSgprs: 4
; NumVgprs: 0
; ScratchSize: 0
; MemoryBound: 0
; FloatMode: 240
; IeeeMode: 1
; LDSByteSize: 0 bytes/workgroup (compile time only)
; SGPRBlocks: 0
; VGPRBlocks: 0
; NumSGPRsForWavesPerEU: 4
; NumVGPRsForWavesPerEU: 1
; Occupancy: 10
; WaveLimiterHint : 0
; COMPUTE_PGM_RSRC2:SCRATCH_EN: 0
; COMPUTE_PGM_RSRC2:USER_SGPR: 6
; COMPUTE_PGM_RSRC2:TRAP_HANDLER: 0
; COMPUTE_PGM_RSRC2:TGID_X_EN: 1
; COMPUTE_PGM_RSRC2:TGID_Y_EN: 0
; COMPUTE_PGM_RSRC2:TGID_Z_EN: 0
; COMPUTE_PGM_RSRC2:TIDIG_COMP_CNT: 0
	.section	.text._ZN7rocprim17ROCPRIM_400000_NS6detail17trampoline_kernelINS0_14default_configENS1_20scan_config_selectorIN3c107complexIdEEEEZZNS1_9scan_implILNS1_25lookback_scan_determinismE0ELb0ELb0ES3_PKS7_PS7_S7_ZZZN2at6native31launch_logcumsumexp_cuda_kernelERKNSE_10TensorBaseESI_lENKUlvE_clEvENKUlvE1_clEvEUlS7_S7_E_S7_EEDaPvRmT3_T4_T5_mT6_P12ihipStream_tbENKUlT_T0_E_clISt17integral_constantIbLb1EESZ_EEDaSU_SV_EUlSU_E_NS1_11comp_targetILNS1_3genE4ELNS1_11target_archE910ELNS1_3gpuE8ELNS1_3repE0EEENS1_30default_config_static_selectorELNS0_4arch9wavefront6targetE1EEEvT1_,"axG",@progbits,_ZN7rocprim17ROCPRIM_400000_NS6detail17trampoline_kernelINS0_14default_configENS1_20scan_config_selectorIN3c107complexIdEEEEZZNS1_9scan_implILNS1_25lookback_scan_determinismE0ELb0ELb0ES3_PKS7_PS7_S7_ZZZN2at6native31launch_logcumsumexp_cuda_kernelERKNSE_10TensorBaseESI_lENKUlvE_clEvENKUlvE1_clEvEUlS7_S7_E_S7_EEDaPvRmT3_T4_T5_mT6_P12ihipStream_tbENKUlT_T0_E_clISt17integral_constantIbLb1EESZ_EEDaSU_SV_EUlSU_E_NS1_11comp_targetILNS1_3genE4ELNS1_11target_archE910ELNS1_3gpuE8ELNS1_3repE0EEENS1_30default_config_static_selectorELNS0_4arch9wavefront6targetE1EEEvT1_,comdat
	.globl	_ZN7rocprim17ROCPRIM_400000_NS6detail17trampoline_kernelINS0_14default_configENS1_20scan_config_selectorIN3c107complexIdEEEEZZNS1_9scan_implILNS1_25lookback_scan_determinismE0ELb0ELb0ES3_PKS7_PS7_S7_ZZZN2at6native31launch_logcumsumexp_cuda_kernelERKNSE_10TensorBaseESI_lENKUlvE_clEvENKUlvE1_clEvEUlS7_S7_E_S7_EEDaPvRmT3_T4_T5_mT6_P12ihipStream_tbENKUlT_T0_E_clISt17integral_constantIbLb1EESZ_EEDaSU_SV_EUlSU_E_NS1_11comp_targetILNS1_3genE4ELNS1_11target_archE910ELNS1_3gpuE8ELNS1_3repE0EEENS1_30default_config_static_selectorELNS0_4arch9wavefront6targetE1EEEvT1_ ; -- Begin function _ZN7rocprim17ROCPRIM_400000_NS6detail17trampoline_kernelINS0_14default_configENS1_20scan_config_selectorIN3c107complexIdEEEEZZNS1_9scan_implILNS1_25lookback_scan_determinismE0ELb0ELb0ES3_PKS7_PS7_S7_ZZZN2at6native31launch_logcumsumexp_cuda_kernelERKNSE_10TensorBaseESI_lENKUlvE_clEvENKUlvE1_clEvEUlS7_S7_E_S7_EEDaPvRmT3_T4_T5_mT6_P12ihipStream_tbENKUlT_T0_E_clISt17integral_constantIbLb1EESZ_EEDaSU_SV_EUlSU_E_NS1_11comp_targetILNS1_3genE4ELNS1_11target_archE910ELNS1_3gpuE8ELNS1_3repE0EEENS1_30default_config_static_selectorELNS0_4arch9wavefront6targetE1EEEvT1_
	.p2align	8
	.type	_ZN7rocprim17ROCPRIM_400000_NS6detail17trampoline_kernelINS0_14default_configENS1_20scan_config_selectorIN3c107complexIdEEEEZZNS1_9scan_implILNS1_25lookback_scan_determinismE0ELb0ELb0ES3_PKS7_PS7_S7_ZZZN2at6native31launch_logcumsumexp_cuda_kernelERKNSE_10TensorBaseESI_lENKUlvE_clEvENKUlvE1_clEvEUlS7_S7_E_S7_EEDaPvRmT3_T4_T5_mT6_P12ihipStream_tbENKUlT_T0_E_clISt17integral_constantIbLb1EESZ_EEDaSU_SV_EUlSU_E_NS1_11comp_targetILNS1_3genE4ELNS1_11target_archE910ELNS1_3gpuE8ELNS1_3repE0EEENS1_30default_config_static_selectorELNS0_4arch9wavefront6targetE1EEEvT1_,@function
_ZN7rocprim17ROCPRIM_400000_NS6detail17trampoline_kernelINS0_14default_configENS1_20scan_config_selectorIN3c107complexIdEEEEZZNS1_9scan_implILNS1_25lookback_scan_determinismE0ELb0ELb0ES3_PKS7_PS7_S7_ZZZN2at6native31launch_logcumsumexp_cuda_kernelERKNSE_10TensorBaseESI_lENKUlvE_clEvENKUlvE1_clEvEUlS7_S7_E_S7_EEDaPvRmT3_T4_T5_mT6_P12ihipStream_tbENKUlT_T0_E_clISt17integral_constantIbLb1EESZ_EEDaSU_SV_EUlSU_E_NS1_11comp_targetILNS1_3genE4ELNS1_11target_archE910ELNS1_3gpuE8ELNS1_3repE0EEENS1_30default_config_static_selectorELNS0_4arch9wavefront6targetE1EEEvT1_: ; @_ZN7rocprim17ROCPRIM_400000_NS6detail17trampoline_kernelINS0_14default_configENS1_20scan_config_selectorIN3c107complexIdEEEEZZNS1_9scan_implILNS1_25lookback_scan_determinismE0ELb0ELb0ES3_PKS7_PS7_S7_ZZZN2at6native31launch_logcumsumexp_cuda_kernelERKNSE_10TensorBaseESI_lENKUlvE_clEvENKUlvE1_clEvEUlS7_S7_E_S7_EEDaPvRmT3_T4_T5_mT6_P12ihipStream_tbENKUlT_T0_E_clISt17integral_constantIbLb1EESZ_EEDaSU_SV_EUlSU_E_NS1_11comp_targetILNS1_3genE4ELNS1_11target_archE910ELNS1_3gpuE8ELNS1_3repE0EEENS1_30default_config_static_selectorELNS0_4arch9wavefront6targetE1EEEvT1_
; %bb.0:
	.section	.rodata,"a",@progbits
	.p2align	6, 0x0
	.amdhsa_kernel _ZN7rocprim17ROCPRIM_400000_NS6detail17trampoline_kernelINS0_14default_configENS1_20scan_config_selectorIN3c107complexIdEEEEZZNS1_9scan_implILNS1_25lookback_scan_determinismE0ELb0ELb0ES3_PKS7_PS7_S7_ZZZN2at6native31launch_logcumsumexp_cuda_kernelERKNSE_10TensorBaseESI_lENKUlvE_clEvENKUlvE1_clEvEUlS7_S7_E_S7_EEDaPvRmT3_T4_T5_mT6_P12ihipStream_tbENKUlT_T0_E_clISt17integral_constantIbLb1EESZ_EEDaSU_SV_EUlSU_E_NS1_11comp_targetILNS1_3genE4ELNS1_11target_archE910ELNS1_3gpuE8ELNS1_3repE0EEENS1_30default_config_static_selectorELNS0_4arch9wavefront6targetE1EEEvT1_
		.amdhsa_group_segment_fixed_size 0
		.amdhsa_private_segment_fixed_size 0
		.amdhsa_kernarg_size 128
		.amdhsa_user_sgpr_count 6
		.amdhsa_user_sgpr_private_segment_buffer 1
		.amdhsa_user_sgpr_dispatch_ptr 0
		.amdhsa_user_sgpr_queue_ptr 0
		.amdhsa_user_sgpr_kernarg_segment_ptr 1
		.amdhsa_user_sgpr_dispatch_id 0
		.amdhsa_user_sgpr_flat_scratch_init 0
		.amdhsa_user_sgpr_private_segment_size 0
		.amdhsa_uses_dynamic_stack 0
		.amdhsa_system_sgpr_private_segment_wavefront_offset 0
		.amdhsa_system_sgpr_workgroup_id_x 1
		.amdhsa_system_sgpr_workgroup_id_y 0
		.amdhsa_system_sgpr_workgroup_id_z 0
		.amdhsa_system_sgpr_workgroup_info 0
		.amdhsa_system_vgpr_workitem_id 0
		.amdhsa_next_free_vgpr 1
		.amdhsa_next_free_sgpr 0
		.amdhsa_reserve_vcc 0
		.amdhsa_reserve_flat_scratch 0
		.amdhsa_float_round_mode_32 0
		.amdhsa_float_round_mode_16_64 0
		.amdhsa_float_denorm_mode_32 3
		.amdhsa_float_denorm_mode_16_64 3
		.amdhsa_dx10_clamp 1
		.amdhsa_ieee_mode 1
		.amdhsa_fp16_overflow 0
		.amdhsa_exception_fp_ieee_invalid_op 0
		.amdhsa_exception_fp_denorm_src 0
		.amdhsa_exception_fp_ieee_div_zero 0
		.amdhsa_exception_fp_ieee_overflow 0
		.amdhsa_exception_fp_ieee_underflow 0
		.amdhsa_exception_fp_ieee_inexact 0
		.amdhsa_exception_int_div_zero 0
	.end_amdhsa_kernel
	.section	.text._ZN7rocprim17ROCPRIM_400000_NS6detail17trampoline_kernelINS0_14default_configENS1_20scan_config_selectorIN3c107complexIdEEEEZZNS1_9scan_implILNS1_25lookback_scan_determinismE0ELb0ELb0ES3_PKS7_PS7_S7_ZZZN2at6native31launch_logcumsumexp_cuda_kernelERKNSE_10TensorBaseESI_lENKUlvE_clEvENKUlvE1_clEvEUlS7_S7_E_S7_EEDaPvRmT3_T4_T5_mT6_P12ihipStream_tbENKUlT_T0_E_clISt17integral_constantIbLb1EESZ_EEDaSU_SV_EUlSU_E_NS1_11comp_targetILNS1_3genE4ELNS1_11target_archE910ELNS1_3gpuE8ELNS1_3repE0EEENS1_30default_config_static_selectorELNS0_4arch9wavefront6targetE1EEEvT1_,"axG",@progbits,_ZN7rocprim17ROCPRIM_400000_NS6detail17trampoline_kernelINS0_14default_configENS1_20scan_config_selectorIN3c107complexIdEEEEZZNS1_9scan_implILNS1_25lookback_scan_determinismE0ELb0ELb0ES3_PKS7_PS7_S7_ZZZN2at6native31launch_logcumsumexp_cuda_kernelERKNSE_10TensorBaseESI_lENKUlvE_clEvENKUlvE1_clEvEUlS7_S7_E_S7_EEDaPvRmT3_T4_T5_mT6_P12ihipStream_tbENKUlT_T0_E_clISt17integral_constantIbLb1EESZ_EEDaSU_SV_EUlSU_E_NS1_11comp_targetILNS1_3genE4ELNS1_11target_archE910ELNS1_3gpuE8ELNS1_3repE0EEENS1_30default_config_static_selectorELNS0_4arch9wavefront6targetE1EEEvT1_,comdat
.Lfunc_end205:
	.size	_ZN7rocprim17ROCPRIM_400000_NS6detail17trampoline_kernelINS0_14default_configENS1_20scan_config_selectorIN3c107complexIdEEEEZZNS1_9scan_implILNS1_25lookback_scan_determinismE0ELb0ELb0ES3_PKS7_PS7_S7_ZZZN2at6native31launch_logcumsumexp_cuda_kernelERKNSE_10TensorBaseESI_lENKUlvE_clEvENKUlvE1_clEvEUlS7_S7_E_S7_EEDaPvRmT3_T4_T5_mT6_P12ihipStream_tbENKUlT_T0_E_clISt17integral_constantIbLb1EESZ_EEDaSU_SV_EUlSU_E_NS1_11comp_targetILNS1_3genE4ELNS1_11target_archE910ELNS1_3gpuE8ELNS1_3repE0EEENS1_30default_config_static_selectorELNS0_4arch9wavefront6targetE1EEEvT1_, .Lfunc_end205-_ZN7rocprim17ROCPRIM_400000_NS6detail17trampoline_kernelINS0_14default_configENS1_20scan_config_selectorIN3c107complexIdEEEEZZNS1_9scan_implILNS1_25lookback_scan_determinismE0ELb0ELb0ES3_PKS7_PS7_S7_ZZZN2at6native31launch_logcumsumexp_cuda_kernelERKNSE_10TensorBaseESI_lENKUlvE_clEvENKUlvE1_clEvEUlS7_S7_E_S7_EEDaPvRmT3_T4_T5_mT6_P12ihipStream_tbENKUlT_T0_E_clISt17integral_constantIbLb1EESZ_EEDaSU_SV_EUlSU_E_NS1_11comp_targetILNS1_3genE4ELNS1_11target_archE910ELNS1_3gpuE8ELNS1_3repE0EEENS1_30default_config_static_selectorELNS0_4arch9wavefront6targetE1EEEvT1_
                                        ; -- End function
	.set _ZN7rocprim17ROCPRIM_400000_NS6detail17trampoline_kernelINS0_14default_configENS1_20scan_config_selectorIN3c107complexIdEEEEZZNS1_9scan_implILNS1_25lookback_scan_determinismE0ELb0ELb0ES3_PKS7_PS7_S7_ZZZN2at6native31launch_logcumsumexp_cuda_kernelERKNSE_10TensorBaseESI_lENKUlvE_clEvENKUlvE1_clEvEUlS7_S7_E_S7_EEDaPvRmT3_T4_T5_mT6_P12ihipStream_tbENKUlT_T0_E_clISt17integral_constantIbLb1EESZ_EEDaSU_SV_EUlSU_E_NS1_11comp_targetILNS1_3genE4ELNS1_11target_archE910ELNS1_3gpuE8ELNS1_3repE0EEENS1_30default_config_static_selectorELNS0_4arch9wavefront6targetE1EEEvT1_.num_vgpr, 0
	.set _ZN7rocprim17ROCPRIM_400000_NS6detail17trampoline_kernelINS0_14default_configENS1_20scan_config_selectorIN3c107complexIdEEEEZZNS1_9scan_implILNS1_25lookback_scan_determinismE0ELb0ELb0ES3_PKS7_PS7_S7_ZZZN2at6native31launch_logcumsumexp_cuda_kernelERKNSE_10TensorBaseESI_lENKUlvE_clEvENKUlvE1_clEvEUlS7_S7_E_S7_EEDaPvRmT3_T4_T5_mT6_P12ihipStream_tbENKUlT_T0_E_clISt17integral_constantIbLb1EESZ_EEDaSU_SV_EUlSU_E_NS1_11comp_targetILNS1_3genE4ELNS1_11target_archE910ELNS1_3gpuE8ELNS1_3repE0EEENS1_30default_config_static_selectorELNS0_4arch9wavefront6targetE1EEEvT1_.num_agpr, 0
	.set _ZN7rocprim17ROCPRIM_400000_NS6detail17trampoline_kernelINS0_14default_configENS1_20scan_config_selectorIN3c107complexIdEEEEZZNS1_9scan_implILNS1_25lookback_scan_determinismE0ELb0ELb0ES3_PKS7_PS7_S7_ZZZN2at6native31launch_logcumsumexp_cuda_kernelERKNSE_10TensorBaseESI_lENKUlvE_clEvENKUlvE1_clEvEUlS7_S7_E_S7_EEDaPvRmT3_T4_T5_mT6_P12ihipStream_tbENKUlT_T0_E_clISt17integral_constantIbLb1EESZ_EEDaSU_SV_EUlSU_E_NS1_11comp_targetILNS1_3genE4ELNS1_11target_archE910ELNS1_3gpuE8ELNS1_3repE0EEENS1_30default_config_static_selectorELNS0_4arch9wavefront6targetE1EEEvT1_.numbered_sgpr, 0
	.set _ZN7rocprim17ROCPRIM_400000_NS6detail17trampoline_kernelINS0_14default_configENS1_20scan_config_selectorIN3c107complexIdEEEEZZNS1_9scan_implILNS1_25lookback_scan_determinismE0ELb0ELb0ES3_PKS7_PS7_S7_ZZZN2at6native31launch_logcumsumexp_cuda_kernelERKNSE_10TensorBaseESI_lENKUlvE_clEvENKUlvE1_clEvEUlS7_S7_E_S7_EEDaPvRmT3_T4_T5_mT6_P12ihipStream_tbENKUlT_T0_E_clISt17integral_constantIbLb1EESZ_EEDaSU_SV_EUlSU_E_NS1_11comp_targetILNS1_3genE4ELNS1_11target_archE910ELNS1_3gpuE8ELNS1_3repE0EEENS1_30default_config_static_selectorELNS0_4arch9wavefront6targetE1EEEvT1_.num_named_barrier, 0
	.set _ZN7rocprim17ROCPRIM_400000_NS6detail17trampoline_kernelINS0_14default_configENS1_20scan_config_selectorIN3c107complexIdEEEEZZNS1_9scan_implILNS1_25lookback_scan_determinismE0ELb0ELb0ES3_PKS7_PS7_S7_ZZZN2at6native31launch_logcumsumexp_cuda_kernelERKNSE_10TensorBaseESI_lENKUlvE_clEvENKUlvE1_clEvEUlS7_S7_E_S7_EEDaPvRmT3_T4_T5_mT6_P12ihipStream_tbENKUlT_T0_E_clISt17integral_constantIbLb1EESZ_EEDaSU_SV_EUlSU_E_NS1_11comp_targetILNS1_3genE4ELNS1_11target_archE910ELNS1_3gpuE8ELNS1_3repE0EEENS1_30default_config_static_selectorELNS0_4arch9wavefront6targetE1EEEvT1_.private_seg_size, 0
	.set _ZN7rocprim17ROCPRIM_400000_NS6detail17trampoline_kernelINS0_14default_configENS1_20scan_config_selectorIN3c107complexIdEEEEZZNS1_9scan_implILNS1_25lookback_scan_determinismE0ELb0ELb0ES3_PKS7_PS7_S7_ZZZN2at6native31launch_logcumsumexp_cuda_kernelERKNSE_10TensorBaseESI_lENKUlvE_clEvENKUlvE1_clEvEUlS7_S7_E_S7_EEDaPvRmT3_T4_T5_mT6_P12ihipStream_tbENKUlT_T0_E_clISt17integral_constantIbLb1EESZ_EEDaSU_SV_EUlSU_E_NS1_11comp_targetILNS1_3genE4ELNS1_11target_archE910ELNS1_3gpuE8ELNS1_3repE0EEENS1_30default_config_static_selectorELNS0_4arch9wavefront6targetE1EEEvT1_.uses_vcc, 0
	.set _ZN7rocprim17ROCPRIM_400000_NS6detail17trampoline_kernelINS0_14default_configENS1_20scan_config_selectorIN3c107complexIdEEEEZZNS1_9scan_implILNS1_25lookback_scan_determinismE0ELb0ELb0ES3_PKS7_PS7_S7_ZZZN2at6native31launch_logcumsumexp_cuda_kernelERKNSE_10TensorBaseESI_lENKUlvE_clEvENKUlvE1_clEvEUlS7_S7_E_S7_EEDaPvRmT3_T4_T5_mT6_P12ihipStream_tbENKUlT_T0_E_clISt17integral_constantIbLb1EESZ_EEDaSU_SV_EUlSU_E_NS1_11comp_targetILNS1_3genE4ELNS1_11target_archE910ELNS1_3gpuE8ELNS1_3repE0EEENS1_30default_config_static_selectorELNS0_4arch9wavefront6targetE1EEEvT1_.uses_flat_scratch, 0
	.set _ZN7rocprim17ROCPRIM_400000_NS6detail17trampoline_kernelINS0_14default_configENS1_20scan_config_selectorIN3c107complexIdEEEEZZNS1_9scan_implILNS1_25lookback_scan_determinismE0ELb0ELb0ES3_PKS7_PS7_S7_ZZZN2at6native31launch_logcumsumexp_cuda_kernelERKNSE_10TensorBaseESI_lENKUlvE_clEvENKUlvE1_clEvEUlS7_S7_E_S7_EEDaPvRmT3_T4_T5_mT6_P12ihipStream_tbENKUlT_T0_E_clISt17integral_constantIbLb1EESZ_EEDaSU_SV_EUlSU_E_NS1_11comp_targetILNS1_3genE4ELNS1_11target_archE910ELNS1_3gpuE8ELNS1_3repE0EEENS1_30default_config_static_selectorELNS0_4arch9wavefront6targetE1EEEvT1_.has_dyn_sized_stack, 0
	.set _ZN7rocprim17ROCPRIM_400000_NS6detail17trampoline_kernelINS0_14default_configENS1_20scan_config_selectorIN3c107complexIdEEEEZZNS1_9scan_implILNS1_25lookback_scan_determinismE0ELb0ELb0ES3_PKS7_PS7_S7_ZZZN2at6native31launch_logcumsumexp_cuda_kernelERKNSE_10TensorBaseESI_lENKUlvE_clEvENKUlvE1_clEvEUlS7_S7_E_S7_EEDaPvRmT3_T4_T5_mT6_P12ihipStream_tbENKUlT_T0_E_clISt17integral_constantIbLb1EESZ_EEDaSU_SV_EUlSU_E_NS1_11comp_targetILNS1_3genE4ELNS1_11target_archE910ELNS1_3gpuE8ELNS1_3repE0EEENS1_30default_config_static_selectorELNS0_4arch9wavefront6targetE1EEEvT1_.has_recursion, 0
	.set _ZN7rocprim17ROCPRIM_400000_NS6detail17trampoline_kernelINS0_14default_configENS1_20scan_config_selectorIN3c107complexIdEEEEZZNS1_9scan_implILNS1_25lookback_scan_determinismE0ELb0ELb0ES3_PKS7_PS7_S7_ZZZN2at6native31launch_logcumsumexp_cuda_kernelERKNSE_10TensorBaseESI_lENKUlvE_clEvENKUlvE1_clEvEUlS7_S7_E_S7_EEDaPvRmT3_T4_T5_mT6_P12ihipStream_tbENKUlT_T0_E_clISt17integral_constantIbLb1EESZ_EEDaSU_SV_EUlSU_E_NS1_11comp_targetILNS1_3genE4ELNS1_11target_archE910ELNS1_3gpuE8ELNS1_3repE0EEENS1_30default_config_static_selectorELNS0_4arch9wavefront6targetE1EEEvT1_.has_indirect_call, 0
	.section	.AMDGPU.csdata,"",@progbits
; Kernel info:
; codeLenInByte = 0
; TotalNumSgprs: 4
; NumVgprs: 0
; ScratchSize: 0
; MemoryBound: 0
; FloatMode: 240
; IeeeMode: 1
; LDSByteSize: 0 bytes/workgroup (compile time only)
; SGPRBlocks: 0
; VGPRBlocks: 0
; NumSGPRsForWavesPerEU: 4
; NumVGPRsForWavesPerEU: 1
; Occupancy: 10
; WaveLimiterHint : 0
; COMPUTE_PGM_RSRC2:SCRATCH_EN: 0
; COMPUTE_PGM_RSRC2:USER_SGPR: 6
; COMPUTE_PGM_RSRC2:TRAP_HANDLER: 0
; COMPUTE_PGM_RSRC2:TGID_X_EN: 1
; COMPUTE_PGM_RSRC2:TGID_Y_EN: 0
; COMPUTE_PGM_RSRC2:TGID_Z_EN: 0
; COMPUTE_PGM_RSRC2:TIDIG_COMP_CNT: 0
	.section	.text._ZN7rocprim17ROCPRIM_400000_NS6detail17trampoline_kernelINS0_14default_configENS1_20scan_config_selectorIN3c107complexIdEEEEZZNS1_9scan_implILNS1_25lookback_scan_determinismE0ELb0ELb0ES3_PKS7_PS7_S7_ZZZN2at6native31launch_logcumsumexp_cuda_kernelERKNSE_10TensorBaseESI_lENKUlvE_clEvENKUlvE1_clEvEUlS7_S7_E_S7_EEDaPvRmT3_T4_T5_mT6_P12ihipStream_tbENKUlT_T0_E_clISt17integral_constantIbLb1EESZ_EEDaSU_SV_EUlSU_E_NS1_11comp_targetILNS1_3genE3ELNS1_11target_archE908ELNS1_3gpuE7ELNS1_3repE0EEENS1_30default_config_static_selectorELNS0_4arch9wavefront6targetE1EEEvT1_,"axG",@progbits,_ZN7rocprim17ROCPRIM_400000_NS6detail17trampoline_kernelINS0_14default_configENS1_20scan_config_selectorIN3c107complexIdEEEEZZNS1_9scan_implILNS1_25lookback_scan_determinismE0ELb0ELb0ES3_PKS7_PS7_S7_ZZZN2at6native31launch_logcumsumexp_cuda_kernelERKNSE_10TensorBaseESI_lENKUlvE_clEvENKUlvE1_clEvEUlS7_S7_E_S7_EEDaPvRmT3_T4_T5_mT6_P12ihipStream_tbENKUlT_T0_E_clISt17integral_constantIbLb1EESZ_EEDaSU_SV_EUlSU_E_NS1_11comp_targetILNS1_3genE3ELNS1_11target_archE908ELNS1_3gpuE7ELNS1_3repE0EEENS1_30default_config_static_selectorELNS0_4arch9wavefront6targetE1EEEvT1_,comdat
	.globl	_ZN7rocprim17ROCPRIM_400000_NS6detail17trampoline_kernelINS0_14default_configENS1_20scan_config_selectorIN3c107complexIdEEEEZZNS1_9scan_implILNS1_25lookback_scan_determinismE0ELb0ELb0ES3_PKS7_PS7_S7_ZZZN2at6native31launch_logcumsumexp_cuda_kernelERKNSE_10TensorBaseESI_lENKUlvE_clEvENKUlvE1_clEvEUlS7_S7_E_S7_EEDaPvRmT3_T4_T5_mT6_P12ihipStream_tbENKUlT_T0_E_clISt17integral_constantIbLb1EESZ_EEDaSU_SV_EUlSU_E_NS1_11comp_targetILNS1_3genE3ELNS1_11target_archE908ELNS1_3gpuE7ELNS1_3repE0EEENS1_30default_config_static_selectorELNS0_4arch9wavefront6targetE1EEEvT1_ ; -- Begin function _ZN7rocprim17ROCPRIM_400000_NS6detail17trampoline_kernelINS0_14default_configENS1_20scan_config_selectorIN3c107complexIdEEEEZZNS1_9scan_implILNS1_25lookback_scan_determinismE0ELb0ELb0ES3_PKS7_PS7_S7_ZZZN2at6native31launch_logcumsumexp_cuda_kernelERKNSE_10TensorBaseESI_lENKUlvE_clEvENKUlvE1_clEvEUlS7_S7_E_S7_EEDaPvRmT3_T4_T5_mT6_P12ihipStream_tbENKUlT_T0_E_clISt17integral_constantIbLb1EESZ_EEDaSU_SV_EUlSU_E_NS1_11comp_targetILNS1_3genE3ELNS1_11target_archE908ELNS1_3gpuE7ELNS1_3repE0EEENS1_30default_config_static_selectorELNS0_4arch9wavefront6targetE1EEEvT1_
	.p2align	8
	.type	_ZN7rocprim17ROCPRIM_400000_NS6detail17trampoline_kernelINS0_14default_configENS1_20scan_config_selectorIN3c107complexIdEEEEZZNS1_9scan_implILNS1_25lookback_scan_determinismE0ELb0ELb0ES3_PKS7_PS7_S7_ZZZN2at6native31launch_logcumsumexp_cuda_kernelERKNSE_10TensorBaseESI_lENKUlvE_clEvENKUlvE1_clEvEUlS7_S7_E_S7_EEDaPvRmT3_T4_T5_mT6_P12ihipStream_tbENKUlT_T0_E_clISt17integral_constantIbLb1EESZ_EEDaSU_SV_EUlSU_E_NS1_11comp_targetILNS1_3genE3ELNS1_11target_archE908ELNS1_3gpuE7ELNS1_3repE0EEENS1_30default_config_static_selectorELNS0_4arch9wavefront6targetE1EEEvT1_,@function
_ZN7rocprim17ROCPRIM_400000_NS6detail17trampoline_kernelINS0_14default_configENS1_20scan_config_selectorIN3c107complexIdEEEEZZNS1_9scan_implILNS1_25lookback_scan_determinismE0ELb0ELb0ES3_PKS7_PS7_S7_ZZZN2at6native31launch_logcumsumexp_cuda_kernelERKNSE_10TensorBaseESI_lENKUlvE_clEvENKUlvE1_clEvEUlS7_S7_E_S7_EEDaPvRmT3_T4_T5_mT6_P12ihipStream_tbENKUlT_T0_E_clISt17integral_constantIbLb1EESZ_EEDaSU_SV_EUlSU_E_NS1_11comp_targetILNS1_3genE3ELNS1_11target_archE908ELNS1_3gpuE7ELNS1_3repE0EEENS1_30default_config_static_selectorELNS0_4arch9wavefront6targetE1EEEvT1_: ; @_ZN7rocprim17ROCPRIM_400000_NS6detail17trampoline_kernelINS0_14default_configENS1_20scan_config_selectorIN3c107complexIdEEEEZZNS1_9scan_implILNS1_25lookback_scan_determinismE0ELb0ELb0ES3_PKS7_PS7_S7_ZZZN2at6native31launch_logcumsumexp_cuda_kernelERKNSE_10TensorBaseESI_lENKUlvE_clEvENKUlvE1_clEvEUlS7_S7_E_S7_EEDaPvRmT3_T4_T5_mT6_P12ihipStream_tbENKUlT_T0_E_clISt17integral_constantIbLb1EESZ_EEDaSU_SV_EUlSU_E_NS1_11comp_targetILNS1_3genE3ELNS1_11target_archE908ELNS1_3gpuE7ELNS1_3repE0EEENS1_30default_config_static_selectorELNS0_4arch9wavefront6targetE1EEEvT1_
; %bb.0:
	.section	.rodata,"a",@progbits
	.p2align	6, 0x0
	.amdhsa_kernel _ZN7rocprim17ROCPRIM_400000_NS6detail17trampoline_kernelINS0_14default_configENS1_20scan_config_selectorIN3c107complexIdEEEEZZNS1_9scan_implILNS1_25lookback_scan_determinismE0ELb0ELb0ES3_PKS7_PS7_S7_ZZZN2at6native31launch_logcumsumexp_cuda_kernelERKNSE_10TensorBaseESI_lENKUlvE_clEvENKUlvE1_clEvEUlS7_S7_E_S7_EEDaPvRmT3_T4_T5_mT6_P12ihipStream_tbENKUlT_T0_E_clISt17integral_constantIbLb1EESZ_EEDaSU_SV_EUlSU_E_NS1_11comp_targetILNS1_3genE3ELNS1_11target_archE908ELNS1_3gpuE7ELNS1_3repE0EEENS1_30default_config_static_selectorELNS0_4arch9wavefront6targetE1EEEvT1_
		.amdhsa_group_segment_fixed_size 0
		.amdhsa_private_segment_fixed_size 0
		.amdhsa_kernarg_size 128
		.amdhsa_user_sgpr_count 6
		.amdhsa_user_sgpr_private_segment_buffer 1
		.amdhsa_user_sgpr_dispatch_ptr 0
		.amdhsa_user_sgpr_queue_ptr 0
		.amdhsa_user_sgpr_kernarg_segment_ptr 1
		.amdhsa_user_sgpr_dispatch_id 0
		.amdhsa_user_sgpr_flat_scratch_init 0
		.amdhsa_user_sgpr_private_segment_size 0
		.amdhsa_uses_dynamic_stack 0
		.amdhsa_system_sgpr_private_segment_wavefront_offset 0
		.amdhsa_system_sgpr_workgroup_id_x 1
		.amdhsa_system_sgpr_workgroup_id_y 0
		.amdhsa_system_sgpr_workgroup_id_z 0
		.amdhsa_system_sgpr_workgroup_info 0
		.amdhsa_system_vgpr_workitem_id 0
		.amdhsa_next_free_vgpr 1
		.amdhsa_next_free_sgpr 0
		.amdhsa_reserve_vcc 0
		.amdhsa_reserve_flat_scratch 0
		.amdhsa_float_round_mode_32 0
		.amdhsa_float_round_mode_16_64 0
		.amdhsa_float_denorm_mode_32 3
		.amdhsa_float_denorm_mode_16_64 3
		.amdhsa_dx10_clamp 1
		.amdhsa_ieee_mode 1
		.amdhsa_fp16_overflow 0
		.amdhsa_exception_fp_ieee_invalid_op 0
		.amdhsa_exception_fp_denorm_src 0
		.amdhsa_exception_fp_ieee_div_zero 0
		.amdhsa_exception_fp_ieee_overflow 0
		.amdhsa_exception_fp_ieee_underflow 0
		.amdhsa_exception_fp_ieee_inexact 0
		.amdhsa_exception_int_div_zero 0
	.end_amdhsa_kernel
	.section	.text._ZN7rocprim17ROCPRIM_400000_NS6detail17trampoline_kernelINS0_14default_configENS1_20scan_config_selectorIN3c107complexIdEEEEZZNS1_9scan_implILNS1_25lookback_scan_determinismE0ELb0ELb0ES3_PKS7_PS7_S7_ZZZN2at6native31launch_logcumsumexp_cuda_kernelERKNSE_10TensorBaseESI_lENKUlvE_clEvENKUlvE1_clEvEUlS7_S7_E_S7_EEDaPvRmT3_T4_T5_mT6_P12ihipStream_tbENKUlT_T0_E_clISt17integral_constantIbLb1EESZ_EEDaSU_SV_EUlSU_E_NS1_11comp_targetILNS1_3genE3ELNS1_11target_archE908ELNS1_3gpuE7ELNS1_3repE0EEENS1_30default_config_static_selectorELNS0_4arch9wavefront6targetE1EEEvT1_,"axG",@progbits,_ZN7rocprim17ROCPRIM_400000_NS6detail17trampoline_kernelINS0_14default_configENS1_20scan_config_selectorIN3c107complexIdEEEEZZNS1_9scan_implILNS1_25lookback_scan_determinismE0ELb0ELb0ES3_PKS7_PS7_S7_ZZZN2at6native31launch_logcumsumexp_cuda_kernelERKNSE_10TensorBaseESI_lENKUlvE_clEvENKUlvE1_clEvEUlS7_S7_E_S7_EEDaPvRmT3_T4_T5_mT6_P12ihipStream_tbENKUlT_T0_E_clISt17integral_constantIbLb1EESZ_EEDaSU_SV_EUlSU_E_NS1_11comp_targetILNS1_3genE3ELNS1_11target_archE908ELNS1_3gpuE7ELNS1_3repE0EEENS1_30default_config_static_selectorELNS0_4arch9wavefront6targetE1EEEvT1_,comdat
.Lfunc_end206:
	.size	_ZN7rocprim17ROCPRIM_400000_NS6detail17trampoline_kernelINS0_14default_configENS1_20scan_config_selectorIN3c107complexIdEEEEZZNS1_9scan_implILNS1_25lookback_scan_determinismE0ELb0ELb0ES3_PKS7_PS7_S7_ZZZN2at6native31launch_logcumsumexp_cuda_kernelERKNSE_10TensorBaseESI_lENKUlvE_clEvENKUlvE1_clEvEUlS7_S7_E_S7_EEDaPvRmT3_T4_T5_mT6_P12ihipStream_tbENKUlT_T0_E_clISt17integral_constantIbLb1EESZ_EEDaSU_SV_EUlSU_E_NS1_11comp_targetILNS1_3genE3ELNS1_11target_archE908ELNS1_3gpuE7ELNS1_3repE0EEENS1_30default_config_static_selectorELNS0_4arch9wavefront6targetE1EEEvT1_, .Lfunc_end206-_ZN7rocprim17ROCPRIM_400000_NS6detail17trampoline_kernelINS0_14default_configENS1_20scan_config_selectorIN3c107complexIdEEEEZZNS1_9scan_implILNS1_25lookback_scan_determinismE0ELb0ELb0ES3_PKS7_PS7_S7_ZZZN2at6native31launch_logcumsumexp_cuda_kernelERKNSE_10TensorBaseESI_lENKUlvE_clEvENKUlvE1_clEvEUlS7_S7_E_S7_EEDaPvRmT3_T4_T5_mT6_P12ihipStream_tbENKUlT_T0_E_clISt17integral_constantIbLb1EESZ_EEDaSU_SV_EUlSU_E_NS1_11comp_targetILNS1_3genE3ELNS1_11target_archE908ELNS1_3gpuE7ELNS1_3repE0EEENS1_30default_config_static_selectorELNS0_4arch9wavefront6targetE1EEEvT1_
                                        ; -- End function
	.set _ZN7rocprim17ROCPRIM_400000_NS6detail17trampoline_kernelINS0_14default_configENS1_20scan_config_selectorIN3c107complexIdEEEEZZNS1_9scan_implILNS1_25lookback_scan_determinismE0ELb0ELb0ES3_PKS7_PS7_S7_ZZZN2at6native31launch_logcumsumexp_cuda_kernelERKNSE_10TensorBaseESI_lENKUlvE_clEvENKUlvE1_clEvEUlS7_S7_E_S7_EEDaPvRmT3_T4_T5_mT6_P12ihipStream_tbENKUlT_T0_E_clISt17integral_constantIbLb1EESZ_EEDaSU_SV_EUlSU_E_NS1_11comp_targetILNS1_3genE3ELNS1_11target_archE908ELNS1_3gpuE7ELNS1_3repE0EEENS1_30default_config_static_selectorELNS0_4arch9wavefront6targetE1EEEvT1_.num_vgpr, 0
	.set _ZN7rocprim17ROCPRIM_400000_NS6detail17trampoline_kernelINS0_14default_configENS1_20scan_config_selectorIN3c107complexIdEEEEZZNS1_9scan_implILNS1_25lookback_scan_determinismE0ELb0ELb0ES3_PKS7_PS7_S7_ZZZN2at6native31launch_logcumsumexp_cuda_kernelERKNSE_10TensorBaseESI_lENKUlvE_clEvENKUlvE1_clEvEUlS7_S7_E_S7_EEDaPvRmT3_T4_T5_mT6_P12ihipStream_tbENKUlT_T0_E_clISt17integral_constantIbLb1EESZ_EEDaSU_SV_EUlSU_E_NS1_11comp_targetILNS1_3genE3ELNS1_11target_archE908ELNS1_3gpuE7ELNS1_3repE0EEENS1_30default_config_static_selectorELNS0_4arch9wavefront6targetE1EEEvT1_.num_agpr, 0
	.set _ZN7rocprim17ROCPRIM_400000_NS6detail17trampoline_kernelINS0_14default_configENS1_20scan_config_selectorIN3c107complexIdEEEEZZNS1_9scan_implILNS1_25lookback_scan_determinismE0ELb0ELb0ES3_PKS7_PS7_S7_ZZZN2at6native31launch_logcumsumexp_cuda_kernelERKNSE_10TensorBaseESI_lENKUlvE_clEvENKUlvE1_clEvEUlS7_S7_E_S7_EEDaPvRmT3_T4_T5_mT6_P12ihipStream_tbENKUlT_T0_E_clISt17integral_constantIbLb1EESZ_EEDaSU_SV_EUlSU_E_NS1_11comp_targetILNS1_3genE3ELNS1_11target_archE908ELNS1_3gpuE7ELNS1_3repE0EEENS1_30default_config_static_selectorELNS0_4arch9wavefront6targetE1EEEvT1_.numbered_sgpr, 0
	.set _ZN7rocprim17ROCPRIM_400000_NS6detail17trampoline_kernelINS0_14default_configENS1_20scan_config_selectorIN3c107complexIdEEEEZZNS1_9scan_implILNS1_25lookback_scan_determinismE0ELb0ELb0ES3_PKS7_PS7_S7_ZZZN2at6native31launch_logcumsumexp_cuda_kernelERKNSE_10TensorBaseESI_lENKUlvE_clEvENKUlvE1_clEvEUlS7_S7_E_S7_EEDaPvRmT3_T4_T5_mT6_P12ihipStream_tbENKUlT_T0_E_clISt17integral_constantIbLb1EESZ_EEDaSU_SV_EUlSU_E_NS1_11comp_targetILNS1_3genE3ELNS1_11target_archE908ELNS1_3gpuE7ELNS1_3repE0EEENS1_30default_config_static_selectorELNS0_4arch9wavefront6targetE1EEEvT1_.num_named_barrier, 0
	.set _ZN7rocprim17ROCPRIM_400000_NS6detail17trampoline_kernelINS0_14default_configENS1_20scan_config_selectorIN3c107complexIdEEEEZZNS1_9scan_implILNS1_25lookback_scan_determinismE0ELb0ELb0ES3_PKS7_PS7_S7_ZZZN2at6native31launch_logcumsumexp_cuda_kernelERKNSE_10TensorBaseESI_lENKUlvE_clEvENKUlvE1_clEvEUlS7_S7_E_S7_EEDaPvRmT3_T4_T5_mT6_P12ihipStream_tbENKUlT_T0_E_clISt17integral_constantIbLb1EESZ_EEDaSU_SV_EUlSU_E_NS1_11comp_targetILNS1_3genE3ELNS1_11target_archE908ELNS1_3gpuE7ELNS1_3repE0EEENS1_30default_config_static_selectorELNS0_4arch9wavefront6targetE1EEEvT1_.private_seg_size, 0
	.set _ZN7rocprim17ROCPRIM_400000_NS6detail17trampoline_kernelINS0_14default_configENS1_20scan_config_selectorIN3c107complexIdEEEEZZNS1_9scan_implILNS1_25lookback_scan_determinismE0ELb0ELb0ES3_PKS7_PS7_S7_ZZZN2at6native31launch_logcumsumexp_cuda_kernelERKNSE_10TensorBaseESI_lENKUlvE_clEvENKUlvE1_clEvEUlS7_S7_E_S7_EEDaPvRmT3_T4_T5_mT6_P12ihipStream_tbENKUlT_T0_E_clISt17integral_constantIbLb1EESZ_EEDaSU_SV_EUlSU_E_NS1_11comp_targetILNS1_3genE3ELNS1_11target_archE908ELNS1_3gpuE7ELNS1_3repE0EEENS1_30default_config_static_selectorELNS0_4arch9wavefront6targetE1EEEvT1_.uses_vcc, 0
	.set _ZN7rocprim17ROCPRIM_400000_NS6detail17trampoline_kernelINS0_14default_configENS1_20scan_config_selectorIN3c107complexIdEEEEZZNS1_9scan_implILNS1_25lookback_scan_determinismE0ELb0ELb0ES3_PKS7_PS7_S7_ZZZN2at6native31launch_logcumsumexp_cuda_kernelERKNSE_10TensorBaseESI_lENKUlvE_clEvENKUlvE1_clEvEUlS7_S7_E_S7_EEDaPvRmT3_T4_T5_mT6_P12ihipStream_tbENKUlT_T0_E_clISt17integral_constantIbLb1EESZ_EEDaSU_SV_EUlSU_E_NS1_11comp_targetILNS1_3genE3ELNS1_11target_archE908ELNS1_3gpuE7ELNS1_3repE0EEENS1_30default_config_static_selectorELNS0_4arch9wavefront6targetE1EEEvT1_.uses_flat_scratch, 0
	.set _ZN7rocprim17ROCPRIM_400000_NS6detail17trampoline_kernelINS0_14default_configENS1_20scan_config_selectorIN3c107complexIdEEEEZZNS1_9scan_implILNS1_25lookback_scan_determinismE0ELb0ELb0ES3_PKS7_PS7_S7_ZZZN2at6native31launch_logcumsumexp_cuda_kernelERKNSE_10TensorBaseESI_lENKUlvE_clEvENKUlvE1_clEvEUlS7_S7_E_S7_EEDaPvRmT3_T4_T5_mT6_P12ihipStream_tbENKUlT_T0_E_clISt17integral_constantIbLb1EESZ_EEDaSU_SV_EUlSU_E_NS1_11comp_targetILNS1_3genE3ELNS1_11target_archE908ELNS1_3gpuE7ELNS1_3repE0EEENS1_30default_config_static_selectorELNS0_4arch9wavefront6targetE1EEEvT1_.has_dyn_sized_stack, 0
	.set _ZN7rocprim17ROCPRIM_400000_NS6detail17trampoline_kernelINS0_14default_configENS1_20scan_config_selectorIN3c107complexIdEEEEZZNS1_9scan_implILNS1_25lookback_scan_determinismE0ELb0ELb0ES3_PKS7_PS7_S7_ZZZN2at6native31launch_logcumsumexp_cuda_kernelERKNSE_10TensorBaseESI_lENKUlvE_clEvENKUlvE1_clEvEUlS7_S7_E_S7_EEDaPvRmT3_T4_T5_mT6_P12ihipStream_tbENKUlT_T0_E_clISt17integral_constantIbLb1EESZ_EEDaSU_SV_EUlSU_E_NS1_11comp_targetILNS1_3genE3ELNS1_11target_archE908ELNS1_3gpuE7ELNS1_3repE0EEENS1_30default_config_static_selectorELNS0_4arch9wavefront6targetE1EEEvT1_.has_recursion, 0
	.set _ZN7rocprim17ROCPRIM_400000_NS6detail17trampoline_kernelINS0_14default_configENS1_20scan_config_selectorIN3c107complexIdEEEEZZNS1_9scan_implILNS1_25lookback_scan_determinismE0ELb0ELb0ES3_PKS7_PS7_S7_ZZZN2at6native31launch_logcumsumexp_cuda_kernelERKNSE_10TensorBaseESI_lENKUlvE_clEvENKUlvE1_clEvEUlS7_S7_E_S7_EEDaPvRmT3_T4_T5_mT6_P12ihipStream_tbENKUlT_T0_E_clISt17integral_constantIbLb1EESZ_EEDaSU_SV_EUlSU_E_NS1_11comp_targetILNS1_3genE3ELNS1_11target_archE908ELNS1_3gpuE7ELNS1_3repE0EEENS1_30default_config_static_selectorELNS0_4arch9wavefront6targetE1EEEvT1_.has_indirect_call, 0
	.section	.AMDGPU.csdata,"",@progbits
; Kernel info:
; codeLenInByte = 0
; TotalNumSgprs: 4
; NumVgprs: 0
; ScratchSize: 0
; MemoryBound: 0
; FloatMode: 240
; IeeeMode: 1
; LDSByteSize: 0 bytes/workgroup (compile time only)
; SGPRBlocks: 0
; VGPRBlocks: 0
; NumSGPRsForWavesPerEU: 4
; NumVGPRsForWavesPerEU: 1
; Occupancy: 10
; WaveLimiterHint : 0
; COMPUTE_PGM_RSRC2:SCRATCH_EN: 0
; COMPUTE_PGM_RSRC2:USER_SGPR: 6
; COMPUTE_PGM_RSRC2:TRAP_HANDLER: 0
; COMPUTE_PGM_RSRC2:TGID_X_EN: 1
; COMPUTE_PGM_RSRC2:TGID_Y_EN: 0
; COMPUTE_PGM_RSRC2:TGID_Z_EN: 0
; COMPUTE_PGM_RSRC2:TIDIG_COMP_CNT: 0
	.section	.text._ZN7rocprim17ROCPRIM_400000_NS6detail17trampoline_kernelINS0_14default_configENS1_20scan_config_selectorIN3c107complexIdEEEEZZNS1_9scan_implILNS1_25lookback_scan_determinismE0ELb0ELb0ES3_PKS7_PS7_S7_ZZZN2at6native31launch_logcumsumexp_cuda_kernelERKNSE_10TensorBaseESI_lENKUlvE_clEvENKUlvE1_clEvEUlS7_S7_E_S7_EEDaPvRmT3_T4_T5_mT6_P12ihipStream_tbENKUlT_T0_E_clISt17integral_constantIbLb1EESZ_EEDaSU_SV_EUlSU_E_NS1_11comp_targetILNS1_3genE2ELNS1_11target_archE906ELNS1_3gpuE6ELNS1_3repE0EEENS1_30default_config_static_selectorELNS0_4arch9wavefront6targetE1EEEvT1_,"axG",@progbits,_ZN7rocprim17ROCPRIM_400000_NS6detail17trampoline_kernelINS0_14default_configENS1_20scan_config_selectorIN3c107complexIdEEEEZZNS1_9scan_implILNS1_25lookback_scan_determinismE0ELb0ELb0ES3_PKS7_PS7_S7_ZZZN2at6native31launch_logcumsumexp_cuda_kernelERKNSE_10TensorBaseESI_lENKUlvE_clEvENKUlvE1_clEvEUlS7_S7_E_S7_EEDaPvRmT3_T4_T5_mT6_P12ihipStream_tbENKUlT_T0_E_clISt17integral_constantIbLb1EESZ_EEDaSU_SV_EUlSU_E_NS1_11comp_targetILNS1_3genE2ELNS1_11target_archE906ELNS1_3gpuE6ELNS1_3repE0EEENS1_30default_config_static_selectorELNS0_4arch9wavefront6targetE1EEEvT1_,comdat
	.globl	_ZN7rocprim17ROCPRIM_400000_NS6detail17trampoline_kernelINS0_14default_configENS1_20scan_config_selectorIN3c107complexIdEEEEZZNS1_9scan_implILNS1_25lookback_scan_determinismE0ELb0ELb0ES3_PKS7_PS7_S7_ZZZN2at6native31launch_logcumsumexp_cuda_kernelERKNSE_10TensorBaseESI_lENKUlvE_clEvENKUlvE1_clEvEUlS7_S7_E_S7_EEDaPvRmT3_T4_T5_mT6_P12ihipStream_tbENKUlT_T0_E_clISt17integral_constantIbLb1EESZ_EEDaSU_SV_EUlSU_E_NS1_11comp_targetILNS1_3genE2ELNS1_11target_archE906ELNS1_3gpuE6ELNS1_3repE0EEENS1_30default_config_static_selectorELNS0_4arch9wavefront6targetE1EEEvT1_ ; -- Begin function _ZN7rocprim17ROCPRIM_400000_NS6detail17trampoline_kernelINS0_14default_configENS1_20scan_config_selectorIN3c107complexIdEEEEZZNS1_9scan_implILNS1_25lookback_scan_determinismE0ELb0ELb0ES3_PKS7_PS7_S7_ZZZN2at6native31launch_logcumsumexp_cuda_kernelERKNSE_10TensorBaseESI_lENKUlvE_clEvENKUlvE1_clEvEUlS7_S7_E_S7_EEDaPvRmT3_T4_T5_mT6_P12ihipStream_tbENKUlT_T0_E_clISt17integral_constantIbLb1EESZ_EEDaSU_SV_EUlSU_E_NS1_11comp_targetILNS1_3genE2ELNS1_11target_archE906ELNS1_3gpuE6ELNS1_3repE0EEENS1_30default_config_static_selectorELNS0_4arch9wavefront6targetE1EEEvT1_
	.p2align	8
	.type	_ZN7rocprim17ROCPRIM_400000_NS6detail17trampoline_kernelINS0_14default_configENS1_20scan_config_selectorIN3c107complexIdEEEEZZNS1_9scan_implILNS1_25lookback_scan_determinismE0ELb0ELb0ES3_PKS7_PS7_S7_ZZZN2at6native31launch_logcumsumexp_cuda_kernelERKNSE_10TensorBaseESI_lENKUlvE_clEvENKUlvE1_clEvEUlS7_S7_E_S7_EEDaPvRmT3_T4_T5_mT6_P12ihipStream_tbENKUlT_T0_E_clISt17integral_constantIbLb1EESZ_EEDaSU_SV_EUlSU_E_NS1_11comp_targetILNS1_3genE2ELNS1_11target_archE906ELNS1_3gpuE6ELNS1_3repE0EEENS1_30default_config_static_selectorELNS0_4arch9wavefront6targetE1EEEvT1_,@function
_ZN7rocprim17ROCPRIM_400000_NS6detail17trampoline_kernelINS0_14default_configENS1_20scan_config_selectorIN3c107complexIdEEEEZZNS1_9scan_implILNS1_25lookback_scan_determinismE0ELb0ELb0ES3_PKS7_PS7_S7_ZZZN2at6native31launch_logcumsumexp_cuda_kernelERKNSE_10TensorBaseESI_lENKUlvE_clEvENKUlvE1_clEvEUlS7_S7_E_S7_EEDaPvRmT3_T4_T5_mT6_P12ihipStream_tbENKUlT_T0_E_clISt17integral_constantIbLb1EESZ_EEDaSU_SV_EUlSU_E_NS1_11comp_targetILNS1_3genE2ELNS1_11target_archE906ELNS1_3gpuE6ELNS1_3repE0EEENS1_30default_config_static_selectorELNS0_4arch9wavefront6targetE1EEEvT1_: ; @_ZN7rocprim17ROCPRIM_400000_NS6detail17trampoline_kernelINS0_14default_configENS1_20scan_config_selectorIN3c107complexIdEEEEZZNS1_9scan_implILNS1_25lookback_scan_determinismE0ELb0ELb0ES3_PKS7_PS7_S7_ZZZN2at6native31launch_logcumsumexp_cuda_kernelERKNSE_10TensorBaseESI_lENKUlvE_clEvENKUlvE1_clEvEUlS7_S7_E_S7_EEDaPvRmT3_T4_T5_mT6_P12ihipStream_tbENKUlT_T0_E_clISt17integral_constantIbLb1EESZ_EEDaSU_SV_EUlSU_E_NS1_11comp_targetILNS1_3genE2ELNS1_11target_archE906ELNS1_3gpuE6ELNS1_3repE0EEENS1_30default_config_static_selectorELNS0_4arch9wavefront6targetE1EEEvT1_
; %bb.0:
	s_endpgm
	.section	.rodata,"a",@progbits
	.p2align	6, 0x0
	.amdhsa_kernel _ZN7rocprim17ROCPRIM_400000_NS6detail17trampoline_kernelINS0_14default_configENS1_20scan_config_selectorIN3c107complexIdEEEEZZNS1_9scan_implILNS1_25lookback_scan_determinismE0ELb0ELb0ES3_PKS7_PS7_S7_ZZZN2at6native31launch_logcumsumexp_cuda_kernelERKNSE_10TensorBaseESI_lENKUlvE_clEvENKUlvE1_clEvEUlS7_S7_E_S7_EEDaPvRmT3_T4_T5_mT6_P12ihipStream_tbENKUlT_T0_E_clISt17integral_constantIbLb1EESZ_EEDaSU_SV_EUlSU_E_NS1_11comp_targetILNS1_3genE2ELNS1_11target_archE906ELNS1_3gpuE6ELNS1_3repE0EEENS1_30default_config_static_selectorELNS0_4arch9wavefront6targetE1EEEvT1_
		.amdhsa_group_segment_fixed_size 0
		.amdhsa_private_segment_fixed_size 0
		.amdhsa_kernarg_size 128
		.amdhsa_user_sgpr_count 6
		.amdhsa_user_sgpr_private_segment_buffer 1
		.amdhsa_user_sgpr_dispatch_ptr 0
		.amdhsa_user_sgpr_queue_ptr 0
		.amdhsa_user_sgpr_kernarg_segment_ptr 1
		.amdhsa_user_sgpr_dispatch_id 0
		.amdhsa_user_sgpr_flat_scratch_init 0
		.amdhsa_user_sgpr_private_segment_size 0
		.amdhsa_uses_dynamic_stack 0
		.amdhsa_system_sgpr_private_segment_wavefront_offset 0
		.amdhsa_system_sgpr_workgroup_id_x 1
		.amdhsa_system_sgpr_workgroup_id_y 0
		.amdhsa_system_sgpr_workgroup_id_z 0
		.amdhsa_system_sgpr_workgroup_info 0
		.amdhsa_system_vgpr_workitem_id 0
		.amdhsa_next_free_vgpr 1
		.amdhsa_next_free_sgpr 0
		.amdhsa_reserve_vcc 0
		.amdhsa_reserve_flat_scratch 0
		.amdhsa_float_round_mode_32 0
		.amdhsa_float_round_mode_16_64 0
		.amdhsa_float_denorm_mode_32 3
		.amdhsa_float_denorm_mode_16_64 3
		.amdhsa_dx10_clamp 1
		.amdhsa_ieee_mode 1
		.amdhsa_fp16_overflow 0
		.amdhsa_exception_fp_ieee_invalid_op 0
		.amdhsa_exception_fp_denorm_src 0
		.amdhsa_exception_fp_ieee_div_zero 0
		.amdhsa_exception_fp_ieee_overflow 0
		.amdhsa_exception_fp_ieee_underflow 0
		.amdhsa_exception_fp_ieee_inexact 0
		.amdhsa_exception_int_div_zero 0
	.end_amdhsa_kernel
	.section	.text._ZN7rocprim17ROCPRIM_400000_NS6detail17trampoline_kernelINS0_14default_configENS1_20scan_config_selectorIN3c107complexIdEEEEZZNS1_9scan_implILNS1_25lookback_scan_determinismE0ELb0ELb0ES3_PKS7_PS7_S7_ZZZN2at6native31launch_logcumsumexp_cuda_kernelERKNSE_10TensorBaseESI_lENKUlvE_clEvENKUlvE1_clEvEUlS7_S7_E_S7_EEDaPvRmT3_T4_T5_mT6_P12ihipStream_tbENKUlT_T0_E_clISt17integral_constantIbLb1EESZ_EEDaSU_SV_EUlSU_E_NS1_11comp_targetILNS1_3genE2ELNS1_11target_archE906ELNS1_3gpuE6ELNS1_3repE0EEENS1_30default_config_static_selectorELNS0_4arch9wavefront6targetE1EEEvT1_,"axG",@progbits,_ZN7rocprim17ROCPRIM_400000_NS6detail17trampoline_kernelINS0_14default_configENS1_20scan_config_selectorIN3c107complexIdEEEEZZNS1_9scan_implILNS1_25lookback_scan_determinismE0ELb0ELb0ES3_PKS7_PS7_S7_ZZZN2at6native31launch_logcumsumexp_cuda_kernelERKNSE_10TensorBaseESI_lENKUlvE_clEvENKUlvE1_clEvEUlS7_S7_E_S7_EEDaPvRmT3_T4_T5_mT6_P12ihipStream_tbENKUlT_T0_E_clISt17integral_constantIbLb1EESZ_EEDaSU_SV_EUlSU_E_NS1_11comp_targetILNS1_3genE2ELNS1_11target_archE906ELNS1_3gpuE6ELNS1_3repE0EEENS1_30default_config_static_selectorELNS0_4arch9wavefront6targetE1EEEvT1_,comdat
.Lfunc_end207:
	.size	_ZN7rocprim17ROCPRIM_400000_NS6detail17trampoline_kernelINS0_14default_configENS1_20scan_config_selectorIN3c107complexIdEEEEZZNS1_9scan_implILNS1_25lookback_scan_determinismE0ELb0ELb0ES3_PKS7_PS7_S7_ZZZN2at6native31launch_logcumsumexp_cuda_kernelERKNSE_10TensorBaseESI_lENKUlvE_clEvENKUlvE1_clEvEUlS7_S7_E_S7_EEDaPvRmT3_T4_T5_mT6_P12ihipStream_tbENKUlT_T0_E_clISt17integral_constantIbLb1EESZ_EEDaSU_SV_EUlSU_E_NS1_11comp_targetILNS1_3genE2ELNS1_11target_archE906ELNS1_3gpuE6ELNS1_3repE0EEENS1_30default_config_static_selectorELNS0_4arch9wavefront6targetE1EEEvT1_, .Lfunc_end207-_ZN7rocprim17ROCPRIM_400000_NS6detail17trampoline_kernelINS0_14default_configENS1_20scan_config_selectorIN3c107complexIdEEEEZZNS1_9scan_implILNS1_25lookback_scan_determinismE0ELb0ELb0ES3_PKS7_PS7_S7_ZZZN2at6native31launch_logcumsumexp_cuda_kernelERKNSE_10TensorBaseESI_lENKUlvE_clEvENKUlvE1_clEvEUlS7_S7_E_S7_EEDaPvRmT3_T4_T5_mT6_P12ihipStream_tbENKUlT_T0_E_clISt17integral_constantIbLb1EESZ_EEDaSU_SV_EUlSU_E_NS1_11comp_targetILNS1_3genE2ELNS1_11target_archE906ELNS1_3gpuE6ELNS1_3repE0EEENS1_30default_config_static_selectorELNS0_4arch9wavefront6targetE1EEEvT1_
                                        ; -- End function
	.set _ZN7rocprim17ROCPRIM_400000_NS6detail17trampoline_kernelINS0_14default_configENS1_20scan_config_selectorIN3c107complexIdEEEEZZNS1_9scan_implILNS1_25lookback_scan_determinismE0ELb0ELb0ES3_PKS7_PS7_S7_ZZZN2at6native31launch_logcumsumexp_cuda_kernelERKNSE_10TensorBaseESI_lENKUlvE_clEvENKUlvE1_clEvEUlS7_S7_E_S7_EEDaPvRmT3_T4_T5_mT6_P12ihipStream_tbENKUlT_T0_E_clISt17integral_constantIbLb1EESZ_EEDaSU_SV_EUlSU_E_NS1_11comp_targetILNS1_3genE2ELNS1_11target_archE906ELNS1_3gpuE6ELNS1_3repE0EEENS1_30default_config_static_selectorELNS0_4arch9wavefront6targetE1EEEvT1_.num_vgpr, 0
	.set _ZN7rocprim17ROCPRIM_400000_NS6detail17trampoline_kernelINS0_14default_configENS1_20scan_config_selectorIN3c107complexIdEEEEZZNS1_9scan_implILNS1_25lookback_scan_determinismE0ELb0ELb0ES3_PKS7_PS7_S7_ZZZN2at6native31launch_logcumsumexp_cuda_kernelERKNSE_10TensorBaseESI_lENKUlvE_clEvENKUlvE1_clEvEUlS7_S7_E_S7_EEDaPvRmT3_T4_T5_mT6_P12ihipStream_tbENKUlT_T0_E_clISt17integral_constantIbLb1EESZ_EEDaSU_SV_EUlSU_E_NS1_11comp_targetILNS1_3genE2ELNS1_11target_archE906ELNS1_3gpuE6ELNS1_3repE0EEENS1_30default_config_static_selectorELNS0_4arch9wavefront6targetE1EEEvT1_.num_agpr, 0
	.set _ZN7rocprim17ROCPRIM_400000_NS6detail17trampoline_kernelINS0_14default_configENS1_20scan_config_selectorIN3c107complexIdEEEEZZNS1_9scan_implILNS1_25lookback_scan_determinismE0ELb0ELb0ES3_PKS7_PS7_S7_ZZZN2at6native31launch_logcumsumexp_cuda_kernelERKNSE_10TensorBaseESI_lENKUlvE_clEvENKUlvE1_clEvEUlS7_S7_E_S7_EEDaPvRmT3_T4_T5_mT6_P12ihipStream_tbENKUlT_T0_E_clISt17integral_constantIbLb1EESZ_EEDaSU_SV_EUlSU_E_NS1_11comp_targetILNS1_3genE2ELNS1_11target_archE906ELNS1_3gpuE6ELNS1_3repE0EEENS1_30default_config_static_selectorELNS0_4arch9wavefront6targetE1EEEvT1_.numbered_sgpr, 0
	.set _ZN7rocprim17ROCPRIM_400000_NS6detail17trampoline_kernelINS0_14default_configENS1_20scan_config_selectorIN3c107complexIdEEEEZZNS1_9scan_implILNS1_25lookback_scan_determinismE0ELb0ELb0ES3_PKS7_PS7_S7_ZZZN2at6native31launch_logcumsumexp_cuda_kernelERKNSE_10TensorBaseESI_lENKUlvE_clEvENKUlvE1_clEvEUlS7_S7_E_S7_EEDaPvRmT3_T4_T5_mT6_P12ihipStream_tbENKUlT_T0_E_clISt17integral_constantIbLb1EESZ_EEDaSU_SV_EUlSU_E_NS1_11comp_targetILNS1_3genE2ELNS1_11target_archE906ELNS1_3gpuE6ELNS1_3repE0EEENS1_30default_config_static_selectorELNS0_4arch9wavefront6targetE1EEEvT1_.num_named_barrier, 0
	.set _ZN7rocprim17ROCPRIM_400000_NS6detail17trampoline_kernelINS0_14default_configENS1_20scan_config_selectorIN3c107complexIdEEEEZZNS1_9scan_implILNS1_25lookback_scan_determinismE0ELb0ELb0ES3_PKS7_PS7_S7_ZZZN2at6native31launch_logcumsumexp_cuda_kernelERKNSE_10TensorBaseESI_lENKUlvE_clEvENKUlvE1_clEvEUlS7_S7_E_S7_EEDaPvRmT3_T4_T5_mT6_P12ihipStream_tbENKUlT_T0_E_clISt17integral_constantIbLb1EESZ_EEDaSU_SV_EUlSU_E_NS1_11comp_targetILNS1_3genE2ELNS1_11target_archE906ELNS1_3gpuE6ELNS1_3repE0EEENS1_30default_config_static_selectorELNS0_4arch9wavefront6targetE1EEEvT1_.private_seg_size, 0
	.set _ZN7rocprim17ROCPRIM_400000_NS6detail17trampoline_kernelINS0_14default_configENS1_20scan_config_selectorIN3c107complexIdEEEEZZNS1_9scan_implILNS1_25lookback_scan_determinismE0ELb0ELb0ES3_PKS7_PS7_S7_ZZZN2at6native31launch_logcumsumexp_cuda_kernelERKNSE_10TensorBaseESI_lENKUlvE_clEvENKUlvE1_clEvEUlS7_S7_E_S7_EEDaPvRmT3_T4_T5_mT6_P12ihipStream_tbENKUlT_T0_E_clISt17integral_constantIbLb1EESZ_EEDaSU_SV_EUlSU_E_NS1_11comp_targetILNS1_3genE2ELNS1_11target_archE906ELNS1_3gpuE6ELNS1_3repE0EEENS1_30default_config_static_selectorELNS0_4arch9wavefront6targetE1EEEvT1_.uses_vcc, 0
	.set _ZN7rocprim17ROCPRIM_400000_NS6detail17trampoline_kernelINS0_14default_configENS1_20scan_config_selectorIN3c107complexIdEEEEZZNS1_9scan_implILNS1_25lookback_scan_determinismE0ELb0ELb0ES3_PKS7_PS7_S7_ZZZN2at6native31launch_logcumsumexp_cuda_kernelERKNSE_10TensorBaseESI_lENKUlvE_clEvENKUlvE1_clEvEUlS7_S7_E_S7_EEDaPvRmT3_T4_T5_mT6_P12ihipStream_tbENKUlT_T0_E_clISt17integral_constantIbLb1EESZ_EEDaSU_SV_EUlSU_E_NS1_11comp_targetILNS1_3genE2ELNS1_11target_archE906ELNS1_3gpuE6ELNS1_3repE0EEENS1_30default_config_static_selectorELNS0_4arch9wavefront6targetE1EEEvT1_.uses_flat_scratch, 0
	.set _ZN7rocprim17ROCPRIM_400000_NS6detail17trampoline_kernelINS0_14default_configENS1_20scan_config_selectorIN3c107complexIdEEEEZZNS1_9scan_implILNS1_25lookback_scan_determinismE0ELb0ELb0ES3_PKS7_PS7_S7_ZZZN2at6native31launch_logcumsumexp_cuda_kernelERKNSE_10TensorBaseESI_lENKUlvE_clEvENKUlvE1_clEvEUlS7_S7_E_S7_EEDaPvRmT3_T4_T5_mT6_P12ihipStream_tbENKUlT_T0_E_clISt17integral_constantIbLb1EESZ_EEDaSU_SV_EUlSU_E_NS1_11comp_targetILNS1_3genE2ELNS1_11target_archE906ELNS1_3gpuE6ELNS1_3repE0EEENS1_30default_config_static_selectorELNS0_4arch9wavefront6targetE1EEEvT1_.has_dyn_sized_stack, 0
	.set _ZN7rocprim17ROCPRIM_400000_NS6detail17trampoline_kernelINS0_14default_configENS1_20scan_config_selectorIN3c107complexIdEEEEZZNS1_9scan_implILNS1_25lookback_scan_determinismE0ELb0ELb0ES3_PKS7_PS7_S7_ZZZN2at6native31launch_logcumsumexp_cuda_kernelERKNSE_10TensorBaseESI_lENKUlvE_clEvENKUlvE1_clEvEUlS7_S7_E_S7_EEDaPvRmT3_T4_T5_mT6_P12ihipStream_tbENKUlT_T0_E_clISt17integral_constantIbLb1EESZ_EEDaSU_SV_EUlSU_E_NS1_11comp_targetILNS1_3genE2ELNS1_11target_archE906ELNS1_3gpuE6ELNS1_3repE0EEENS1_30default_config_static_selectorELNS0_4arch9wavefront6targetE1EEEvT1_.has_recursion, 0
	.set _ZN7rocprim17ROCPRIM_400000_NS6detail17trampoline_kernelINS0_14default_configENS1_20scan_config_selectorIN3c107complexIdEEEEZZNS1_9scan_implILNS1_25lookback_scan_determinismE0ELb0ELb0ES3_PKS7_PS7_S7_ZZZN2at6native31launch_logcumsumexp_cuda_kernelERKNSE_10TensorBaseESI_lENKUlvE_clEvENKUlvE1_clEvEUlS7_S7_E_S7_EEDaPvRmT3_T4_T5_mT6_P12ihipStream_tbENKUlT_T0_E_clISt17integral_constantIbLb1EESZ_EEDaSU_SV_EUlSU_E_NS1_11comp_targetILNS1_3genE2ELNS1_11target_archE906ELNS1_3gpuE6ELNS1_3repE0EEENS1_30default_config_static_selectorELNS0_4arch9wavefront6targetE1EEEvT1_.has_indirect_call, 0
	.section	.AMDGPU.csdata,"",@progbits
; Kernel info:
; codeLenInByte = 4
; TotalNumSgprs: 4
; NumVgprs: 0
; ScratchSize: 0
; MemoryBound: 0
; FloatMode: 240
; IeeeMode: 1
; LDSByteSize: 0 bytes/workgroup (compile time only)
; SGPRBlocks: 0
; VGPRBlocks: 0
; NumSGPRsForWavesPerEU: 4
; NumVGPRsForWavesPerEU: 1
; Occupancy: 10
; WaveLimiterHint : 0
; COMPUTE_PGM_RSRC2:SCRATCH_EN: 0
; COMPUTE_PGM_RSRC2:USER_SGPR: 6
; COMPUTE_PGM_RSRC2:TRAP_HANDLER: 0
; COMPUTE_PGM_RSRC2:TGID_X_EN: 1
; COMPUTE_PGM_RSRC2:TGID_Y_EN: 0
; COMPUTE_PGM_RSRC2:TGID_Z_EN: 0
; COMPUTE_PGM_RSRC2:TIDIG_COMP_CNT: 0
	.section	.text._ZN7rocprim17ROCPRIM_400000_NS6detail17trampoline_kernelINS0_14default_configENS1_20scan_config_selectorIN3c107complexIdEEEEZZNS1_9scan_implILNS1_25lookback_scan_determinismE0ELb0ELb0ES3_PKS7_PS7_S7_ZZZN2at6native31launch_logcumsumexp_cuda_kernelERKNSE_10TensorBaseESI_lENKUlvE_clEvENKUlvE1_clEvEUlS7_S7_E_S7_EEDaPvRmT3_T4_T5_mT6_P12ihipStream_tbENKUlT_T0_E_clISt17integral_constantIbLb1EESZ_EEDaSU_SV_EUlSU_E_NS1_11comp_targetILNS1_3genE10ELNS1_11target_archE1201ELNS1_3gpuE5ELNS1_3repE0EEENS1_30default_config_static_selectorELNS0_4arch9wavefront6targetE1EEEvT1_,"axG",@progbits,_ZN7rocprim17ROCPRIM_400000_NS6detail17trampoline_kernelINS0_14default_configENS1_20scan_config_selectorIN3c107complexIdEEEEZZNS1_9scan_implILNS1_25lookback_scan_determinismE0ELb0ELb0ES3_PKS7_PS7_S7_ZZZN2at6native31launch_logcumsumexp_cuda_kernelERKNSE_10TensorBaseESI_lENKUlvE_clEvENKUlvE1_clEvEUlS7_S7_E_S7_EEDaPvRmT3_T4_T5_mT6_P12ihipStream_tbENKUlT_T0_E_clISt17integral_constantIbLb1EESZ_EEDaSU_SV_EUlSU_E_NS1_11comp_targetILNS1_3genE10ELNS1_11target_archE1201ELNS1_3gpuE5ELNS1_3repE0EEENS1_30default_config_static_selectorELNS0_4arch9wavefront6targetE1EEEvT1_,comdat
	.globl	_ZN7rocprim17ROCPRIM_400000_NS6detail17trampoline_kernelINS0_14default_configENS1_20scan_config_selectorIN3c107complexIdEEEEZZNS1_9scan_implILNS1_25lookback_scan_determinismE0ELb0ELb0ES3_PKS7_PS7_S7_ZZZN2at6native31launch_logcumsumexp_cuda_kernelERKNSE_10TensorBaseESI_lENKUlvE_clEvENKUlvE1_clEvEUlS7_S7_E_S7_EEDaPvRmT3_T4_T5_mT6_P12ihipStream_tbENKUlT_T0_E_clISt17integral_constantIbLb1EESZ_EEDaSU_SV_EUlSU_E_NS1_11comp_targetILNS1_3genE10ELNS1_11target_archE1201ELNS1_3gpuE5ELNS1_3repE0EEENS1_30default_config_static_selectorELNS0_4arch9wavefront6targetE1EEEvT1_ ; -- Begin function _ZN7rocprim17ROCPRIM_400000_NS6detail17trampoline_kernelINS0_14default_configENS1_20scan_config_selectorIN3c107complexIdEEEEZZNS1_9scan_implILNS1_25lookback_scan_determinismE0ELb0ELb0ES3_PKS7_PS7_S7_ZZZN2at6native31launch_logcumsumexp_cuda_kernelERKNSE_10TensorBaseESI_lENKUlvE_clEvENKUlvE1_clEvEUlS7_S7_E_S7_EEDaPvRmT3_T4_T5_mT6_P12ihipStream_tbENKUlT_T0_E_clISt17integral_constantIbLb1EESZ_EEDaSU_SV_EUlSU_E_NS1_11comp_targetILNS1_3genE10ELNS1_11target_archE1201ELNS1_3gpuE5ELNS1_3repE0EEENS1_30default_config_static_selectorELNS0_4arch9wavefront6targetE1EEEvT1_
	.p2align	8
	.type	_ZN7rocprim17ROCPRIM_400000_NS6detail17trampoline_kernelINS0_14default_configENS1_20scan_config_selectorIN3c107complexIdEEEEZZNS1_9scan_implILNS1_25lookback_scan_determinismE0ELb0ELb0ES3_PKS7_PS7_S7_ZZZN2at6native31launch_logcumsumexp_cuda_kernelERKNSE_10TensorBaseESI_lENKUlvE_clEvENKUlvE1_clEvEUlS7_S7_E_S7_EEDaPvRmT3_T4_T5_mT6_P12ihipStream_tbENKUlT_T0_E_clISt17integral_constantIbLb1EESZ_EEDaSU_SV_EUlSU_E_NS1_11comp_targetILNS1_3genE10ELNS1_11target_archE1201ELNS1_3gpuE5ELNS1_3repE0EEENS1_30default_config_static_selectorELNS0_4arch9wavefront6targetE1EEEvT1_,@function
_ZN7rocprim17ROCPRIM_400000_NS6detail17trampoline_kernelINS0_14default_configENS1_20scan_config_selectorIN3c107complexIdEEEEZZNS1_9scan_implILNS1_25lookback_scan_determinismE0ELb0ELb0ES3_PKS7_PS7_S7_ZZZN2at6native31launch_logcumsumexp_cuda_kernelERKNSE_10TensorBaseESI_lENKUlvE_clEvENKUlvE1_clEvEUlS7_S7_E_S7_EEDaPvRmT3_T4_T5_mT6_P12ihipStream_tbENKUlT_T0_E_clISt17integral_constantIbLb1EESZ_EEDaSU_SV_EUlSU_E_NS1_11comp_targetILNS1_3genE10ELNS1_11target_archE1201ELNS1_3gpuE5ELNS1_3repE0EEENS1_30default_config_static_selectorELNS0_4arch9wavefront6targetE1EEEvT1_: ; @_ZN7rocprim17ROCPRIM_400000_NS6detail17trampoline_kernelINS0_14default_configENS1_20scan_config_selectorIN3c107complexIdEEEEZZNS1_9scan_implILNS1_25lookback_scan_determinismE0ELb0ELb0ES3_PKS7_PS7_S7_ZZZN2at6native31launch_logcumsumexp_cuda_kernelERKNSE_10TensorBaseESI_lENKUlvE_clEvENKUlvE1_clEvEUlS7_S7_E_S7_EEDaPvRmT3_T4_T5_mT6_P12ihipStream_tbENKUlT_T0_E_clISt17integral_constantIbLb1EESZ_EEDaSU_SV_EUlSU_E_NS1_11comp_targetILNS1_3genE10ELNS1_11target_archE1201ELNS1_3gpuE5ELNS1_3repE0EEENS1_30default_config_static_selectorELNS0_4arch9wavefront6targetE1EEEvT1_
; %bb.0:
	.section	.rodata,"a",@progbits
	.p2align	6, 0x0
	.amdhsa_kernel _ZN7rocprim17ROCPRIM_400000_NS6detail17trampoline_kernelINS0_14default_configENS1_20scan_config_selectorIN3c107complexIdEEEEZZNS1_9scan_implILNS1_25lookback_scan_determinismE0ELb0ELb0ES3_PKS7_PS7_S7_ZZZN2at6native31launch_logcumsumexp_cuda_kernelERKNSE_10TensorBaseESI_lENKUlvE_clEvENKUlvE1_clEvEUlS7_S7_E_S7_EEDaPvRmT3_T4_T5_mT6_P12ihipStream_tbENKUlT_T0_E_clISt17integral_constantIbLb1EESZ_EEDaSU_SV_EUlSU_E_NS1_11comp_targetILNS1_3genE10ELNS1_11target_archE1201ELNS1_3gpuE5ELNS1_3repE0EEENS1_30default_config_static_selectorELNS0_4arch9wavefront6targetE1EEEvT1_
		.amdhsa_group_segment_fixed_size 0
		.amdhsa_private_segment_fixed_size 0
		.amdhsa_kernarg_size 128
		.amdhsa_user_sgpr_count 6
		.amdhsa_user_sgpr_private_segment_buffer 1
		.amdhsa_user_sgpr_dispatch_ptr 0
		.amdhsa_user_sgpr_queue_ptr 0
		.amdhsa_user_sgpr_kernarg_segment_ptr 1
		.amdhsa_user_sgpr_dispatch_id 0
		.amdhsa_user_sgpr_flat_scratch_init 0
		.amdhsa_user_sgpr_private_segment_size 0
		.amdhsa_uses_dynamic_stack 0
		.amdhsa_system_sgpr_private_segment_wavefront_offset 0
		.amdhsa_system_sgpr_workgroup_id_x 1
		.amdhsa_system_sgpr_workgroup_id_y 0
		.amdhsa_system_sgpr_workgroup_id_z 0
		.amdhsa_system_sgpr_workgroup_info 0
		.amdhsa_system_vgpr_workitem_id 0
		.amdhsa_next_free_vgpr 1
		.amdhsa_next_free_sgpr 0
		.amdhsa_reserve_vcc 0
		.amdhsa_reserve_flat_scratch 0
		.amdhsa_float_round_mode_32 0
		.amdhsa_float_round_mode_16_64 0
		.amdhsa_float_denorm_mode_32 3
		.amdhsa_float_denorm_mode_16_64 3
		.amdhsa_dx10_clamp 1
		.amdhsa_ieee_mode 1
		.amdhsa_fp16_overflow 0
		.amdhsa_exception_fp_ieee_invalid_op 0
		.amdhsa_exception_fp_denorm_src 0
		.amdhsa_exception_fp_ieee_div_zero 0
		.amdhsa_exception_fp_ieee_overflow 0
		.amdhsa_exception_fp_ieee_underflow 0
		.amdhsa_exception_fp_ieee_inexact 0
		.amdhsa_exception_int_div_zero 0
	.end_amdhsa_kernel
	.section	.text._ZN7rocprim17ROCPRIM_400000_NS6detail17trampoline_kernelINS0_14default_configENS1_20scan_config_selectorIN3c107complexIdEEEEZZNS1_9scan_implILNS1_25lookback_scan_determinismE0ELb0ELb0ES3_PKS7_PS7_S7_ZZZN2at6native31launch_logcumsumexp_cuda_kernelERKNSE_10TensorBaseESI_lENKUlvE_clEvENKUlvE1_clEvEUlS7_S7_E_S7_EEDaPvRmT3_T4_T5_mT6_P12ihipStream_tbENKUlT_T0_E_clISt17integral_constantIbLb1EESZ_EEDaSU_SV_EUlSU_E_NS1_11comp_targetILNS1_3genE10ELNS1_11target_archE1201ELNS1_3gpuE5ELNS1_3repE0EEENS1_30default_config_static_selectorELNS0_4arch9wavefront6targetE1EEEvT1_,"axG",@progbits,_ZN7rocprim17ROCPRIM_400000_NS6detail17trampoline_kernelINS0_14default_configENS1_20scan_config_selectorIN3c107complexIdEEEEZZNS1_9scan_implILNS1_25lookback_scan_determinismE0ELb0ELb0ES3_PKS7_PS7_S7_ZZZN2at6native31launch_logcumsumexp_cuda_kernelERKNSE_10TensorBaseESI_lENKUlvE_clEvENKUlvE1_clEvEUlS7_S7_E_S7_EEDaPvRmT3_T4_T5_mT6_P12ihipStream_tbENKUlT_T0_E_clISt17integral_constantIbLb1EESZ_EEDaSU_SV_EUlSU_E_NS1_11comp_targetILNS1_3genE10ELNS1_11target_archE1201ELNS1_3gpuE5ELNS1_3repE0EEENS1_30default_config_static_selectorELNS0_4arch9wavefront6targetE1EEEvT1_,comdat
.Lfunc_end208:
	.size	_ZN7rocprim17ROCPRIM_400000_NS6detail17trampoline_kernelINS0_14default_configENS1_20scan_config_selectorIN3c107complexIdEEEEZZNS1_9scan_implILNS1_25lookback_scan_determinismE0ELb0ELb0ES3_PKS7_PS7_S7_ZZZN2at6native31launch_logcumsumexp_cuda_kernelERKNSE_10TensorBaseESI_lENKUlvE_clEvENKUlvE1_clEvEUlS7_S7_E_S7_EEDaPvRmT3_T4_T5_mT6_P12ihipStream_tbENKUlT_T0_E_clISt17integral_constantIbLb1EESZ_EEDaSU_SV_EUlSU_E_NS1_11comp_targetILNS1_3genE10ELNS1_11target_archE1201ELNS1_3gpuE5ELNS1_3repE0EEENS1_30default_config_static_selectorELNS0_4arch9wavefront6targetE1EEEvT1_, .Lfunc_end208-_ZN7rocprim17ROCPRIM_400000_NS6detail17trampoline_kernelINS0_14default_configENS1_20scan_config_selectorIN3c107complexIdEEEEZZNS1_9scan_implILNS1_25lookback_scan_determinismE0ELb0ELb0ES3_PKS7_PS7_S7_ZZZN2at6native31launch_logcumsumexp_cuda_kernelERKNSE_10TensorBaseESI_lENKUlvE_clEvENKUlvE1_clEvEUlS7_S7_E_S7_EEDaPvRmT3_T4_T5_mT6_P12ihipStream_tbENKUlT_T0_E_clISt17integral_constantIbLb1EESZ_EEDaSU_SV_EUlSU_E_NS1_11comp_targetILNS1_3genE10ELNS1_11target_archE1201ELNS1_3gpuE5ELNS1_3repE0EEENS1_30default_config_static_selectorELNS0_4arch9wavefront6targetE1EEEvT1_
                                        ; -- End function
	.set _ZN7rocprim17ROCPRIM_400000_NS6detail17trampoline_kernelINS0_14default_configENS1_20scan_config_selectorIN3c107complexIdEEEEZZNS1_9scan_implILNS1_25lookback_scan_determinismE0ELb0ELb0ES3_PKS7_PS7_S7_ZZZN2at6native31launch_logcumsumexp_cuda_kernelERKNSE_10TensorBaseESI_lENKUlvE_clEvENKUlvE1_clEvEUlS7_S7_E_S7_EEDaPvRmT3_T4_T5_mT6_P12ihipStream_tbENKUlT_T0_E_clISt17integral_constantIbLb1EESZ_EEDaSU_SV_EUlSU_E_NS1_11comp_targetILNS1_3genE10ELNS1_11target_archE1201ELNS1_3gpuE5ELNS1_3repE0EEENS1_30default_config_static_selectorELNS0_4arch9wavefront6targetE1EEEvT1_.num_vgpr, 0
	.set _ZN7rocprim17ROCPRIM_400000_NS6detail17trampoline_kernelINS0_14default_configENS1_20scan_config_selectorIN3c107complexIdEEEEZZNS1_9scan_implILNS1_25lookback_scan_determinismE0ELb0ELb0ES3_PKS7_PS7_S7_ZZZN2at6native31launch_logcumsumexp_cuda_kernelERKNSE_10TensorBaseESI_lENKUlvE_clEvENKUlvE1_clEvEUlS7_S7_E_S7_EEDaPvRmT3_T4_T5_mT6_P12ihipStream_tbENKUlT_T0_E_clISt17integral_constantIbLb1EESZ_EEDaSU_SV_EUlSU_E_NS1_11comp_targetILNS1_3genE10ELNS1_11target_archE1201ELNS1_3gpuE5ELNS1_3repE0EEENS1_30default_config_static_selectorELNS0_4arch9wavefront6targetE1EEEvT1_.num_agpr, 0
	.set _ZN7rocprim17ROCPRIM_400000_NS6detail17trampoline_kernelINS0_14default_configENS1_20scan_config_selectorIN3c107complexIdEEEEZZNS1_9scan_implILNS1_25lookback_scan_determinismE0ELb0ELb0ES3_PKS7_PS7_S7_ZZZN2at6native31launch_logcumsumexp_cuda_kernelERKNSE_10TensorBaseESI_lENKUlvE_clEvENKUlvE1_clEvEUlS7_S7_E_S7_EEDaPvRmT3_T4_T5_mT6_P12ihipStream_tbENKUlT_T0_E_clISt17integral_constantIbLb1EESZ_EEDaSU_SV_EUlSU_E_NS1_11comp_targetILNS1_3genE10ELNS1_11target_archE1201ELNS1_3gpuE5ELNS1_3repE0EEENS1_30default_config_static_selectorELNS0_4arch9wavefront6targetE1EEEvT1_.numbered_sgpr, 0
	.set _ZN7rocprim17ROCPRIM_400000_NS6detail17trampoline_kernelINS0_14default_configENS1_20scan_config_selectorIN3c107complexIdEEEEZZNS1_9scan_implILNS1_25lookback_scan_determinismE0ELb0ELb0ES3_PKS7_PS7_S7_ZZZN2at6native31launch_logcumsumexp_cuda_kernelERKNSE_10TensorBaseESI_lENKUlvE_clEvENKUlvE1_clEvEUlS7_S7_E_S7_EEDaPvRmT3_T4_T5_mT6_P12ihipStream_tbENKUlT_T0_E_clISt17integral_constantIbLb1EESZ_EEDaSU_SV_EUlSU_E_NS1_11comp_targetILNS1_3genE10ELNS1_11target_archE1201ELNS1_3gpuE5ELNS1_3repE0EEENS1_30default_config_static_selectorELNS0_4arch9wavefront6targetE1EEEvT1_.num_named_barrier, 0
	.set _ZN7rocprim17ROCPRIM_400000_NS6detail17trampoline_kernelINS0_14default_configENS1_20scan_config_selectorIN3c107complexIdEEEEZZNS1_9scan_implILNS1_25lookback_scan_determinismE0ELb0ELb0ES3_PKS7_PS7_S7_ZZZN2at6native31launch_logcumsumexp_cuda_kernelERKNSE_10TensorBaseESI_lENKUlvE_clEvENKUlvE1_clEvEUlS7_S7_E_S7_EEDaPvRmT3_T4_T5_mT6_P12ihipStream_tbENKUlT_T0_E_clISt17integral_constantIbLb1EESZ_EEDaSU_SV_EUlSU_E_NS1_11comp_targetILNS1_3genE10ELNS1_11target_archE1201ELNS1_3gpuE5ELNS1_3repE0EEENS1_30default_config_static_selectorELNS0_4arch9wavefront6targetE1EEEvT1_.private_seg_size, 0
	.set _ZN7rocprim17ROCPRIM_400000_NS6detail17trampoline_kernelINS0_14default_configENS1_20scan_config_selectorIN3c107complexIdEEEEZZNS1_9scan_implILNS1_25lookback_scan_determinismE0ELb0ELb0ES3_PKS7_PS7_S7_ZZZN2at6native31launch_logcumsumexp_cuda_kernelERKNSE_10TensorBaseESI_lENKUlvE_clEvENKUlvE1_clEvEUlS7_S7_E_S7_EEDaPvRmT3_T4_T5_mT6_P12ihipStream_tbENKUlT_T0_E_clISt17integral_constantIbLb1EESZ_EEDaSU_SV_EUlSU_E_NS1_11comp_targetILNS1_3genE10ELNS1_11target_archE1201ELNS1_3gpuE5ELNS1_3repE0EEENS1_30default_config_static_selectorELNS0_4arch9wavefront6targetE1EEEvT1_.uses_vcc, 0
	.set _ZN7rocprim17ROCPRIM_400000_NS6detail17trampoline_kernelINS0_14default_configENS1_20scan_config_selectorIN3c107complexIdEEEEZZNS1_9scan_implILNS1_25lookback_scan_determinismE0ELb0ELb0ES3_PKS7_PS7_S7_ZZZN2at6native31launch_logcumsumexp_cuda_kernelERKNSE_10TensorBaseESI_lENKUlvE_clEvENKUlvE1_clEvEUlS7_S7_E_S7_EEDaPvRmT3_T4_T5_mT6_P12ihipStream_tbENKUlT_T0_E_clISt17integral_constantIbLb1EESZ_EEDaSU_SV_EUlSU_E_NS1_11comp_targetILNS1_3genE10ELNS1_11target_archE1201ELNS1_3gpuE5ELNS1_3repE0EEENS1_30default_config_static_selectorELNS0_4arch9wavefront6targetE1EEEvT1_.uses_flat_scratch, 0
	.set _ZN7rocprim17ROCPRIM_400000_NS6detail17trampoline_kernelINS0_14default_configENS1_20scan_config_selectorIN3c107complexIdEEEEZZNS1_9scan_implILNS1_25lookback_scan_determinismE0ELb0ELb0ES3_PKS7_PS7_S7_ZZZN2at6native31launch_logcumsumexp_cuda_kernelERKNSE_10TensorBaseESI_lENKUlvE_clEvENKUlvE1_clEvEUlS7_S7_E_S7_EEDaPvRmT3_T4_T5_mT6_P12ihipStream_tbENKUlT_T0_E_clISt17integral_constantIbLb1EESZ_EEDaSU_SV_EUlSU_E_NS1_11comp_targetILNS1_3genE10ELNS1_11target_archE1201ELNS1_3gpuE5ELNS1_3repE0EEENS1_30default_config_static_selectorELNS0_4arch9wavefront6targetE1EEEvT1_.has_dyn_sized_stack, 0
	.set _ZN7rocprim17ROCPRIM_400000_NS6detail17trampoline_kernelINS0_14default_configENS1_20scan_config_selectorIN3c107complexIdEEEEZZNS1_9scan_implILNS1_25lookback_scan_determinismE0ELb0ELb0ES3_PKS7_PS7_S7_ZZZN2at6native31launch_logcumsumexp_cuda_kernelERKNSE_10TensorBaseESI_lENKUlvE_clEvENKUlvE1_clEvEUlS7_S7_E_S7_EEDaPvRmT3_T4_T5_mT6_P12ihipStream_tbENKUlT_T0_E_clISt17integral_constantIbLb1EESZ_EEDaSU_SV_EUlSU_E_NS1_11comp_targetILNS1_3genE10ELNS1_11target_archE1201ELNS1_3gpuE5ELNS1_3repE0EEENS1_30default_config_static_selectorELNS0_4arch9wavefront6targetE1EEEvT1_.has_recursion, 0
	.set _ZN7rocprim17ROCPRIM_400000_NS6detail17trampoline_kernelINS0_14default_configENS1_20scan_config_selectorIN3c107complexIdEEEEZZNS1_9scan_implILNS1_25lookback_scan_determinismE0ELb0ELb0ES3_PKS7_PS7_S7_ZZZN2at6native31launch_logcumsumexp_cuda_kernelERKNSE_10TensorBaseESI_lENKUlvE_clEvENKUlvE1_clEvEUlS7_S7_E_S7_EEDaPvRmT3_T4_T5_mT6_P12ihipStream_tbENKUlT_T0_E_clISt17integral_constantIbLb1EESZ_EEDaSU_SV_EUlSU_E_NS1_11comp_targetILNS1_3genE10ELNS1_11target_archE1201ELNS1_3gpuE5ELNS1_3repE0EEENS1_30default_config_static_selectorELNS0_4arch9wavefront6targetE1EEEvT1_.has_indirect_call, 0
	.section	.AMDGPU.csdata,"",@progbits
; Kernel info:
; codeLenInByte = 0
; TotalNumSgprs: 4
; NumVgprs: 0
; ScratchSize: 0
; MemoryBound: 0
; FloatMode: 240
; IeeeMode: 1
; LDSByteSize: 0 bytes/workgroup (compile time only)
; SGPRBlocks: 0
; VGPRBlocks: 0
; NumSGPRsForWavesPerEU: 4
; NumVGPRsForWavesPerEU: 1
; Occupancy: 10
; WaveLimiterHint : 0
; COMPUTE_PGM_RSRC2:SCRATCH_EN: 0
; COMPUTE_PGM_RSRC2:USER_SGPR: 6
; COMPUTE_PGM_RSRC2:TRAP_HANDLER: 0
; COMPUTE_PGM_RSRC2:TGID_X_EN: 1
; COMPUTE_PGM_RSRC2:TGID_Y_EN: 0
; COMPUTE_PGM_RSRC2:TGID_Z_EN: 0
; COMPUTE_PGM_RSRC2:TIDIG_COMP_CNT: 0
	.section	.text._ZN7rocprim17ROCPRIM_400000_NS6detail17trampoline_kernelINS0_14default_configENS1_20scan_config_selectorIN3c107complexIdEEEEZZNS1_9scan_implILNS1_25lookback_scan_determinismE0ELb0ELb0ES3_PKS7_PS7_S7_ZZZN2at6native31launch_logcumsumexp_cuda_kernelERKNSE_10TensorBaseESI_lENKUlvE_clEvENKUlvE1_clEvEUlS7_S7_E_S7_EEDaPvRmT3_T4_T5_mT6_P12ihipStream_tbENKUlT_T0_E_clISt17integral_constantIbLb1EESZ_EEDaSU_SV_EUlSU_E_NS1_11comp_targetILNS1_3genE10ELNS1_11target_archE1200ELNS1_3gpuE4ELNS1_3repE0EEENS1_30default_config_static_selectorELNS0_4arch9wavefront6targetE1EEEvT1_,"axG",@progbits,_ZN7rocprim17ROCPRIM_400000_NS6detail17trampoline_kernelINS0_14default_configENS1_20scan_config_selectorIN3c107complexIdEEEEZZNS1_9scan_implILNS1_25lookback_scan_determinismE0ELb0ELb0ES3_PKS7_PS7_S7_ZZZN2at6native31launch_logcumsumexp_cuda_kernelERKNSE_10TensorBaseESI_lENKUlvE_clEvENKUlvE1_clEvEUlS7_S7_E_S7_EEDaPvRmT3_T4_T5_mT6_P12ihipStream_tbENKUlT_T0_E_clISt17integral_constantIbLb1EESZ_EEDaSU_SV_EUlSU_E_NS1_11comp_targetILNS1_3genE10ELNS1_11target_archE1200ELNS1_3gpuE4ELNS1_3repE0EEENS1_30default_config_static_selectorELNS0_4arch9wavefront6targetE1EEEvT1_,comdat
	.globl	_ZN7rocprim17ROCPRIM_400000_NS6detail17trampoline_kernelINS0_14default_configENS1_20scan_config_selectorIN3c107complexIdEEEEZZNS1_9scan_implILNS1_25lookback_scan_determinismE0ELb0ELb0ES3_PKS7_PS7_S7_ZZZN2at6native31launch_logcumsumexp_cuda_kernelERKNSE_10TensorBaseESI_lENKUlvE_clEvENKUlvE1_clEvEUlS7_S7_E_S7_EEDaPvRmT3_T4_T5_mT6_P12ihipStream_tbENKUlT_T0_E_clISt17integral_constantIbLb1EESZ_EEDaSU_SV_EUlSU_E_NS1_11comp_targetILNS1_3genE10ELNS1_11target_archE1200ELNS1_3gpuE4ELNS1_3repE0EEENS1_30default_config_static_selectorELNS0_4arch9wavefront6targetE1EEEvT1_ ; -- Begin function _ZN7rocprim17ROCPRIM_400000_NS6detail17trampoline_kernelINS0_14default_configENS1_20scan_config_selectorIN3c107complexIdEEEEZZNS1_9scan_implILNS1_25lookback_scan_determinismE0ELb0ELb0ES3_PKS7_PS7_S7_ZZZN2at6native31launch_logcumsumexp_cuda_kernelERKNSE_10TensorBaseESI_lENKUlvE_clEvENKUlvE1_clEvEUlS7_S7_E_S7_EEDaPvRmT3_T4_T5_mT6_P12ihipStream_tbENKUlT_T0_E_clISt17integral_constantIbLb1EESZ_EEDaSU_SV_EUlSU_E_NS1_11comp_targetILNS1_3genE10ELNS1_11target_archE1200ELNS1_3gpuE4ELNS1_3repE0EEENS1_30default_config_static_selectorELNS0_4arch9wavefront6targetE1EEEvT1_
	.p2align	8
	.type	_ZN7rocprim17ROCPRIM_400000_NS6detail17trampoline_kernelINS0_14default_configENS1_20scan_config_selectorIN3c107complexIdEEEEZZNS1_9scan_implILNS1_25lookback_scan_determinismE0ELb0ELb0ES3_PKS7_PS7_S7_ZZZN2at6native31launch_logcumsumexp_cuda_kernelERKNSE_10TensorBaseESI_lENKUlvE_clEvENKUlvE1_clEvEUlS7_S7_E_S7_EEDaPvRmT3_T4_T5_mT6_P12ihipStream_tbENKUlT_T0_E_clISt17integral_constantIbLb1EESZ_EEDaSU_SV_EUlSU_E_NS1_11comp_targetILNS1_3genE10ELNS1_11target_archE1200ELNS1_3gpuE4ELNS1_3repE0EEENS1_30default_config_static_selectorELNS0_4arch9wavefront6targetE1EEEvT1_,@function
_ZN7rocprim17ROCPRIM_400000_NS6detail17trampoline_kernelINS0_14default_configENS1_20scan_config_selectorIN3c107complexIdEEEEZZNS1_9scan_implILNS1_25lookback_scan_determinismE0ELb0ELb0ES3_PKS7_PS7_S7_ZZZN2at6native31launch_logcumsumexp_cuda_kernelERKNSE_10TensorBaseESI_lENKUlvE_clEvENKUlvE1_clEvEUlS7_S7_E_S7_EEDaPvRmT3_T4_T5_mT6_P12ihipStream_tbENKUlT_T0_E_clISt17integral_constantIbLb1EESZ_EEDaSU_SV_EUlSU_E_NS1_11comp_targetILNS1_3genE10ELNS1_11target_archE1200ELNS1_3gpuE4ELNS1_3repE0EEENS1_30default_config_static_selectorELNS0_4arch9wavefront6targetE1EEEvT1_: ; @_ZN7rocprim17ROCPRIM_400000_NS6detail17trampoline_kernelINS0_14default_configENS1_20scan_config_selectorIN3c107complexIdEEEEZZNS1_9scan_implILNS1_25lookback_scan_determinismE0ELb0ELb0ES3_PKS7_PS7_S7_ZZZN2at6native31launch_logcumsumexp_cuda_kernelERKNSE_10TensorBaseESI_lENKUlvE_clEvENKUlvE1_clEvEUlS7_S7_E_S7_EEDaPvRmT3_T4_T5_mT6_P12ihipStream_tbENKUlT_T0_E_clISt17integral_constantIbLb1EESZ_EEDaSU_SV_EUlSU_E_NS1_11comp_targetILNS1_3genE10ELNS1_11target_archE1200ELNS1_3gpuE4ELNS1_3repE0EEENS1_30default_config_static_selectorELNS0_4arch9wavefront6targetE1EEEvT1_
; %bb.0:
	.section	.rodata,"a",@progbits
	.p2align	6, 0x0
	.amdhsa_kernel _ZN7rocprim17ROCPRIM_400000_NS6detail17trampoline_kernelINS0_14default_configENS1_20scan_config_selectorIN3c107complexIdEEEEZZNS1_9scan_implILNS1_25lookback_scan_determinismE0ELb0ELb0ES3_PKS7_PS7_S7_ZZZN2at6native31launch_logcumsumexp_cuda_kernelERKNSE_10TensorBaseESI_lENKUlvE_clEvENKUlvE1_clEvEUlS7_S7_E_S7_EEDaPvRmT3_T4_T5_mT6_P12ihipStream_tbENKUlT_T0_E_clISt17integral_constantIbLb1EESZ_EEDaSU_SV_EUlSU_E_NS1_11comp_targetILNS1_3genE10ELNS1_11target_archE1200ELNS1_3gpuE4ELNS1_3repE0EEENS1_30default_config_static_selectorELNS0_4arch9wavefront6targetE1EEEvT1_
		.amdhsa_group_segment_fixed_size 0
		.amdhsa_private_segment_fixed_size 0
		.amdhsa_kernarg_size 128
		.amdhsa_user_sgpr_count 6
		.amdhsa_user_sgpr_private_segment_buffer 1
		.amdhsa_user_sgpr_dispatch_ptr 0
		.amdhsa_user_sgpr_queue_ptr 0
		.amdhsa_user_sgpr_kernarg_segment_ptr 1
		.amdhsa_user_sgpr_dispatch_id 0
		.amdhsa_user_sgpr_flat_scratch_init 0
		.amdhsa_user_sgpr_private_segment_size 0
		.amdhsa_uses_dynamic_stack 0
		.amdhsa_system_sgpr_private_segment_wavefront_offset 0
		.amdhsa_system_sgpr_workgroup_id_x 1
		.amdhsa_system_sgpr_workgroup_id_y 0
		.amdhsa_system_sgpr_workgroup_id_z 0
		.amdhsa_system_sgpr_workgroup_info 0
		.amdhsa_system_vgpr_workitem_id 0
		.amdhsa_next_free_vgpr 1
		.amdhsa_next_free_sgpr 0
		.amdhsa_reserve_vcc 0
		.amdhsa_reserve_flat_scratch 0
		.amdhsa_float_round_mode_32 0
		.amdhsa_float_round_mode_16_64 0
		.amdhsa_float_denorm_mode_32 3
		.amdhsa_float_denorm_mode_16_64 3
		.amdhsa_dx10_clamp 1
		.amdhsa_ieee_mode 1
		.amdhsa_fp16_overflow 0
		.amdhsa_exception_fp_ieee_invalid_op 0
		.amdhsa_exception_fp_denorm_src 0
		.amdhsa_exception_fp_ieee_div_zero 0
		.amdhsa_exception_fp_ieee_overflow 0
		.amdhsa_exception_fp_ieee_underflow 0
		.amdhsa_exception_fp_ieee_inexact 0
		.amdhsa_exception_int_div_zero 0
	.end_amdhsa_kernel
	.section	.text._ZN7rocprim17ROCPRIM_400000_NS6detail17trampoline_kernelINS0_14default_configENS1_20scan_config_selectorIN3c107complexIdEEEEZZNS1_9scan_implILNS1_25lookback_scan_determinismE0ELb0ELb0ES3_PKS7_PS7_S7_ZZZN2at6native31launch_logcumsumexp_cuda_kernelERKNSE_10TensorBaseESI_lENKUlvE_clEvENKUlvE1_clEvEUlS7_S7_E_S7_EEDaPvRmT3_T4_T5_mT6_P12ihipStream_tbENKUlT_T0_E_clISt17integral_constantIbLb1EESZ_EEDaSU_SV_EUlSU_E_NS1_11comp_targetILNS1_3genE10ELNS1_11target_archE1200ELNS1_3gpuE4ELNS1_3repE0EEENS1_30default_config_static_selectorELNS0_4arch9wavefront6targetE1EEEvT1_,"axG",@progbits,_ZN7rocprim17ROCPRIM_400000_NS6detail17trampoline_kernelINS0_14default_configENS1_20scan_config_selectorIN3c107complexIdEEEEZZNS1_9scan_implILNS1_25lookback_scan_determinismE0ELb0ELb0ES3_PKS7_PS7_S7_ZZZN2at6native31launch_logcumsumexp_cuda_kernelERKNSE_10TensorBaseESI_lENKUlvE_clEvENKUlvE1_clEvEUlS7_S7_E_S7_EEDaPvRmT3_T4_T5_mT6_P12ihipStream_tbENKUlT_T0_E_clISt17integral_constantIbLb1EESZ_EEDaSU_SV_EUlSU_E_NS1_11comp_targetILNS1_3genE10ELNS1_11target_archE1200ELNS1_3gpuE4ELNS1_3repE0EEENS1_30default_config_static_selectorELNS0_4arch9wavefront6targetE1EEEvT1_,comdat
.Lfunc_end209:
	.size	_ZN7rocprim17ROCPRIM_400000_NS6detail17trampoline_kernelINS0_14default_configENS1_20scan_config_selectorIN3c107complexIdEEEEZZNS1_9scan_implILNS1_25lookback_scan_determinismE0ELb0ELb0ES3_PKS7_PS7_S7_ZZZN2at6native31launch_logcumsumexp_cuda_kernelERKNSE_10TensorBaseESI_lENKUlvE_clEvENKUlvE1_clEvEUlS7_S7_E_S7_EEDaPvRmT3_T4_T5_mT6_P12ihipStream_tbENKUlT_T0_E_clISt17integral_constantIbLb1EESZ_EEDaSU_SV_EUlSU_E_NS1_11comp_targetILNS1_3genE10ELNS1_11target_archE1200ELNS1_3gpuE4ELNS1_3repE0EEENS1_30default_config_static_selectorELNS0_4arch9wavefront6targetE1EEEvT1_, .Lfunc_end209-_ZN7rocprim17ROCPRIM_400000_NS6detail17trampoline_kernelINS0_14default_configENS1_20scan_config_selectorIN3c107complexIdEEEEZZNS1_9scan_implILNS1_25lookback_scan_determinismE0ELb0ELb0ES3_PKS7_PS7_S7_ZZZN2at6native31launch_logcumsumexp_cuda_kernelERKNSE_10TensorBaseESI_lENKUlvE_clEvENKUlvE1_clEvEUlS7_S7_E_S7_EEDaPvRmT3_T4_T5_mT6_P12ihipStream_tbENKUlT_T0_E_clISt17integral_constantIbLb1EESZ_EEDaSU_SV_EUlSU_E_NS1_11comp_targetILNS1_3genE10ELNS1_11target_archE1200ELNS1_3gpuE4ELNS1_3repE0EEENS1_30default_config_static_selectorELNS0_4arch9wavefront6targetE1EEEvT1_
                                        ; -- End function
	.set _ZN7rocprim17ROCPRIM_400000_NS6detail17trampoline_kernelINS0_14default_configENS1_20scan_config_selectorIN3c107complexIdEEEEZZNS1_9scan_implILNS1_25lookback_scan_determinismE0ELb0ELb0ES3_PKS7_PS7_S7_ZZZN2at6native31launch_logcumsumexp_cuda_kernelERKNSE_10TensorBaseESI_lENKUlvE_clEvENKUlvE1_clEvEUlS7_S7_E_S7_EEDaPvRmT3_T4_T5_mT6_P12ihipStream_tbENKUlT_T0_E_clISt17integral_constantIbLb1EESZ_EEDaSU_SV_EUlSU_E_NS1_11comp_targetILNS1_3genE10ELNS1_11target_archE1200ELNS1_3gpuE4ELNS1_3repE0EEENS1_30default_config_static_selectorELNS0_4arch9wavefront6targetE1EEEvT1_.num_vgpr, 0
	.set _ZN7rocprim17ROCPRIM_400000_NS6detail17trampoline_kernelINS0_14default_configENS1_20scan_config_selectorIN3c107complexIdEEEEZZNS1_9scan_implILNS1_25lookback_scan_determinismE0ELb0ELb0ES3_PKS7_PS7_S7_ZZZN2at6native31launch_logcumsumexp_cuda_kernelERKNSE_10TensorBaseESI_lENKUlvE_clEvENKUlvE1_clEvEUlS7_S7_E_S7_EEDaPvRmT3_T4_T5_mT6_P12ihipStream_tbENKUlT_T0_E_clISt17integral_constantIbLb1EESZ_EEDaSU_SV_EUlSU_E_NS1_11comp_targetILNS1_3genE10ELNS1_11target_archE1200ELNS1_3gpuE4ELNS1_3repE0EEENS1_30default_config_static_selectorELNS0_4arch9wavefront6targetE1EEEvT1_.num_agpr, 0
	.set _ZN7rocprim17ROCPRIM_400000_NS6detail17trampoline_kernelINS0_14default_configENS1_20scan_config_selectorIN3c107complexIdEEEEZZNS1_9scan_implILNS1_25lookback_scan_determinismE0ELb0ELb0ES3_PKS7_PS7_S7_ZZZN2at6native31launch_logcumsumexp_cuda_kernelERKNSE_10TensorBaseESI_lENKUlvE_clEvENKUlvE1_clEvEUlS7_S7_E_S7_EEDaPvRmT3_T4_T5_mT6_P12ihipStream_tbENKUlT_T0_E_clISt17integral_constantIbLb1EESZ_EEDaSU_SV_EUlSU_E_NS1_11comp_targetILNS1_3genE10ELNS1_11target_archE1200ELNS1_3gpuE4ELNS1_3repE0EEENS1_30default_config_static_selectorELNS0_4arch9wavefront6targetE1EEEvT1_.numbered_sgpr, 0
	.set _ZN7rocprim17ROCPRIM_400000_NS6detail17trampoline_kernelINS0_14default_configENS1_20scan_config_selectorIN3c107complexIdEEEEZZNS1_9scan_implILNS1_25lookback_scan_determinismE0ELb0ELb0ES3_PKS7_PS7_S7_ZZZN2at6native31launch_logcumsumexp_cuda_kernelERKNSE_10TensorBaseESI_lENKUlvE_clEvENKUlvE1_clEvEUlS7_S7_E_S7_EEDaPvRmT3_T4_T5_mT6_P12ihipStream_tbENKUlT_T0_E_clISt17integral_constantIbLb1EESZ_EEDaSU_SV_EUlSU_E_NS1_11comp_targetILNS1_3genE10ELNS1_11target_archE1200ELNS1_3gpuE4ELNS1_3repE0EEENS1_30default_config_static_selectorELNS0_4arch9wavefront6targetE1EEEvT1_.num_named_barrier, 0
	.set _ZN7rocprim17ROCPRIM_400000_NS6detail17trampoline_kernelINS0_14default_configENS1_20scan_config_selectorIN3c107complexIdEEEEZZNS1_9scan_implILNS1_25lookback_scan_determinismE0ELb0ELb0ES3_PKS7_PS7_S7_ZZZN2at6native31launch_logcumsumexp_cuda_kernelERKNSE_10TensorBaseESI_lENKUlvE_clEvENKUlvE1_clEvEUlS7_S7_E_S7_EEDaPvRmT3_T4_T5_mT6_P12ihipStream_tbENKUlT_T0_E_clISt17integral_constantIbLb1EESZ_EEDaSU_SV_EUlSU_E_NS1_11comp_targetILNS1_3genE10ELNS1_11target_archE1200ELNS1_3gpuE4ELNS1_3repE0EEENS1_30default_config_static_selectorELNS0_4arch9wavefront6targetE1EEEvT1_.private_seg_size, 0
	.set _ZN7rocprim17ROCPRIM_400000_NS6detail17trampoline_kernelINS0_14default_configENS1_20scan_config_selectorIN3c107complexIdEEEEZZNS1_9scan_implILNS1_25lookback_scan_determinismE0ELb0ELb0ES3_PKS7_PS7_S7_ZZZN2at6native31launch_logcumsumexp_cuda_kernelERKNSE_10TensorBaseESI_lENKUlvE_clEvENKUlvE1_clEvEUlS7_S7_E_S7_EEDaPvRmT3_T4_T5_mT6_P12ihipStream_tbENKUlT_T0_E_clISt17integral_constantIbLb1EESZ_EEDaSU_SV_EUlSU_E_NS1_11comp_targetILNS1_3genE10ELNS1_11target_archE1200ELNS1_3gpuE4ELNS1_3repE0EEENS1_30default_config_static_selectorELNS0_4arch9wavefront6targetE1EEEvT1_.uses_vcc, 0
	.set _ZN7rocprim17ROCPRIM_400000_NS6detail17trampoline_kernelINS0_14default_configENS1_20scan_config_selectorIN3c107complexIdEEEEZZNS1_9scan_implILNS1_25lookback_scan_determinismE0ELb0ELb0ES3_PKS7_PS7_S7_ZZZN2at6native31launch_logcumsumexp_cuda_kernelERKNSE_10TensorBaseESI_lENKUlvE_clEvENKUlvE1_clEvEUlS7_S7_E_S7_EEDaPvRmT3_T4_T5_mT6_P12ihipStream_tbENKUlT_T0_E_clISt17integral_constantIbLb1EESZ_EEDaSU_SV_EUlSU_E_NS1_11comp_targetILNS1_3genE10ELNS1_11target_archE1200ELNS1_3gpuE4ELNS1_3repE0EEENS1_30default_config_static_selectorELNS0_4arch9wavefront6targetE1EEEvT1_.uses_flat_scratch, 0
	.set _ZN7rocprim17ROCPRIM_400000_NS6detail17trampoline_kernelINS0_14default_configENS1_20scan_config_selectorIN3c107complexIdEEEEZZNS1_9scan_implILNS1_25lookback_scan_determinismE0ELb0ELb0ES3_PKS7_PS7_S7_ZZZN2at6native31launch_logcumsumexp_cuda_kernelERKNSE_10TensorBaseESI_lENKUlvE_clEvENKUlvE1_clEvEUlS7_S7_E_S7_EEDaPvRmT3_T4_T5_mT6_P12ihipStream_tbENKUlT_T0_E_clISt17integral_constantIbLb1EESZ_EEDaSU_SV_EUlSU_E_NS1_11comp_targetILNS1_3genE10ELNS1_11target_archE1200ELNS1_3gpuE4ELNS1_3repE0EEENS1_30default_config_static_selectorELNS0_4arch9wavefront6targetE1EEEvT1_.has_dyn_sized_stack, 0
	.set _ZN7rocprim17ROCPRIM_400000_NS6detail17trampoline_kernelINS0_14default_configENS1_20scan_config_selectorIN3c107complexIdEEEEZZNS1_9scan_implILNS1_25lookback_scan_determinismE0ELb0ELb0ES3_PKS7_PS7_S7_ZZZN2at6native31launch_logcumsumexp_cuda_kernelERKNSE_10TensorBaseESI_lENKUlvE_clEvENKUlvE1_clEvEUlS7_S7_E_S7_EEDaPvRmT3_T4_T5_mT6_P12ihipStream_tbENKUlT_T0_E_clISt17integral_constantIbLb1EESZ_EEDaSU_SV_EUlSU_E_NS1_11comp_targetILNS1_3genE10ELNS1_11target_archE1200ELNS1_3gpuE4ELNS1_3repE0EEENS1_30default_config_static_selectorELNS0_4arch9wavefront6targetE1EEEvT1_.has_recursion, 0
	.set _ZN7rocprim17ROCPRIM_400000_NS6detail17trampoline_kernelINS0_14default_configENS1_20scan_config_selectorIN3c107complexIdEEEEZZNS1_9scan_implILNS1_25lookback_scan_determinismE0ELb0ELb0ES3_PKS7_PS7_S7_ZZZN2at6native31launch_logcumsumexp_cuda_kernelERKNSE_10TensorBaseESI_lENKUlvE_clEvENKUlvE1_clEvEUlS7_S7_E_S7_EEDaPvRmT3_T4_T5_mT6_P12ihipStream_tbENKUlT_T0_E_clISt17integral_constantIbLb1EESZ_EEDaSU_SV_EUlSU_E_NS1_11comp_targetILNS1_3genE10ELNS1_11target_archE1200ELNS1_3gpuE4ELNS1_3repE0EEENS1_30default_config_static_selectorELNS0_4arch9wavefront6targetE1EEEvT1_.has_indirect_call, 0
	.section	.AMDGPU.csdata,"",@progbits
; Kernel info:
; codeLenInByte = 0
; TotalNumSgprs: 4
; NumVgprs: 0
; ScratchSize: 0
; MemoryBound: 0
; FloatMode: 240
; IeeeMode: 1
; LDSByteSize: 0 bytes/workgroup (compile time only)
; SGPRBlocks: 0
; VGPRBlocks: 0
; NumSGPRsForWavesPerEU: 4
; NumVGPRsForWavesPerEU: 1
; Occupancy: 10
; WaveLimiterHint : 0
; COMPUTE_PGM_RSRC2:SCRATCH_EN: 0
; COMPUTE_PGM_RSRC2:USER_SGPR: 6
; COMPUTE_PGM_RSRC2:TRAP_HANDLER: 0
; COMPUTE_PGM_RSRC2:TGID_X_EN: 1
; COMPUTE_PGM_RSRC2:TGID_Y_EN: 0
; COMPUTE_PGM_RSRC2:TGID_Z_EN: 0
; COMPUTE_PGM_RSRC2:TIDIG_COMP_CNT: 0
	.section	.text._ZN7rocprim17ROCPRIM_400000_NS6detail17trampoline_kernelINS0_14default_configENS1_20scan_config_selectorIN3c107complexIdEEEEZZNS1_9scan_implILNS1_25lookback_scan_determinismE0ELb0ELb0ES3_PKS7_PS7_S7_ZZZN2at6native31launch_logcumsumexp_cuda_kernelERKNSE_10TensorBaseESI_lENKUlvE_clEvENKUlvE1_clEvEUlS7_S7_E_S7_EEDaPvRmT3_T4_T5_mT6_P12ihipStream_tbENKUlT_T0_E_clISt17integral_constantIbLb1EESZ_EEDaSU_SV_EUlSU_E_NS1_11comp_targetILNS1_3genE9ELNS1_11target_archE1100ELNS1_3gpuE3ELNS1_3repE0EEENS1_30default_config_static_selectorELNS0_4arch9wavefront6targetE1EEEvT1_,"axG",@progbits,_ZN7rocprim17ROCPRIM_400000_NS6detail17trampoline_kernelINS0_14default_configENS1_20scan_config_selectorIN3c107complexIdEEEEZZNS1_9scan_implILNS1_25lookback_scan_determinismE0ELb0ELb0ES3_PKS7_PS7_S7_ZZZN2at6native31launch_logcumsumexp_cuda_kernelERKNSE_10TensorBaseESI_lENKUlvE_clEvENKUlvE1_clEvEUlS7_S7_E_S7_EEDaPvRmT3_T4_T5_mT6_P12ihipStream_tbENKUlT_T0_E_clISt17integral_constantIbLb1EESZ_EEDaSU_SV_EUlSU_E_NS1_11comp_targetILNS1_3genE9ELNS1_11target_archE1100ELNS1_3gpuE3ELNS1_3repE0EEENS1_30default_config_static_selectorELNS0_4arch9wavefront6targetE1EEEvT1_,comdat
	.globl	_ZN7rocprim17ROCPRIM_400000_NS6detail17trampoline_kernelINS0_14default_configENS1_20scan_config_selectorIN3c107complexIdEEEEZZNS1_9scan_implILNS1_25lookback_scan_determinismE0ELb0ELb0ES3_PKS7_PS7_S7_ZZZN2at6native31launch_logcumsumexp_cuda_kernelERKNSE_10TensorBaseESI_lENKUlvE_clEvENKUlvE1_clEvEUlS7_S7_E_S7_EEDaPvRmT3_T4_T5_mT6_P12ihipStream_tbENKUlT_T0_E_clISt17integral_constantIbLb1EESZ_EEDaSU_SV_EUlSU_E_NS1_11comp_targetILNS1_3genE9ELNS1_11target_archE1100ELNS1_3gpuE3ELNS1_3repE0EEENS1_30default_config_static_selectorELNS0_4arch9wavefront6targetE1EEEvT1_ ; -- Begin function _ZN7rocprim17ROCPRIM_400000_NS6detail17trampoline_kernelINS0_14default_configENS1_20scan_config_selectorIN3c107complexIdEEEEZZNS1_9scan_implILNS1_25lookback_scan_determinismE0ELb0ELb0ES3_PKS7_PS7_S7_ZZZN2at6native31launch_logcumsumexp_cuda_kernelERKNSE_10TensorBaseESI_lENKUlvE_clEvENKUlvE1_clEvEUlS7_S7_E_S7_EEDaPvRmT3_T4_T5_mT6_P12ihipStream_tbENKUlT_T0_E_clISt17integral_constantIbLb1EESZ_EEDaSU_SV_EUlSU_E_NS1_11comp_targetILNS1_3genE9ELNS1_11target_archE1100ELNS1_3gpuE3ELNS1_3repE0EEENS1_30default_config_static_selectorELNS0_4arch9wavefront6targetE1EEEvT1_
	.p2align	8
	.type	_ZN7rocprim17ROCPRIM_400000_NS6detail17trampoline_kernelINS0_14default_configENS1_20scan_config_selectorIN3c107complexIdEEEEZZNS1_9scan_implILNS1_25lookback_scan_determinismE0ELb0ELb0ES3_PKS7_PS7_S7_ZZZN2at6native31launch_logcumsumexp_cuda_kernelERKNSE_10TensorBaseESI_lENKUlvE_clEvENKUlvE1_clEvEUlS7_S7_E_S7_EEDaPvRmT3_T4_T5_mT6_P12ihipStream_tbENKUlT_T0_E_clISt17integral_constantIbLb1EESZ_EEDaSU_SV_EUlSU_E_NS1_11comp_targetILNS1_3genE9ELNS1_11target_archE1100ELNS1_3gpuE3ELNS1_3repE0EEENS1_30default_config_static_selectorELNS0_4arch9wavefront6targetE1EEEvT1_,@function
_ZN7rocprim17ROCPRIM_400000_NS6detail17trampoline_kernelINS0_14default_configENS1_20scan_config_selectorIN3c107complexIdEEEEZZNS1_9scan_implILNS1_25lookback_scan_determinismE0ELb0ELb0ES3_PKS7_PS7_S7_ZZZN2at6native31launch_logcumsumexp_cuda_kernelERKNSE_10TensorBaseESI_lENKUlvE_clEvENKUlvE1_clEvEUlS7_S7_E_S7_EEDaPvRmT3_T4_T5_mT6_P12ihipStream_tbENKUlT_T0_E_clISt17integral_constantIbLb1EESZ_EEDaSU_SV_EUlSU_E_NS1_11comp_targetILNS1_3genE9ELNS1_11target_archE1100ELNS1_3gpuE3ELNS1_3repE0EEENS1_30default_config_static_selectorELNS0_4arch9wavefront6targetE1EEEvT1_: ; @_ZN7rocprim17ROCPRIM_400000_NS6detail17trampoline_kernelINS0_14default_configENS1_20scan_config_selectorIN3c107complexIdEEEEZZNS1_9scan_implILNS1_25lookback_scan_determinismE0ELb0ELb0ES3_PKS7_PS7_S7_ZZZN2at6native31launch_logcumsumexp_cuda_kernelERKNSE_10TensorBaseESI_lENKUlvE_clEvENKUlvE1_clEvEUlS7_S7_E_S7_EEDaPvRmT3_T4_T5_mT6_P12ihipStream_tbENKUlT_T0_E_clISt17integral_constantIbLb1EESZ_EEDaSU_SV_EUlSU_E_NS1_11comp_targetILNS1_3genE9ELNS1_11target_archE1100ELNS1_3gpuE3ELNS1_3repE0EEENS1_30default_config_static_selectorELNS0_4arch9wavefront6targetE1EEEvT1_
; %bb.0:
	.section	.rodata,"a",@progbits
	.p2align	6, 0x0
	.amdhsa_kernel _ZN7rocprim17ROCPRIM_400000_NS6detail17trampoline_kernelINS0_14default_configENS1_20scan_config_selectorIN3c107complexIdEEEEZZNS1_9scan_implILNS1_25lookback_scan_determinismE0ELb0ELb0ES3_PKS7_PS7_S7_ZZZN2at6native31launch_logcumsumexp_cuda_kernelERKNSE_10TensorBaseESI_lENKUlvE_clEvENKUlvE1_clEvEUlS7_S7_E_S7_EEDaPvRmT3_T4_T5_mT6_P12ihipStream_tbENKUlT_T0_E_clISt17integral_constantIbLb1EESZ_EEDaSU_SV_EUlSU_E_NS1_11comp_targetILNS1_3genE9ELNS1_11target_archE1100ELNS1_3gpuE3ELNS1_3repE0EEENS1_30default_config_static_selectorELNS0_4arch9wavefront6targetE1EEEvT1_
		.amdhsa_group_segment_fixed_size 0
		.amdhsa_private_segment_fixed_size 0
		.amdhsa_kernarg_size 128
		.amdhsa_user_sgpr_count 6
		.amdhsa_user_sgpr_private_segment_buffer 1
		.amdhsa_user_sgpr_dispatch_ptr 0
		.amdhsa_user_sgpr_queue_ptr 0
		.amdhsa_user_sgpr_kernarg_segment_ptr 1
		.amdhsa_user_sgpr_dispatch_id 0
		.amdhsa_user_sgpr_flat_scratch_init 0
		.amdhsa_user_sgpr_private_segment_size 0
		.amdhsa_uses_dynamic_stack 0
		.amdhsa_system_sgpr_private_segment_wavefront_offset 0
		.amdhsa_system_sgpr_workgroup_id_x 1
		.amdhsa_system_sgpr_workgroup_id_y 0
		.amdhsa_system_sgpr_workgroup_id_z 0
		.amdhsa_system_sgpr_workgroup_info 0
		.amdhsa_system_vgpr_workitem_id 0
		.amdhsa_next_free_vgpr 1
		.amdhsa_next_free_sgpr 0
		.amdhsa_reserve_vcc 0
		.amdhsa_reserve_flat_scratch 0
		.amdhsa_float_round_mode_32 0
		.amdhsa_float_round_mode_16_64 0
		.amdhsa_float_denorm_mode_32 3
		.amdhsa_float_denorm_mode_16_64 3
		.amdhsa_dx10_clamp 1
		.amdhsa_ieee_mode 1
		.amdhsa_fp16_overflow 0
		.amdhsa_exception_fp_ieee_invalid_op 0
		.amdhsa_exception_fp_denorm_src 0
		.amdhsa_exception_fp_ieee_div_zero 0
		.amdhsa_exception_fp_ieee_overflow 0
		.amdhsa_exception_fp_ieee_underflow 0
		.amdhsa_exception_fp_ieee_inexact 0
		.amdhsa_exception_int_div_zero 0
	.end_amdhsa_kernel
	.section	.text._ZN7rocprim17ROCPRIM_400000_NS6detail17trampoline_kernelINS0_14default_configENS1_20scan_config_selectorIN3c107complexIdEEEEZZNS1_9scan_implILNS1_25lookback_scan_determinismE0ELb0ELb0ES3_PKS7_PS7_S7_ZZZN2at6native31launch_logcumsumexp_cuda_kernelERKNSE_10TensorBaseESI_lENKUlvE_clEvENKUlvE1_clEvEUlS7_S7_E_S7_EEDaPvRmT3_T4_T5_mT6_P12ihipStream_tbENKUlT_T0_E_clISt17integral_constantIbLb1EESZ_EEDaSU_SV_EUlSU_E_NS1_11comp_targetILNS1_3genE9ELNS1_11target_archE1100ELNS1_3gpuE3ELNS1_3repE0EEENS1_30default_config_static_selectorELNS0_4arch9wavefront6targetE1EEEvT1_,"axG",@progbits,_ZN7rocprim17ROCPRIM_400000_NS6detail17trampoline_kernelINS0_14default_configENS1_20scan_config_selectorIN3c107complexIdEEEEZZNS1_9scan_implILNS1_25lookback_scan_determinismE0ELb0ELb0ES3_PKS7_PS7_S7_ZZZN2at6native31launch_logcumsumexp_cuda_kernelERKNSE_10TensorBaseESI_lENKUlvE_clEvENKUlvE1_clEvEUlS7_S7_E_S7_EEDaPvRmT3_T4_T5_mT6_P12ihipStream_tbENKUlT_T0_E_clISt17integral_constantIbLb1EESZ_EEDaSU_SV_EUlSU_E_NS1_11comp_targetILNS1_3genE9ELNS1_11target_archE1100ELNS1_3gpuE3ELNS1_3repE0EEENS1_30default_config_static_selectorELNS0_4arch9wavefront6targetE1EEEvT1_,comdat
.Lfunc_end210:
	.size	_ZN7rocprim17ROCPRIM_400000_NS6detail17trampoline_kernelINS0_14default_configENS1_20scan_config_selectorIN3c107complexIdEEEEZZNS1_9scan_implILNS1_25lookback_scan_determinismE0ELb0ELb0ES3_PKS7_PS7_S7_ZZZN2at6native31launch_logcumsumexp_cuda_kernelERKNSE_10TensorBaseESI_lENKUlvE_clEvENKUlvE1_clEvEUlS7_S7_E_S7_EEDaPvRmT3_T4_T5_mT6_P12ihipStream_tbENKUlT_T0_E_clISt17integral_constantIbLb1EESZ_EEDaSU_SV_EUlSU_E_NS1_11comp_targetILNS1_3genE9ELNS1_11target_archE1100ELNS1_3gpuE3ELNS1_3repE0EEENS1_30default_config_static_selectorELNS0_4arch9wavefront6targetE1EEEvT1_, .Lfunc_end210-_ZN7rocprim17ROCPRIM_400000_NS6detail17trampoline_kernelINS0_14default_configENS1_20scan_config_selectorIN3c107complexIdEEEEZZNS1_9scan_implILNS1_25lookback_scan_determinismE0ELb0ELb0ES3_PKS7_PS7_S7_ZZZN2at6native31launch_logcumsumexp_cuda_kernelERKNSE_10TensorBaseESI_lENKUlvE_clEvENKUlvE1_clEvEUlS7_S7_E_S7_EEDaPvRmT3_T4_T5_mT6_P12ihipStream_tbENKUlT_T0_E_clISt17integral_constantIbLb1EESZ_EEDaSU_SV_EUlSU_E_NS1_11comp_targetILNS1_3genE9ELNS1_11target_archE1100ELNS1_3gpuE3ELNS1_3repE0EEENS1_30default_config_static_selectorELNS0_4arch9wavefront6targetE1EEEvT1_
                                        ; -- End function
	.set _ZN7rocprim17ROCPRIM_400000_NS6detail17trampoline_kernelINS0_14default_configENS1_20scan_config_selectorIN3c107complexIdEEEEZZNS1_9scan_implILNS1_25lookback_scan_determinismE0ELb0ELb0ES3_PKS7_PS7_S7_ZZZN2at6native31launch_logcumsumexp_cuda_kernelERKNSE_10TensorBaseESI_lENKUlvE_clEvENKUlvE1_clEvEUlS7_S7_E_S7_EEDaPvRmT3_T4_T5_mT6_P12ihipStream_tbENKUlT_T0_E_clISt17integral_constantIbLb1EESZ_EEDaSU_SV_EUlSU_E_NS1_11comp_targetILNS1_3genE9ELNS1_11target_archE1100ELNS1_3gpuE3ELNS1_3repE0EEENS1_30default_config_static_selectorELNS0_4arch9wavefront6targetE1EEEvT1_.num_vgpr, 0
	.set _ZN7rocprim17ROCPRIM_400000_NS6detail17trampoline_kernelINS0_14default_configENS1_20scan_config_selectorIN3c107complexIdEEEEZZNS1_9scan_implILNS1_25lookback_scan_determinismE0ELb0ELb0ES3_PKS7_PS7_S7_ZZZN2at6native31launch_logcumsumexp_cuda_kernelERKNSE_10TensorBaseESI_lENKUlvE_clEvENKUlvE1_clEvEUlS7_S7_E_S7_EEDaPvRmT3_T4_T5_mT6_P12ihipStream_tbENKUlT_T0_E_clISt17integral_constantIbLb1EESZ_EEDaSU_SV_EUlSU_E_NS1_11comp_targetILNS1_3genE9ELNS1_11target_archE1100ELNS1_3gpuE3ELNS1_3repE0EEENS1_30default_config_static_selectorELNS0_4arch9wavefront6targetE1EEEvT1_.num_agpr, 0
	.set _ZN7rocprim17ROCPRIM_400000_NS6detail17trampoline_kernelINS0_14default_configENS1_20scan_config_selectorIN3c107complexIdEEEEZZNS1_9scan_implILNS1_25lookback_scan_determinismE0ELb0ELb0ES3_PKS7_PS7_S7_ZZZN2at6native31launch_logcumsumexp_cuda_kernelERKNSE_10TensorBaseESI_lENKUlvE_clEvENKUlvE1_clEvEUlS7_S7_E_S7_EEDaPvRmT3_T4_T5_mT6_P12ihipStream_tbENKUlT_T0_E_clISt17integral_constantIbLb1EESZ_EEDaSU_SV_EUlSU_E_NS1_11comp_targetILNS1_3genE9ELNS1_11target_archE1100ELNS1_3gpuE3ELNS1_3repE0EEENS1_30default_config_static_selectorELNS0_4arch9wavefront6targetE1EEEvT1_.numbered_sgpr, 0
	.set _ZN7rocprim17ROCPRIM_400000_NS6detail17trampoline_kernelINS0_14default_configENS1_20scan_config_selectorIN3c107complexIdEEEEZZNS1_9scan_implILNS1_25lookback_scan_determinismE0ELb0ELb0ES3_PKS7_PS7_S7_ZZZN2at6native31launch_logcumsumexp_cuda_kernelERKNSE_10TensorBaseESI_lENKUlvE_clEvENKUlvE1_clEvEUlS7_S7_E_S7_EEDaPvRmT3_T4_T5_mT6_P12ihipStream_tbENKUlT_T0_E_clISt17integral_constantIbLb1EESZ_EEDaSU_SV_EUlSU_E_NS1_11comp_targetILNS1_3genE9ELNS1_11target_archE1100ELNS1_3gpuE3ELNS1_3repE0EEENS1_30default_config_static_selectorELNS0_4arch9wavefront6targetE1EEEvT1_.num_named_barrier, 0
	.set _ZN7rocprim17ROCPRIM_400000_NS6detail17trampoline_kernelINS0_14default_configENS1_20scan_config_selectorIN3c107complexIdEEEEZZNS1_9scan_implILNS1_25lookback_scan_determinismE0ELb0ELb0ES3_PKS7_PS7_S7_ZZZN2at6native31launch_logcumsumexp_cuda_kernelERKNSE_10TensorBaseESI_lENKUlvE_clEvENKUlvE1_clEvEUlS7_S7_E_S7_EEDaPvRmT3_T4_T5_mT6_P12ihipStream_tbENKUlT_T0_E_clISt17integral_constantIbLb1EESZ_EEDaSU_SV_EUlSU_E_NS1_11comp_targetILNS1_3genE9ELNS1_11target_archE1100ELNS1_3gpuE3ELNS1_3repE0EEENS1_30default_config_static_selectorELNS0_4arch9wavefront6targetE1EEEvT1_.private_seg_size, 0
	.set _ZN7rocprim17ROCPRIM_400000_NS6detail17trampoline_kernelINS0_14default_configENS1_20scan_config_selectorIN3c107complexIdEEEEZZNS1_9scan_implILNS1_25lookback_scan_determinismE0ELb0ELb0ES3_PKS7_PS7_S7_ZZZN2at6native31launch_logcumsumexp_cuda_kernelERKNSE_10TensorBaseESI_lENKUlvE_clEvENKUlvE1_clEvEUlS7_S7_E_S7_EEDaPvRmT3_T4_T5_mT6_P12ihipStream_tbENKUlT_T0_E_clISt17integral_constantIbLb1EESZ_EEDaSU_SV_EUlSU_E_NS1_11comp_targetILNS1_3genE9ELNS1_11target_archE1100ELNS1_3gpuE3ELNS1_3repE0EEENS1_30default_config_static_selectorELNS0_4arch9wavefront6targetE1EEEvT1_.uses_vcc, 0
	.set _ZN7rocprim17ROCPRIM_400000_NS6detail17trampoline_kernelINS0_14default_configENS1_20scan_config_selectorIN3c107complexIdEEEEZZNS1_9scan_implILNS1_25lookback_scan_determinismE0ELb0ELb0ES3_PKS7_PS7_S7_ZZZN2at6native31launch_logcumsumexp_cuda_kernelERKNSE_10TensorBaseESI_lENKUlvE_clEvENKUlvE1_clEvEUlS7_S7_E_S7_EEDaPvRmT3_T4_T5_mT6_P12ihipStream_tbENKUlT_T0_E_clISt17integral_constantIbLb1EESZ_EEDaSU_SV_EUlSU_E_NS1_11comp_targetILNS1_3genE9ELNS1_11target_archE1100ELNS1_3gpuE3ELNS1_3repE0EEENS1_30default_config_static_selectorELNS0_4arch9wavefront6targetE1EEEvT1_.uses_flat_scratch, 0
	.set _ZN7rocprim17ROCPRIM_400000_NS6detail17trampoline_kernelINS0_14default_configENS1_20scan_config_selectorIN3c107complexIdEEEEZZNS1_9scan_implILNS1_25lookback_scan_determinismE0ELb0ELb0ES3_PKS7_PS7_S7_ZZZN2at6native31launch_logcumsumexp_cuda_kernelERKNSE_10TensorBaseESI_lENKUlvE_clEvENKUlvE1_clEvEUlS7_S7_E_S7_EEDaPvRmT3_T4_T5_mT6_P12ihipStream_tbENKUlT_T0_E_clISt17integral_constantIbLb1EESZ_EEDaSU_SV_EUlSU_E_NS1_11comp_targetILNS1_3genE9ELNS1_11target_archE1100ELNS1_3gpuE3ELNS1_3repE0EEENS1_30default_config_static_selectorELNS0_4arch9wavefront6targetE1EEEvT1_.has_dyn_sized_stack, 0
	.set _ZN7rocprim17ROCPRIM_400000_NS6detail17trampoline_kernelINS0_14default_configENS1_20scan_config_selectorIN3c107complexIdEEEEZZNS1_9scan_implILNS1_25lookback_scan_determinismE0ELb0ELb0ES3_PKS7_PS7_S7_ZZZN2at6native31launch_logcumsumexp_cuda_kernelERKNSE_10TensorBaseESI_lENKUlvE_clEvENKUlvE1_clEvEUlS7_S7_E_S7_EEDaPvRmT3_T4_T5_mT6_P12ihipStream_tbENKUlT_T0_E_clISt17integral_constantIbLb1EESZ_EEDaSU_SV_EUlSU_E_NS1_11comp_targetILNS1_3genE9ELNS1_11target_archE1100ELNS1_3gpuE3ELNS1_3repE0EEENS1_30default_config_static_selectorELNS0_4arch9wavefront6targetE1EEEvT1_.has_recursion, 0
	.set _ZN7rocprim17ROCPRIM_400000_NS6detail17trampoline_kernelINS0_14default_configENS1_20scan_config_selectorIN3c107complexIdEEEEZZNS1_9scan_implILNS1_25lookback_scan_determinismE0ELb0ELb0ES3_PKS7_PS7_S7_ZZZN2at6native31launch_logcumsumexp_cuda_kernelERKNSE_10TensorBaseESI_lENKUlvE_clEvENKUlvE1_clEvEUlS7_S7_E_S7_EEDaPvRmT3_T4_T5_mT6_P12ihipStream_tbENKUlT_T0_E_clISt17integral_constantIbLb1EESZ_EEDaSU_SV_EUlSU_E_NS1_11comp_targetILNS1_3genE9ELNS1_11target_archE1100ELNS1_3gpuE3ELNS1_3repE0EEENS1_30default_config_static_selectorELNS0_4arch9wavefront6targetE1EEEvT1_.has_indirect_call, 0
	.section	.AMDGPU.csdata,"",@progbits
; Kernel info:
; codeLenInByte = 0
; TotalNumSgprs: 4
; NumVgprs: 0
; ScratchSize: 0
; MemoryBound: 0
; FloatMode: 240
; IeeeMode: 1
; LDSByteSize: 0 bytes/workgroup (compile time only)
; SGPRBlocks: 0
; VGPRBlocks: 0
; NumSGPRsForWavesPerEU: 4
; NumVGPRsForWavesPerEU: 1
; Occupancy: 10
; WaveLimiterHint : 0
; COMPUTE_PGM_RSRC2:SCRATCH_EN: 0
; COMPUTE_PGM_RSRC2:USER_SGPR: 6
; COMPUTE_PGM_RSRC2:TRAP_HANDLER: 0
; COMPUTE_PGM_RSRC2:TGID_X_EN: 1
; COMPUTE_PGM_RSRC2:TGID_Y_EN: 0
; COMPUTE_PGM_RSRC2:TGID_Z_EN: 0
; COMPUTE_PGM_RSRC2:TIDIG_COMP_CNT: 0
	.section	.text._ZN7rocprim17ROCPRIM_400000_NS6detail17trampoline_kernelINS0_14default_configENS1_20scan_config_selectorIN3c107complexIdEEEEZZNS1_9scan_implILNS1_25lookback_scan_determinismE0ELb0ELb0ES3_PKS7_PS7_S7_ZZZN2at6native31launch_logcumsumexp_cuda_kernelERKNSE_10TensorBaseESI_lENKUlvE_clEvENKUlvE1_clEvEUlS7_S7_E_S7_EEDaPvRmT3_T4_T5_mT6_P12ihipStream_tbENKUlT_T0_E_clISt17integral_constantIbLb1EESZ_EEDaSU_SV_EUlSU_E_NS1_11comp_targetILNS1_3genE8ELNS1_11target_archE1030ELNS1_3gpuE2ELNS1_3repE0EEENS1_30default_config_static_selectorELNS0_4arch9wavefront6targetE1EEEvT1_,"axG",@progbits,_ZN7rocprim17ROCPRIM_400000_NS6detail17trampoline_kernelINS0_14default_configENS1_20scan_config_selectorIN3c107complexIdEEEEZZNS1_9scan_implILNS1_25lookback_scan_determinismE0ELb0ELb0ES3_PKS7_PS7_S7_ZZZN2at6native31launch_logcumsumexp_cuda_kernelERKNSE_10TensorBaseESI_lENKUlvE_clEvENKUlvE1_clEvEUlS7_S7_E_S7_EEDaPvRmT3_T4_T5_mT6_P12ihipStream_tbENKUlT_T0_E_clISt17integral_constantIbLb1EESZ_EEDaSU_SV_EUlSU_E_NS1_11comp_targetILNS1_3genE8ELNS1_11target_archE1030ELNS1_3gpuE2ELNS1_3repE0EEENS1_30default_config_static_selectorELNS0_4arch9wavefront6targetE1EEEvT1_,comdat
	.globl	_ZN7rocprim17ROCPRIM_400000_NS6detail17trampoline_kernelINS0_14default_configENS1_20scan_config_selectorIN3c107complexIdEEEEZZNS1_9scan_implILNS1_25lookback_scan_determinismE0ELb0ELb0ES3_PKS7_PS7_S7_ZZZN2at6native31launch_logcumsumexp_cuda_kernelERKNSE_10TensorBaseESI_lENKUlvE_clEvENKUlvE1_clEvEUlS7_S7_E_S7_EEDaPvRmT3_T4_T5_mT6_P12ihipStream_tbENKUlT_T0_E_clISt17integral_constantIbLb1EESZ_EEDaSU_SV_EUlSU_E_NS1_11comp_targetILNS1_3genE8ELNS1_11target_archE1030ELNS1_3gpuE2ELNS1_3repE0EEENS1_30default_config_static_selectorELNS0_4arch9wavefront6targetE1EEEvT1_ ; -- Begin function _ZN7rocprim17ROCPRIM_400000_NS6detail17trampoline_kernelINS0_14default_configENS1_20scan_config_selectorIN3c107complexIdEEEEZZNS1_9scan_implILNS1_25lookback_scan_determinismE0ELb0ELb0ES3_PKS7_PS7_S7_ZZZN2at6native31launch_logcumsumexp_cuda_kernelERKNSE_10TensorBaseESI_lENKUlvE_clEvENKUlvE1_clEvEUlS7_S7_E_S7_EEDaPvRmT3_T4_T5_mT6_P12ihipStream_tbENKUlT_T0_E_clISt17integral_constantIbLb1EESZ_EEDaSU_SV_EUlSU_E_NS1_11comp_targetILNS1_3genE8ELNS1_11target_archE1030ELNS1_3gpuE2ELNS1_3repE0EEENS1_30default_config_static_selectorELNS0_4arch9wavefront6targetE1EEEvT1_
	.p2align	8
	.type	_ZN7rocprim17ROCPRIM_400000_NS6detail17trampoline_kernelINS0_14default_configENS1_20scan_config_selectorIN3c107complexIdEEEEZZNS1_9scan_implILNS1_25lookback_scan_determinismE0ELb0ELb0ES3_PKS7_PS7_S7_ZZZN2at6native31launch_logcumsumexp_cuda_kernelERKNSE_10TensorBaseESI_lENKUlvE_clEvENKUlvE1_clEvEUlS7_S7_E_S7_EEDaPvRmT3_T4_T5_mT6_P12ihipStream_tbENKUlT_T0_E_clISt17integral_constantIbLb1EESZ_EEDaSU_SV_EUlSU_E_NS1_11comp_targetILNS1_3genE8ELNS1_11target_archE1030ELNS1_3gpuE2ELNS1_3repE0EEENS1_30default_config_static_selectorELNS0_4arch9wavefront6targetE1EEEvT1_,@function
_ZN7rocprim17ROCPRIM_400000_NS6detail17trampoline_kernelINS0_14default_configENS1_20scan_config_selectorIN3c107complexIdEEEEZZNS1_9scan_implILNS1_25lookback_scan_determinismE0ELb0ELb0ES3_PKS7_PS7_S7_ZZZN2at6native31launch_logcumsumexp_cuda_kernelERKNSE_10TensorBaseESI_lENKUlvE_clEvENKUlvE1_clEvEUlS7_S7_E_S7_EEDaPvRmT3_T4_T5_mT6_P12ihipStream_tbENKUlT_T0_E_clISt17integral_constantIbLb1EESZ_EEDaSU_SV_EUlSU_E_NS1_11comp_targetILNS1_3genE8ELNS1_11target_archE1030ELNS1_3gpuE2ELNS1_3repE0EEENS1_30default_config_static_selectorELNS0_4arch9wavefront6targetE1EEEvT1_: ; @_ZN7rocprim17ROCPRIM_400000_NS6detail17trampoline_kernelINS0_14default_configENS1_20scan_config_selectorIN3c107complexIdEEEEZZNS1_9scan_implILNS1_25lookback_scan_determinismE0ELb0ELb0ES3_PKS7_PS7_S7_ZZZN2at6native31launch_logcumsumexp_cuda_kernelERKNSE_10TensorBaseESI_lENKUlvE_clEvENKUlvE1_clEvEUlS7_S7_E_S7_EEDaPvRmT3_T4_T5_mT6_P12ihipStream_tbENKUlT_T0_E_clISt17integral_constantIbLb1EESZ_EEDaSU_SV_EUlSU_E_NS1_11comp_targetILNS1_3genE8ELNS1_11target_archE1030ELNS1_3gpuE2ELNS1_3repE0EEENS1_30default_config_static_selectorELNS0_4arch9wavefront6targetE1EEEvT1_
; %bb.0:
	.section	.rodata,"a",@progbits
	.p2align	6, 0x0
	.amdhsa_kernel _ZN7rocprim17ROCPRIM_400000_NS6detail17trampoline_kernelINS0_14default_configENS1_20scan_config_selectorIN3c107complexIdEEEEZZNS1_9scan_implILNS1_25lookback_scan_determinismE0ELb0ELb0ES3_PKS7_PS7_S7_ZZZN2at6native31launch_logcumsumexp_cuda_kernelERKNSE_10TensorBaseESI_lENKUlvE_clEvENKUlvE1_clEvEUlS7_S7_E_S7_EEDaPvRmT3_T4_T5_mT6_P12ihipStream_tbENKUlT_T0_E_clISt17integral_constantIbLb1EESZ_EEDaSU_SV_EUlSU_E_NS1_11comp_targetILNS1_3genE8ELNS1_11target_archE1030ELNS1_3gpuE2ELNS1_3repE0EEENS1_30default_config_static_selectorELNS0_4arch9wavefront6targetE1EEEvT1_
		.amdhsa_group_segment_fixed_size 0
		.amdhsa_private_segment_fixed_size 0
		.amdhsa_kernarg_size 128
		.amdhsa_user_sgpr_count 6
		.amdhsa_user_sgpr_private_segment_buffer 1
		.amdhsa_user_sgpr_dispatch_ptr 0
		.amdhsa_user_sgpr_queue_ptr 0
		.amdhsa_user_sgpr_kernarg_segment_ptr 1
		.amdhsa_user_sgpr_dispatch_id 0
		.amdhsa_user_sgpr_flat_scratch_init 0
		.amdhsa_user_sgpr_private_segment_size 0
		.amdhsa_uses_dynamic_stack 0
		.amdhsa_system_sgpr_private_segment_wavefront_offset 0
		.amdhsa_system_sgpr_workgroup_id_x 1
		.amdhsa_system_sgpr_workgroup_id_y 0
		.amdhsa_system_sgpr_workgroup_id_z 0
		.amdhsa_system_sgpr_workgroup_info 0
		.amdhsa_system_vgpr_workitem_id 0
		.amdhsa_next_free_vgpr 1
		.amdhsa_next_free_sgpr 0
		.amdhsa_reserve_vcc 0
		.amdhsa_reserve_flat_scratch 0
		.amdhsa_float_round_mode_32 0
		.amdhsa_float_round_mode_16_64 0
		.amdhsa_float_denorm_mode_32 3
		.amdhsa_float_denorm_mode_16_64 3
		.amdhsa_dx10_clamp 1
		.amdhsa_ieee_mode 1
		.amdhsa_fp16_overflow 0
		.amdhsa_exception_fp_ieee_invalid_op 0
		.amdhsa_exception_fp_denorm_src 0
		.amdhsa_exception_fp_ieee_div_zero 0
		.amdhsa_exception_fp_ieee_overflow 0
		.amdhsa_exception_fp_ieee_underflow 0
		.amdhsa_exception_fp_ieee_inexact 0
		.amdhsa_exception_int_div_zero 0
	.end_amdhsa_kernel
	.section	.text._ZN7rocprim17ROCPRIM_400000_NS6detail17trampoline_kernelINS0_14default_configENS1_20scan_config_selectorIN3c107complexIdEEEEZZNS1_9scan_implILNS1_25lookback_scan_determinismE0ELb0ELb0ES3_PKS7_PS7_S7_ZZZN2at6native31launch_logcumsumexp_cuda_kernelERKNSE_10TensorBaseESI_lENKUlvE_clEvENKUlvE1_clEvEUlS7_S7_E_S7_EEDaPvRmT3_T4_T5_mT6_P12ihipStream_tbENKUlT_T0_E_clISt17integral_constantIbLb1EESZ_EEDaSU_SV_EUlSU_E_NS1_11comp_targetILNS1_3genE8ELNS1_11target_archE1030ELNS1_3gpuE2ELNS1_3repE0EEENS1_30default_config_static_selectorELNS0_4arch9wavefront6targetE1EEEvT1_,"axG",@progbits,_ZN7rocprim17ROCPRIM_400000_NS6detail17trampoline_kernelINS0_14default_configENS1_20scan_config_selectorIN3c107complexIdEEEEZZNS1_9scan_implILNS1_25lookback_scan_determinismE0ELb0ELb0ES3_PKS7_PS7_S7_ZZZN2at6native31launch_logcumsumexp_cuda_kernelERKNSE_10TensorBaseESI_lENKUlvE_clEvENKUlvE1_clEvEUlS7_S7_E_S7_EEDaPvRmT3_T4_T5_mT6_P12ihipStream_tbENKUlT_T0_E_clISt17integral_constantIbLb1EESZ_EEDaSU_SV_EUlSU_E_NS1_11comp_targetILNS1_3genE8ELNS1_11target_archE1030ELNS1_3gpuE2ELNS1_3repE0EEENS1_30default_config_static_selectorELNS0_4arch9wavefront6targetE1EEEvT1_,comdat
.Lfunc_end211:
	.size	_ZN7rocprim17ROCPRIM_400000_NS6detail17trampoline_kernelINS0_14default_configENS1_20scan_config_selectorIN3c107complexIdEEEEZZNS1_9scan_implILNS1_25lookback_scan_determinismE0ELb0ELb0ES3_PKS7_PS7_S7_ZZZN2at6native31launch_logcumsumexp_cuda_kernelERKNSE_10TensorBaseESI_lENKUlvE_clEvENKUlvE1_clEvEUlS7_S7_E_S7_EEDaPvRmT3_T4_T5_mT6_P12ihipStream_tbENKUlT_T0_E_clISt17integral_constantIbLb1EESZ_EEDaSU_SV_EUlSU_E_NS1_11comp_targetILNS1_3genE8ELNS1_11target_archE1030ELNS1_3gpuE2ELNS1_3repE0EEENS1_30default_config_static_selectorELNS0_4arch9wavefront6targetE1EEEvT1_, .Lfunc_end211-_ZN7rocprim17ROCPRIM_400000_NS6detail17trampoline_kernelINS0_14default_configENS1_20scan_config_selectorIN3c107complexIdEEEEZZNS1_9scan_implILNS1_25lookback_scan_determinismE0ELb0ELb0ES3_PKS7_PS7_S7_ZZZN2at6native31launch_logcumsumexp_cuda_kernelERKNSE_10TensorBaseESI_lENKUlvE_clEvENKUlvE1_clEvEUlS7_S7_E_S7_EEDaPvRmT3_T4_T5_mT6_P12ihipStream_tbENKUlT_T0_E_clISt17integral_constantIbLb1EESZ_EEDaSU_SV_EUlSU_E_NS1_11comp_targetILNS1_3genE8ELNS1_11target_archE1030ELNS1_3gpuE2ELNS1_3repE0EEENS1_30default_config_static_selectorELNS0_4arch9wavefront6targetE1EEEvT1_
                                        ; -- End function
	.set _ZN7rocprim17ROCPRIM_400000_NS6detail17trampoline_kernelINS0_14default_configENS1_20scan_config_selectorIN3c107complexIdEEEEZZNS1_9scan_implILNS1_25lookback_scan_determinismE0ELb0ELb0ES3_PKS7_PS7_S7_ZZZN2at6native31launch_logcumsumexp_cuda_kernelERKNSE_10TensorBaseESI_lENKUlvE_clEvENKUlvE1_clEvEUlS7_S7_E_S7_EEDaPvRmT3_T4_T5_mT6_P12ihipStream_tbENKUlT_T0_E_clISt17integral_constantIbLb1EESZ_EEDaSU_SV_EUlSU_E_NS1_11comp_targetILNS1_3genE8ELNS1_11target_archE1030ELNS1_3gpuE2ELNS1_3repE0EEENS1_30default_config_static_selectorELNS0_4arch9wavefront6targetE1EEEvT1_.num_vgpr, 0
	.set _ZN7rocprim17ROCPRIM_400000_NS6detail17trampoline_kernelINS0_14default_configENS1_20scan_config_selectorIN3c107complexIdEEEEZZNS1_9scan_implILNS1_25lookback_scan_determinismE0ELb0ELb0ES3_PKS7_PS7_S7_ZZZN2at6native31launch_logcumsumexp_cuda_kernelERKNSE_10TensorBaseESI_lENKUlvE_clEvENKUlvE1_clEvEUlS7_S7_E_S7_EEDaPvRmT3_T4_T5_mT6_P12ihipStream_tbENKUlT_T0_E_clISt17integral_constantIbLb1EESZ_EEDaSU_SV_EUlSU_E_NS1_11comp_targetILNS1_3genE8ELNS1_11target_archE1030ELNS1_3gpuE2ELNS1_3repE0EEENS1_30default_config_static_selectorELNS0_4arch9wavefront6targetE1EEEvT1_.num_agpr, 0
	.set _ZN7rocprim17ROCPRIM_400000_NS6detail17trampoline_kernelINS0_14default_configENS1_20scan_config_selectorIN3c107complexIdEEEEZZNS1_9scan_implILNS1_25lookback_scan_determinismE0ELb0ELb0ES3_PKS7_PS7_S7_ZZZN2at6native31launch_logcumsumexp_cuda_kernelERKNSE_10TensorBaseESI_lENKUlvE_clEvENKUlvE1_clEvEUlS7_S7_E_S7_EEDaPvRmT3_T4_T5_mT6_P12ihipStream_tbENKUlT_T0_E_clISt17integral_constantIbLb1EESZ_EEDaSU_SV_EUlSU_E_NS1_11comp_targetILNS1_3genE8ELNS1_11target_archE1030ELNS1_3gpuE2ELNS1_3repE0EEENS1_30default_config_static_selectorELNS0_4arch9wavefront6targetE1EEEvT1_.numbered_sgpr, 0
	.set _ZN7rocprim17ROCPRIM_400000_NS6detail17trampoline_kernelINS0_14default_configENS1_20scan_config_selectorIN3c107complexIdEEEEZZNS1_9scan_implILNS1_25lookback_scan_determinismE0ELb0ELb0ES3_PKS7_PS7_S7_ZZZN2at6native31launch_logcumsumexp_cuda_kernelERKNSE_10TensorBaseESI_lENKUlvE_clEvENKUlvE1_clEvEUlS7_S7_E_S7_EEDaPvRmT3_T4_T5_mT6_P12ihipStream_tbENKUlT_T0_E_clISt17integral_constantIbLb1EESZ_EEDaSU_SV_EUlSU_E_NS1_11comp_targetILNS1_3genE8ELNS1_11target_archE1030ELNS1_3gpuE2ELNS1_3repE0EEENS1_30default_config_static_selectorELNS0_4arch9wavefront6targetE1EEEvT1_.num_named_barrier, 0
	.set _ZN7rocprim17ROCPRIM_400000_NS6detail17trampoline_kernelINS0_14default_configENS1_20scan_config_selectorIN3c107complexIdEEEEZZNS1_9scan_implILNS1_25lookback_scan_determinismE0ELb0ELb0ES3_PKS7_PS7_S7_ZZZN2at6native31launch_logcumsumexp_cuda_kernelERKNSE_10TensorBaseESI_lENKUlvE_clEvENKUlvE1_clEvEUlS7_S7_E_S7_EEDaPvRmT3_T4_T5_mT6_P12ihipStream_tbENKUlT_T0_E_clISt17integral_constantIbLb1EESZ_EEDaSU_SV_EUlSU_E_NS1_11comp_targetILNS1_3genE8ELNS1_11target_archE1030ELNS1_3gpuE2ELNS1_3repE0EEENS1_30default_config_static_selectorELNS0_4arch9wavefront6targetE1EEEvT1_.private_seg_size, 0
	.set _ZN7rocprim17ROCPRIM_400000_NS6detail17trampoline_kernelINS0_14default_configENS1_20scan_config_selectorIN3c107complexIdEEEEZZNS1_9scan_implILNS1_25lookback_scan_determinismE0ELb0ELb0ES3_PKS7_PS7_S7_ZZZN2at6native31launch_logcumsumexp_cuda_kernelERKNSE_10TensorBaseESI_lENKUlvE_clEvENKUlvE1_clEvEUlS7_S7_E_S7_EEDaPvRmT3_T4_T5_mT6_P12ihipStream_tbENKUlT_T0_E_clISt17integral_constantIbLb1EESZ_EEDaSU_SV_EUlSU_E_NS1_11comp_targetILNS1_3genE8ELNS1_11target_archE1030ELNS1_3gpuE2ELNS1_3repE0EEENS1_30default_config_static_selectorELNS0_4arch9wavefront6targetE1EEEvT1_.uses_vcc, 0
	.set _ZN7rocprim17ROCPRIM_400000_NS6detail17trampoline_kernelINS0_14default_configENS1_20scan_config_selectorIN3c107complexIdEEEEZZNS1_9scan_implILNS1_25lookback_scan_determinismE0ELb0ELb0ES3_PKS7_PS7_S7_ZZZN2at6native31launch_logcumsumexp_cuda_kernelERKNSE_10TensorBaseESI_lENKUlvE_clEvENKUlvE1_clEvEUlS7_S7_E_S7_EEDaPvRmT3_T4_T5_mT6_P12ihipStream_tbENKUlT_T0_E_clISt17integral_constantIbLb1EESZ_EEDaSU_SV_EUlSU_E_NS1_11comp_targetILNS1_3genE8ELNS1_11target_archE1030ELNS1_3gpuE2ELNS1_3repE0EEENS1_30default_config_static_selectorELNS0_4arch9wavefront6targetE1EEEvT1_.uses_flat_scratch, 0
	.set _ZN7rocprim17ROCPRIM_400000_NS6detail17trampoline_kernelINS0_14default_configENS1_20scan_config_selectorIN3c107complexIdEEEEZZNS1_9scan_implILNS1_25lookback_scan_determinismE0ELb0ELb0ES3_PKS7_PS7_S7_ZZZN2at6native31launch_logcumsumexp_cuda_kernelERKNSE_10TensorBaseESI_lENKUlvE_clEvENKUlvE1_clEvEUlS7_S7_E_S7_EEDaPvRmT3_T4_T5_mT6_P12ihipStream_tbENKUlT_T0_E_clISt17integral_constantIbLb1EESZ_EEDaSU_SV_EUlSU_E_NS1_11comp_targetILNS1_3genE8ELNS1_11target_archE1030ELNS1_3gpuE2ELNS1_3repE0EEENS1_30default_config_static_selectorELNS0_4arch9wavefront6targetE1EEEvT1_.has_dyn_sized_stack, 0
	.set _ZN7rocprim17ROCPRIM_400000_NS6detail17trampoline_kernelINS0_14default_configENS1_20scan_config_selectorIN3c107complexIdEEEEZZNS1_9scan_implILNS1_25lookback_scan_determinismE0ELb0ELb0ES3_PKS7_PS7_S7_ZZZN2at6native31launch_logcumsumexp_cuda_kernelERKNSE_10TensorBaseESI_lENKUlvE_clEvENKUlvE1_clEvEUlS7_S7_E_S7_EEDaPvRmT3_T4_T5_mT6_P12ihipStream_tbENKUlT_T0_E_clISt17integral_constantIbLb1EESZ_EEDaSU_SV_EUlSU_E_NS1_11comp_targetILNS1_3genE8ELNS1_11target_archE1030ELNS1_3gpuE2ELNS1_3repE0EEENS1_30default_config_static_selectorELNS0_4arch9wavefront6targetE1EEEvT1_.has_recursion, 0
	.set _ZN7rocprim17ROCPRIM_400000_NS6detail17trampoline_kernelINS0_14default_configENS1_20scan_config_selectorIN3c107complexIdEEEEZZNS1_9scan_implILNS1_25lookback_scan_determinismE0ELb0ELb0ES3_PKS7_PS7_S7_ZZZN2at6native31launch_logcumsumexp_cuda_kernelERKNSE_10TensorBaseESI_lENKUlvE_clEvENKUlvE1_clEvEUlS7_S7_E_S7_EEDaPvRmT3_T4_T5_mT6_P12ihipStream_tbENKUlT_T0_E_clISt17integral_constantIbLb1EESZ_EEDaSU_SV_EUlSU_E_NS1_11comp_targetILNS1_3genE8ELNS1_11target_archE1030ELNS1_3gpuE2ELNS1_3repE0EEENS1_30default_config_static_selectorELNS0_4arch9wavefront6targetE1EEEvT1_.has_indirect_call, 0
	.section	.AMDGPU.csdata,"",@progbits
; Kernel info:
; codeLenInByte = 0
; TotalNumSgprs: 4
; NumVgprs: 0
; ScratchSize: 0
; MemoryBound: 0
; FloatMode: 240
; IeeeMode: 1
; LDSByteSize: 0 bytes/workgroup (compile time only)
; SGPRBlocks: 0
; VGPRBlocks: 0
; NumSGPRsForWavesPerEU: 4
; NumVGPRsForWavesPerEU: 1
; Occupancy: 10
; WaveLimiterHint : 0
; COMPUTE_PGM_RSRC2:SCRATCH_EN: 0
; COMPUTE_PGM_RSRC2:USER_SGPR: 6
; COMPUTE_PGM_RSRC2:TRAP_HANDLER: 0
; COMPUTE_PGM_RSRC2:TGID_X_EN: 1
; COMPUTE_PGM_RSRC2:TGID_Y_EN: 0
; COMPUTE_PGM_RSRC2:TGID_Z_EN: 0
; COMPUTE_PGM_RSRC2:TIDIG_COMP_CNT: 0
	.section	.text._ZN7rocprim17ROCPRIM_400000_NS6detail17trampoline_kernelINS0_14default_configENS1_20scan_config_selectorIN3c107complexIdEEEEZZNS1_9scan_implILNS1_25lookback_scan_determinismE0ELb0ELb0ES3_PKS7_PS7_S7_ZZZN2at6native31launch_logcumsumexp_cuda_kernelERKNSE_10TensorBaseESI_lENKUlvE_clEvENKUlvE1_clEvEUlS7_S7_E_S7_EEDaPvRmT3_T4_T5_mT6_P12ihipStream_tbENKUlT_T0_E_clISt17integral_constantIbLb1EESZ_EEDaSU_SV_EUlSU_E0_NS1_11comp_targetILNS1_3genE0ELNS1_11target_archE4294967295ELNS1_3gpuE0ELNS1_3repE0EEENS1_30default_config_static_selectorELNS0_4arch9wavefront6targetE1EEEvT1_,"axG",@progbits,_ZN7rocprim17ROCPRIM_400000_NS6detail17trampoline_kernelINS0_14default_configENS1_20scan_config_selectorIN3c107complexIdEEEEZZNS1_9scan_implILNS1_25lookback_scan_determinismE0ELb0ELb0ES3_PKS7_PS7_S7_ZZZN2at6native31launch_logcumsumexp_cuda_kernelERKNSE_10TensorBaseESI_lENKUlvE_clEvENKUlvE1_clEvEUlS7_S7_E_S7_EEDaPvRmT3_T4_T5_mT6_P12ihipStream_tbENKUlT_T0_E_clISt17integral_constantIbLb1EESZ_EEDaSU_SV_EUlSU_E0_NS1_11comp_targetILNS1_3genE0ELNS1_11target_archE4294967295ELNS1_3gpuE0ELNS1_3repE0EEENS1_30default_config_static_selectorELNS0_4arch9wavefront6targetE1EEEvT1_,comdat
	.globl	_ZN7rocprim17ROCPRIM_400000_NS6detail17trampoline_kernelINS0_14default_configENS1_20scan_config_selectorIN3c107complexIdEEEEZZNS1_9scan_implILNS1_25lookback_scan_determinismE0ELb0ELb0ES3_PKS7_PS7_S7_ZZZN2at6native31launch_logcumsumexp_cuda_kernelERKNSE_10TensorBaseESI_lENKUlvE_clEvENKUlvE1_clEvEUlS7_S7_E_S7_EEDaPvRmT3_T4_T5_mT6_P12ihipStream_tbENKUlT_T0_E_clISt17integral_constantIbLb1EESZ_EEDaSU_SV_EUlSU_E0_NS1_11comp_targetILNS1_3genE0ELNS1_11target_archE4294967295ELNS1_3gpuE0ELNS1_3repE0EEENS1_30default_config_static_selectorELNS0_4arch9wavefront6targetE1EEEvT1_ ; -- Begin function _ZN7rocprim17ROCPRIM_400000_NS6detail17trampoline_kernelINS0_14default_configENS1_20scan_config_selectorIN3c107complexIdEEEEZZNS1_9scan_implILNS1_25lookback_scan_determinismE0ELb0ELb0ES3_PKS7_PS7_S7_ZZZN2at6native31launch_logcumsumexp_cuda_kernelERKNSE_10TensorBaseESI_lENKUlvE_clEvENKUlvE1_clEvEUlS7_S7_E_S7_EEDaPvRmT3_T4_T5_mT6_P12ihipStream_tbENKUlT_T0_E_clISt17integral_constantIbLb1EESZ_EEDaSU_SV_EUlSU_E0_NS1_11comp_targetILNS1_3genE0ELNS1_11target_archE4294967295ELNS1_3gpuE0ELNS1_3repE0EEENS1_30default_config_static_selectorELNS0_4arch9wavefront6targetE1EEEvT1_
	.p2align	8
	.type	_ZN7rocprim17ROCPRIM_400000_NS6detail17trampoline_kernelINS0_14default_configENS1_20scan_config_selectorIN3c107complexIdEEEEZZNS1_9scan_implILNS1_25lookback_scan_determinismE0ELb0ELb0ES3_PKS7_PS7_S7_ZZZN2at6native31launch_logcumsumexp_cuda_kernelERKNSE_10TensorBaseESI_lENKUlvE_clEvENKUlvE1_clEvEUlS7_S7_E_S7_EEDaPvRmT3_T4_T5_mT6_P12ihipStream_tbENKUlT_T0_E_clISt17integral_constantIbLb1EESZ_EEDaSU_SV_EUlSU_E0_NS1_11comp_targetILNS1_3genE0ELNS1_11target_archE4294967295ELNS1_3gpuE0ELNS1_3repE0EEENS1_30default_config_static_selectorELNS0_4arch9wavefront6targetE1EEEvT1_,@function
_ZN7rocprim17ROCPRIM_400000_NS6detail17trampoline_kernelINS0_14default_configENS1_20scan_config_selectorIN3c107complexIdEEEEZZNS1_9scan_implILNS1_25lookback_scan_determinismE0ELb0ELb0ES3_PKS7_PS7_S7_ZZZN2at6native31launch_logcumsumexp_cuda_kernelERKNSE_10TensorBaseESI_lENKUlvE_clEvENKUlvE1_clEvEUlS7_S7_E_S7_EEDaPvRmT3_T4_T5_mT6_P12ihipStream_tbENKUlT_T0_E_clISt17integral_constantIbLb1EESZ_EEDaSU_SV_EUlSU_E0_NS1_11comp_targetILNS1_3genE0ELNS1_11target_archE4294967295ELNS1_3gpuE0ELNS1_3repE0EEENS1_30default_config_static_selectorELNS0_4arch9wavefront6targetE1EEEvT1_: ; @_ZN7rocprim17ROCPRIM_400000_NS6detail17trampoline_kernelINS0_14default_configENS1_20scan_config_selectorIN3c107complexIdEEEEZZNS1_9scan_implILNS1_25lookback_scan_determinismE0ELb0ELb0ES3_PKS7_PS7_S7_ZZZN2at6native31launch_logcumsumexp_cuda_kernelERKNSE_10TensorBaseESI_lENKUlvE_clEvENKUlvE1_clEvEUlS7_S7_E_S7_EEDaPvRmT3_T4_T5_mT6_P12ihipStream_tbENKUlT_T0_E_clISt17integral_constantIbLb1EESZ_EEDaSU_SV_EUlSU_E0_NS1_11comp_targetILNS1_3genE0ELNS1_11target_archE4294967295ELNS1_3gpuE0ELNS1_3repE0EEENS1_30default_config_static_selectorELNS0_4arch9wavefront6targetE1EEEvT1_
; %bb.0:
	.section	.rodata,"a",@progbits
	.p2align	6, 0x0
	.amdhsa_kernel _ZN7rocprim17ROCPRIM_400000_NS6detail17trampoline_kernelINS0_14default_configENS1_20scan_config_selectorIN3c107complexIdEEEEZZNS1_9scan_implILNS1_25lookback_scan_determinismE0ELb0ELb0ES3_PKS7_PS7_S7_ZZZN2at6native31launch_logcumsumexp_cuda_kernelERKNSE_10TensorBaseESI_lENKUlvE_clEvENKUlvE1_clEvEUlS7_S7_E_S7_EEDaPvRmT3_T4_T5_mT6_P12ihipStream_tbENKUlT_T0_E_clISt17integral_constantIbLb1EESZ_EEDaSU_SV_EUlSU_E0_NS1_11comp_targetILNS1_3genE0ELNS1_11target_archE4294967295ELNS1_3gpuE0ELNS1_3repE0EEENS1_30default_config_static_selectorELNS0_4arch9wavefront6targetE1EEEvT1_
		.amdhsa_group_segment_fixed_size 0
		.amdhsa_private_segment_fixed_size 0
		.amdhsa_kernarg_size 48
		.amdhsa_user_sgpr_count 6
		.amdhsa_user_sgpr_private_segment_buffer 1
		.amdhsa_user_sgpr_dispatch_ptr 0
		.amdhsa_user_sgpr_queue_ptr 0
		.amdhsa_user_sgpr_kernarg_segment_ptr 1
		.amdhsa_user_sgpr_dispatch_id 0
		.amdhsa_user_sgpr_flat_scratch_init 0
		.amdhsa_user_sgpr_private_segment_size 0
		.amdhsa_uses_dynamic_stack 0
		.amdhsa_system_sgpr_private_segment_wavefront_offset 0
		.amdhsa_system_sgpr_workgroup_id_x 1
		.amdhsa_system_sgpr_workgroup_id_y 0
		.amdhsa_system_sgpr_workgroup_id_z 0
		.amdhsa_system_sgpr_workgroup_info 0
		.amdhsa_system_vgpr_workitem_id 0
		.amdhsa_next_free_vgpr 1
		.amdhsa_next_free_sgpr 0
		.amdhsa_reserve_vcc 0
		.amdhsa_reserve_flat_scratch 0
		.amdhsa_float_round_mode_32 0
		.amdhsa_float_round_mode_16_64 0
		.amdhsa_float_denorm_mode_32 3
		.amdhsa_float_denorm_mode_16_64 3
		.amdhsa_dx10_clamp 1
		.amdhsa_ieee_mode 1
		.amdhsa_fp16_overflow 0
		.amdhsa_exception_fp_ieee_invalid_op 0
		.amdhsa_exception_fp_denorm_src 0
		.amdhsa_exception_fp_ieee_div_zero 0
		.amdhsa_exception_fp_ieee_overflow 0
		.amdhsa_exception_fp_ieee_underflow 0
		.amdhsa_exception_fp_ieee_inexact 0
		.amdhsa_exception_int_div_zero 0
	.end_amdhsa_kernel
	.section	.text._ZN7rocprim17ROCPRIM_400000_NS6detail17trampoline_kernelINS0_14default_configENS1_20scan_config_selectorIN3c107complexIdEEEEZZNS1_9scan_implILNS1_25lookback_scan_determinismE0ELb0ELb0ES3_PKS7_PS7_S7_ZZZN2at6native31launch_logcumsumexp_cuda_kernelERKNSE_10TensorBaseESI_lENKUlvE_clEvENKUlvE1_clEvEUlS7_S7_E_S7_EEDaPvRmT3_T4_T5_mT6_P12ihipStream_tbENKUlT_T0_E_clISt17integral_constantIbLb1EESZ_EEDaSU_SV_EUlSU_E0_NS1_11comp_targetILNS1_3genE0ELNS1_11target_archE4294967295ELNS1_3gpuE0ELNS1_3repE0EEENS1_30default_config_static_selectorELNS0_4arch9wavefront6targetE1EEEvT1_,"axG",@progbits,_ZN7rocprim17ROCPRIM_400000_NS6detail17trampoline_kernelINS0_14default_configENS1_20scan_config_selectorIN3c107complexIdEEEEZZNS1_9scan_implILNS1_25lookback_scan_determinismE0ELb0ELb0ES3_PKS7_PS7_S7_ZZZN2at6native31launch_logcumsumexp_cuda_kernelERKNSE_10TensorBaseESI_lENKUlvE_clEvENKUlvE1_clEvEUlS7_S7_E_S7_EEDaPvRmT3_T4_T5_mT6_P12ihipStream_tbENKUlT_T0_E_clISt17integral_constantIbLb1EESZ_EEDaSU_SV_EUlSU_E0_NS1_11comp_targetILNS1_3genE0ELNS1_11target_archE4294967295ELNS1_3gpuE0ELNS1_3repE0EEENS1_30default_config_static_selectorELNS0_4arch9wavefront6targetE1EEEvT1_,comdat
.Lfunc_end212:
	.size	_ZN7rocprim17ROCPRIM_400000_NS6detail17trampoline_kernelINS0_14default_configENS1_20scan_config_selectorIN3c107complexIdEEEEZZNS1_9scan_implILNS1_25lookback_scan_determinismE0ELb0ELb0ES3_PKS7_PS7_S7_ZZZN2at6native31launch_logcumsumexp_cuda_kernelERKNSE_10TensorBaseESI_lENKUlvE_clEvENKUlvE1_clEvEUlS7_S7_E_S7_EEDaPvRmT3_T4_T5_mT6_P12ihipStream_tbENKUlT_T0_E_clISt17integral_constantIbLb1EESZ_EEDaSU_SV_EUlSU_E0_NS1_11comp_targetILNS1_3genE0ELNS1_11target_archE4294967295ELNS1_3gpuE0ELNS1_3repE0EEENS1_30default_config_static_selectorELNS0_4arch9wavefront6targetE1EEEvT1_, .Lfunc_end212-_ZN7rocprim17ROCPRIM_400000_NS6detail17trampoline_kernelINS0_14default_configENS1_20scan_config_selectorIN3c107complexIdEEEEZZNS1_9scan_implILNS1_25lookback_scan_determinismE0ELb0ELb0ES3_PKS7_PS7_S7_ZZZN2at6native31launch_logcumsumexp_cuda_kernelERKNSE_10TensorBaseESI_lENKUlvE_clEvENKUlvE1_clEvEUlS7_S7_E_S7_EEDaPvRmT3_T4_T5_mT6_P12ihipStream_tbENKUlT_T0_E_clISt17integral_constantIbLb1EESZ_EEDaSU_SV_EUlSU_E0_NS1_11comp_targetILNS1_3genE0ELNS1_11target_archE4294967295ELNS1_3gpuE0ELNS1_3repE0EEENS1_30default_config_static_selectorELNS0_4arch9wavefront6targetE1EEEvT1_
                                        ; -- End function
	.set _ZN7rocprim17ROCPRIM_400000_NS6detail17trampoline_kernelINS0_14default_configENS1_20scan_config_selectorIN3c107complexIdEEEEZZNS1_9scan_implILNS1_25lookback_scan_determinismE0ELb0ELb0ES3_PKS7_PS7_S7_ZZZN2at6native31launch_logcumsumexp_cuda_kernelERKNSE_10TensorBaseESI_lENKUlvE_clEvENKUlvE1_clEvEUlS7_S7_E_S7_EEDaPvRmT3_T4_T5_mT6_P12ihipStream_tbENKUlT_T0_E_clISt17integral_constantIbLb1EESZ_EEDaSU_SV_EUlSU_E0_NS1_11comp_targetILNS1_3genE0ELNS1_11target_archE4294967295ELNS1_3gpuE0ELNS1_3repE0EEENS1_30default_config_static_selectorELNS0_4arch9wavefront6targetE1EEEvT1_.num_vgpr, 0
	.set _ZN7rocprim17ROCPRIM_400000_NS6detail17trampoline_kernelINS0_14default_configENS1_20scan_config_selectorIN3c107complexIdEEEEZZNS1_9scan_implILNS1_25lookback_scan_determinismE0ELb0ELb0ES3_PKS7_PS7_S7_ZZZN2at6native31launch_logcumsumexp_cuda_kernelERKNSE_10TensorBaseESI_lENKUlvE_clEvENKUlvE1_clEvEUlS7_S7_E_S7_EEDaPvRmT3_T4_T5_mT6_P12ihipStream_tbENKUlT_T0_E_clISt17integral_constantIbLb1EESZ_EEDaSU_SV_EUlSU_E0_NS1_11comp_targetILNS1_3genE0ELNS1_11target_archE4294967295ELNS1_3gpuE0ELNS1_3repE0EEENS1_30default_config_static_selectorELNS0_4arch9wavefront6targetE1EEEvT1_.num_agpr, 0
	.set _ZN7rocprim17ROCPRIM_400000_NS6detail17trampoline_kernelINS0_14default_configENS1_20scan_config_selectorIN3c107complexIdEEEEZZNS1_9scan_implILNS1_25lookback_scan_determinismE0ELb0ELb0ES3_PKS7_PS7_S7_ZZZN2at6native31launch_logcumsumexp_cuda_kernelERKNSE_10TensorBaseESI_lENKUlvE_clEvENKUlvE1_clEvEUlS7_S7_E_S7_EEDaPvRmT3_T4_T5_mT6_P12ihipStream_tbENKUlT_T0_E_clISt17integral_constantIbLb1EESZ_EEDaSU_SV_EUlSU_E0_NS1_11comp_targetILNS1_3genE0ELNS1_11target_archE4294967295ELNS1_3gpuE0ELNS1_3repE0EEENS1_30default_config_static_selectorELNS0_4arch9wavefront6targetE1EEEvT1_.numbered_sgpr, 0
	.set _ZN7rocprim17ROCPRIM_400000_NS6detail17trampoline_kernelINS0_14default_configENS1_20scan_config_selectorIN3c107complexIdEEEEZZNS1_9scan_implILNS1_25lookback_scan_determinismE0ELb0ELb0ES3_PKS7_PS7_S7_ZZZN2at6native31launch_logcumsumexp_cuda_kernelERKNSE_10TensorBaseESI_lENKUlvE_clEvENKUlvE1_clEvEUlS7_S7_E_S7_EEDaPvRmT3_T4_T5_mT6_P12ihipStream_tbENKUlT_T0_E_clISt17integral_constantIbLb1EESZ_EEDaSU_SV_EUlSU_E0_NS1_11comp_targetILNS1_3genE0ELNS1_11target_archE4294967295ELNS1_3gpuE0ELNS1_3repE0EEENS1_30default_config_static_selectorELNS0_4arch9wavefront6targetE1EEEvT1_.num_named_barrier, 0
	.set _ZN7rocprim17ROCPRIM_400000_NS6detail17trampoline_kernelINS0_14default_configENS1_20scan_config_selectorIN3c107complexIdEEEEZZNS1_9scan_implILNS1_25lookback_scan_determinismE0ELb0ELb0ES3_PKS7_PS7_S7_ZZZN2at6native31launch_logcumsumexp_cuda_kernelERKNSE_10TensorBaseESI_lENKUlvE_clEvENKUlvE1_clEvEUlS7_S7_E_S7_EEDaPvRmT3_T4_T5_mT6_P12ihipStream_tbENKUlT_T0_E_clISt17integral_constantIbLb1EESZ_EEDaSU_SV_EUlSU_E0_NS1_11comp_targetILNS1_3genE0ELNS1_11target_archE4294967295ELNS1_3gpuE0ELNS1_3repE0EEENS1_30default_config_static_selectorELNS0_4arch9wavefront6targetE1EEEvT1_.private_seg_size, 0
	.set _ZN7rocprim17ROCPRIM_400000_NS6detail17trampoline_kernelINS0_14default_configENS1_20scan_config_selectorIN3c107complexIdEEEEZZNS1_9scan_implILNS1_25lookback_scan_determinismE0ELb0ELb0ES3_PKS7_PS7_S7_ZZZN2at6native31launch_logcumsumexp_cuda_kernelERKNSE_10TensorBaseESI_lENKUlvE_clEvENKUlvE1_clEvEUlS7_S7_E_S7_EEDaPvRmT3_T4_T5_mT6_P12ihipStream_tbENKUlT_T0_E_clISt17integral_constantIbLb1EESZ_EEDaSU_SV_EUlSU_E0_NS1_11comp_targetILNS1_3genE0ELNS1_11target_archE4294967295ELNS1_3gpuE0ELNS1_3repE0EEENS1_30default_config_static_selectorELNS0_4arch9wavefront6targetE1EEEvT1_.uses_vcc, 0
	.set _ZN7rocprim17ROCPRIM_400000_NS6detail17trampoline_kernelINS0_14default_configENS1_20scan_config_selectorIN3c107complexIdEEEEZZNS1_9scan_implILNS1_25lookback_scan_determinismE0ELb0ELb0ES3_PKS7_PS7_S7_ZZZN2at6native31launch_logcumsumexp_cuda_kernelERKNSE_10TensorBaseESI_lENKUlvE_clEvENKUlvE1_clEvEUlS7_S7_E_S7_EEDaPvRmT3_T4_T5_mT6_P12ihipStream_tbENKUlT_T0_E_clISt17integral_constantIbLb1EESZ_EEDaSU_SV_EUlSU_E0_NS1_11comp_targetILNS1_3genE0ELNS1_11target_archE4294967295ELNS1_3gpuE0ELNS1_3repE0EEENS1_30default_config_static_selectorELNS0_4arch9wavefront6targetE1EEEvT1_.uses_flat_scratch, 0
	.set _ZN7rocprim17ROCPRIM_400000_NS6detail17trampoline_kernelINS0_14default_configENS1_20scan_config_selectorIN3c107complexIdEEEEZZNS1_9scan_implILNS1_25lookback_scan_determinismE0ELb0ELb0ES3_PKS7_PS7_S7_ZZZN2at6native31launch_logcumsumexp_cuda_kernelERKNSE_10TensorBaseESI_lENKUlvE_clEvENKUlvE1_clEvEUlS7_S7_E_S7_EEDaPvRmT3_T4_T5_mT6_P12ihipStream_tbENKUlT_T0_E_clISt17integral_constantIbLb1EESZ_EEDaSU_SV_EUlSU_E0_NS1_11comp_targetILNS1_3genE0ELNS1_11target_archE4294967295ELNS1_3gpuE0ELNS1_3repE0EEENS1_30default_config_static_selectorELNS0_4arch9wavefront6targetE1EEEvT1_.has_dyn_sized_stack, 0
	.set _ZN7rocprim17ROCPRIM_400000_NS6detail17trampoline_kernelINS0_14default_configENS1_20scan_config_selectorIN3c107complexIdEEEEZZNS1_9scan_implILNS1_25lookback_scan_determinismE0ELb0ELb0ES3_PKS7_PS7_S7_ZZZN2at6native31launch_logcumsumexp_cuda_kernelERKNSE_10TensorBaseESI_lENKUlvE_clEvENKUlvE1_clEvEUlS7_S7_E_S7_EEDaPvRmT3_T4_T5_mT6_P12ihipStream_tbENKUlT_T0_E_clISt17integral_constantIbLb1EESZ_EEDaSU_SV_EUlSU_E0_NS1_11comp_targetILNS1_3genE0ELNS1_11target_archE4294967295ELNS1_3gpuE0ELNS1_3repE0EEENS1_30default_config_static_selectorELNS0_4arch9wavefront6targetE1EEEvT1_.has_recursion, 0
	.set _ZN7rocprim17ROCPRIM_400000_NS6detail17trampoline_kernelINS0_14default_configENS1_20scan_config_selectorIN3c107complexIdEEEEZZNS1_9scan_implILNS1_25lookback_scan_determinismE0ELb0ELb0ES3_PKS7_PS7_S7_ZZZN2at6native31launch_logcumsumexp_cuda_kernelERKNSE_10TensorBaseESI_lENKUlvE_clEvENKUlvE1_clEvEUlS7_S7_E_S7_EEDaPvRmT3_T4_T5_mT6_P12ihipStream_tbENKUlT_T0_E_clISt17integral_constantIbLb1EESZ_EEDaSU_SV_EUlSU_E0_NS1_11comp_targetILNS1_3genE0ELNS1_11target_archE4294967295ELNS1_3gpuE0ELNS1_3repE0EEENS1_30default_config_static_selectorELNS0_4arch9wavefront6targetE1EEEvT1_.has_indirect_call, 0
	.section	.AMDGPU.csdata,"",@progbits
; Kernel info:
; codeLenInByte = 0
; TotalNumSgprs: 4
; NumVgprs: 0
; ScratchSize: 0
; MemoryBound: 0
; FloatMode: 240
; IeeeMode: 1
; LDSByteSize: 0 bytes/workgroup (compile time only)
; SGPRBlocks: 0
; VGPRBlocks: 0
; NumSGPRsForWavesPerEU: 4
; NumVGPRsForWavesPerEU: 1
; Occupancy: 10
; WaveLimiterHint : 0
; COMPUTE_PGM_RSRC2:SCRATCH_EN: 0
; COMPUTE_PGM_RSRC2:USER_SGPR: 6
; COMPUTE_PGM_RSRC2:TRAP_HANDLER: 0
; COMPUTE_PGM_RSRC2:TGID_X_EN: 1
; COMPUTE_PGM_RSRC2:TGID_Y_EN: 0
; COMPUTE_PGM_RSRC2:TGID_Z_EN: 0
; COMPUTE_PGM_RSRC2:TIDIG_COMP_CNT: 0
	.section	.text._ZN7rocprim17ROCPRIM_400000_NS6detail17trampoline_kernelINS0_14default_configENS1_20scan_config_selectorIN3c107complexIdEEEEZZNS1_9scan_implILNS1_25lookback_scan_determinismE0ELb0ELb0ES3_PKS7_PS7_S7_ZZZN2at6native31launch_logcumsumexp_cuda_kernelERKNSE_10TensorBaseESI_lENKUlvE_clEvENKUlvE1_clEvEUlS7_S7_E_S7_EEDaPvRmT3_T4_T5_mT6_P12ihipStream_tbENKUlT_T0_E_clISt17integral_constantIbLb1EESZ_EEDaSU_SV_EUlSU_E0_NS1_11comp_targetILNS1_3genE5ELNS1_11target_archE942ELNS1_3gpuE9ELNS1_3repE0EEENS1_30default_config_static_selectorELNS0_4arch9wavefront6targetE1EEEvT1_,"axG",@progbits,_ZN7rocprim17ROCPRIM_400000_NS6detail17trampoline_kernelINS0_14default_configENS1_20scan_config_selectorIN3c107complexIdEEEEZZNS1_9scan_implILNS1_25lookback_scan_determinismE0ELb0ELb0ES3_PKS7_PS7_S7_ZZZN2at6native31launch_logcumsumexp_cuda_kernelERKNSE_10TensorBaseESI_lENKUlvE_clEvENKUlvE1_clEvEUlS7_S7_E_S7_EEDaPvRmT3_T4_T5_mT6_P12ihipStream_tbENKUlT_T0_E_clISt17integral_constantIbLb1EESZ_EEDaSU_SV_EUlSU_E0_NS1_11comp_targetILNS1_3genE5ELNS1_11target_archE942ELNS1_3gpuE9ELNS1_3repE0EEENS1_30default_config_static_selectorELNS0_4arch9wavefront6targetE1EEEvT1_,comdat
	.globl	_ZN7rocprim17ROCPRIM_400000_NS6detail17trampoline_kernelINS0_14default_configENS1_20scan_config_selectorIN3c107complexIdEEEEZZNS1_9scan_implILNS1_25lookback_scan_determinismE0ELb0ELb0ES3_PKS7_PS7_S7_ZZZN2at6native31launch_logcumsumexp_cuda_kernelERKNSE_10TensorBaseESI_lENKUlvE_clEvENKUlvE1_clEvEUlS7_S7_E_S7_EEDaPvRmT3_T4_T5_mT6_P12ihipStream_tbENKUlT_T0_E_clISt17integral_constantIbLb1EESZ_EEDaSU_SV_EUlSU_E0_NS1_11comp_targetILNS1_3genE5ELNS1_11target_archE942ELNS1_3gpuE9ELNS1_3repE0EEENS1_30default_config_static_selectorELNS0_4arch9wavefront6targetE1EEEvT1_ ; -- Begin function _ZN7rocprim17ROCPRIM_400000_NS6detail17trampoline_kernelINS0_14default_configENS1_20scan_config_selectorIN3c107complexIdEEEEZZNS1_9scan_implILNS1_25lookback_scan_determinismE0ELb0ELb0ES3_PKS7_PS7_S7_ZZZN2at6native31launch_logcumsumexp_cuda_kernelERKNSE_10TensorBaseESI_lENKUlvE_clEvENKUlvE1_clEvEUlS7_S7_E_S7_EEDaPvRmT3_T4_T5_mT6_P12ihipStream_tbENKUlT_T0_E_clISt17integral_constantIbLb1EESZ_EEDaSU_SV_EUlSU_E0_NS1_11comp_targetILNS1_3genE5ELNS1_11target_archE942ELNS1_3gpuE9ELNS1_3repE0EEENS1_30default_config_static_selectorELNS0_4arch9wavefront6targetE1EEEvT1_
	.p2align	8
	.type	_ZN7rocprim17ROCPRIM_400000_NS6detail17trampoline_kernelINS0_14default_configENS1_20scan_config_selectorIN3c107complexIdEEEEZZNS1_9scan_implILNS1_25lookback_scan_determinismE0ELb0ELb0ES3_PKS7_PS7_S7_ZZZN2at6native31launch_logcumsumexp_cuda_kernelERKNSE_10TensorBaseESI_lENKUlvE_clEvENKUlvE1_clEvEUlS7_S7_E_S7_EEDaPvRmT3_T4_T5_mT6_P12ihipStream_tbENKUlT_T0_E_clISt17integral_constantIbLb1EESZ_EEDaSU_SV_EUlSU_E0_NS1_11comp_targetILNS1_3genE5ELNS1_11target_archE942ELNS1_3gpuE9ELNS1_3repE0EEENS1_30default_config_static_selectorELNS0_4arch9wavefront6targetE1EEEvT1_,@function
_ZN7rocprim17ROCPRIM_400000_NS6detail17trampoline_kernelINS0_14default_configENS1_20scan_config_selectorIN3c107complexIdEEEEZZNS1_9scan_implILNS1_25lookback_scan_determinismE0ELb0ELb0ES3_PKS7_PS7_S7_ZZZN2at6native31launch_logcumsumexp_cuda_kernelERKNSE_10TensorBaseESI_lENKUlvE_clEvENKUlvE1_clEvEUlS7_S7_E_S7_EEDaPvRmT3_T4_T5_mT6_P12ihipStream_tbENKUlT_T0_E_clISt17integral_constantIbLb1EESZ_EEDaSU_SV_EUlSU_E0_NS1_11comp_targetILNS1_3genE5ELNS1_11target_archE942ELNS1_3gpuE9ELNS1_3repE0EEENS1_30default_config_static_selectorELNS0_4arch9wavefront6targetE1EEEvT1_: ; @_ZN7rocprim17ROCPRIM_400000_NS6detail17trampoline_kernelINS0_14default_configENS1_20scan_config_selectorIN3c107complexIdEEEEZZNS1_9scan_implILNS1_25lookback_scan_determinismE0ELb0ELb0ES3_PKS7_PS7_S7_ZZZN2at6native31launch_logcumsumexp_cuda_kernelERKNSE_10TensorBaseESI_lENKUlvE_clEvENKUlvE1_clEvEUlS7_S7_E_S7_EEDaPvRmT3_T4_T5_mT6_P12ihipStream_tbENKUlT_T0_E_clISt17integral_constantIbLb1EESZ_EEDaSU_SV_EUlSU_E0_NS1_11comp_targetILNS1_3genE5ELNS1_11target_archE942ELNS1_3gpuE9ELNS1_3repE0EEENS1_30default_config_static_selectorELNS0_4arch9wavefront6targetE1EEEvT1_
; %bb.0:
	.section	.rodata,"a",@progbits
	.p2align	6, 0x0
	.amdhsa_kernel _ZN7rocprim17ROCPRIM_400000_NS6detail17trampoline_kernelINS0_14default_configENS1_20scan_config_selectorIN3c107complexIdEEEEZZNS1_9scan_implILNS1_25lookback_scan_determinismE0ELb0ELb0ES3_PKS7_PS7_S7_ZZZN2at6native31launch_logcumsumexp_cuda_kernelERKNSE_10TensorBaseESI_lENKUlvE_clEvENKUlvE1_clEvEUlS7_S7_E_S7_EEDaPvRmT3_T4_T5_mT6_P12ihipStream_tbENKUlT_T0_E_clISt17integral_constantIbLb1EESZ_EEDaSU_SV_EUlSU_E0_NS1_11comp_targetILNS1_3genE5ELNS1_11target_archE942ELNS1_3gpuE9ELNS1_3repE0EEENS1_30default_config_static_selectorELNS0_4arch9wavefront6targetE1EEEvT1_
		.amdhsa_group_segment_fixed_size 0
		.amdhsa_private_segment_fixed_size 0
		.amdhsa_kernarg_size 48
		.amdhsa_user_sgpr_count 6
		.amdhsa_user_sgpr_private_segment_buffer 1
		.amdhsa_user_sgpr_dispatch_ptr 0
		.amdhsa_user_sgpr_queue_ptr 0
		.amdhsa_user_sgpr_kernarg_segment_ptr 1
		.amdhsa_user_sgpr_dispatch_id 0
		.amdhsa_user_sgpr_flat_scratch_init 0
		.amdhsa_user_sgpr_private_segment_size 0
		.amdhsa_uses_dynamic_stack 0
		.amdhsa_system_sgpr_private_segment_wavefront_offset 0
		.amdhsa_system_sgpr_workgroup_id_x 1
		.amdhsa_system_sgpr_workgroup_id_y 0
		.amdhsa_system_sgpr_workgroup_id_z 0
		.amdhsa_system_sgpr_workgroup_info 0
		.amdhsa_system_vgpr_workitem_id 0
		.amdhsa_next_free_vgpr 1
		.amdhsa_next_free_sgpr 0
		.amdhsa_reserve_vcc 0
		.amdhsa_reserve_flat_scratch 0
		.amdhsa_float_round_mode_32 0
		.amdhsa_float_round_mode_16_64 0
		.amdhsa_float_denorm_mode_32 3
		.amdhsa_float_denorm_mode_16_64 3
		.amdhsa_dx10_clamp 1
		.amdhsa_ieee_mode 1
		.amdhsa_fp16_overflow 0
		.amdhsa_exception_fp_ieee_invalid_op 0
		.amdhsa_exception_fp_denorm_src 0
		.amdhsa_exception_fp_ieee_div_zero 0
		.amdhsa_exception_fp_ieee_overflow 0
		.amdhsa_exception_fp_ieee_underflow 0
		.amdhsa_exception_fp_ieee_inexact 0
		.amdhsa_exception_int_div_zero 0
	.end_amdhsa_kernel
	.section	.text._ZN7rocprim17ROCPRIM_400000_NS6detail17trampoline_kernelINS0_14default_configENS1_20scan_config_selectorIN3c107complexIdEEEEZZNS1_9scan_implILNS1_25lookback_scan_determinismE0ELb0ELb0ES3_PKS7_PS7_S7_ZZZN2at6native31launch_logcumsumexp_cuda_kernelERKNSE_10TensorBaseESI_lENKUlvE_clEvENKUlvE1_clEvEUlS7_S7_E_S7_EEDaPvRmT3_T4_T5_mT6_P12ihipStream_tbENKUlT_T0_E_clISt17integral_constantIbLb1EESZ_EEDaSU_SV_EUlSU_E0_NS1_11comp_targetILNS1_3genE5ELNS1_11target_archE942ELNS1_3gpuE9ELNS1_3repE0EEENS1_30default_config_static_selectorELNS0_4arch9wavefront6targetE1EEEvT1_,"axG",@progbits,_ZN7rocprim17ROCPRIM_400000_NS6detail17trampoline_kernelINS0_14default_configENS1_20scan_config_selectorIN3c107complexIdEEEEZZNS1_9scan_implILNS1_25lookback_scan_determinismE0ELb0ELb0ES3_PKS7_PS7_S7_ZZZN2at6native31launch_logcumsumexp_cuda_kernelERKNSE_10TensorBaseESI_lENKUlvE_clEvENKUlvE1_clEvEUlS7_S7_E_S7_EEDaPvRmT3_T4_T5_mT6_P12ihipStream_tbENKUlT_T0_E_clISt17integral_constantIbLb1EESZ_EEDaSU_SV_EUlSU_E0_NS1_11comp_targetILNS1_3genE5ELNS1_11target_archE942ELNS1_3gpuE9ELNS1_3repE0EEENS1_30default_config_static_selectorELNS0_4arch9wavefront6targetE1EEEvT1_,comdat
.Lfunc_end213:
	.size	_ZN7rocprim17ROCPRIM_400000_NS6detail17trampoline_kernelINS0_14default_configENS1_20scan_config_selectorIN3c107complexIdEEEEZZNS1_9scan_implILNS1_25lookback_scan_determinismE0ELb0ELb0ES3_PKS7_PS7_S7_ZZZN2at6native31launch_logcumsumexp_cuda_kernelERKNSE_10TensorBaseESI_lENKUlvE_clEvENKUlvE1_clEvEUlS7_S7_E_S7_EEDaPvRmT3_T4_T5_mT6_P12ihipStream_tbENKUlT_T0_E_clISt17integral_constantIbLb1EESZ_EEDaSU_SV_EUlSU_E0_NS1_11comp_targetILNS1_3genE5ELNS1_11target_archE942ELNS1_3gpuE9ELNS1_3repE0EEENS1_30default_config_static_selectorELNS0_4arch9wavefront6targetE1EEEvT1_, .Lfunc_end213-_ZN7rocprim17ROCPRIM_400000_NS6detail17trampoline_kernelINS0_14default_configENS1_20scan_config_selectorIN3c107complexIdEEEEZZNS1_9scan_implILNS1_25lookback_scan_determinismE0ELb0ELb0ES3_PKS7_PS7_S7_ZZZN2at6native31launch_logcumsumexp_cuda_kernelERKNSE_10TensorBaseESI_lENKUlvE_clEvENKUlvE1_clEvEUlS7_S7_E_S7_EEDaPvRmT3_T4_T5_mT6_P12ihipStream_tbENKUlT_T0_E_clISt17integral_constantIbLb1EESZ_EEDaSU_SV_EUlSU_E0_NS1_11comp_targetILNS1_3genE5ELNS1_11target_archE942ELNS1_3gpuE9ELNS1_3repE0EEENS1_30default_config_static_selectorELNS0_4arch9wavefront6targetE1EEEvT1_
                                        ; -- End function
	.set _ZN7rocprim17ROCPRIM_400000_NS6detail17trampoline_kernelINS0_14default_configENS1_20scan_config_selectorIN3c107complexIdEEEEZZNS1_9scan_implILNS1_25lookback_scan_determinismE0ELb0ELb0ES3_PKS7_PS7_S7_ZZZN2at6native31launch_logcumsumexp_cuda_kernelERKNSE_10TensorBaseESI_lENKUlvE_clEvENKUlvE1_clEvEUlS7_S7_E_S7_EEDaPvRmT3_T4_T5_mT6_P12ihipStream_tbENKUlT_T0_E_clISt17integral_constantIbLb1EESZ_EEDaSU_SV_EUlSU_E0_NS1_11comp_targetILNS1_3genE5ELNS1_11target_archE942ELNS1_3gpuE9ELNS1_3repE0EEENS1_30default_config_static_selectorELNS0_4arch9wavefront6targetE1EEEvT1_.num_vgpr, 0
	.set _ZN7rocprim17ROCPRIM_400000_NS6detail17trampoline_kernelINS0_14default_configENS1_20scan_config_selectorIN3c107complexIdEEEEZZNS1_9scan_implILNS1_25lookback_scan_determinismE0ELb0ELb0ES3_PKS7_PS7_S7_ZZZN2at6native31launch_logcumsumexp_cuda_kernelERKNSE_10TensorBaseESI_lENKUlvE_clEvENKUlvE1_clEvEUlS7_S7_E_S7_EEDaPvRmT3_T4_T5_mT6_P12ihipStream_tbENKUlT_T0_E_clISt17integral_constantIbLb1EESZ_EEDaSU_SV_EUlSU_E0_NS1_11comp_targetILNS1_3genE5ELNS1_11target_archE942ELNS1_3gpuE9ELNS1_3repE0EEENS1_30default_config_static_selectorELNS0_4arch9wavefront6targetE1EEEvT1_.num_agpr, 0
	.set _ZN7rocprim17ROCPRIM_400000_NS6detail17trampoline_kernelINS0_14default_configENS1_20scan_config_selectorIN3c107complexIdEEEEZZNS1_9scan_implILNS1_25lookback_scan_determinismE0ELb0ELb0ES3_PKS7_PS7_S7_ZZZN2at6native31launch_logcumsumexp_cuda_kernelERKNSE_10TensorBaseESI_lENKUlvE_clEvENKUlvE1_clEvEUlS7_S7_E_S7_EEDaPvRmT3_T4_T5_mT6_P12ihipStream_tbENKUlT_T0_E_clISt17integral_constantIbLb1EESZ_EEDaSU_SV_EUlSU_E0_NS1_11comp_targetILNS1_3genE5ELNS1_11target_archE942ELNS1_3gpuE9ELNS1_3repE0EEENS1_30default_config_static_selectorELNS0_4arch9wavefront6targetE1EEEvT1_.numbered_sgpr, 0
	.set _ZN7rocprim17ROCPRIM_400000_NS6detail17trampoline_kernelINS0_14default_configENS1_20scan_config_selectorIN3c107complexIdEEEEZZNS1_9scan_implILNS1_25lookback_scan_determinismE0ELb0ELb0ES3_PKS7_PS7_S7_ZZZN2at6native31launch_logcumsumexp_cuda_kernelERKNSE_10TensorBaseESI_lENKUlvE_clEvENKUlvE1_clEvEUlS7_S7_E_S7_EEDaPvRmT3_T4_T5_mT6_P12ihipStream_tbENKUlT_T0_E_clISt17integral_constantIbLb1EESZ_EEDaSU_SV_EUlSU_E0_NS1_11comp_targetILNS1_3genE5ELNS1_11target_archE942ELNS1_3gpuE9ELNS1_3repE0EEENS1_30default_config_static_selectorELNS0_4arch9wavefront6targetE1EEEvT1_.num_named_barrier, 0
	.set _ZN7rocprim17ROCPRIM_400000_NS6detail17trampoline_kernelINS0_14default_configENS1_20scan_config_selectorIN3c107complexIdEEEEZZNS1_9scan_implILNS1_25lookback_scan_determinismE0ELb0ELb0ES3_PKS7_PS7_S7_ZZZN2at6native31launch_logcumsumexp_cuda_kernelERKNSE_10TensorBaseESI_lENKUlvE_clEvENKUlvE1_clEvEUlS7_S7_E_S7_EEDaPvRmT3_T4_T5_mT6_P12ihipStream_tbENKUlT_T0_E_clISt17integral_constantIbLb1EESZ_EEDaSU_SV_EUlSU_E0_NS1_11comp_targetILNS1_3genE5ELNS1_11target_archE942ELNS1_3gpuE9ELNS1_3repE0EEENS1_30default_config_static_selectorELNS0_4arch9wavefront6targetE1EEEvT1_.private_seg_size, 0
	.set _ZN7rocprim17ROCPRIM_400000_NS6detail17trampoline_kernelINS0_14default_configENS1_20scan_config_selectorIN3c107complexIdEEEEZZNS1_9scan_implILNS1_25lookback_scan_determinismE0ELb0ELb0ES3_PKS7_PS7_S7_ZZZN2at6native31launch_logcumsumexp_cuda_kernelERKNSE_10TensorBaseESI_lENKUlvE_clEvENKUlvE1_clEvEUlS7_S7_E_S7_EEDaPvRmT3_T4_T5_mT6_P12ihipStream_tbENKUlT_T0_E_clISt17integral_constantIbLb1EESZ_EEDaSU_SV_EUlSU_E0_NS1_11comp_targetILNS1_3genE5ELNS1_11target_archE942ELNS1_3gpuE9ELNS1_3repE0EEENS1_30default_config_static_selectorELNS0_4arch9wavefront6targetE1EEEvT1_.uses_vcc, 0
	.set _ZN7rocprim17ROCPRIM_400000_NS6detail17trampoline_kernelINS0_14default_configENS1_20scan_config_selectorIN3c107complexIdEEEEZZNS1_9scan_implILNS1_25lookback_scan_determinismE0ELb0ELb0ES3_PKS7_PS7_S7_ZZZN2at6native31launch_logcumsumexp_cuda_kernelERKNSE_10TensorBaseESI_lENKUlvE_clEvENKUlvE1_clEvEUlS7_S7_E_S7_EEDaPvRmT3_T4_T5_mT6_P12ihipStream_tbENKUlT_T0_E_clISt17integral_constantIbLb1EESZ_EEDaSU_SV_EUlSU_E0_NS1_11comp_targetILNS1_3genE5ELNS1_11target_archE942ELNS1_3gpuE9ELNS1_3repE0EEENS1_30default_config_static_selectorELNS0_4arch9wavefront6targetE1EEEvT1_.uses_flat_scratch, 0
	.set _ZN7rocprim17ROCPRIM_400000_NS6detail17trampoline_kernelINS0_14default_configENS1_20scan_config_selectorIN3c107complexIdEEEEZZNS1_9scan_implILNS1_25lookback_scan_determinismE0ELb0ELb0ES3_PKS7_PS7_S7_ZZZN2at6native31launch_logcumsumexp_cuda_kernelERKNSE_10TensorBaseESI_lENKUlvE_clEvENKUlvE1_clEvEUlS7_S7_E_S7_EEDaPvRmT3_T4_T5_mT6_P12ihipStream_tbENKUlT_T0_E_clISt17integral_constantIbLb1EESZ_EEDaSU_SV_EUlSU_E0_NS1_11comp_targetILNS1_3genE5ELNS1_11target_archE942ELNS1_3gpuE9ELNS1_3repE0EEENS1_30default_config_static_selectorELNS0_4arch9wavefront6targetE1EEEvT1_.has_dyn_sized_stack, 0
	.set _ZN7rocprim17ROCPRIM_400000_NS6detail17trampoline_kernelINS0_14default_configENS1_20scan_config_selectorIN3c107complexIdEEEEZZNS1_9scan_implILNS1_25lookback_scan_determinismE0ELb0ELb0ES3_PKS7_PS7_S7_ZZZN2at6native31launch_logcumsumexp_cuda_kernelERKNSE_10TensorBaseESI_lENKUlvE_clEvENKUlvE1_clEvEUlS7_S7_E_S7_EEDaPvRmT3_T4_T5_mT6_P12ihipStream_tbENKUlT_T0_E_clISt17integral_constantIbLb1EESZ_EEDaSU_SV_EUlSU_E0_NS1_11comp_targetILNS1_3genE5ELNS1_11target_archE942ELNS1_3gpuE9ELNS1_3repE0EEENS1_30default_config_static_selectorELNS0_4arch9wavefront6targetE1EEEvT1_.has_recursion, 0
	.set _ZN7rocprim17ROCPRIM_400000_NS6detail17trampoline_kernelINS0_14default_configENS1_20scan_config_selectorIN3c107complexIdEEEEZZNS1_9scan_implILNS1_25lookback_scan_determinismE0ELb0ELb0ES3_PKS7_PS7_S7_ZZZN2at6native31launch_logcumsumexp_cuda_kernelERKNSE_10TensorBaseESI_lENKUlvE_clEvENKUlvE1_clEvEUlS7_S7_E_S7_EEDaPvRmT3_T4_T5_mT6_P12ihipStream_tbENKUlT_T0_E_clISt17integral_constantIbLb1EESZ_EEDaSU_SV_EUlSU_E0_NS1_11comp_targetILNS1_3genE5ELNS1_11target_archE942ELNS1_3gpuE9ELNS1_3repE0EEENS1_30default_config_static_selectorELNS0_4arch9wavefront6targetE1EEEvT1_.has_indirect_call, 0
	.section	.AMDGPU.csdata,"",@progbits
; Kernel info:
; codeLenInByte = 0
; TotalNumSgprs: 4
; NumVgprs: 0
; ScratchSize: 0
; MemoryBound: 0
; FloatMode: 240
; IeeeMode: 1
; LDSByteSize: 0 bytes/workgroup (compile time only)
; SGPRBlocks: 0
; VGPRBlocks: 0
; NumSGPRsForWavesPerEU: 4
; NumVGPRsForWavesPerEU: 1
; Occupancy: 10
; WaveLimiterHint : 0
; COMPUTE_PGM_RSRC2:SCRATCH_EN: 0
; COMPUTE_PGM_RSRC2:USER_SGPR: 6
; COMPUTE_PGM_RSRC2:TRAP_HANDLER: 0
; COMPUTE_PGM_RSRC2:TGID_X_EN: 1
; COMPUTE_PGM_RSRC2:TGID_Y_EN: 0
; COMPUTE_PGM_RSRC2:TGID_Z_EN: 0
; COMPUTE_PGM_RSRC2:TIDIG_COMP_CNT: 0
	.section	.text._ZN7rocprim17ROCPRIM_400000_NS6detail17trampoline_kernelINS0_14default_configENS1_20scan_config_selectorIN3c107complexIdEEEEZZNS1_9scan_implILNS1_25lookback_scan_determinismE0ELb0ELb0ES3_PKS7_PS7_S7_ZZZN2at6native31launch_logcumsumexp_cuda_kernelERKNSE_10TensorBaseESI_lENKUlvE_clEvENKUlvE1_clEvEUlS7_S7_E_S7_EEDaPvRmT3_T4_T5_mT6_P12ihipStream_tbENKUlT_T0_E_clISt17integral_constantIbLb1EESZ_EEDaSU_SV_EUlSU_E0_NS1_11comp_targetILNS1_3genE4ELNS1_11target_archE910ELNS1_3gpuE8ELNS1_3repE0EEENS1_30default_config_static_selectorELNS0_4arch9wavefront6targetE1EEEvT1_,"axG",@progbits,_ZN7rocprim17ROCPRIM_400000_NS6detail17trampoline_kernelINS0_14default_configENS1_20scan_config_selectorIN3c107complexIdEEEEZZNS1_9scan_implILNS1_25lookback_scan_determinismE0ELb0ELb0ES3_PKS7_PS7_S7_ZZZN2at6native31launch_logcumsumexp_cuda_kernelERKNSE_10TensorBaseESI_lENKUlvE_clEvENKUlvE1_clEvEUlS7_S7_E_S7_EEDaPvRmT3_T4_T5_mT6_P12ihipStream_tbENKUlT_T0_E_clISt17integral_constantIbLb1EESZ_EEDaSU_SV_EUlSU_E0_NS1_11comp_targetILNS1_3genE4ELNS1_11target_archE910ELNS1_3gpuE8ELNS1_3repE0EEENS1_30default_config_static_selectorELNS0_4arch9wavefront6targetE1EEEvT1_,comdat
	.globl	_ZN7rocprim17ROCPRIM_400000_NS6detail17trampoline_kernelINS0_14default_configENS1_20scan_config_selectorIN3c107complexIdEEEEZZNS1_9scan_implILNS1_25lookback_scan_determinismE0ELb0ELb0ES3_PKS7_PS7_S7_ZZZN2at6native31launch_logcumsumexp_cuda_kernelERKNSE_10TensorBaseESI_lENKUlvE_clEvENKUlvE1_clEvEUlS7_S7_E_S7_EEDaPvRmT3_T4_T5_mT6_P12ihipStream_tbENKUlT_T0_E_clISt17integral_constantIbLb1EESZ_EEDaSU_SV_EUlSU_E0_NS1_11comp_targetILNS1_3genE4ELNS1_11target_archE910ELNS1_3gpuE8ELNS1_3repE0EEENS1_30default_config_static_selectorELNS0_4arch9wavefront6targetE1EEEvT1_ ; -- Begin function _ZN7rocprim17ROCPRIM_400000_NS6detail17trampoline_kernelINS0_14default_configENS1_20scan_config_selectorIN3c107complexIdEEEEZZNS1_9scan_implILNS1_25lookback_scan_determinismE0ELb0ELb0ES3_PKS7_PS7_S7_ZZZN2at6native31launch_logcumsumexp_cuda_kernelERKNSE_10TensorBaseESI_lENKUlvE_clEvENKUlvE1_clEvEUlS7_S7_E_S7_EEDaPvRmT3_T4_T5_mT6_P12ihipStream_tbENKUlT_T0_E_clISt17integral_constantIbLb1EESZ_EEDaSU_SV_EUlSU_E0_NS1_11comp_targetILNS1_3genE4ELNS1_11target_archE910ELNS1_3gpuE8ELNS1_3repE0EEENS1_30default_config_static_selectorELNS0_4arch9wavefront6targetE1EEEvT1_
	.p2align	8
	.type	_ZN7rocprim17ROCPRIM_400000_NS6detail17trampoline_kernelINS0_14default_configENS1_20scan_config_selectorIN3c107complexIdEEEEZZNS1_9scan_implILNS1_25lookback_scan_determinismE0ELb0ELb0ES3_PKS7_PS7_S7_ZZZN2at6native31launch_logcumsumexp_cuda_kernelERKNSE_10TensorBaseESI_lENKUlvE_clEvENKUlvE1_clEvEUlS7_S7_E_S7_EEDaPvRmT3_T4_T5_mT6_P12ihipStream_tbENKUlT_T0_E_clISt17integral_constantIbLb1EESZ_EEDaSU_SV_EUlSU_E0_NS1_11comp_targetILNS1_3genE4ELNS1_11target_archE910ELNS1_3gpuE8ELNS1_3repE0EEENS1_30default_config_static_selectorELNS0_4arch9wavefront6targetE1EEEvT1_,@function
_ZN7rocprim17ROCPRIM_400000_NS6detail17trampoline_kernelINS0_14default_configENS1_20scan_config_selectorIN3c107complexIdEEEEZZNS1_9scan_implILNS1_25lookback_scan_determinismE0ELb0ELb0ES3_PKS7_PS7_S7_ZZZN2at6native31launch_logcumsumexp_cuda_kernelERKNSE_10TensorBaseESI_lENKUlvE_clEvENKUlvE1_clEvEUlS7_S7_E_S7_EEDaPvRmT3_T4_T5_mT6_P12ihipStream_tbENKUlT_T0_E_clISt17integral_constantIbLb1EESZ_EEDaSU_SV_EUlSU_E0_NS1_11comp_targetILNS1_3genE4ELNS1_11target_archE910ELNS1_3gpuE8ELNS1_3repE0EEENS1_30default_config_static_selectorELNS0_4arch9wavefront6targetE1EEEvT1_: ; @_ZN7rocprim17ROCPRIM_400000_NS6detail17trampoline_kernelINS0_14default_configENS1_20scan_config_selectorIN3c107complexIdEEEEZZNS1_9scan_implILNS1_25lookback_scan_determinismE0ELb0ELb0ES3_PKS7_PS7_S7_ZZZN2at6native31launch_logcumsumexp_cuda_kernelERKNSE_10TensorBaseESI_lENKUlvE_clEvENKUlvE1_clEvEUlS7_S7_E_S7_EEDaPvRmT3_T4_T5_mT6_P12ihipStream_tbENKUlT_T0_E_clISt17integral_constantIbLb1EESZ_EEDaSU_SV_EUlSU_E0_NS1_11comp_targetILNS1_3genE4ELNS1_11target_archE910ELNS1_3gpuE8ELNS1_3repE0EEENS1_30default_config_static_selectorELNS0_4arch9wavefront6targetE1EEEvT1_
; %bb.0:
	.section	.rodata,"a",@progbits
	.p2align	6, 0x0
	.amdhsa_kernel _ZN7rocprim17ROCPRIM_400000_NS6detail17trampoline_kernelINS0_14default_configENS1_20scan_config_selectorIN3c107complexIdEEEEZZNS1_9scan_implILNS1_25lookback_scan_determinismE0ELb0ELb0ES3_PKS7_PS7_S7_ZZZN2at6native31launch_logcumsumexp_cuda_kernelERKNSE_10TensorBaseESI_lENKUlvE_clEvENKUlvE1_clEvEUlS7_S7_E_S7_EEDaPvRmT3_T4_T5_mT6_P12ihipStream_tbENKUlT_T0_E_clISt17integral_constantIbLb1EESZ_EEDaSU_SV_EUlSU_E0_NS1_11comp_targetILNS1_3genE4ELNS1_11target_archE910ELNS1_3gpuE8ELNS1_3repE0EEENS1_30default_config_static_selectorELNS0_4arch9wavefront6targetE1EEEvT1_
		.amdhsa_group_segment_fixed_size 0
		.amdhsa_private_segment_fixed_size 0
		.amdhsa_kernarg_size 48
		.amdhsa_user_sgpr_count 6
		.amdhsa_user_sgpr_private_segment_buffer 1
		.amdhsa_user_sgpr_dispatch_ptr 0
		.amdhsa_user_sgpr_queue_ptr 0
		.amdhsa_user_sgpr_kernarg_segment_ptr 1
		.amdhsa_user_sgpr_dispatch_id 0
		.amdhsa_user_sgpr_flat_scratch_init 0
		.amdhsa_user_sgpr_private_segment_size 0
		.amdhsa_uses_dynamic_stack 0
		.amdhsa_system_sgpr_private_segment_wavefront_offset 0
		.amdhsa_system_sgpr_workgroup_id_x 1
		.amdhsa_system_sgpr_workgroup_id_y 0
		.amdhsa_system_sgpr_workgroup_id_z 0
		.amdhsa_system_sgpr_workgroup_info 0
		.amdhsa_system_vgpr_workitem_id 0
		.amdhsa_next_free_vgpr 1
		.amdhsa_next_free_sgpr 0
		.amdhsa_reserve_vcc 0
		.amdhsa_reserve_flat_scratch 0
		.amdhsa_float_round_mode_32 0
		.amdhsa_float_round_mode_16_64 0
		.amdhsa_float_denorm_mode_32 3
		.amdhsa_float_denorm_mode_16_64 3
		.amdhsa_dx10_clamp 1
		.amdhsa_ieee_mode 1
		.amdhsa_fp16_overflow 0
		.amdhsa_exception_fp_ieee_invalid_op 0
		.amdhsa_exception_fp_denorm_src 0
		.amdhsa_exception_fp_ieee_div_zero 0
		.amdhsa_exception_fp_ieee_overflow 0
		.amdhsa_exception_fp_ieee_underflow 0
		.amdhsa_exception_fp_ieee_inexact 0
		.amdhsa_exception_int_div_zero 0
	.end_amdhsa_kernel
	.section	.text._ZN7rocprim17ROCPRIM_400000_NS6detail17trampoline_kernelINS0_14default_configENS1_20scan_config_selectorIN3c107complexIdEEEEZZNS1_9scan_implILNS1_25lookback_scan_determinismE0ELb0ELb0ES3_PKS7_PS7_S7_ZZZN2at6native31launch_logcumsumexp_cuda_kernelERKNSE_10TensorBaseESI_lENKUlvE_clEvENKUlvE1_clEvEUlS7_S7_E_S7_EEDaPvRmT3_T4_T5_mT6_P12ihipStream_tbENKUlT_T0_E_clISt17integral_constantIbLb1EESZ_EEDaSU_SV_EUlSU_E0_NS1_11comp_targetILNS1_3genE4ELNS1_11target_archE910ELNS1_3gpuE8ELNS1_3repE0EEENS1_30default_config_static_selectorELNS0_4arch9wavefront6targetE1EEEvT1_,"axG",@progbits,_ZN7rocprim17ROCPRIM_400000_NS6detail17trampoline_kernelINS0_14default_configENS1_20scan_config_selectorIN3c107complexIdEEEEZZNS1_9scan_implILNS1_25lookback_scan_determinismE0ELb0ELb0ES3_PKS7_PS7_S7_ZZZN2at6native31launch_logcumsumexp_cuda_kernelERKNSE_10TensorBaseESI_lENKUlvE_clEvENKUlvE1_clEvEUlS7_S7_E_S7_EEDaPvRmT3_T4_T5_mT6_P12ihipStream_tbENKUlT_T0_E_clISt17integral_constantIbLb1EESZ_EEDaSU_SV_EUlSU_E0_NS1_11comp_targetILNS1_3genE4ELNS1_11target_archE910ELNS1_3gpuE8ELNS1_3repE0EEENS1_30default_config_static_selectorELNS0_4arch9wavefront6targetE1EEEvT1_,comdat
.Lfunc_end214:
	.size	_ZN7rocprim17ROCPRIM_400000_NS6detail17trampoline_kernelINS0_14default_configENS1_20scan_config_selectorIN3c107complexIdEEEEZZNS1_9scan_implILNS1_25lookback_scan_determinismE0ELb0ELb0ES3_PKS7_PS7_S7_ZZZN2at6native31launch_logcumsumexp_cuda_kernelERKNSE_10TensorBaseESI_lENKUlvE_clEvENKUlvE1_clEvEUlS7_S7_E_S7_EEDaPvRmT3_T4_T5_mT6_P12ihipStream_tbENKUlT_T0_E_clISt17integral_constantIbLb1EESZ_EEDaSU_SV_EUlSU_E0_NS1_11comp_targetILNS1_3genE4ELNS1_11target_archE910ELNS1_3gpuE8ELNS1_3repE0EEENS1_30default_config_static_selectorELNS0_4arch9wavefront6targetE1EEEvT1_, .Lfunc_end214-_ZN7rocprim17ROCPRIM_400000_NS6detail17trampoline_kernelINS0_14default_configENS1_20scan_config_selectorIN3c107complexIdEEEEZZNS1_9scan_implILNS1_25lookback_scan_determinismE0ELb0ELb0ES3_PKS7_PS7_S7_ZZZN2at6native31launch_logcumsumexp_cuda_kernelERKNSE_10TensorBaseESI_lENKUlvE_clEvENKUlvE1_clEvEUlS7_S7_E_S7_EEDaPvRmT3_T4_T5_mT6_P12ihipStream_tbENKUlT_T0_E_clISt17integral_constantIbLb1EESZ_EEDaSU_SV_EUlSU_E0_NS1_11comp_targetILNS1_3genE4ELNS1_11target_archE910ELNS1_3gpuE8ELNS1_3repE0EEENS1_30default_config_static_selectorELNS0_4arch9wavefront6targetE1EEEvT1_
                                        ; -- End function
	.set _ZN7rocprim17ROCPRIM_400000_NS6detail17trampoline_kernelINS0_14default_configENS1_20scan_config_selectorIN3c107complexIdEEEEZZNS1_9scan_implILNS1_25lookback_scan_determinismE0ELb0ELb0ES3_PKS7_PS7_S7_ZZZN2at6native31launch_logcumsumexp_cuda_kernelERKNSE_10TensorBaseESI_lENKUlvE_clEvENKUlvE1_clEvEUlS7_S7_E_S7_EEDaPvRmT3_T4_T5_mT6_P12ihipStream_tbENKUlT_T0_E_clISt17integral_constantIbLb1EESZ_EEDaSU_SV_EUlSU_E0_NS1_11comp_targetILNS1_3genE4ELNS1_11target_archE910ELNS1_3gpuE8ELNS1_3repE0EEENS1_30default_config_static_selectorELNS0_4arch9wavefront6targetE1EEEvT1_.num_vgpr, 0
	.set _ZN7rocprim17ROCPRIM_400000_NS6detail17trampoline_kernelINS0_14default_configENS1_20scan_config_selectorIN3c107complexIdEEEEZZNS1_9scan_implILNS1_25lookback_scan_determinismE0ELb0ELb0ES3_PKS7_PS7_S7_ZZZN2at6native31launch_logcumsumexp_cuda_kernelERKNSE_10TensorBaseESI_lENKUlvE_clEvENKUlvE1_clEvEUlS7_S7_E_S7_EEDaPvRmT3_T4_T5_mT6_P12ihipStream_tbENKUlT_T0_E_clISt17integral_constantIbLb1EESZ_EEDaSU_SV_EUlSU_E0_NS1_11comp_targetILNS1_3genE4ELNS1_11target_archE910ELNS1_3gpuE8ELNS1_3repE0EEENS1_30default_config_static_selectorELNS0_4arch9wavefront6targetE1EEEvT1_.num_agpr, 0
	.set _ZN7rocprim17ROCPRIM_400000_NS6detail17trampoline_kernelINS0_14default_configENS1_20scan_config_selectorIN3c107complexIdEEEEZZNS1_9scan_implILNS1_25lookback_scan_determinismE0ELb0ELb0ES3_PKS7_PS7_S7_ZZZN2at6native31launch_logcumsumexp_cuda_kernelERKNSE_10TensorBaseESI_lENKUlvE_clEvENKUlvE1_clEvEUlS7_S7_E_S7_EEDaPvRmT3_T4_T5_mT6_P12ihipStream_tbENKUlT_T0_E_clISt17integral_constantIbLb1EESZ_EEDaSU_SV_EUlSU_E0_NS1_11comp_targetILNS1_3genE4ELNS1_11target_archE910ELNS1_3gpuE8ELNS1_3repE0EEENS1_30default_config_static_selectorELNS0_4arch9wavefront6targetE1EEEvT1_.numbered_sgpr, 0
	.set _ZN7rocprim17ROCPRIM_400000_NS6detail17trampoline_kernelINS0_14default_configENS1_20scan_config_selectorIN3c107complexIdEEEEZZNS1_9scan_implILNS1_25lookback_scan_determinismE0ELb0ELb0ES3_PKS7_PS7_S7_ZZZN2at6native31launch_logcumsumexp_cuda_kernelERKNSE_10TensorBaseESI_lENKUlvE_clEvENKUlvE1_clEvEUlS7_S7_E_S7_EEDaPvRmT3_T4_T5_mT6_P12ihipStream_tbENKUlT_T0_E_clISt17integral_constantIbLb1EESZ_EEDaSU_SV_EUlSU_E0_NS1_11comp_targetILNS1_3genE4ELNS1_11target_archE910ELNS1_3gpuE8ELNS1_3repE0EEENS1_30default_config_static_selectorELNS0_4arch9wavefront6targetE1EEEvT1_.num_named_barrier, 0
	.set _ZN7rocprim17ROCPRIM_400000_NS6detail17trampoline_kernelINS0_14default_configENS1_20scan_config_selectorIN3c107complexIdEEEEZZNS1_9scan_implILNS1_25lookback_scan_determinismE0ELb0ELb0ES3_PKS7_PS7_S7_ZZZN2at6native31launch_logcumsumexp_cuda_kernelERKNSE_10TensorBaseESI_lENKUlvE_clEvENKUlvE1_clEvEUlS7_S7_E_S7_EEDaPvRmT3_T4_T5_mT6_P12ihipStream_tbENKUlT_T0_E_clISt17integral_constantIbLb1EESZ_EEDaSU_SV_EUlSU_E0_NS1_11comp_targetILNS1_3genE4ELNS1_11target_archE910ELNS1_3gpuE8ELNS1_3repE0EEENS1_30default_config_static_selectorELNS0_4arch9wavefront6targetE1EEEvT1_.private_seg_size, 0
	.set _ZN7rocprim17ROCPRIM_400000_NS6detail17trampoline_kernelINS0_14default_configENS1_20scan_config_selectorIN3c107complexIdEEEEZZNS1_9scan_implILNS1_25lookback_scan_determinismE0ELb0ELb0ES3_PKS7_PS7_S7_ZZZN2at6native31launch_logcumsumexp_cuda_kernelERKNSE_10TensorBaseESI_lENKUlvE_clEvENKUlvE1_clEvEUlS7_S7_E_S7_EEDaPvRmT3_T4_T5_mT6_P12ihipStream_tbENKUlT_T0_E_clISt17integral_constantIbLb1EESZ_EEDaSU_SV_EUlSU_E0_NS1_11comp_targetILNS1_3genE4ELNS1_11target_archE910ELNS1_3gpuE8ELNS1_3repE0EEENS1_30default_config_static_selectorELNS0_4arch9wavefront6targetE1EEEvT1_.uses_vcc, 0
	.set _ZN7rocprim17ROCPRIM_400000_NS6detail17trampoline_kernelINS0_14default_configENS1_20scan_config_selectorIN3c107complexIdEEEEZZNS1_9scan_implILNS1_25lookback_scan_determinismE0ELb0ELb0ES3_PKS7_PS7_S7_ZZZN2at6native31launch_logcumsumexp_cuda_kernelERKNSE_10TensorBaseESI_lENKUlvE_clEvENKUlvE1_clEvEUlS7_S7_E_S7_EEDaPvRmT3_T4_T5_mT6_P12ihipStream_tbENKUlT_T0_E_clISt17integral_constantIbLb1EESZ_EEDaSU_SV_EUlSU_E0_NS1_11comp_targetILNS1_3genE4ELNS1_11target_archE910ELNS1_3gpuE8ELNS1_3repE0EEENS1_30default_config_static_selectorELNS0_4arch9wavefront6targetE1EEEvT1_.uses_flat_scratch, 0
	.set _ZN7rocprim17ROCPRIM_400000_NS6detail17trampoline_kernelINS0_14default_configENS1_20scan_config_selectorIN3c107complexIdEEEEZZNS1_9scan_implILNS1_25lookback_scan_determinismE0ELb0ELb0ES3_PKS7_PS7_S7_ZZZN2at6native31launch_logcumsumexp_cuda_kernelERKNSE_10TensorBaseESI_lENKUlvE_clEvENKUlvE1_clEvEUlS7_S7_E_S7_EEDaPvRmT3_T4_T5_mT6_P12ihipStream_tbENKUlT_T0_E_clISt17integral_constantIbLb1EESZ_EEDaSU_SV_EUlSU_E0_NS1_11comp_targetILNS1_3genE4ELNS1_11target_archE910ELNS1_3gpuE8ELNS1_3repE0EEENS1_30default_config_static_selectorELNS0_4arch9wavefront6targetE1EEEvT1_.has_dyn_sized_stack, 0
	.set _ZN7rocprim17ROCPRIM_400000_NS6detail17trampoline_kernelINS0_14default_configENS1_20scan_config_selectorIN3c107complexIdEEEEZZNS1_9scan_implILNS1_25lookback_scan_determinismE0ELb0ELb0ES3_PKS7_PS7_S7_ZZZN2at6native31launch_logcumsumexp_cuda_kernelERKNSE_10TensorBaseESI_lENKUlvE_clEvENKUlvE1_clEvEUlS7_S7_E_S7_EEDaPvRmT3_T4_T5_mT6_P12ihipStream_tbENKUlT_T0_E_clISt17integral_constantIbLb1EESZ_EEDaSU_SV_EUlSU_E0_NS1_11comp_targetILNS1_3genE4ELNS1_11target_archE910ELNS1_3gpuE8ELNS1_3repE0EEENS1_30default_config_static_selectorELNS0_4arch9wavefront6targetE1EEEvT1_.has_recursion, 0
	.set _ZN7rocprim17ROCPRIM_400000_NS6detail17trampoline_kernelINS0_14default_configENS1_20scan_config_selectorIN3c107complexIdEEEEZZNS1_9scan_implILNS1_25lookback_scan_determinismE0ELb0ELb0ES3_PKS7_PS7_S7_ZZZN2at6native31launch_logcumsumexp_cuda_kernelERKNSE_10TensorBaseESI_lENKUlvE_clEvENKUlvE1_clEvEUlS7_S7_E_S7_EEDaPvRmT3_T4_T5_mT6_P12ihipStream_tbENKUlT_T0_E_clISt17integral_constantIbLb1EESZ_EEDaSU_SV_EUlSU_E0_NS1_11comp_targetILNS1_3genE4ELNS1_11target_archE910ELNS1_3gpuE8ELNS1_3repE0EEENS1_30default_config_static_selectorELNS0_4arch9wavefront6targetE1EEEvT1_.has_indirect_call, 0
	.section	.AMDGPU.csdata,"",@progbits
; Kernel info:
; codeLenInByte = 0
; TotalNumSgprs: 4
; NumVgprs: 0
; ScratchSize: 0
; MemoryBound: 0
; FloatMode: 240
; IeeeMode: 1
; LDSByteSize: 0 bytes/workgroup (compile time only)
; SGPRBlocks: 0
; VGPRBlocks: 0
; NumSGPRsForWavesPerEU: 4
; NumVGPRsForWavesPerEU: 1
; Occupancy: 10
; WaveLimiterHint : 0
; COMPUTE_PGM_RSRC2:SCRATCH_EN: 0
; COMPUTE_PGM_RSRC2:USER_SGPR: 6
; COMPUTE_PGM_RSRC2:TRAP_HANDLER: 0
; COMPUTE_PGM_RSRC2:TGID_X_EN: 1
; COMPUTE_PGM_RSRC2:TGID_Y_EN: 0
; COMPUTE_PGM_RSRC2:TGID_Z_EN: 0
; COMPUTE_PGM_RSRC2:TIDIG_COMP_CNT: 0
	.section	.text._ZN7rocprim17ROCPRIM_400000_NS6detail17trampoline_kernelINS0_14default_configENS1_20scan_config_selectorIN3c107complexIdEEEEZZNS1_9scan_implILNS1_25lookback_scan_determinismE0ELb0ELb0ES3_PKS7_PS7_S7_ZZZN2at6native31launch_logcumsumexp_cuda_kernelERKNSE_10TensorBaseESI_lENKUlvE_clEvENKUlvE1_clEvEUlS7_S7_E_S7_EEDaPvRmT3_T4_T5_mT6_P12ihipStream_tbENKUlT_T0_E_clISt17integral_constantIbLb1EESZ_EEDaSU_SV_EUlSU_E0_NS1_11comp_targetILNS1_3genE3ELNS1_11target_archE908ELNS1_3gpuE7ELNS1_3repE0EEENS1_30default_config_static_selectorELNS0_4arch9wavefront6targetE1EEEvT1_,"axG",@progbits,_ZN7rocprim17ROCPRIM_400000_NS6detail17trampoline_kernelINS0_14default_configENS1_20scan_config_selectorIN3c107complexIdEEEEZZNS1_9scan_implILNS1_25lookback_scan_determinismE0ELb0ELb0ES3_PKS7_PS7_S7_ZZZN2at6native31launch_logcumsumexp_cuda_kernelERKNSE_10TensorBaseESI_lENKUlvE_clEvENKUlvE1_clEvEUlS7_S7_E_S7_EEDaPvRmT3_T4_T5_mT6_P12ihipStream_tbENKUlT_T0_E_clISt17integral_constantIbLb1EESZ_EEDaSU_SV_EUlSU_E0_NS1_11comp_targetILNS1_3genE3ELNS1_11target_archE908ELNS1_3gpuE7ELNS1_3repE0EEENS1_30default_config_static_selectorELNS0_4arch9wavefront6targetE1EEEvT1_,comdat
	.globl	_ZN7rocprim17ROCPRIM_400000_NS6detail17trampoline_kernelINS0_14default_configENS1_20scan_config_selectorIN3c107complexIdEEEEZZNS1_9scan_implILNS1_25lookback_scan_determinismE0ELb0ELb0ES3_PKS7_PS7_S7_ZZZN2at6native31launch_logcumsumexp_cuda_kernelERKNSE_10TensorBaseESI_lENKUlvE_clEvENKUlvE1_clEvEUlS7_S7_E_S7_EEDaPvRmT3_T4_T5_mT6_P12ihipStream_tbENKUlT_T0_E_clISt17integral_constantIbLb1EESZ_EEDaSU_SV_EUlSU_E0_NS1_11comp_targetILNS1_3genE3ELNS1_11target_archE908ELNS1_3gpuE7ELNS1_3repE0EEENS1_30default_config_static_selectorELNS0_4arch9wavefront6targetE1EEEvT1_ ; -- Begin function _ZN7rocprim17ROCPRIM_400000_NS6detail17trampoline_kernelINS0_14default_configENS1_20scan_config_selectorIN3c107complexIdEEEEZZNS1_9scan_implILNS1_25lookback_scan_determinismE0ELb0ELb0ES3_PKS7_PS7_S7_ZZZN2at6native31launch_logcumsumexp_cuda_kernelERKNSE_10TensorBaseESI_lENKUlvE_clEvENKUlvE1_clEvEUlS7_S7_E_S7_EEDaPvRmT3_T4_T5_mT6_P12ihipStream_tbENKUlT_T0_E_clISt17integral_constantIbLb1EESZ_EEDaSU_SV_EUlSU_E0_NS1_11comp_targetILNS1_3genE3ELNS1_11target_archE908ELNS1_3gpuE7ELNS1_3repE0EEENS1_30default_config_static_selectorELNS0_4arch9wavefront6targetE1EEEvT1_
	.p2align	8
	.type	_ZN7rocprim17ROCPRIM_400000_NS6detail17trampoline_kernelINS0_14default_configENS1_20scan_config_selectorIN3c107complexIdEEEEZZNS1_9scan_implILNS1_25lookback_scan_determinismE0ELb0ELb0ES3_PKS7_PS7_S7_ZZZN2at6native31launch_logcumsumexp_cuda_kernelERKNSE_10TensorBaseESI_lENKUlvE_clEvENKUlvE1_clEvEUlS7_S7_E_S7_EEDaPvRmT3_T4_T5_mT6_P12ihipStream_tbENKUlT_T0_E_clISt17integral_constantIbLb1EESZ_EEDaSU_SV_EUlSU_E0_NS1_11comp_targetILNS1_3genE3ELNS1_11target_archE908ELNS1_3gpuE7ELNS1_3repE0EEENS1_30default_config_static_selectorELNS0_4arch9wavefront6targetE1EEEvT1_,@function
_ZN7rocprim17ROCPRIM_400000_NS6detail17trampoline_kernelINS0_14default_configENS1_20scan_config_selectorIN3c107complexIdEEEEZZNS1_9scan_implILNS1_25lookback_scan_determinismE0ELb0ELb0ES3_PKS7_PS7_S7_ZZZN2at6native31launch_logcumsumexp_cuda_kernelERKNSE_10TensorBaseESI_lENKUlvE_clEvENKUlvE1_clEvEUlS7_S7_E_S7_EEDaPvRmT3_T4_T5_mT6_P12ihipStream_tbENKUlT_T0_E_clISt17integral_constantIbLb1EESZ_EEDaSU_SV_EUlSU_E0_NS1_11comp_targetILNS1_3genE3ELNS1_11target_archE908ELNS1_3gpuE7ELNS1_3repE0EEENS1_30default_config_static_selectorELNS0_4arch9wavefront6targetE1EEEvT1_: ; @_ZN7rocprim17ROCPRIM_400000_NS6detail17trampoline_kernelINS0_14default_configENS1_20scan_config_selectorIN3c107complexIdEEEEZZNS1_9scan_implILNS1_25lookback_scan_determinismE0ELb0ELb0ES3_PKS7_PS7_S7_ZZZN2at6native31launch_logcumsumexp_cuda_kernelERKNSE_10TensorBaseESI_lENKUlvE_clEvENKUlvE1_clEvEUlS7_S7_E_S7_EEDaPvRmT3_T4_T5_mT6_P12ihipStream_tbENKUlT_T0_E_clISt17integral_constantIbLb1EESZ_EEDaSU_SV_EUlSU_E0_NS1_11comp_targetILNS1_3genE3ELNS1_11target_archE908ELNS1_3gpuE7ELNS1_3repE0EEENS1_30default_config_static_selectorELNS0_4arch9wavefront6targetE1EEEvT1_
; %bb.0:
	.section	.rodata,"a",@progbits
	.p2align	6, 0x0
	.amdhsa_kernel _ZN7rocprim17ROCPRIM_400000_NS6detail17trampoline_kernelINS0_14default_configENS1_20scan_config_selectorIN3c107complexIdEEEEZZNS1_9scan_implILNS1_25lookback_scan_determinismE0ELb0ELb0ES3_PKS7_PS7_S7_ZZZN2at6native31launch_logcumsumexp_cuda_kernelERKNSE_10TensorBaseESI_lENKUlvE_clEvENKUlvE1_clEvEUlS7_S7_E_S7_EEDaPvRmT3_T4_T5_mT6_P12ihipStream_tbENKUlT_T0_E_clISt17integral_constantIbLb1EESZ_EEDaSU_SV_EUlSU_E0_NS1_11comp_targetILNS1_3genE3ELNS1_11target_archE908ELNS1_3gpuE7ELNS1_3repE0EEENS1_30default_config_static_selectorELNS0_4arch9wavefront6targetE1EEEvT1_
		.amdhsa_group_segment_fixed_size 0
		.amdhsa_private_segment_fixed_size 0
		.amdhsa_kernarg_size 48
		.amdhsa_user_sgpr_count 6
		.amdhsa_user_sgpr_private_segment_buffer 1
		.amdhsa_user_sgpr_dispatch_ptr 0
		.amdhsa_user_sgpr_queue_ptr 0
		.amdhsa_user_sgpr_kernarg_segment_ptr 1
		.amdhsa_user_sgpr_dispatch_id 0
		.amdhsa_user_sgpr_flat_scratch_init 0
		.amdhsa_user_sgpr_private_segment_size 0
		.amdhsa_uses_dynamic_stack 0
		.amdhsa_system_sgpr_private_segment_wavefront_offset 0
		.amdhsa_system_sgpr_workgroup_id_x 1
		.amdhsa_system_sgpr_workgroup_id_y 0
		.amdhsa_system_sgpr_workgroup_id_z 0
		.amdhsa_system_sgpr_workgroup_info 0
		.amdhsa_system_vgpr_workitem_id 0
		.amdhsa_next_free_vgpr 1
		.amdhsa_next_free_sgpr 0
		.amdhsa_reserve_vcc 0
		.amdhsa_reserve_flat_scratch 0
		.amdhsa_float_round_mode_32 0
		.amdhsa_float_round_mode_16_64 0
		.amdhsa_float_denorm_mode_32 3
		.amdhsa_float_denorm_mode_16_64 3
		.amdhsa_dx10_clamp 1
		.amdhsa_ieee_mode 1
		.amdhsa_fp16_overflow 0
		.amdhsa_exception_fp_ieee_invalid_op 0
		.amdhsa_exception_fp_denorm_src 0
		.amdhsa_exception_fp_ieee_div_zero 0
		.amdhsa_exception_fp_ieee_overflow 0
		.amdhsa_exception_fp_ieee_underflow 0
		.amdhsa_exception_fp_ieee_inexact 0
		.amdhsa_exception_int_div_zero 0
	.end_amdhsa_kernel
	.section	.text._ZN7rocprim17ROCPRIM_400000_NS6detail17trampoline_kernelINS0_14default_configENS1_20scan_config_selectorIN3c107complexIdEEEEZZNS1_9scan_implILNS1_25lookback_scan_determinismE0ELb0ELb0ES3_PKS7_PS7_S7_ZZZN2at6native31launch_logcumsumexp_cuda_kernelERKNSE_10TensorBaseESI_lENKUlvE_clEvENKUlvE1_clEvEUlS7_S7_E_S7_EEDaPvRmT3_T4_T5_mT6_P12ihipStream_tbENKUlT_T0_E_clISt17integral_constantIbLb1EESZ_EEDaSU_SV_EUlSU_E0_NS1_11comp_targetILNS1_3genE3ELNS1_11target_archE908ELNS1_3gpuE7ELNS1_3repE0EEENS1_30default_config_static_selectorELNS0_4arch9wavefront6targetE1EEEvT1_,"axG",@progbits,_ZN7rocprim17ROCPRIM_400000_NS6detail17trampoline_kernelINS0_14default_configENS1_20scan_config_selectorIN3c107complexIdEEEEZZNS1_9scan_implILNS1_25lookback_scan_determinismE0ELb0ELb0ES3_PKS7_PS7_S7_ZZZN2at6native31launch_logcumsumexp_cuda_kernelERKNSE_10TensorBaseESI_lENKUlvE_clEvENKUlvE1_clEvEUlS7_S7_E_S7_EEDaPvRmT3_T4_T5_mT6_P12ihipStream_tbENKUlT_T0_E_clISt17integral_constantIbLb1EESZ_EEDaSU_SV_EUlSU_E0_NS1_11comp_targetILNS1_3genE3ELNS1_11target_archE908ELNS1_3gpuE7ELNS1_3repE0EEENS1_30default_config_static_selectorELNS0_4arch9wavefront6targetE1EEEvT1_,comdat
.Lfunc_end215:
	.size	_ZN7rocprim17ROCPRIM_400000_NS6detail17trampoline_kernelINS0_14default_configENS1_20scan_config_selectorIN3c107complexIdEEEEZZNS1_9scan_implILNS1_25lookback_scan_determinismE0ELb0ELb0ES3_PKS7_PS7_S7_ZZZN2at6native31launch_logcumsumexp_cuda_kernelERKNSE_10TensorBaseESI_lENKUlvE_clEvENKUlvE1_clEvEUlS7_S7_E_S7_EEDaPvRmT3_T4_T5_mT6_P12ihipStream_tbENKUlT_T0_E_clISt17integral_constantIbLb1EESZ_EEDaSU_SV_EUlSU_E0_NS1_11comp_targetILNS1_3genE3ELNS1_11target_archE908ELNS1_3gpuE7ELNS1_3repE0EEENS1_30default_config_static_selectorELNS0_4arch9wavefront6targetE1EEEvT1_, .Lfunc_end215-_ZN7rocprim17ROCPRIM_400000_NS6detail17trampoline_kernelINS0_14default_configENS1_20scan_config_selectorIN3c107complexIdEEEEZZNS1_9scan_implILNS1_25lookback_scan_determinismE0ELb0ELb0ES3_PKS7_PS7_S7_ZZZN2at6native31launch_logcumsumexp_cuda_kernelERKNSE_10TensorBaseESI_lENKUlvE_clEvENKUlvE1_clEvEUlS7_S7_E_S7_EEDaPvRmT3_T4_T5_mT6_P12ihipStream_tbENKUlT_T0_E_clISt17integral_constantIbLb1EESZ_EEDaSU_SV_EUlSU_E0_NS1_11comp_targetILNS1_3genE3ELNS1_11target_archE908ELNS1_3gpuE7ELNS1_3repE0EEENS1_30default_config_static_selectorELNS0_4arch9wavefront6targetE1EEEvT1_
                                        ; -- End function
	.set _ZN7rocprim17ROCPRIM_400000_NS6detail17trampoline_kernelINS0_14default_configENS1_20scan_config_selectorIN3c107complexIdEEEEZZNS1_9scan_implILNS1_25lookback_scan_determinismE0ELb0ELb0ES3_PKS7_PS7_S7_ZZZN2at6native31launch_logcumsumexp_cuda_kernelERKNSE_10TensorBaseESI_lENKUlvE_clEvENKUlvE1_clEvEUlS7_S7_E_S7_EEDaPvRmT3_T4_T5_mT6_P12ihipStream_tbENKUlT_T0_E_clISt17integral_constantIbLb1EESZ_EEDaSU_SV_EUlSU_E0_NS1_11comp_targetILNS1_3genE3ELNS1_11target_archE908ELNS1_3gpuE7ELNS1_3repE0EEENS1_30default_config_static_selectorELNS0_4arch9wavefront6targetE1EEEvT1_.num_vgpr, 0
	.set _ZN7rocprim17ROCPRIM_400000_NS6detail17trampoline_kernelINS0_14default_configENS1_20scan_config_selectorIN3c107complexIdEEEEZZNS1_9scan_implILNS1_25lookback_scan_determinismE0ELb0ELb0ES3_PKS7_PS7_S7_ZZZN2at6native31launch_logcumsumexp_cuda_kernelERKNSE_10TensorBaseESI_lENKUlvE_clEvENKUlvE1_clEvEUlS7_S7_E_S7_EEDaPvRmT3_T4_T5_mT6_P12ihipStream_tbENKUlT_T0_E_clISt17integral_constantIbLb1EESZ_EEDaSU_SV_EUlSU_E0_NS1_11comp_targetILNS1_3genE3ELNS1_11target_archE908ELNS1_3gpuE7ELNS1_3repE0EEENS1_30default_config_static_selectorELNS0_4arch9wavefront6targetE1EEEvT1_.num_agpr, 0
	.set _ZN7rocprim17ROCPRIM_400000_NS6detail17trampoline_kernelINS0_14default_configENS1_20scan_config_selectorIN3c107complexIdEEEEZZNS1_9scan_implILNS1_25lookback_scan_determinismE0ELb0ELb0ES3_PKS7_PS7_S7_ZZZN2at6native31launch_logcumsumexp_cuda_kernelERKNSE_10TensorBaseESI_lENKUlvE_clEvENKUlvE1_clEvEUlS7_S7_E_S7_EEDaPvRmT3_T4_T5_mT6_P12ihipStream_tbENKUlT_T0_E_clISt17integral_constantIbLb1EESZ_EEDaSU_SV_EUlSU_E0_NS1_11comp_targetILNS1_3genE3ELNS1_11target_archE908ELNS1_3gpuE7ELNS1_3repE0EEENS1_30default_config_static_selectorELNS0_4arch9wavefront6targetE1EEEvT1_.numbered_sgpr, 0
	.set _ZN7rocprim17ROCPRIM_400000_NS6detail17trampoline_kernelINS0_14default_configENS1_20scan_config_selectorIN3c107complexIdEEEEZZNS1_9scan_implILNS1_25lookback_scan_determinismE0ELb0ELb0ES3_PKS7_PS7_S7_ZZZN2at6native31launch_logcumsumexp_cuda_kernelERKNSE_10TensorBaseESI_lENKUlvE_clEvENKUlvE1_clEvEUlS7_S7_E_S7_EEDaPvRmT3_T4_T5_mT6_P12ihipStream_tbENKUlT_T0_E_clISt17integral_constantIbLb1EESZ_EEDaSU_SV_EUlSU_E0_NS1_11comp_targetILNS1_3genE3ELNS1_11target_archE908ELNS1_3gpuE7ELNS1_3repE0EEENS1_30default_config_static_selectorELNS0_4arch9wavefront6targetE1EEEvT1_.num_named_barrier, 0
	.set _ZN7rocprim17ROCPRIM_400000_NS6detail17trampoline_kernelINS0_14default_configENS1_20scan_config_selectorIN3c107complexIdEEEEZZNS1_9scan_implILNS1_25lookback_scan_determinismE0ELb0ELb0ES3_PKS7_PS7_S7_ZZZN2at6native31launch_logcumsumexp_cuda_kernelERKNSE_10TensorBaseESI_lENKUlvE_clEvENKUlvE1_clEvEUlS7_S7_E_S7_EEDaPvRmT3_T4_T5_mT6_P12ihipStream_tbENKUlT_T0_E_clISt17integral_constantIbLb1EESZ_EEDaSU_SV_EUlSU_E0_NS1_11comp_targetILNS1_3genE3ELNS1_11target_archE908ELNS1_3gpuE7ELNS1_3repE0EEENS1_30default_config_static_selectorELNS0_4arch9wavefront6targetE1EEEvT1_.private_seg_size, 0
	.set _ZN7rocprim17ROCPRIM_400000_NS6detail17trampoline_kernelINS0_14default_configENS1_20scan_config_selectorIN3c107complexIdEEEEZZNS1_9scan_implILNS1_25lookback_scan_determinismE0ELb0ELb0ES3_PKS7_PS7_S7_ZZZN2at6native31launch_logcumsumexp_cuda_kernelERKNSE_10TensorBaseESI_lENKUlvE_clEvENKUlvE1_clEvEUlS7_S7_E_S7_EEDaPvRmT3_T4_T5_mT6_P12ihipStream_tbENKUlT_T0_E_clISt17integral_constantIbLb1EESZ_EEDaSU_SV_EUlSU_E0_NS1_11comp_targetILNS1_3genE3ELNS1_11target_archE908ELNS1_3gpuE7ELNS1_3repE0EEENS1_30default_config_static_selectorELNS0_4arch9wavefront6targetE1EEEvT1_.uses_vcc, 0
	.set _ZN7rocprim17ROCPRIM_400000_NS6detail17trampoline_kernelINS0_14default_configENS1_20scan_config_selectorIN3c107complexIdEEEEZZNS1_9scan_implILNS1_25lookback_scan_determinismE0ELb0ELb0ES3_PKS7_PS7_S7_ZZZN2at6native31launch_logcumsumexp_cuda_kernelERKNSE_10TensorBaseESI_lENKUlvE_clEvENKUlvE1_clEvEUlS7_S7_E_S7_EEDaPvRmT3_T4_T5_mT6_P12ihipStream_tbENKUlT_T0_E_clISt17integral_constantIbLb1EESZ_EEDaSU_SV_EUlSU_E0_NS1_11comp_targetILNS1_3genE3ELNS1_11target_archE908ELNS1_3gpuE7ELNS1_3repE0EEENS1_30default_config_static_selectorELNS0_4arch9wavefront6targetE1EEEvT1_.uses_flat_scratch, 0
	.set _ZN7rocprim17ROCPRIM_400000_NS6detail17trampoline_kernelINS0_14default_configENS1_20scan_config_selectorIN3c107complexIdEEEEZZNS1_9scan_implILNS1_25lookback_scan_determinismE0ELb0ELb0ES3_PKS7_PS7_S7_ZZZN2at6native31launch_logcumsumexp_cuda_kernelERKNSE_10TensorBaseESI_lENKUlvE_clEvENKUlvE1_clEvEUlS7_S7_E_S7_EEDaPvRmT3_T4_T5_mT6_P12ihipStream_tbENKUlT_T0_E_clISt17integral_constantIbLb1EESZ_EEDaSU_SV_EUlSU_E0_NS1_11comp_targetILNS1_3genE3ELNS1_11target_archE908ELNS1_3gpuE7ELNS1_3repE0EEENS1_30default_config_static_selectorELNS0_4arch9wavefront6targetE1EEEvT1_.has_dyn_sized_stack, 0
	.set _ZN7rocprim17ROCPRIM_400000_NS6detail17trampoline_kernelINS0_14default_configENS1_20scan_config_selectorIN3c107complexIdEEEEZZNS1_9scan_implILNS1_25lookback_scan_determinismE0ELb0ELb0ES3_PKS7_PS7_S7_ZZZN2at6native31launch_logcumsumexp_cuda_kernelERKNSE_10TensorBaseESI_lENKUlvE_clEvENKUlvE1_clEvEUlS7_S7_E_S7_EEDaPvRmT3_T4_T5_mT6_P12ihipStream_tbENKUlT_T0_E_clISt17integral_constantIbLb1EESZ_EEDaSU_SV_EUlSU_E0_NS1_11comp_targetILNS1_3genE3ELNS1_11target_archE908ELNS1_3gpuE7ELNS1_3repE0EEENS1_30default_config_static_selectorELNS0_4arch9wavefront6targetE1EEEvT1_.has_recursion, 0
	.set _ZN7rocprim17ROCPRIM_400000_NS6detail17trampoline_kernelINS0_14default_configENS1_20scan_config_selectorIN3c107complexIdEEEEZZNS1_9scan_implILNS1_25lookback_scan_determinismE0ELb0ELb0ES3_PKS7_PS7_S7_ZZZN2at6native31launch_logcumsumexp_cuda_kernelERKNSE_10TensorBaseESI_lENKUlvE_clEvENKUlvE1_clEvEUlS7_S7_E_S7_EEDaPvRmT3_T4_T5_mT6_P12ihipStream_tbENKUlT_T0_E_clISt17integral_constantIbLb1EESZ_EEDaSU_SV_EUlSU_E0_NS1_11comp_targetILNS1_3genE3ELNS1_11target_archE908ELNS1_3gpuE7ELNS1_3repE0EEENS1_30default_config_static_selectorELNS0_4arch9wavefront6targetE1EEEvT1_.has_indirect_call, 0
	.section	.AMDGPU.csdata,"",@progbits
; Kernel info:
; codeLenInByte = 0
; TotalNumSgprs: 4
; NumVgprs: 0
; ScratchSize: 0
; MemoryBound: 0
; FloatMode: 240
; IeeeMode: 1
; LDSByteSize: 0 bytes/workgroup (compile time only)
; SGPRBlocks: 0
; VGPRBlocks: 0
; NumSGPRsForWavesPerEU: 4
; NumVGPRsForWavesPerEU: 1
; Occupancy: 10
; WaveLimiterHint : 0
; COMPUTE_PGM_RSRC2:SCRATCH_EN: 0
; COMPUTE_PGM_RSRC2:USER_SGPR: 6
; COMPUTE_PGM_RSRC2:TRAP_HANDLER: 0
; COMPUTE_PGM_RSRC2:TGID_X_EN: 1
; COMPUTE_PGM_RSRC2:TGID_Y_EN: 0
; COMPUTE_PGM_RSRC2:TGID_Z_EN: 0
; COMPUTE_PGM_RSRC2:TIDIG_COMP_CNT: 0
	.section	.text._ZN7rocprim17ROCPRIM_400000_NS6detail17trampoline_kernelINS0_14default_configENS1_20scan_config_selectorIN3c107complexIdEEEEZZNS1_9scan_implILNS1_25lookback_scan_determinismE0ELb0ELb0ES3_PKS7_PS7_S7_ZZZN2at6native31launch_logcumsumexp_cuda_kernelERKNSE_10TensorBaseESI_lENKUlvE_clEvENKUlvE1_clEvEUlS7_S7_E_S7_EEDaPvRmT3_T4_T5_mT6_P12ihipStream_tbENKUlT_T0_E_clISt17integral_constantIbLb1EESZ_EEDaSU_SV_EUlSU_E0_NS1_11comp_targetILNS1_3genE2ELNS1_11target_archE906ELNS1_3gpuE6ELNS1_3repE0EEENS1_30default_config_static_selectorELNS0_4arch9wavefront6targetE1EEEvT1_,"axG",@progbits,_ZN7rocprim17ROCPRIM_400000_NS6detail17trampoline_kernelINS0_14default_configENS1_20scan_config_selectorIN3c107complexIdEEEEZZNS1_9scan_implILNS1_25lookback_scan_determinismE0ELb0ELb0ES3_PKS7_PS7_S7_ZZZN2at6native31launch_logcumsumexp_cuda_kernelERKNSE_10TensorBaseESI_lENKUlvE_clEvENKUlvE1_clEvEUlS7_S7_E_S7_EEDaPvRmT3_T4_T5_mT6_P12ihipStream_tbENKUlT_T0_E_clISt17integral_constantIbLb1EESZ_EEDaSU_SV_EUlSU_E0_NS1_11comp_targetILNS1_3genE2ELNS1_11target_archE906ELNS1_3gpuE6ELNS1_3repE0EEENS1_30default_config_static_selectorELNS0_4arch9wavefront6targetE1EEEvT1_,comdat
	.globl	_ZN7rocprim17ROCPRIM_400000_NS6detail17trampoline_kernelINS0_14default_configENS1_20scan_config_selectorIN3c107complexIdEEEEZZNS1_9scan_implILNS1_25lookback_scan_determinismE0ELb0ELb0ES3_PKS7_PS7_S7_ZZZN2at6native31launch_logcumsumexp_cuda_kernelERKNSE_10TensorBaseESI_lENKUlvE_clEvENKUlvE1_clEvEUlS7_S7_E_S7_EEDaPvRmT3_T4_T5_mT6_P12ihipStream_tbENKUlT_T0_E_clISt17integral_constantIbLb1EESZ_EEDaSU_SV_EUlSU_E0_NS1_11comp_targetILNS1_3genE2ELNS1_11target_archE906ELNS1_3gpuE6ELNS1_3repE0EEENS1_30default_config_static_selectorELNS0_4arch9wavefront6targetE1EEEvT1_ ; -- Begin function _ZN7rocprim17ROCPRIM_400000_NS6detail17trampoline_kernelINS0_14default_configENS1_20scan_config_selectorIN3c107complexIdEEEEZZNS1_9scan_implILNS1_25lookback_scan_determinismE0ELb0ELb0ES3_PKS7_PS7_S7_ZZZN2at6native31launch_logcumsumexp_cuda_kernelERKNSE_10TensorBaseESI_lENKUlvE_clEvENKUlvE1_clEvEUlS7_S7_E_S7_EEDaPvRmT3_T4_T5_mT6_P12ihipStream_tbENKUlT_T0_E_clISt17integral_constantIbLb1EESZ_EEDaSU_SV_EUlSU_E0_NS1_11comp_targetILNS1_3genE2ELNS1_11target_archE906ELNS1_3gpuE6ELNS1_3repE0EEENS1_30default_config_static_selectorELNS0_4arch9wavefront6targetE1EEEvT1_
	.p2align	8
	.type	_ZN7rocprim17ROCPRIM_400000_NS6detail17trampoline_kernelINS0_14default_configENS1_20scan_config_selectorIN3c107complexIdEEEEZZNS1_9scan_implILNS1_25lookback_scan_determinismE0ELb0ELb0ES3_PKS7_PS7_S7_ZZZN2at6native31launch_logcumsumexp_cuda_kernelERKNSE_10TensorBaseESI_lENKUlvE_clEvENKUlvE1_clEvEUlS7_S7_E_S7_EEDaPvRmT3_T4_T5_mT6_P12ihipStream_tbENKUlT_T0_E_clISt17integral_constantIbLb1EESZ_EEDaSU_SV_EUlSU_E0_NS1_11comp_targetILNS1_3genE2ELNS1_11target_archE906ELNS1_3gpuE6ELNS1_3repE0EEENS1_30default_config_static_selectorELNS0_4arch9wavefront6targetE1EEEvT1_,@function
_ZN7rocprim17ROCPRIM_400000_NS6detail17trampoline_kernelINS0_14default_configENS1_20scan_config_selectorIN3c107complexIdEEEEZZNS1_9scan_implILNS1_25lookback_scan_determinismE0ELb0ELb0ES3_PKS7_PS7_S7_ZZZN2at6native31launch_logcumsumexp_cuda_kernelERKNSE_10TensorBaseESI_lENKUlvE_clEvENKUlvE1_clEvEUlS7_S7_E_S7_EEDaPvRmT3_T4_T5_mT6_P12ihipStream_tbENKUlT_T0_E_clISt17integral_constantIbLb1EESZ_EEDaSU_SV_EUlSU_E0_NS1_11comp_targetILNS1_3genE2ELNS1_11target_archE906ELNS1_3gpuE6ELNS1_3repE0EEENS1_30default_config_static_selectorELNS0_4arch9wavefront6targetE1EEEvT1_: ; @_ZN7rocprim17ROCPRIM_400000_NS6detail17trampoline_kernelINS0_14default_configENS1_20scan_config_selectorIN3c107complexIdEEEEZZNS1_9scan_implILNS1_25lookback_scan_determinismE0ELb0ELb0ES3_PKS7_PS7_S7_ZZZN2at6native31launch_logcumsumexp_cuda_kernelERKNSE_10TensorBaseESI_lENKUlvE_clEvENKUlvE1_clEvEUlS7_S7_E_S7_EEDaPvRmT3_T4_T5_mT6_P12ihipStream_tbENKUlT_T0_E_clISt17integral_constantIbLb1EESZ_EEDaSU_SV_EUlSU_E0_NS1_11comp_targetILNS1_3genE2ELNS1_11target_archE906ELNS1_3gpuE6ELNS1_3repE0EEENS1_30default_config_static_selectorELNS0_4arch9wavefront6targetE1EEEvT1_
; %bb.0:
	s_add_u32 s0, s0, s7
	s_mov_b64 s[66:67], s[4:5]
	s_load_dwordx4 s[4:7], s[4:5], 0x0
	v_mov_b32_e32 v163, v0
	s_addc_u32 s1, s1, 0
	v_lshlrev_b32_e32 v164, 4, v163
	s_mov_b32 s32, 0
	s_waitcnt lgkmcnt(0)
	s_load_dwordx4 s[8:11], s[4:5], 0x0
	v_cmp_gt_u32_e64 s[34:35], s6, v163
	s_waitcnt lgkmcnt(0)
	v_mov_b32_e32 v2, s10
	v_mov_b32_e32 v0, s8
	;; [unrolled: 1-line block ×4, first 2 shown]
	s_and_saveexec_b64 s[12:13], s[34:35]
	s_cbranch_execz .LBB216_2
; %bb.1:
	global_load_dwordx4 v[0:3], v164, s[4:5]
.LBB216_2:
	s_or_b64 exec, exec, s[12:13]
	v_or_b32_e32 v4, 64, v163
	v_cmp_gt_u32_e64 s[36:37], s6, v4
	v_mov_b32_e32 v6, s10
	v_mov_b32_e32 v4, s8
	v_mov_b32_e32 v7, s11
	v_mov_b32_e32 v5, s9
	s_and_saveexec_b64 s[12:13], s[36:37]
	s_cbranch_execz .LBB216_4
; %bb.3:
	global_load_dwordx4 v[4:7], v164, s[4:5] offset:1024
.LBB216_4:
	s_or_b64 exec, exec, s[12:13]
	v_or_b32_e32 v8, 0x80, v163
	v_cmp_gt_u32_e64 s[38:39], s6, v8
	v_mov_b32_e32 v10, s10
	v_mov_b32_e32 v8, s8
	v_mov_b32_e32 v11, s11
	v_mov_b32_e32 v9, s9
	s_and_saveexec_b64 s[12:13], s[38:39]
	s_cbranch_execz .LBB216_6
; %bb.5:
	global_load_dwordx4 v[8:11], v164, s[4:5] offset:2048
.LBB216_6:
	;; [unrolled: 12-line block ×3, first 2 shown]
	s_or_b64 exec, exec, s[12:13]
	v_or_b32_e32 v20, 0x100, v163
	v_mov_b32_e32 v19, s11
	v_mov_b32_e32 v17, s9
	v_cmp_gt_u32_e64 s[44:45], s6, v20
	v_mov_b32_e32 v18, s10
	v_mov_b32_e32 v16, s8
	s_and_saveexec_b64 s[12:13], s[44:45]
	s_cbranch_execz .LBB216_10
; %bb.9:
	v_lshlrev_b32_e32 v16, 4, v20
	global_load_dwordx4 v[16:19], v16, s[4:5]
.LBB216_10:
	s_or_b64 exec, exec, s[12:13]
	v_or_b32_e32 v24, 0x140, v163
	v_mov_b32_e32 v23, s11
	v_mov_b32_e32 v21, s9
	v_cmp_gt_u32_e64 s[46:47], s6, v24
	v_mov_b32_e32 v22, s10
	v_mov_b32_e32 v20, s8
	s_and_saveexec_b64 s[12:13], s[46:47]
	s_cbranch_execz .LBB216_12
; %bb.11:
	v_lshlrev_b32_e32 v20, 4, v24
	global_load_dwordx4 v[20:23], v20, s[4:5]
.LBB216_12:
	;; [unrolled: 13-line block ×11, first 2 shown]
	s_or_b64 exec, exec, s[6:7]
	s_movk_i32 s4, 0xe0
	s_waitcnt vmcnt(0)
	ds_write_b128 v164, v[0:3]
	ds_write_b128 v164, v[4:7] offset:1024
	ds_write_b128 v164, v[8:11] offset:2048
	;; [unrolled: 1-line block ×14, first 2 shown]
	v_mad_u32_u24 v0, v163, s4, v164
	s_waitcnt lgkmcnt(0)
	; wave barrier
	ds_read_b128 v[40:43], v0
	ds_read_b128 v[131:134], v0 offset:16
	ds_read_b128 v[127:130], v0 offset:32
	;; [unrolled: 1-line block ×14, first 2 shown]
	s_getpc_b64 s[68:69]
	s_add_u32 s68, s68, _ZZZZN2at6native31launch_logcumsumexp_cuda_kernelERKNS_10TensorBaseES3_lENKUlvE_clEvENKUlvE1_clEvENKUlN3c107complexIdEES8_E_clES8_S8_@rel32@lo+4
	s_addc_u32 s69, s69, _ZZZZN2at6native31launch_logcumsumexp_cuda_kernelERKNS_10TensorBaseES3_lENKUlvE_clEvENKUlvE1_clEvENKUlN3c107complexIdEES8_E_clES8_S8_@rel32@hi+12
	s_waitcnt lgkmcnt(14)
	v_mov_b32_e32 v0, v40
	v_mov_b32_e32 v1, v41
	;; [unrolled: 1-line block ×4, first 2 shown]
	s_waitcnt lgkmcnt(13)
	v_mov_b32_e32 v4, v131
	v_mov_b32_e32 v5, v132
	;; [unrolled: 1-line block ×4, first 2 shown]
	s_waitcnt lgkmcnt(0)
	; wave barrier
	s_swappc_b64 s[30:31], s[68:69]
	v_mov_b32_e32 v4, v127
	v_mov_b32_e32 v5, v128
	v_mov_b32_e32 v6, v129
	v_mov_b32_e32 v7, v130
	v_mov_b32_e32 v44, v0
	v_mov_b32_e32 v45, v1
	v_mov_b32_e32 v46, v2
	v_mov_b32_e32 v47, v3
	s_swappc_b64 s[30:31], s[68:69]
	v_mov_b32_e32 v4, v119
	v_mov_b32_e32 v5, v120
	v_mov_b32_e32 v6, v121
	v_mov_b32_e32 v7, v122
	v_mov_b32_e32 v63, v0
	v_mov_b32_e32 v64, v1
	v_mov_b32_e32 v65, v2
	v_mov_b32_e32 v66, v3
	;; [unrolled: 9-line block ×13, first 2 shown]
	s_swappc_b64 s[30:31], s[68:69]
	v_mov_b32_e32 v159, v0
	v_mbcnt_lo_u32_b32 v0, -1, 0
	v_mov_b32_e32 v161, v2
	v_mbcnt_hi_u32_b32 v165, -1, v0
	v_mov_b32_e32 v160, v1
	v_mov_b32_e32 v162, v3
	v_and_b32_e32 v166, 15, v165
	v_mov_b32_e32 v4, v159
	v_mov_b32_e32 v6, v161
	v_mov_b32_dpp v8, v159 row_shr:1 row_mask:0xf bank_mask:0xf
	v_mov_b32_dpp v9, v160 row_shr:1 row_mask:0xf bank_mask:0xf
	;; [unrolled: 1-line block ×4, first 2 shown]
	v_cmp_ne_u32_e32 vcc, 0, v166
	v_mov_b32_e32 v5, v160
	v_mov_b32_e32 v7, v162
	;; [unrolled: 1-line block ×3, first 2 shown]
	s_and_saveexec_b64 s[70:71], vcc
	s_cbranch_execz .LBB216_32
; %bb.31:
	v_mov_b32_e32 v0, v8
	v_mov_b32_e32 v1, v9
	;; [unrolled: 1-line block ×8, first 2 shown]
	s_swappc_b64 s[30:31], s[68:69]
	v_mov_b32_e32 v4, v0
	v_mov_b32_e32 v5, v1
	;; [unrolled: 1-line block ×4, first 2 shown]
.LBB216_32:
	s_or_b64 exec, exec, s[70:71]
	v_mov_b32_dpp v8, v0 row_shr:2 row_mask:0xf bank_mask:0xf
	v_mov_b32_dpp v9, v1 row_shr:2 row_mask:0xf bank_mask:0xf
	v_mov_b32_dpp v10, v2 row_shr:2 row_mask:0xf bank_mask:0xf
	v_mov_b32_dpp v11, v3 row_shr:2 row_mask:0xf bank_mask:0xf
	v_cmp_lt_u32_e32 vcc, 1, v166
	s_and_saveexec_b64 s[68:69], vcc
	s_cbranch_execz .LBB216_34
; %bb.33:
	s_getpc_b64 s[4:5]
	s_add_u32 s4, s4, _ZZZZN2at6native31launch_logcumsumexp_cuda_kernelERKNS_10TensorBaseES3_lENKUlvE_clEvENKUlvE1_clEvENKUlN3c107complexIdEES8_E_clES8_S8_@rel32@lo+4
	s_addc_u32 s5, s5, _ZZZZN2at6native31launch_logcumsumexp_cuda_kernelERKNS_10TensorBaseES3_lENKUlvE_clEvENKUlvE1_clEvENKUlN3c107complexIdEES8_E_clES8_S8_@rel32@hi+12
	v_mov_b32_e32 v0, v8
	v_mov_b32_e32 v1, v9
	v_mov_b32_e32 v2, v10
	v_mov_b32_e32 v3, v11
	s_swappc_b64 s[30:31], s[4:5]
	v_mov_b32_e32 v7, v3
	v_mov_b32_e32 v5, v1
	v_mov_b32_e32 v6, v2
	v_mov_b32_e32 v4, v0
.LBB216_34:
	s_or_b64 exec, exec, s[68:69]
	v_mov_b32_dpp v8, v0 row_shr:4 row_mask:0xf bank_mask:0xf
	v_mov_b32_dpp v9, v1 row_shr:4 row_mask:0xf bank_mask:0xf
	v_mov_b32_dpp v10, v2 row_shr:4 row_mask:0xf bank_mask:0xf
	v_mov_b32_dpp v11, v3 row_shr:4 row_mask:0xf bank_mask:0xf
	v_cmp_lt_u32_e32 vcc, 3, v166
	s_and_saveexec_b64 s[68:69], vcc
	s_cbranch_execz .LBB216_36
; %bb.35:
	s_getpc_b64 s[4:5]
	s_add_u32 s4, s4, _ZZZZN2at6native31launch_logcumsumexp_cuda_kernelERKNS_10TensorBaseES3_lENKUlvE_clEvENKUlvE1_clEvENKUlN3c107complexIdEES8_E_clES8_S8_@rel32@lo+4
	s_addc_u32 s5, s5, _ZZZZN2at6native31launch_logcumsumexp_cuda_kernelERKNS_10TensorBaseES3_lENKUlvE_clEvENKUlvE1_clEvENKUlN3c107complexIdEES8_E_clES8_S8_@rel32@hi+12
	v_mov_b32_e32 v0, v8
	v_mov_b32_e32 v1, v9
	v_mov_b32_e32 v2, v10
	v_mov_b32_e32 v3, v11
	s_swappc_b64 s[30:31], s[4:5]
	v_mov_b32_e32 v7, v3
	v_mov_b32_e32 v5, v1
	v_mov_b32_e32 v6, v2
	v_mov_b32_e32 v4, v0
.LBB216_36:
	;; [unrolled: 22-line block ×3, first 2 shown]
	s_or_b64 exec, exec, s[68:69]
	v_and_b32_e32 v12, 16, v165
	v_mov_b32_dpp v8, v0 row_bcast:15 row_mask:0xf bank_mask:0xf
	v_mov_b32_dpp v9, v1 row_bcast:15 row_mask:0xf bank_mask:0xf
	;; [unrolled: 1-line block ×4, first 2 shown]
	v_cmp_ne_u32_e32 vcc, 0, v12
	s_and_saveexec_b64 s[68:69], vcc
	s_cbranch_execz .LBB216_40
; %bb.39:
	s_getpc_b64 s[4:5]
	s_add_u32 s4, s4, _ZZZZN2at6native31launch_logcumsumexp_cuda_kernelERKNS_10TensorBaseES3_lENKUlvE_clEvENKUlvE1_clEvENKUlN3c107complexIdEES8_E_clES8_S8_@rel32@lo+4
	s_addc_u32 s5, s5, _ZZZZN2at6native31launch_logcumsumexp_cuda_kernelERKNS_10TensorBaseES3_lENKUlvE_clEvENKUlvE1_clEvENKUlN3c107complexIdEES8_E_clES8_S8_@rel32@hi+12
	v_mov_b32_e32 v0, v8
	v_mov_b32_e32 v1, v9
	;; [unrolled: 1-line block ×4, first 2 shown]
	s_swappc_b64 s[30:31], s[4:5]
	v_mov_b32_e32 v4, v0
	v_mov_b32_e32 v5, v1
	;; [unrolled: 1-line block ×4, first 2 shown]
.LBB216_40:
	s_or_b64 exec, exec, s[68:69]
	v_mov_b32_dpp v0, v0 row_bcast:31 row_mask:0xf bank_mask:0xf
	v_mov_b32_dpp v1, v1 row_bcast:31 row_mask:0xf bank_mask:0xf
	;; [unrolled: 1-line block ×4, first 2 shown]
	v_cmp_lt_u32_e32 vcc, 31, v165
	s_and_saveexec_b64 s[68:69], vcc
	s_cbranch_execz .LBB216_42
; %bb.41:
	s_getpc_b64 s[4:5]
	s_add_u32 s4, s4, _ZZZZN2at6native31launch_logcumsumexp_cuda_kernelERKNS_10TensorBaseES3_lENKUlvE_clEvENKUlvE1_clEvENKUlN3c107complexIdEES8_E_clES8_S8_@rel32@lo+4
	s_addc_u32 s5, s5, _ZZZZN2at6native31launch_logcumsumexp_cuda_kernelERKNS_10TensorBaseES3_lENKUlvE_clEvENKUlvE1_clEvENKUlN3c107complexIdEES8_E_clES8_S8_@rel32@hi+12
	s_swappc_b64 s[30:31], s[4:5]
	v_mov_b32_e32 v4, v0
	v_mov_b32_e32 v5, v1
	;; [unrolled: 1-line block ×4, first 2 shown]
.LBB216_42:
	s_or_b64 exec, exec, s[68:69]
	s_load_dwordx2 s[66:67], s[66:67], 0x28
	v_cmp_eq_u32_e32 vcc, 63, v163
	s_and_saveexec_b64 s[4:5], vcc
; %bb.43:
	v_mov_b32_e32 v0, 0
	ds_write_b128 v0, v[4:7]
; %bb.44:
	s_or_b64 exec, exec, s[4:5]
	v_add_u32_e32 v0, -1, v165
	v_and_b32_e32 v1, 64, v165
	v_cmp_lt_i32_e32 vcc, v0, v1
	v_cndmask_b32_e32 v0, v0, v165, vcc
	v_lshlrev_b32_e32 v3, 2, v0
	ds_bpermute_b32 v0, v3, v4
	ds_bpermute_b32 v1, v3, v5
	;; [unrolled: 1-line block ×4, first 2 shown]
	v_mul_u32_u24_e32 v165, 0xe0, v163
	v_cmp_ne_u32_e32 vcc, 0, v163
	s_waitcnt lgkmcnt(0)
	; wave barrier
	s_and_saveexec_b64 s[68:69], vcc
	s_cbranch_execz .LBB216_46
; %bb.45:
	s_getpc_b64 s[70:71]
	s_add_u32 s70, s70, _ZZZZN2at6native31launch_logcumsumexp_cuda_kernelERKNS_10TensorBaseES3_lENKUlvE_clEvENKUlvE1_clEvENKUlN3c107complexIdEES8_E_clES8_S8_@rel32@lo+4
	s_addc_u32 s71, s71, _ZZZZN2at6native31launch_logcumsumexp_cuda_kernelERKNS_10TensorBaseES3_lENKUlvE_clEvENKUlvE1_clEvENKUlN3c107complexIdEES8_E_clES8_S8_@rel32@hi+12
	v_mov_b32_e32 v4, v40
	v_mov_b32_e32 v5, v41
	;; [unrolled: 1-line block ×4, first 2 shown]
	s_swappc_b64 s[30:31], s[70:71]
	v_mov_b32_e32 v4, v131
	v_mov_b32_e32 v5, v132
	v_mov_b32_e32 v6, v133
	v_mov_b32_e32 v7, v134
	v_mov_b32_e32 v40, v0
	v_mov_b32_e32 v41, v1
	v_mov_b32_e32 v42, v2
	v_mov_b32_e32 v43, v3
	;;#ASMSTART
	;;#ASMEND
	s_swappc_b64 s[30:31], s[70:71]
	v_mov_b32_e32 v4, v127
	v_mov_b32_e32 v5, v128
	v_mov_b32_e32 v6, v129
	v_mov_b32_e32 v7, v130
	v_mov_b32_e32 v44, v0
	v_mov_b32_e32 v45, v1
	v_mov_b32_e32 v46, v2
	v_mov_b32_e32 v47, v3
	s_swappc_b64 s[30:31], s[70:71]
	v_mov_b32_e32 v4, v119
	v_mov_b32_e32 v5, v120
	v_mov_b32_e32 v6, v121
	v_mov_b32_e32 v7, v122
	v_mov_b32_e32 v63, v0
	v_mov_b32_e32 v64, v1
	v_mov_b32_e32 v65, v2
	v_mov_b32_e32 v66, v3
	;; [unrolled: 9-line block ×13, first 2 shown]
	s_swappc_b64 s[30:31], s[70:71]
	v_mov_b32_e32 v159, v0
	v_mov_b32_e32 v160, v1
	;; [unrolled: 1-line block ×4, first 2 shown]
.LBB216_46:
	s_or_b64 exec, exec, s[68:69]
	v_add_u32_e32 v0, v164, v165
	; wave barrier
	ds_write_b128 v0, v[40:43]
	ds_write_b128 v0, v[44:47] offset:16
	ds_write_b128 v0, v[63:66] offset:32
	;; [unrolled: 1-line block ×14, first 2 shown]
	s_waitcnt lgkmcnt(0)
	; wave barrier
	ds_read_b128 v[52:55], v164 offset:1024
	ds_read_b128 v[48:51], v164 offset:2048
	;; [unrolled: 1-line block ×14, first 2 shown]
	v_mov_b32_e32 v57, s67
	v_add_co_u32_e32 v56, vcc, s66, v164
	v_addc_co_u32_e32 v57, vcc, 0, v57, vcc
	s_and_saveexec_b64 s[4:5], s[34:35]
	s_cbranch_execnz .LBB216_62
; %bb.47:
	s_or_b64 exec, exec, s[4:5]
	s_and_saveexec_b64 s[4:5], s[36:37]
	s_cbranch_execnz .LBB216_63
.LBB216_48:
	s_or_b64 exec, exec, s[4:5]
	s_and_saveexec_b64 s[4:5], s[38:39]
	s_cbranch_execnz .LBB216_64
.LBB216_49:
	s_or_b64 exec, exec, s[4:5]
	s_and_saveexec_b64 s[4:5], s[42:43]
	s_cbranch_execnz .LBB216_65
.LBB216_50:
	s_or_b64 exec, exec, s[4:5]
	s_and_saveexec_b64 s[4:5], s[44:45]
	s_cbranch_execnz .LBB216_66
.LBB216_51:
	s_or_b64 exec, exec, s[4:5]
	s_and_saveexec_b64 s[4:5], s[46:47]
	s_cbranch_execnz .LBB216_67
.LBB216_52:
	s_or_b64 exec, exec, s[4:5]
	s_and_saveexec_b64 s[4:5], s[48:49]
	s_cbranch_execnz .LBB216_68
.LBB216_53:
	s_or_b64 exec, exec, s[4:5]
	s_and_saveexec_b64 s[4:5], s[50:51]
	s_cbranch_execnz .LBB216_69
.LBB216_54:
	s_or_b64 exec, exec, s[4:5]
	s_and_saveexec_b64 s[4:5], s[52:53]
	s_cbranch_execnz .LBB216_70
.LBB216_55:
	s_or_b64 exec, exec, s[4:5]
	s_and_saveexec_b64 s[4:5], s[54:55]
	s_cbranch_execnz .LBB216_71
.LBB216_56:
	s_or_b64 exec, exec, s[4:5]
	s_and_saveexec_b64 s[4:5], s[56:57]
	s_cbranch_execnz .LBB216_72
.LBB216_57:
	s_or_b64 exec, exec, s[4:5]
	s_and_saveexec_b64 s[4:5], s[58:59]
	s_cbranch_execnz .LBB216_73
.LBB216_58:
	s_or_b64 exec, exec, s[4:5]
	s_and_saveexec_b64 s[4:5], s[60:61]
	s_cbranch_execnz .LBB216_74
.LBB216_59:
	s_or_b64 exec, exec, s[4:5]
	s_and_saveexec_b64 s[4:5], s[62:63]
	s_cbranch_execnz .LBB216_75
.LBB216_60:
	s_or_b64 exec, exec, s[4:5]
	s_and_saveexec_b64 s[4:5], s[64:65]
	s_cbranch_execnz .LBB216_76
.LBB216_61:
	s_endpgm
.LBB216_62:
	ds_read_b128 v[58:61], v164
	s_waitcnt lgkmcnt(0)
	global_store_dwordx4 v[56:57], v[58:61], off
	s_or_b64 exec, exec, s[4:5]
	s_and_saveexec_b64 s[4:5], s[36:37]
	s_cbranch_execz .LBB216_48
.LBB216_63:
	s_waitcnt lgkmcnt(13)
	global_store_dwordx4 v[56:57], v[52:55], off offset:1024
	s_or_b64 exec, exec, s[4:5]
	s_and_saveexec_b64 s[4:5], s[38:39]
	s_cbranch_execz .LBB216_49
.LBB216_64:
	s_waitcnt lgkmcnt(12)
	global_store_dwordx4 v[56:57], v[48:51], off offset:2048
	s_or_b64 exec, exec, s[4:5]
	s_and_saveexec_b64 s[4:5], s[42:43]
	s_cbranch_execz .LBB216_50
.LBB216_65:
	s_waitcnt lgkmcnt(11)
	global_store_dwordx4 v[56:57], v[44:47], off offset:3072
	s_or_b64 exec, exec, s[4:5]
	s_and_saveexec_b64 s[4:5], s[44:45]
	s_cbranch_execz .LBB216_51
.LBB216_66:
	s_waitcnt lgkmcnt(11)
	v_add_co_u32_e32 v44, vcc, 0x1000, v56
	v_addc_co_u32_e32 v45, vcc, 0, v57, vcc
	s_waitcnt lgkmcnt(10)
	global_store_dwordx4 v[44:45], v[40:43], off
	s_or_b64 exec, exec, s[4:5]
	s_and_saveexec_b64 s[4:5], s[46:47]
	s_cbranch_execz .LBB216_52
.LBB216_67:
	s_waitcnt lgkmcnt(10)
	v_add_co_u32_e32 v40, vcc, 0x1000, v56
	v_addc_co_u32_e32 v41, vcc, 0, v57, vcc
	s_waitcnt lgkmcnt(9)
	global_store_dwordx4 v[40:41], v[36:39], off offset:1024
	s_or_b64 exec, exec, s[4:5]
	s_and_saveexec_b64 s[4:5], s[48:49]
	s_cbranch_execz .LBB216_53
.LBB216_68:
	s_waitcnt lgkmcnt(9)
	v_add_co_u32_e32 v36, vcc, 0x1000, v56
	v_addc_co_u32_e32 v37, vcc, 0, v57, vcc
	s_waitcnt lgkmcnt(8)
	global_store_dwordx4 v[36:37], v[32:35], off offset:2048
	s_or_b64 exec, exec, s[4:5]
	s_and_saveexec_b64 s[4:5], s[50:51]
	s_cbranch_execz .LBB216_54
.LBB216_69:
	s_waitcnt lgkmcnt(8)
	v_add_co_u32_e32 v32, vcc, 0x1000, v56
	v_addc_co_u32_e32 v33, vcc, 0, v57, vcc
	s_waitcnt lgkmcnt(7)
	global_store_dwordx4 v[32:33], v[28:31], off offset:3072
	s_or_b64 exec, exec, s[4:5]
	s_and_saveexec_b64 s[4:5], s[52:53]
	s_cbranch_execz .LBB216_55
.LBB216_70:
	s_waitcnt lgkmcnt(7)
	v_add_co_u32_e32 v28, vcc, 0x2000, v56
	v_addc_co_u32_e32 v29, vcc, 0, v57, vcc
	s_waitcnt lgkmcnt(6)
	global_store_dwordx4 v[28:29], v[24:27], off
	s_or_b64 exec, exec, s[4:5]
	s_and_saveexec_b64 s[4:5], s[54:55]
	s_cbranch_execz .LBB216_56
.LBB216_71:
	s_waitcnt lgkmcnt(6)
	v_add_co_u32_e32 v24, vcc, 0x2000, v56
	v_addc_co_u32_e32 v25, vcc, 0, v57, vcc
	s_waitcnt lgkmcnt(5)
	global_store_dwordx4 v[24:25], v[20:23], off offset:1024
	s_or_b64 exec, exec, s[4:5]
	s_and_saveexec_b64 s[4:5], s[56:57]
	s_cbranch_execz .LBB216_57
.LBB216_72:
	s_waitcnt lgkmcnt(5)
	v_add_co_u32_e32 v20, vcc, 0x2000, v56
	v_addc_co_u32_e32 v21, vcc, 0, v57, vcc
	s_waitcnt lgkmcnt(4)
	global_store_dwordx4 v[20:21], v[16:19], off offset:2048
	s_or_b64 exec, exec, s[4:5]
	s_and_saveexec_b64 s[4:5], s[58:59]
	s_cbranch_execz .LBB216_58
.LBB216_73:
	s_waitcnt lgkmcnt(4)
	v_add_co_u32_e32 v16, vcc, 0x2000, v56
	v_addc_co_u32_e32 v17, vcc, 0, v57, vcc
	s_waitcnt lgkmcnt(3)
	global_store_dwordx4 v[16:17], v[12:15], off offset:3072
	s_or_b64 exec, exec, s[4:5]
	s_and_saveexec_b64 s[4:5], s[60:61]
	s_cbranch_execz .LBB216_59
.LBB216_74:
	s_waitcnt lgkmcnt(3)
	v_add_co_u32_e32 v12, vcc, 0x3000, v56
	v_addc_co_u32_e32 v13, vcc, 0, v57, vcc
	s_waitcnt lgkmcnt(2)
	global_store_dwordx4 v[12:13], v[8:11], off
	s_or_b64 exec, exec, s[4:5]
	s_and_saveexec_b64 s[4:5], s[62:63]
	s_cbranch_execz .LBB216_60
.LBB216_75:
	s_waitcnt lgkmcnt(2)
	v_add_co_u32_e32 v8, vcc, 0x3000, v56
	v_addc_co_u32_e32 v9, vcc, 0, v57, vcc
	s_waitcnt lgkmcnt(1)
	global_store_dwordx4 v[8:9], v[4:7], off offset:1024
	s_or_b64 exec, exec, s[4:5]
	s_and_saveexec_b64 s[4:5], s[64:65]
	s_cbranch_execz .LBB216_61
.LBB216_76:
	s_waitcnt lgkmcnt(1)
	v_add_co_u32_e32 v4, vcc, 0x3000, v56
	v_addc_co_u32_e32 v5, vcc, 0, v57, vcc
	s_waitcnt lgkmcnt(0)
	global_store_dwordx4 v[4:5], v[0:3], off offset:2048
	s_endpgm
	.section	.rodata,"a",@progbits
	.p2align	6, 0x0
	.amdhsa_kernel _ZN7rocprim17ROCPRIM_400000_NS6detail17trampoline_kernelINS0_14default_configENS1_20scan_config_selectorIN3c107complexIdEEEEZZNS1_9scan_implILNS1_25lookback_scan_determinismE0ELb0ELb0ES3_PKS7_PS7_S7_ZZZN2at6native31launch_logcumsumexp_cuda_kernelERKNSE_10TensorBaseESI_lENKUlvE_clEvENKUlvE1_clEvEUlS7_S7_E_S7_EEDaPvRmT3_T4_T5_mT6_P12ihipStream_tbENKUlT_T0_E_clISt17integral_constantIbLb1EESZ_EEDaSU_SV_EUlSU_E0_NS1_11comp_targetILNS1_3genE2ELNS1_11target_archE906ELNS1_3gpuE6ELNS1_3repE0EEENS1_30default_config_static_selectorELNS0_4arch9wavefront6targetE1EEEvT1_
		.amdhsa_group_segment_fixed_size 15360
		.amdhsa_private_segment_fixed_size 0
		.amdhsa_kernarg_size 48
		.amdhsa_user_sgpr_count 6
		.amdhsa_user_sgpr_private_segment_buffer 1
		.amdhsa_user_sgpr_dispatch_ptr 0
		.amdhsa_user_sgpr_queue_ptr 0
		.amdhsa_user_sgpr_kernarg_segment_ptr 1
		.amdhsa_user_sgpr_dispatch_id 0
		.amdhsa_user_sgpr_flat_scratch_init 0
		.amdhsa_user_sgpr_private_segment_size 0
		.amdhsa_uses_dynamic_stack 0
		.amdhsa_system_sgpr_private_segment_wavefront_offset 0
		.amdhsa_system_sgpr_workgroup_id_x 1
		.amdhsa_system_sgpr_workgroup_id_y 0
		.amdhsa_system_sgpr_workgroup_id_z 0
		.amdhsa_system_sgpr_workgroup_info 0
		.amdhsa_system_vgpr_workitem_id 0
		.amdhsa_next_free_vgpr 167
		.amdhsa_next_free_sgpr 98
		.amdhsa_reserve_vcc 1
		.amdhsa_reserve_flat_scratch 0
		.amdhsa_float_round_mode_32 0
		.amdhsa_float_round_mode_16_64 0
		.amdhsa_float_denorm_mode_32 3
		.amdhsa_float_denorm_mode_16_64 3
		.amdhsa_dx10_clamp 1
		.amdhsa_ieee_mode 1
		.amdhsa_fp16_overflow 0
		.amdhsa_exception_fp_ieee_invalid_op 0
		.amdhsa_exception_fp_denorm_src 0
		.amdhsa_exception_fp_ieee_div_zero 0
		.amdhsa_exception_fp_ieee_overflow 0
		.amdhsa_exception_fp_ieee_underflow 0
		.amdhsa_exception_fp_ieee_inexact 0
		.amdhsa_exception_int_div_zero 0
	.end_amdhsa_kernel
	.section	.text._ZN7rocprim17ROCPRIM_400000_NS6detail17trampoline_kernelINS0_14default_configENS1_20scan_config_selectorIN3c107complexIdEEEEZZNS1_9scan_implILNS1_25lookback_scan_determinismE0ELb0ELb0ES3_PKS7_PS7_S7_ZZZN2at6native31launch_logcumsumexp_cuda_kernelERKNSE_10TensorBaseESI_lENKUlvE_clEvENKUlvE1_clEvEUlS7_S7_E_S7_EEDaPvRmT3_T4_T5_mT6_P12ihipStream_tbENKUlT_T0_E_clISt17integral_constantIbLb1EESZ_EEDaSU_SV_EUlSU_E0_NS1_11comp_targetILNS1_3genE2ELNS1_11target_archE906ELNS1_3gpuE6ELNS1_3repE0EEENS1_30default_config_static_selectorELNS0_4arch9wavefront6targetE1EEEvT1_,"axG",@progbits,_ZN7rocprim17ROCPRIM_400000_NS6detail17trampoline_kernelINS0_14default_configENS1_20scan_config_selectorIN3c107complexIdEEEEZZNS1_9scan_implILNS1_25lookback_scan_determinismE0ELb0ELb0ES3_PKS7_PS7_S7_ZZZN2at6native31launch_logcumsumexp_cuda_kernelERKNSE_10TensorBaseESI_lENKUlvE_clEvENKUlvE1_clEvEUlS7_S7_E_S7_EEDaPvRmT3_T4_T5_mT6_P12ihipStream_tbENKUlT_T0_E_clISt17integral_constantIbLb1EESZ_EEDaSU_SV_EUlSU_E0_NS1_11comp_targetILNS1_3genE2ELNS1_11target_archE906ELNS1_3gpuE6ELNS1_3repE0EEENS1_30default_config_static_selectorELNS0_4arch9wavefront6targetE1EEEvT1_,comdat
.Lfunc_end216:
	.size	_ZN7rocprim17ROCPRIM_400000_NS6detail17trampoline_kernelINS0_14default_configENS1_20scan_config_selectorIN3c107complexIdEEEEZZNS1_9scan_implILNS1_25lookback_scan_determinismE0ELb0ELb0ES3_PKS7_PS7_S7_ZZZN2at6native31launch_logcumsumexp_cuda_kernelERKNSE_10TensorBaseESI_lENKUlvE_clEvENKUlvE1_clEvEUlS7_S7_E_S7_EEDaPvRmT3_T4_T5_mT6_P12ihipStream_tbENKUlT_T0_E_clISt17integral_constantIbLb1EESZ_EEDaSU_SV_EUlSU_E0_NS1_11comp_targetILNS1_3genE2ELNS1_11target_archE906ELNS1_3gpuE6ELNS1_3repE0EEENS1_30default_config_static_selectorELNS0_4arch9wavefront6targetE1EEEvT1_, .Lfunc_end216-_ZN7rocprim17ROCPRIM_400000_NS6detail17trampoline_kernelINS0_14default_configENS1_20scan_config_selectorIN3c107complexIdEEEEZZNS1_9scan_implILNS1_25lookback_scan_determinismE0ELb0ELb0ES3_PKS7_PS7_S7_ZZZN2at6native31launch_logcumsumexp_cuda_kernelERKNSE_10TensorBaseESI_lENKUlvE_clEvENKUlvE1_clEvEUlS7_S7_E_S7_EEDaPvRmT3_T4_T5_mT6_P12ihipStream_tbENKUlT_T0_E_clISt17integral_constantIbLb1EESZ_EEDaSU_SV_EUlSU_E0_NS1_11comp_targetILNS1_3genE2ELNS1_11target_archE906ELNS1_3gpuE6ELNS1_3repE0EEENS1_30default_config_static_selectorELNS0_4arch9wavefront6targetE1EEEvT1_
                                        ; -- End function
	.set _ZN7rocprim17ROCPRIM_400000_NS6detail17trampoline_kernelINS0_14default_configENS1_20scan_config_selectorIN3c107complexIdEEEEZZNS1_9scan_implILNS1_25lookback_scan_determinismE0ELb0ELb0ES3_PKS7_PS7_S7_ZZZN2at6native31launch_logcumsumexp_cuda_kernelERKNSE_10TensorBaseESI_lENKUlvE_clEvENKUlvE1_clEvEUlS7_S7_E_S7_EEDaPvRmT3_T4_T5_mT6_P12ihipStream_tbENKUlT_T0_E_clISt17integral_constantIbLb1EESZ_EEDaSU_SV_EUlSU_E0_NS1_11comp_targetILNS1_3genE2ELNS1_11target_archE906ELNS1_3gpuE6ELNS1_3repE0EEENS1_30default_config_static_selectorELNS0_4arch9wavefront6targetE1EEEvT1_.num_vgpr, max(167, .L_ZZZZN2at6native31launch_logcumsumexp_cuda_kernelERKNS_10TensorBaseES3_lENKUlvE_clEvENKUlvE1_clEvENKUlN3c107complexIdEES8_E_clES8_S8_.num_vgpr)
	.set _ZN7rocprim17ROCPRIM_400000_NS6detail17trampoline_kernelINS0_14default_configENS1_20scan_config_selectorIN3c107complexIdEEEEZZNS1_9scan_implILNS1_25lookback_scan_determinismE0ELb0ELb0ES3_PKS7_PS7_S7_ZZZN2at6native31launch_logcumsumexp_cuda_kernelERKNSE_10TensorBaseESI_lENKUlvE_clEvENKUlvE1_clEvEUlS7_S7_E_S7_EEDaPvRmT3_T4_T5_mT6_P12ihipStream_tbENKUlT_T0_E_clISt17integral_constantIbLb1EESZ_EEDaSU_SV_EUlSU_E0_NS1_11comp_targetILNS1_3genE2ELNS1_11target_archE906ELNS1_3gpuE6ELNS1_3repE0EEENS1_30default_config_static_selectorELNS0_4arch9wavefront6targetE1EEEvT1_.num_agpr, max(0, .L_ZZZZN2at6native31launch_logcumsumexp_cuda_kernelERKNS_10TensorBaseES3_lENKUlvE_clEvENKUlvE1_clEvENKUlN3c107complexIdEES8_E_clES8_S8_.num_agpr)
	.set _ZN7rocprim17ROCPRIM_400000_NS6detail17trampoline_kernelINS0_14default_configENS1_20scan_config_selectorIN3c107complexIdEEEEZZNS1_9scan_implILNS1_25lookback_scan_determinismE0ELb0ELb0ES3_PKS7_PS7_S7_ZZZN2at6native31launch_logcumsumexp_cuda_kernelERKNSE_10TensorBaseESI_lENKUlvE_clEvENKUlvE1_clEvEUlS7_S7_E_S7_EEDaPvRmT3_T4_T5_mT6_P12ihipStream_tbENKUlT_T0_E_clISt17integral_constantIbLb1EESZ_EEDaSU_SV_EUlSU_E0_NS1_11comp_targetILNS1_3genE2ELNS1_11target_archE906ELNS1_3gpuE6ELNS1_3repE0EEENS1_30default_config_static_selectorELNS0_4arch9wavefront6targetE1EEEvT1_.numbered_sgpr, max(72, .L_ZZZZN2at6native31launch_logcumsumexp_cuda_kernelERKNS_10TensorBaseES3_lENKUlvE_clEvENKUlvE1_clEvENKUlN3c107complexIdEES8_E_clES8_S8_.numbered_sgpr)
	.set _ZN7rocprim17ROCPRIM_400000_NS6detail17trampoline_kernelINS0_14default_configENS1_20scan_config_selectorIN3c107complexIdEEEEZZNS1_9scan_implILNS1_25lookback_scan_determinismE0ELb0ELb0ES3_PKS7_PS7_S7_ZZZN2at6native31launch_logcumsumexp_cuda_kernelERKNSE_10TensorBaseESI_lENKUlvE_clEvENKUlvE1_clEvEUlS7_S7_E_S7_EEDaPvRmT3_T4_T5_mT6_P12ihipStream_tbENKUlT_T0_E_clISt17integral_constantIbLb1EESZ_EEDaSU_SV_EUlSU_E0_NS1_11comp_targetILNS1_3genE2ELNS1_11target_archE906ELNS1_3gpuE6ELNS1_3repE0EEENS1_30default_config_static_selectorELNS0_4arch9wavefront6targetE1EEEvT1_.num_named_barrier, max(0, .L_ZZZZN2at6native31launch_logcumsumexp_cuda_kernelERKNS_10TensorBaseES3_lENKUlvE_clEvENKUlvE1_clEvENKUlN3c107complexIdEES8_E_clES8_S8_.num_named_barrier)
	.set _ZN7rocprim17ROCPRIM_400000_NS6detail17trampoline_kernelINS0_14default_configENS1_20scan_config_selectorIN3c107complexIdEEEEZZNS1_9scan_implILNS1_25lookback_scan_determinismE0ELb0ELb0ES3_PKS7_PS7_S7_ZZZN2at6native31launch_logcumsumexp_cuda_kernelERKNSE_10TensorBaseESI_lENKUlvE_clEvENKUlvE1_clEvEUlS7_S7_E_S7_EEDaPvRmT3_T4_T5_mT6_P12ihipStream_tbENKUlT_T0_E_clISt17integral_constantIbLb1EESZ_EEDaSU_SV_EUlSU_E0_NS1_11comp_targetILNS1_3genE2ELNS1_11target_archE906ELNS1_3gpuE6ELNS1_3repE0EEENS1_30default_config_static_selectorELNS0_4arch9wavefront6targetE1EEEvT1_.private_seg_size, 0+max(.L_ZZZZN2at6native31launch_logcumsumexp_cuda_kernelERKNS_10TensorBaseES3_lENKUlvE_clEvENKUlvE1_clEvENKUlN3c107complexIdEES8_E_clES8_S8_.private_seg_size)
	.set _ZN7rocprim17ROCPRIM_400000_NS6detail17trampoline_kernelINS0_14default_configENS1_20scan_config_selectorIN3c107complexIdEEEEZZNS1_9scan_implILNS1_25lookback_scan_determinismE0ELb0ELb0ES3_PKS7_PS7_S7_ZZZN2at6native31launch_logcumsumexp_cuda_kernelERKNSE_10TensorBaseESI_lENKUlvE_clEvENKUlvE1_clEvEUlS7_S7_E_S7_EEDaPvRmT3_T4_T5_mT6_P12ihipStream_tbENKUlT_T0_E_clISt17integral_constantIbLb1EESZ_EEDaSU_SV_EUlSU_E0_NS1_11comp_targetILNS1_3genE2ELNS1_11target_archE906ELNS1_3gpuE6ELNS1_3repE0EEENS1_30default_config_static_selectorELNS0_4arch9wavefront6targetE1EEEvT1_.uses_vcc, or(1, .L_ZZZZN2at6native31launch_logcumsumexp_cuda_kernelERKNS_10TensorBaseES3_lENKUlvE_clEvENKUlvE1_clEvENKUlN3c107complexIdEES8_E_clES8_S8_.uses_vcc)
	.set _ZN7rocprim17ROCPRIM_400000_NS6detail17trampoline_kernelINS0_14default_configENS1_20scan_config_selectorIN3c107complexIdEEEEZZNS1_9scan_implILNS1_25lookback_scan_determinismE0ELb0ELb0ES3_PKS7_PS7_S7_ZZZN2at6native31launch_logcumsumexp_cuda_kernelERKNSE_10TensorBaseESI_lENKUlvE_clEvENKUlvE1_clEvEUlS7_S7_E_S7_EEDaPvRmT3_T4_T5_mT6_P12ihipStream_tbENKUlT_T0_E_clISt17integral_constantIbLb1EESZ_EEDaSU_SV_EUlSU_E0_NS1_11comp_targetILNS1_3genE2ELNS1_11target_archE906ELNS1_3gpuE6ELNS1_3repE0EEENS1_30default_config_static_selectorELNS0_4arch9wavefront6targetE1EEEvT1_.uses_flat_scratch, or(0, .L_ZZZZN2at6native31launch_logcumsumexp_cuda_kernelERKNS_10TensorBaseES3_lENKUlvE_clEvENKUlvE1_clEvENKUlN3c107complexIdEES8_E_clES8_S8_.uses_flat_scratch)
	.set _ZN7rocprim17ROCPRIM_400000_NS6detail17trampoline_kernelINS0_14default_configENS1_20scan_config_selectorIN3c107complexIdEEEEZZNS1_9scan_implILNS1_25lookback_scan_determinismE0ELb0ELb0ES3_PKS7_PS7_S7_ZZZN2at6native31launch_logcumsumexp_cuda_kernelERKNSE_10TensorBaseESI_lENKUlvE_clEvENKUlvE1_clEvEUlS7_S7_E_S7_EEDaPvRmT3_T4_T5_mT6_P12ihipStream_tbENKUlT_T0_E_clISt17integral_constantIbLb1EESZ_EEDaSU_SV_EUlSU_E0_NS1_11comp_targetILNS1_3genE2ELNS1_11target_archE906ELNS1_3gpuE6ELNS1_3repE0EEENS1_30default_config_static_selectorELNS0_4arch9wavefront6targetE1EEEvT1_.has_dyn_sized_stack, or(0, .L_ZZZZN2at6native31launch_logcumsumexp_cuda_kernelERKNS_10TensorBaseES3_lENKUlvE_clEvENKUlvE1_clEvENKUlN3c107complexIdEES8_E_clES8_S8_.has_dyn_sized_stack)
	.set _ZN7rocprim17ROCPRIM_400000_NS6detail17trampoline_kernelINS0_14default_configENS1_20scan_config_selectorIN3c107complexIdEEEEZZNS1_9scan_implILNS1_25lookback_scan_determinismE0ELb0ELb0ES3_PKS7_PS7_S7_ZZZN2at6native31launch_logcumsumexp_cuda_kernelERKNSE_10TensorBaseESI_lENKUlvE_clEvENKUlvE1_clEvEUlS7_S7_E_S7_EEDaPvRmT3_T4_T5_mT6_P12ihipStream_tbENKUlT_T0_E_clISt17integral_constantIbLb1EESZ_EEDaSU_SV_EUlSU_E0_NS1_11comp_targetILNS1_3genE2ELNS1_11target_archE906ELNS1_3gpuE6ELNS1_3repE0EEENS1_30default_config_static_selectorELNS0_4arch9wavefront6targetE1EEEvT1_.has_recursion, or(0, .L_ZZZZN2at6native31launch_logcumsumexp_cuda_kernelERKNS_10TensorBaseES3_lENKUlvE_clEvENKUlvE1_clEvENKUlN3c107complexIdEES8_E_clES8_S8_.has_recursion)
	.set _ZN7rocprim17ROCPRIM_400000_NS6detail17trampoline_kernelINS0_14default_configENS1_20scan_config_selectorIN3c107complexIdEEEEZZNS1_9scan_implILNS1_25lookback_scan_determinismE0ELb0ELb0ES3_PKS7_PS7_S7_ZZZN2at6native31launch_logcumsumexp_cuda_kernelERKNSE_10TensorBaseESI_lENKUlvE_clEvENKUlvE1_clEvEUlS7_S7_E_S7_EEDaPvRmT3_T4_T5_mT6_P12ihipStream_tbENKUlT_T0_E_clISt17integral_constantIbLb1EESZ_EEDaSU_SV_EUlSU_E0_NS1_11comp_targetILNS1_3genE2ELNS1_11target_archE906ELNS1_3gpuE6ELNS1_3repE0EEENS1_30default_config_static_selectorELNS0_4arch9wavefront6targetE1EEEvT1_.has_indirect_call, or(0, .L_ZZZZN2at6native31launch_logcumsumexp_cuda_kernelERKNS_10TensorBaseES3_lENKUlvE_clEvENKUlvE1_clEvENKUlN3c107complexIdEES8_E_clES8_S8_.has_indirect_call)
	.section	.AMDGPU.csdata,"",@progbits
; Kernel info:
; codeLenInByte = 3960
; TotalNumSgprs: 76
; NumVgprs: 167
; ScratchSize: 0
; MemoryBound: 1
; FloatMode: 240
; IeeeMode: 1
; LDSByteSize: 15360 bytes/workgroup (compile time only)
; SGPRBlocks: 12
; VGPRBlocks: 41
; NumSGPRsForWavesPerEU: 102
; NumVGPRsForWavesPerEU: 167
; Occupancy: 1
; WaveLimiterHint : 0
; COMPUTE_PGM_RSRC2:SCRATCH_EN: 0
; COMPUTE_PGM_RSRC2:USER_SGPR: 6
; COMPUTE_PGM_RSRC2:TRAP_HANDLER: 0
; COMPUTE_PGM_RSRC2:TGID_X_EN: 1
; COMPUTE_PGM_RSRC2:TGID_Y_EN: 0
; COMPUTE_PGM_RSRC2:TGID_Z_EN: 0
; COMPUTE_PGM_RSRC2:TIDIG_COMP_CNT: 0
	.section	.text._ZN7rocprim17ROCPRIM_400000_NS6detail17trampoline_kernelINS0_14default_configENS1_20scan_config_selectorIN3c107complexIdEEEEZZNS1_9scan_implILNS1_25lookback_scan_determinismE0ELb0ELb0ES3_PKS7_PS7_S7_ZZZN2at6native31launch_logcumsumexp_cuda_kernelERKNSE_10TensorBaseESI_lENKUlvE_clEvENKUlvE1_clEvEUlS7_S7_E_S7_EEDaPvRmT3_T4_T5_mT6_P12ihipStream_tbENKUlT_T0_E_clISt17integral_constantIbLb1EESZ_EEDaSU_SV_EUlSU_E0_NS1_11comp_targetILNS1_3genE10ELNS1_11target_archE1201ELNS1_3gpuE5ELNS1_3repE0EEENS1_30default_config_static_selectorELNS0_4arch9wavefront6targetE1EEEvT1_,"axG",@progbits,_ZN7rocprim17ROCPRIM_400000_NS6detail17trampoline_kernelINS0_14default_configENS1_20scan_config_selectorIN3c107complexIdEEEEZZNS1_9scan_implILNS1_25lookback_scan_determinismE0ELb0ELb0ES3_PKS7_PS7_S7_ZZZN2at6native31launch_logcumsumexp_cuda_kernelERKNSE_10TensorBaseESI_lENKUlvE_clEvENKUlvE1_clEvEUlS7_S7_E_S7_EEDaPvRmT3_T4_T5_mT6_P12ihipStream_tbENKUlT_T0_E_clISt17integral_constantIbLb1EESZ_EEDaSU_SV_EUlSU_E0_NS1_11comp_targetILNS1_3genE10ELNS1_11target_archE1201ELNS1_3gpuE5ELNS1_3repE0EEENS1_30default_config_static_selectorELNS0_4arch9wavefront6targetE1EEEvT1_,comdat
	.globl	_ZN7rocprim17ROCPRIM_400000_NS6detail17trampoline_kernelINS0_14default_configENS1_20scan_config_selectorIN3c107complexIdEEEEZZNS1_9scan_implILNS1_25lookback_scan_determinismE0ELb0ELb0ES3_PKS7_PS7_S7_ZZZN2at6native31launch_logcumsumexp_cuda_kernelERKNSE_10TensorBaseESI_lENKUlvE_clEvENKUlvE1_clEvEUlS7_S7_E_S7_EEDaPvRmT3_T4_T5_mT6_P12ihipStream_tbENKUlT_T0_E_clISt17integral_constantIbLb1EESZ_EEDaSU_SV_EUlSU_E0_NS1_11comp_targetILNS1_3genE10ELNS1_11target_archE1201ELNS1_3gpuE5ELNS1_3repE0EEENS1_30default_config_static_selectorELNS0_4arch9wavefront6targetE1EEEvT1_ ; -- Begin function _ZN7rocprim17ROCPRIM_400000_NS6detail17trampoline_kernelINS0_14default_configENS1_20scan_config_selectorIN3c107complexIdEEEEZZNS1_9scan_implILNS1_25lookback_scan_determinismE0ELb0ELb0ES3_PKS7_PS7_S7_ZZZN2at6native31launch_logcumsumexp_cuda_kernelERKNSE_10TensorBaseESI_lENKUlvE_clEvENKUlvE1_clEvEUlS7_S7_E_S7_EEDaPvRmT3_T4_T5_mT6_P12ihipStream_tbENKUlT_T0_E_clISt17integral_constantIbLb1EESZ_EEDaSU_SV_EUlSU_E0_NS1_11comp_targetILNS1_3genE10ELNS1_11target_archE1201ELNS1_3gpuE5ELNS1_3repE0EEENS1_30default_config_static_selectorELNS0_4arch9wavefront6targetE1EEEvT1_
	.p2align	8
	.type	_ZN7rocprim17ROCPRIM_400000_NS6detail17trampoline_kernelINS0_14default_configENS1_20scan_config_selectorIN3c107complexIdEEEEZZNS1_9scan_implILNS1_25lookback_scan_determinismE0ELb0ELb0ES3_PKS7_PS7_S7_ZZZN2at6native31launch_logcumsumexp_cuda_kernelERKNSE_10TensorBaseESI_lENKUlvE_clEvENKUlvE1_clEvEUlS7_S7_E_S7_EEDaPvRmT3_T4_T5_mT6_P12ihipStream_tbENKUlT_T0_E_clISt17integral_constantIbLb1EESZ_EEDaSU_SV_EUlSU_E0_NS1_11comp_targetILNS1_3genE10ELNS1_11target_archE1201ELNS1_3gpuE5ELNS1_3repE0EEENS1_30default_config_static_selectorELNS0_4arch9wavefront6targetE1EEEvT1_,@function
_ZN7rocprim17ROCPRIM_400000_NS6detail17trampoline_kernelINS0_14default_configENS1_20scan_config_selectorIN3c107complexIdEEEEZZNS1_9scan_implILNS1_25lookback_scan_determinismE0ELb0ELb0ES3_PKS7_PS7_S7_ZZZN2at6native31launch_logcumsumexp_cuda_kernelERKNSE_10TensorBaseESI_lENKUlvE_clEvENKUlvE1_clEvEUlS7_S7_E_S7_EEDaPvRmT3_T4_T5_mT6_P12ihipStream_tbENKUlT_T0_E_clISt17integral_constantIbLb1EESZ_EEDaSU_SV_EUlSU_E0_NS1_11comp_targetILNS1_3genE10ELNS1_11target_archE1201ELNS1_3gpuE5ELNS1_3repE0EEENS1_30default_config_static_selectorELNS0_4arch9wavefront6targetE1EEEvT1_: ; @_ZN7rocprim17ROCPRIM_400000_NS6detail17trampoline_kernelINS0_14default_configENS1_20scan_config_selectorIN3c107complexIdEEEEZZNS1_9scan_implILNS1_25lookback_scan_determinismE0ELb0ELb0ES3_PKS7_PS7_S7_ZZZN2at6native31launch_logcumsumexp_cuda_kernelERKNSE_10TensorBaseESI_lENKUlvE_clEvENKUlvE1_clEvEUlS7_S7_E_S7_EEDaPvRmT3_T4_T5_mT6_P12ihipStream_tbENKUlT_T0_E_clISt17integral_constantIbLb1EESZ_EEDaSU_SV_EUlSU_E0_NS1_11comp_targetILNS1_3genE10ELNS1_11target_archE1201ELNS1_3gpuE5ELNS1_3repE0EEENS1_30default_config_static_selectorELNS0_4arch9wavefront6targetE1EEEvT1_
; %bb.0:
	.section	.rodata,"a",@progbits
	.p2align	6, 0x0
	.amdhsa_kernel _ZN7rocprim17ROCPRIM_400000_NS6detail17trampoline_kernelINS0_14default_configENS1_20scan_config_selectorIN3c107complexIdEEEEZZNS1_9scan_implILNS1_25lookback_scan_determinismE0ELb0ELb0ES3_PKS7_PS7_S7_ZZZN2at6native31launch_logcumsumexp_cuda_kernelERKNSE_10TensorBaseESI_lENKUlvE_clEvENKUlvE1_clEvEUlS7_S7_E_S7_EEDaPvRmT3_T4_T5_mT6_P12ihipStream_tbENKUlT_T0_E_clISt17integral_constantIbLb1EESZ_EEDaSU_SV_EUlSU_E0_NS1_11comp_targetILNS1_3genE10ELNS1_11target_archE1201ELNS1_3gpuE5ELNS1_3repE0EEENS1_30default_config_static_selectorELNS0_4arch9wavefront6targetE1EEEvT1_
		.amdhsa_group_segment_fixed_size 0
		.amdhsa_private_segment_fixed_size 0
		.amdhsa_kernarg_size 48
		.amdhsa_user_sgpr_count 6
		.amdhsa_user_sgpr_private_segment_buffer 1
		.amdhsa_user_sgpr_dispatch_ptr 0
		.amdhsa_user_sgpr_queue_ptr 0
		.amdhsa_user_sgpr_kernarg_segment_ptr 1
		.amdhsa_user_sgpr_dispatch_id 0
		.amdhsa_user_sgpr_flat_scratch_init 0
		.amdhsa_user_sgpr_private_segment_size 0
		.amdhsa_uses_dynamic_stack 0
		.amdhsa_system_sgpr_private_segment_wavefront_offset 0
		.amdhsa_system_sgpr_workgroup_id_x 1
		.amdhsa_system_sgpr_workgroup_id_y 0
		.amdhsa_system_sgpr_workgroup_id_z 0
		.amdhsa_system_sgpr_workgroup_info 0
		.amdhsa_system_vgpr_workitem_id 0
		.amdhsa_next_free_vgpr 1
		.amdhsa_next_free_sgpr 0
		.amdhsa_reserve_vcc 0
		.amdhsa_reserve_flat_scratch 0
		.amdhsa_float_round_mode_32 0
		.amdhsa_float_round_mode_16_64 0
		.amdhsa_float_denorm_mode_32 3
		.amdhsa_float_denorm_mode_16_64 3
		.amdhsa_dx10_clamp 1
		.amdhsa_ieee_mode 1
		.amdhsa_fp16_overflow 0
		.amdhsa_exception_fp_ieee_invalid_op 0
		.amdhsa_exception_fp_denorm_src 0
		.amdhsa_exception_fp_ieee_div_zero 0
		.amdhsa_exception_fp_ieee_overflow 0
		.amdhsa_exception_fp_ieee_underflow 0
		.amdhsa_exception_fp_ieee_inexact 0
		.amdhsa_exception_int_div_zero 0
	.end_amdhsa_kernel
	.section	.text._ZN7rocprim17ROCPRIM_400000_NS6detail17trampoline_kernelINS0_14default_configENS1_20scan_config_selectorIN3c107complexIdEEEEZZNS1_9scan_implILNS1_25lookback_scan_determinismE0ELb0ELb0ES3_PKS7_PS7_S7_ZZZN2at6native31launch_logcumsumexp_cuda_kernelERKNSE_10TensorBaseESI_lENKUlvE_clEvENKUlvE1_clEvEUlS7_S7_E_S7_EEDaPvRmT3_T4_T5_mT6_P12ihipStream_tbENKUlT_T0_E_clISt17integral_constantIbLb1EESZ_EEDaSU_SV_EUlSU_E0_NS1_11comp_targetILNS1_3genE10ELNS1_11target_archE1201ELNS1_3gpuE5ELNS1_3repE0EEENS1_30default_config_static_selectorELNS0_4arch9wavefront6targetE1EEEvT1_,"axG",@progbits,_ZN7rocprim17ROCPRIM_400000_NS6detail17trampoline_kernelINS0_14default_configENS1_20scan_config_selectorIN3c107complexIdEEEEZZNS1_9scan_implILNS1_25lookback_scan_determinismE0ELb0ELb0ES3_PKS7_PS7_S7_ZZZN2at6native31launch_logcumsumexp_cuda_kernelERKNSE_10TensorBaseESI_lENKUlvE_clEvENKUlvE1_clEvEUlS7_S7_E_S7_EEDaPvRmT3_T4_T5_mT6_P12ihipStream_tbENKUlT_T0_E_clISt17integral_constantIbLb1EESZ_EEDaSU_SV_EUlSU_E0_NS1_11comp_targetILNS1_3genE10ELNS1_11target_archE1201ELNS1_3gpuE5ELNS1_3repE0EEENS1_30default_config_static_selectorELNS0_4arch9wavefront6targetE1EEEvT1_,comdat
.Lfunc_end217:
	.size	_ZN7rocprim17ROCPRIM_400000_NS6detail17trampoline_kernelINS0_14default_configENS1_20scan_config_selectorIN3c107complexIdEEEEZZNS1_9scan_implILNS1_25lookback_scan_determinismE0ELb0ELb0ES3_PKS7_PS7_S7_ZZZN2at6native31launch_logcumsumexp_cuda_kernelERKNSE_10TensorBaseESI_lENKUlvE_clEvENKUlvE1_clEvEUlS7_S7_E_S7_EEDaPvRmT3_T4_T5_mT6_P12ihipStream_tbENKUlT_T0_E_clISt17integral_constantIbLb1EESZ_EEDaSU_SV_EUlSU_E0_NS1_11comp_targetILNS1_3genE10ELNS1_11target_archE1201ELNS1_3gpuE5ELNS1_3repE0EEENS1_30default_config_static_selectorELNS0_4arch9wavefront6targetE1EEEvT1_, .Lfunc_end217-_ZN7rocprim17ROCPRIM_400000_NS6detail17trampoline_kernelINS0_14default_configENS1_20scan_config_selectorIN3c107complexIdEEEEZZNS1_9scan_implILNS1_25lookback_scan_determinismE0ELb0ELb0ES3_PKS7_PS7_S7_ZZZN2at6native31launch_logcumsumexp_cuda_kernelERKNSE_10TensorBaseESI_lENKUlvE_clEvENKUlvE1_clEvEUlS7_S7_E_S7_EEDaPvRmT3_T4_T5_mT6_P12ihipStream_tbENKUlT_T0_E_clISt17integral_constantIbLb1EESZ_EEDaSU_SV_EUlSU_E0_NS1_11comp_targetILNS1_3genE10ELNS1_11target_archE1201ELNS1_3gpuE5ELNS1_3repE0EEENS1_30default_config_static_selectorELNS0_4arch9wavefront6targetE1EEEvT1_
                                        ; -- End function
	.set _ZN7rocprim17ROCPRIM_400000_NS6detail17trampoline_kernelINS0_14default_configENS1_20scan_config_selectorIN3c107complexIdEEEEZZNS1_9scan_implILNS1_25lookback_scan_determinismE0ELb0ELb0ES3_PKS7_PS7_S7_ZZZN2at6native31launch_logcumsumexp_cuda_kernelERKNSE_10TensorBaseESI_lENKUlvE_clEvENKUlvE1_clEvEUlS7_S7_E_S7_EEDaPvRmT3_T4_T5_mT6_P12ihipStream_tbENKUlT_T0_E_clISt17integral_constantIbLb1EESZ_EEDaSU_SV_EUlSU_E0_NS1_11comp_targetILNS1_3genE10ELNS1_11target_archE1201ELNS1_3gpuE5ELNS1_3repE0EEENS1_30default_config_static_selectorELNS0_4arch9wavefront6targetE1EEEvT1_.num_vgpr, 0
	.set _ZN7rocprim17ROCPRIM_400000_NS6detail17trampoline_kernelINS0_14default_configENS1_20scan_config_selectorIN3c107complexIdEEEEZZNS1_9scan_implILNS1_25lookback_scan_determinismE0ELb0ELb0ES3_PKS7_PS7_S7_ZZZN2at6native31launch_logcumsumexp_cuda_kernelERKNSE_10TensorBaseESI_lENKUlvE_clEvENKUlvE1_clEvEUlS7_S7_E_S7_EEDaPvRmT3_T4_T5_mT6_P12ihipStream_tbENKUlT_T0_E_clISt17integral_constantIbLb1EESZ_EEDaSU_SV_EUlSU_E0_NS1_11comp_targetILNS1_3genE10ELNS1_11target_archE1201ELNS1_3gpuE5ELNS1_3repE0EEENS1_30default_config_static_selectorELNS0_4arch9wavefront6targetE1EEEvT1_.num_agpr, 0
	.set _ZN7rocprim17ROCPRIM_400000_NS6detail17trampoline_kernelINS0_14default_configENS1_20scan_config_selectorIN3c107complexIdEEEEZZNS1_9scan_implILNS1_25lookback_scan_determinismE0ELb0ELb0ES3_PKS7_PS7_S7_ZZZN2at6native31launch_logcumsumexp_cuda_kernelERKNSE_10TensorBaseESI_lENKUlvE_clEvENKUlvE1_clEvEUlS7_S7_E_S7_EEDaPvRmT3_T4_T5_mT6_P12ihipStream_tbENKUlT_T0_E_clISt17integral_constantIbLb1EESZ_EEDaSU_SV_EUlSU_E0_NS1_11comp_targetILNS1_3genE10ELNS1_11target_archE1201ELNS1_3gpuE5ELNS1_3repE0EEENS1_30default_config_static_selectorELNS0_4arch9wavefront6targetE1EEEvT1_.numbered_sgpr, 0
	.set _ZN7rocprim17ROCPRIM_400000_NS6detail17trampoline_kernelINS0_14default_configENS1_20scan_config_selectorIN3c107complexIdEEEEZZNS1_9scan_implILNS1_25lookback_scan_determinismE0ELb0ELb0ES3_PKS7_PS7_S7_ZZZN2at6native31launch_logcumsumexp_cuda_kernelERKNSE_10TensorBaseESI_lENKUlvE_clEvENKUlvE1_clEvEUlS7_S7_E_S7_EEDaPvRmT3_T4_T5_mT6_P12ihipStream_tbENKUlT_T0_E_clISt17integral_constantIbLb1EESZ_EEDaSU_SV_EUlSU_E0_NS1_11comp_targetILNS1_3genE10ELNS1_11target_archE1201ELNS1_3gpuE5ELNS1_3repE0EEENS1_30default_config_static_selectorELNS0_4arch9wavefront6targetE1EEEvT1_.num_named_barrier, 0
	.set _ZN7rocprim17ROCPRIM_400000_NS6detail17trampoline_kernelINS0_14default_configENS1_20scan_config_selectorIN3c107complexIdEEEEZZNS1_9scan_implILNS1_25lookback_scan_determinismE0ELb0ELb0ES3_PKS7_PS7_S7_ZZZN2at6native31launch_logcumsumexp_cuda_kernelERKNSE_10TensorBaseESI_lENKUlvE_clEvENKUlvE1_clEvEUlS7_S7_E_S7_EEDaPvRmT3_T4_T5_mT6_P12ihipStream_tbENKUlT_T0_E_clISt17integral_constantIbLb1EESZ_EEDaSU_SV_EUlSU_E0_NS1_11comp_targetILNS1_3genE10ELNS1_11target_archE1201ELNS1_3gpuE5ELNS1_3repE0EEENS1_30default_config_static_selectorELNS0_4arch9wavefront6targetE1EEEvT1_.private_seg_size, 0
	.set _ZN7rocprim17ROCPRIM_400000_NS6detail17trampoline_kernelINS0_14default_configENS1_20scan_config_selectorIN3c107complexIdEEEEZZNS1_9scan_implILNS1_25lookback_scan_determinismE0ELb0ELb0ES3_PKS7_PS7_S7_ZZZN2at6native31launch_logcumsumexp_cuda_kernelERKNSE_10TensorBaseESI_lENKUlvE_clEvENKUlvE1_clEvEUlS7_S7_E_S7_EEDaPvRmT3_T4_T5_mT6_P12ihipStream_tbENKUlT_T0_E_clISt17integral_constantIbLb1EESZ_EEDaSU_SV_EUlSU_E0_NS1_11comp_targetILNS1_3genE10ELNS1_11target_archE1201ELNS1_3gpuE5ELNS1_3repE0EEENS1_30default_config_static_selectorELNS0_4arch9wavefront6targetE1EEEvT1_.uses_vcc, 0
	.set _ZN7rocprim17ROCPRIM_400000_NS6detail17trampoline_kernelINS0_14default_configENS1_20scan_config_selectorIN3c107complexIdEEEEZZNS1_9scan_implILNS1_25lookback_scan_determinismE0ELb0ELb0ES3_PKS7_PS7_S7_ZZZN2at6native31launch_logcumsumexp_cuda_kernelERKNSE_10TensorBaseESI_lENKUlvE_clEvENKUlvE1_clEvEUlS7_S7_E_S7_EEDaPvRmT3_T4_T5_mT6_P12ihipStream_tbENKUlT_T0_E_clISt17integral_constantIbLb1EESZ_EEDaSU_SV_EUlSU_E0_NS1_11comp_targetILNS1_3genE10ELNS1_11target_archE1201ELNS1_3gpuE5ELNS1_3repE0EEENS1_30default_config_static_selectorELNS0_4arch9wavefront6targetE1EEEvT1_.uses_flat_scratch, 0
	.set _ZN7rocprim17ROCPRIM_400000_NS6detail17trampoline_kernelINS0_14default_configENS1_20scan_config_selectorIN3c107complexIdEEEEZZNS1_9scan_implILNS1_25lookback_scan_determinismE0ELb0ELb0ES3_PKS7_PS7_S7_ZZZN2at6native31launch_logcumsumexp_cuda_kernelERKNSE_10TensorBaseESI_lENKUlvE_clEvENKUlvE1_clEvEUlS7_S7_E_S7_EEDaPvRmT3_T4_T5_mT6_P12ihipStream_tbENKUlT_T0_E_clISt17integral_constantIbLb1EESZ_EEDaSU_SV_EUlSU_E0_NS1_11comp_targetILNS1_3genE10ELNS1_11target_archE1201ELNS1_3gpuE5ELNS1_3repE0EEENS1_30default_config_static_selectorELNS0_4arch9wavefront6targetE1EEEvT1_.has_dyn_sized_stack, 0
	.set _ZN7rocprim17ROCPRIM_400000_NS6detail17trampoline_kernelINS0_14default_configENS1_20scan_config_selectorIN3c107complexIdEEEEZZNS1_9scan_implILNS1_25lookback_scan_determinismE0ELb0ELb0ES3_PKS7_PS7_S7_ZZZN2at6native31launch_logcumsumexp_cuda_kernelERKNSE_10TensorBaseESI_lENKUlvE_clEvENKUlvE1_clEvEUlS7_S7_E_S7_EEDaPvRmT3_T4_T5_mT6_P12ihipStream_tbENKUlT_T0_E_clISt17integral_constantIbLb1EESZ_EEDaSU_SV_EUlSU_E0_NS1_11comp_targetILNS1_3genE10ELNS1_11target_archE1201ELNS1_3gpuE5ELNS1_3repE0EEENS1_30default_config_static_selectorELNS0_4arch9wavefront6targetE1EEEvT1_.has_recursion, 0
	.set _ZN7rocprim17ROCPRIM_400000_NS6detail17trampoline_kernelINS0_14default_configENS1_20scan_config_selectorIN3c107complexIdEEEEZZNS1_9scan_implILNS1_25lookback_scan_determinismE0ELb0ELb0ES3_PKS7_PS7_S7_ZZZN2at6native31launch_logcumsumexp_cuda_kernelERKNSE_10TensorBaseESI_lENKUlvE_clEvENKUlvE1_clEvEUlS7_S7_E_S7_EEDaPvRmT3_T4_T5_mT6_P12ihipStream_tbENKUlT_T0_E_clISt17integral_constantIbLb1EESZ_EEDaSU_SV_EUlSU_E0_NS1_11comp_targetILNS1_3genE10ELNS1_11target_archE1201ELNS1_3gpuE5ELNS1_3repE0EEENS1_30default_config_static_selectorELNS0_4arch9wavefront6targetE1EEEvT1_.has_indirect_call, 0
	.section	.AMDGPU.csdata,"",@progbits
; Kernel info:
; codeLenInByte = 0
; TotalNumSgprs: 4
; NumVgprs: 0
; ScratchSize: 0
; MemoryBound: 0
; FloatMode: 240
; IeeeMode: 1
; LDSByteSize: 0 bytes/workgroup (compile time only)
; SGPRBlocks: 0
; VGPRBlocks: 0
; NumSGPRsForWavesPerEU: 4
; NumVGPRsForWavesPerEU: 1
; Occupancy: 10
; WaveLimiterHint : 0
; COMPUTE_PGM_RSRC2:SCRATCH_EN: 0
; COMPUTE_PGM_RSRC2:USER_SGPR: 6
; COMPUTE_PGM_RSRC2:TRAP_HANDLER: 0
; COMPUTE_PGM_RSRC2:TGID_X_EN: 1
; COMPUTE_PGM_RSRC2:TGID_Y_EN: 0
; COMPUTE_PGM_RSRC2:TGID_Z_EN: 0
; COMPUTE_PGM_RSRC2:TIDIG_COMP_CNT: 0
	.section	.text._ZN7rocprim17ROCPRIM_400000_NS6detail17trampoline_kernelINS0_14default_configENS1_20scan_config_selectorIN3c107complexIdEEEEZZNS1_9scan_implILNS1_25lookback_scan_determinismE0ELb0ELb0ES3_PKS7_PS7_S7_ZZZN2at6native31launch_logcumsumexp_cuda_kernelERKNSE_10TensorBaseESI_lENKUlvE_clEvENKUlvE1_clEvEUlS7_S7_E_S7_EEDaPvRmT3_T4_T5_mT6_P12ihipStream_tbENKUlT_T0_E_clISt17integral_constantIbLb1EESZ_EEDaSU_SV_EUlSU_E0_NS1_11comp_targetILNS1_3genE10ELNS1_11target_archE1200ELNS1_3gpuE4ELNS1_3repE0EEENS1_30default_config_static_selectorELNS0_4arch9wavefront6targetE1EEEvT1_,"axG",@progbits,_ZN7rocprim17ROCPRIM_400000_NS6detail17trampoline_kernelINS0_14default_configENS1_20scan_config_selectorIN3c107complexIdEEEEZZNS1_9scan_implILNS1_25lookback_scan_determinismE0ELb0ELb0ES3_PKS7_PS7_S7_ZZZN2at6native31launch_logcumsumexp_cuda_kernelERKNSE_10TensorBaseESI_lENKUlvE_clEvENKUlvE1_clEvEUlS7_S7_E_S7_EEDaPvRmT3_T4_T5_mT6_P12ihipStream_tbENKUlT_T0_E_clISt17integral_constantIbLb1EESZ_EEDaSU_SV_EUlSU_E0_NS1_11comp_targetILNS1_3genE10ELNS1_11target_archE1200ELNS1_3gpuE4ELNS1_3repE0EEENS1_30default_config_static_selectorELNS0_4arch9wavefront6targetE1EEEvT1_,comdat
	.globl	_ZN7rocprim17ROCPRIM_400000_NS6detail17trampoline_kernelINS0_14default_configENS1_20scan_config_selectorIN3c107complexIdEEEEZZNS1_9scan_implILNS1_25lookback_scan_determinismE0ELb0ELb0ES3_PKS7_PS7_S7_ZZZN2at6native31launch_logcumsumexp_cuda_kernelERKNSE_10TensorBaseESI_lENKUlvE_clEvENKUlvE1_clEvEUlS7_S7_E_S7_EEDaPvRmT3_T4_T5_mT6_P12ihipStream_tbENKUlT_T0_E_clISt17integral_constantIbLb1EESZ_EEDaSU_SV_EUlSU_E0_NS1_11comp_targetILNS1_3genE10ELNS1_11target_archE1200ELNS1_3gpuE4ELNS1_3repE0EEENS1_30default_config_static_selectorELNS0_4arch9wavefront6targetE1EEEvT1_ ; -- Begin function _ZN7rocprim17ROCPRIM_400000_NS6detail17trampoline_kernelINS0_14default_configENS1_20scan_config_selectorIN3c107complexIdEEEEZZNS1_9scan_implILNS1_25lookback_scan_determinismE0ELb0ELb0ES3_PKS7_PS7_S7_ZZZN2at6native31launch_logcumsumexp_cuda_kernelERKNSE_10TensorBaseESI_lENKUlvE_clEvENKUlvE1_clEvEUlS7_S7_E_S7_EEDaPvRmT3_T4_T5_mT6_P12ihipStream_tbENKUlT_T0_E_clISt17integral_constantIbLb1EESZ_EEDaSU_SV_EUlSU_E0_NS1_11comp_targetILNS1_3genE10ELNS1_11target_archE1200ELNS1_3gpuE4ELNS1_3repE0EEENS1_30default_config_static_selectorELNS0_4arch9wavefront6targetE1EEEvT1_
	.p2align	8
	.type	_ZN7rocprim17ROCPRIM_400000_NS6detail17trampoline_kernelINS0_14default_configENS1_20scan_config_selectorIN3c107complexIdEEEEZZNS1_9scan_implILNS1_25lookback_scan_determinismE0ELb0ELb0ES3_PKS7_PS7_S7_ZZZN2at6native31launch_logcumsumexp_cuda_kernelERKNSE_10TensorBaseESI_lENKUlvE_clEvENKUlvE1_clEvEUlS7_S7_E_S7_EEDaPvRmT3_T4_T5_mT6_P12ihipStream_tbENKUlT_T0_E_clISt17integral_constantIbLb1EESZ_EEDaSU_SV_EUlSU_E0_NS1_11comp_targetILNS1_3genE10ELNS1_11target_archE1200ELNS1_3gpuE4ELNS1_3repE0EEENS1_30default_config_static_selectorELNS0_4arch9wavefront6targetE1EEEvT1_,@function
_ZN7rocprim17ROCPRIM_400000_NS6detail17trampoline_kernelINS0_14default_configENS1_20scan_config_selectorIN3c107complexIdEEEEZZNS1_9scan_implILNS1_25lookback_scan_determinismE0ELb0ELb0ES3_PKS7_PS7_S7_ZZZN2at6native31launch_logcumsumexp_cuda_kernelERKNSE_10TensorBaseESI_lENKUlvE_clEvENKUlvE1_clEvEUlS7_S7_E_S7_EEDaPvRmT3_T4_T5_mT6_P12ihipStream_tbENKUlT_T0_E_clISt17integral_constantIbLb1EESZ_EEDaSU_SV_EUlSU_E0_NS1_11comp_targetILNS1_3genE10ELNS1_11target_archE1200ELNS1_3gpuE4ELNS1_3repE0EEENS1_30default_config_static_selectorELNS0_4arch9wavefront6targetE1EEEvT1_: ; @_ZN7rocprim17ROCPRIM_400000_NS6detail17trampoline_kernelINS0_14default_configENS1_20scan_config_selectorIN3c107complexIdEEEEZZNS1_9scan_implILNS1_25lookback_scan_determinismE0ELb0ELb0ES3_PKS7_PS7_S7_ZZZN2at6native31launch_logcumsumexp_cuda_kernelERKNSE_10TensorBaseESI_lENKUlvE_clEvENKUlvE1_clEvEUlS7_S7_E_S7_EEDaPvRmT3_T4_T5_mT6_P12ihipStream_tbENKUlT_T0_E_clISt17integral_constantIbLb1EESZ_EEDaSU_SV_EUlSU_E0_NS1_11comp_targetILNS1_3genE10ELNS1_11target_archE1200ELNS1_3gpuE4ELNS1_3repE0EEENS1_30default_config_static_selectorELNS0_4arch9wavefront6targetE1EEEvT1_
; %bb.0:
	.section	.rodata,"a",@progbits
	.p2align	6, 0x0
	.amdhsa_kernel _ZN7rocprim17ROCPRIM_400000_NS6detail17trampoline_kernelINS0_14default_configENS1_20scan_config_selectorIN3c107complexIdEEEEZZNS1_9scan_implILNS1_25lookback_scan_determinismE0ELb0ELb0ES3_PKS7_PS7_S7_ZZZN2at6native31launch_logcumsumexp_cuda_kernelERKNSE_10TensorBaseESI_lENKUlvE_clEvENKUlvE1_clEvEUlS7_S7_E_S7_EEDaPvRmT3_T4_T5_mT6_P12ihipStream_tbENKUlT_T0_E_clISt17integral_constantIbLb1EESZ_EEDaSU_SV_EUlSU_E0_NS1_11comp_targetILNS1_3genE10ELNS1_11target_archE1200ELNS1_3gpuE4ELNS1_3repE0EEENS1_30default_config_static_selectorELNS0_4arch9wavefront6targetE1EEEvT1_
		.amdhsa_group_segment_fixed_size 0
		.amdhsa_private_segment_fixed_size 0
		.amdhsa_kernarg_size 48
		.amdhsa_user_sgpr_count 6
		.amdhsa_user_sgpr_private_segment_buffer 1
		.amdhsa_user_sgpr_dispatch_ptr 0
		.amdhsa_user_sgpr_queue_ptr 0
		.amdhsa_user_sgpr_kernarg_segment_ptr 1
		.amdhsa_user_sgpr_dispatch_id 0
		.amdhsa_user_sgpr_flat_scratch_init 0
		.amdhsa_user_sgpr_private_segment_size 0
		.amdhsa_uses_dynamic_stack 0
		.amdhsa_system_sgpr_private_segment_wavefront_offset 0
		.amdhsa_system_sgpr_workgroup_id_x 1
		.amdhsa_system_sgpr_workgroup_id_y 0
		.amdhsa_system_sgpr_workgroup_id_z 0
		.amdhsa_system_sgpr_workgroup_info 0
		.amdhsa_system_vgpr_workitem_id 0
		.amdhsa_next_free_vgpr 1
		.amdhsa_next_free_sgpr 0
		.amdhsa_reserve_vcc 0
		.amdhsa_reserve_flat_scratch 0
		.amdhsa_float_round_mode_32 0
		.amdhsa_float_round_mode_16_64 0
		.amdhsa_float_denorm_mode_32 3
		.amdhsa_float_denorm_mode_16_64 3
		.amdhsa_dx10_clamp 1
		.amdhsa_ieee_mode 1
		.amdhsa_fp16_overflow 0
		.amdhsa_exception_fp_ieee_invalid_op 0
		.amdhsa_exception_fp_denorm_src 0
		.amdhsa_exception_fp_ieee_div_zero 0
		.amdhsa_exception_fp_ieee_overflow 0
		.amdhsa_exception_fp_ieee_underflow 0
		.amdhsa_exception_fp_ieee_inexact 0
		.amdhsa_exception_int_div_zero 0
	.end_amdhsa_kernel
	.section	.text._ZN7rocprim17ROCPRIM_400000_NS6detail17trampoline_kernelINS0_14default_configENS1_20scan_config_selectorIN3c107complexIdEEEEZZNS1_9scan_implILNS1_25lookback_scan_determinismE0ELb0ELb0ES3_PKS7_PS7_S7_ZZZN2at6native31launch_logcumsumexp_cuda_kernelERKNSE_10TensorBaseESI_lENKUlvE_clEvENKUlvE1_clEvEUlS7_S7_E_S7_EEDaPvRmT3_T4_T5_mT6_P12ihipStream_tbENKUlT_T0_E_clISt17integral_constantIbLb1EESZ_EEDaSU_SV_EUlSU_E0_NS1_11comp_targetILNS1_3genE10ELNS1_11target_archE1200ELNS1_3gpuE4ELNS1_3repE0EEENS1_30default_config_static_selectorELNS0_4arch9wavefront6targetE1EEEvT1_,"axG",@progbits,_ZN7rocprim17ROCPRIM_400000_NS6detail17trampoline_kernelINS0_14default_configENS1_20scan_config_selectorIN3c107complexIdEEEEZZNS1_9scan_implILNS1_25lookback_scan_determinismE0ELb0ELb0ES3_PKS7_PS7_S7_ZZZN2at6native31launch_logcumsumexp_cuda_kernelERKNSE_10TensorBaseESI_lENKUlvE_clEvENKUlvE1_clEvEUlS7_S7_E_S7_EEDaPvRmT3_T4_T5_mT6_P12ihipStream_tbENKUlT_T0_E_clISt17integral_constantIbLb1EESZ_EEDaSU_SV_EUlSU_E0_NS1_11comp_targetILNS1_3genE10ELNS1_11target_archE1200ELNS1_3gpuE4ELNS1_3repE0EEENS1_30default_config_static_selectorELNS0_4arch9wavefront6targetE1EEEvT1_,comdat
.Lfunc_end218:
	.size	_ZN7rocprim17ROCPRIM_400000_NS6detail17trampoline_kernelINS0_14default_configENS1_20scan_config_selectorIN3c107complexIdEEEEZZNS1_9scan_implILNS1_25lookback_scan_determinismE0ELb0ELb0ES3_PKS7_PS7_S7_ZZZN2at6native31launch_logcumsumexp_cuda_kernelERKNSE_10TensorBaseESI_lENKUlvE_clEvENKUlvE1_clEvEUlS7_S7_E_S7_EEDaPvRmT3_T4_T5_mT6_P12ihipStream_tbENKUlT_T0_E_clISt17integral_constantIbLb1EESZ_EEDaSU_SV_EUlSU_E0_NS1_11comp_targetILNS1_3genE10ELNS1_11target_archE1200ELNS1_3gpuE4ELNS1_3repE0EEENS1_30default_config_static_selectorELNS0_4arch9wavefront6targetE1EEEvT1_, .Lfunc_end218-_ZN7rocprim17ROCPRIM_400000_NS6detail17trampoline_kernelINS0_14default_configENS1_20scan_config_selectorIN3c107complexIdEEEEZZNS1_9scan_implILNS1_25lookback_scan_determinismE0ELb0ELb0ES3_PKS7_PS7_S7_ZZZN2at6native31launch_logcumsumexp_cuda_kernelERKNSE_10TensorBaseESI_lENKUlvE_clEvENKUlvE1_clEvEUlS7_S7_E_S7_EEDaPvRmT3_T4_T5_mT6_P12ihipStream_tbENKUlT_T0_E_clISt17integral_constantIbLb1EESZ_EEDaSU_SV_EUlSU_E0_NS1_11comp_targetILNS1_3genE10ELNS1_11target_archE1200ELNS1_3gpuE4ELNS1_3repE0EEENS1_30default_config_static_selectorELNS0_4arch9wavefront6targetE1EEEvT1_
                                        ; -- End function
	.set _ZN7rocprim17ROCPRIM_400000_NS6detail17trampoline_kernelINS0_14default_configENS1_20scan_config_selectorIN3c107complexIdEEEEZZNS1_9scan_implILNS1_25lookback_scan_determinismE0ELb0ELb0ES3_PKS7_PS7_S7_ZZZN2at6native31launch_logcumsumexp_cuda_kernelERKNSE_10TensorBaseESI_lENKUlvE_clEvENKUlvE1_clEvEUlS7_S7_E_S7_EEDaPvRmT3_T4_T5_mT6_P12ihipStream_tbENKUlT_T0_E_clISt17integral_constantIbLb1EESZ_EEDaSU_SV_EUlSU_E0_NS1_11comp_targetILNS1_3genE10ELNS1_11target_archE1200ELNS1_3gpuE4ELNS1_3repE0EEENS1_30default_config_static_selectorELNS0_4arch9wavefront6targetE1EEEvT1_.num_vgpr, 0
	.set _ZN7rocprim17ROCPRIM_400000_NS6detail17trampoline_kernelINS0_14default_configENS1_20scan_config_selectorIN3c107complexIdEEEEZZNS1_9scan_implILNS1_25lookback_scan_determinismE0ELb0ELb0ES3_PKS7_PS7_S7_ZZZN2at6native31launch_logcumsumexp_cuda_kernelERKNSE_10TensorBaseESI_lENKUlvE_clEvENKUlvE1_clEvEUlS7_S7_E_S7_EEDaPvRmT3_T4_T5_mT6_P12ihipStream_tbENKUlT_T0_E_clISt17integral_constantIbLb1EESZ_EEDaSU_SV_EUlSU_E0_NS1_11comp_targetILNS1_3genE10ELNS1_11target_archE1200ELNS1_3gpuE4ELNS1_3repE0EEENS1_30default_config_static_selectorELNS0_4arch9wavefront6targetE1EEEvT1_.num_agpr, 0
	.set _ZN7rocprim17ROCPRIM_400000_NS6detail17trampoline_kernelINS0_14default_configENS1_20scan_config_selectorIN3c107complexIdEEEEZZNS1_9scan_implILNS1_25lookback_scan_determinismE0ELb0ELb0ES3_PKS7_PS7_S7_ZZZN2at6native31launch_logcumsumexp_cuda_kernelERKNSE_10TensorBaseESI_lENKUlvE_clEvENKUlvE1_clEvEUlS7_S7_E_S7_EEDaPvRmT3_T4_T5_mT6_P12ihipStream_tbENKUlT_T0_E_clISt17integral_constantIbLb1EESZ_EEDaSU_SV_EUlSU_E0_NS1_11comp_targetILNS1_3genE10ELNS1_11target_archE1200ELNS1_3gpuE4ELNS1_3repE0EEENS1_30default_config_static_selectorELNS0_4arch9wavefront6targetE1EEEvT1_.numbered_sgpr, 0
	.set _ZN7rocprim17ROCPRIM_400000_NS6detail17trampoline_kernelINS0_14default_configENS1_20scan_config_selectorIN3c107complexIdEEEEZZNS1_9scan_implILNS1_25lookback_scan_determinismE0ELb0ELb0ES3_PKS7_PS7_S7_ZZZN2at6native31launch_logcumsumexp_cuda_kernelERKNSE_10TensorBaseESI_lENKUlvE_clEvENKUlvE1_clEvEUlS7_S7_E_S7_EEDaPvRmT3_T4_T5_mT6_P12ihipStream_tbENKUlT_T0_E_clISt17integral_constantIbLb1EESZ_EEDaSU_SV_EUlSU_E0_NS1_11comp_targetILNS1_3genE10ELNS1_11target_archE1200ELNS1_3gpuE4ELNS1_3repE0EEENS1_30default_config_static_selectorELNS0_4arch9wavefront6targetE1EEEvT1_.num_named_barrier, 0
	.set _ZN7rocprim17ROCPRIM_400000_NS6detail17trampoline_kernelINS0_14default_configENS1_20scan_config_selectorIN3c107complexIdEEEEZZNS1_9scan_implILNS1_25lookback_scan_determinismE0ELb0ELb0ES3_PKS7_PS7_S7_ZZZN2at6native31launch_logcumsumexp_cuda_kernelERKNSE_10TensorBaseESI_lENKUlvE_clEvENKUlvE1_clEvEUlS7_S7_E_S7_EEDaPvRmT3_T4_T5_mT6_P12ihipStream_tbENKUlT_T0_E_clISt17integral_constantIbLb1EESZ_EEDaSU_SV_EUlSU_E0_NS1_11comp_targetILNS1_3genE10ELNS1_11target_archE1200ELNS1_3gpuE4ELNS1_3repE0EEENS1_30default_config_static_selectorELNS0_4arch9wavefront6targetE1EEEvT1_.private_seg_size, 0
	.set _ZN7rocprim17ROCPRIM_400000_NS6detail17trampoline_kernelINS0_14default_configENS1_20scan_config_selectorIN3c107complexIdEEEEZZNS1_9scan_implILNS1_25lookback_scan_determinismE0ELb0ELb0ES3_PKS7_PS7_S7_ZZZN2at6native31launch_logcumsumexp_cuda_kernelERKNSE_10TensorBaseESI_lENKUlvE_clEvENKUlvE1_clEvEUlS7_S7_E_S7_EEDaPvRmT3_T4_T5_mT6_P12ihipStream_tbENKUlT_T0_E_clISt17integral_constantIbLb1EESZ_EEDaSU_SV_EUlSU_E0_NS1_11comp_targetILNS1_3genE10ELNS1_11target_archE1200ELNS1_3gpuE4ELNS1_3repE0EEENS1_30default_config_static_selectorELNS0_4arch9wavefront6targetE1EEEvT1_.uses_vcc, 0
	.set _ZN7rocprim17ROCPRIM_400000_NS6detail17trampoline_kernelINS0_14default_configENS1_20scan_config_selectorIN3c107complexIdEEEEZZNS1_9scan_implILNS1_25lookback_scan_determinismE0ELb0ELb0ES3_PKS7_PS7_S7_ZZZN2at6native31launch_logcumsumexp_cuda_kernelERKNSE_10TensorBaseESI_lENKUlvE_clEvENKUlvE1_clEvEUlS7_S7_E_S7_EEDaPvRmT3_T4_T5_mT6_P12ihipStream_tbENKUlT_T0_E_clISt17integral_constantIbLb1EESZ_EEDaSU_SV_EUlSU_E0_NS1_11comp_targetILNS1_3genE10ELNS1_11target_archE1200ELNS1_3gpuE4ELNS1_3repE0EEENS1_30default_config_static_selectorELNS0_4arch9wavefront6targetE1EEEvT1_.uses_flat_scratch, 0
	.set _ZN7rocprim17ROCPRIM_400000_NS6detail17trampoline_kernelINS0_14default_configENS1_20scan_config_selectorIN3c107complexIdEEEEZZNS1_9scan_implILNS1_25lookback_scan_determinismE0ELb0ELb0ES3_PKS7_PS7_S7_ZZZN2at6native31launch_logcumsumexp_cuda_kernelERKNSE_10TensorBaseESI_lENKUlvE_clEvENKUlvE1_clEvEUlS7_S7_E_S7_EEDaPvRmT3_T4_T5_mT6_P12ihipStream_tbENKUlT_T0_E_clISt17integral_constantIbLb1EESZ_EEDaSU_SV_EUlSU_E0_NS1_11comp_targetILNS1_3genE10ELNS1_11target_archE1200ELNS1_3gpuE4ELNS1_3repE0EEENS1_30default_config_static_selectorELNS0_4arch9wavefront6targetE1EEEvT1_.has_dyn_sized_stack, 0
	.set _ZN7rocprim17ROCPRIM_400000_NS6detail17trampoline_kernelINS0_14default_configENS1_20scan_config_selectorIN3c107complexIdEEEEZZNS1_9scan_implILNS1_25lookback_scan_determinismE0ELb0ELb0ES3_PKS7_PS7_S7_ZZZN2at6native31launch_logcumsumexp_cuda_kernelERKNSE_10TensorBaseESI_lENKUlvE_clEvENKUlvE1_clEvEUlS7_S7_E_S7_EEDaPvRmT3_T4_T5_mT6_P12ihipStream_tbENKUlT_T0_E_clISt17integral_constantIbLb1EESZ_EEDaSU_SV_EUlSU_E0_NS1_11comp_targetILNS1_3genE10ELNS1_11target_archE1200ELNS1_3gpuE4ELNS1_3repE0EEENS1_30default_config_static_selectorELNS0_4arch9wavefront6targetE1EEEvT1_.has_recursion, 0
	.set _ZN7rocprim17ROCPRIM_400000_NS6detail17trampoline_kernelINS0_14default_configENS1_20scan_config_selectorIN3c107complexIdEEEEZZNS1_9scan_implILNS1_25lookback_scan_determinismE0ELb0ELb0ES3_PKS7_PS7_S7_ZZZN2at6native31launch_logcumsumexp_cuda_kernelERKNSE_10TensorBaseESI_lENKUlvE_clEvENKUlvE1_clEvEUlS7_S7_E_S7_EEDaPvRmT3_T4_T5_mT6_P12ihipStream_tbENKUlT_T0_E_clISt17integral_constantIbLb1EESZ_EEDaSU_SV_EUlSU_E0_NS1_11comp_targetILNS1_3genE10ELNS1_11target_archE1200ELNS1_3gpuE4ELNS1_3repE0EEENS1_30default_config_static_selectorELNS0_4arch9wavefront6targetE1EEEvT1_.has_indirect_call, 0
	.section	.AMDGPU.csdata,"",@progbits
; Kernel info:
; codeLenInByte = 0
; TotalNumSgprs: 4
; NumVgprs: 0
; ScratchSize: 0
; MemoryBound: 0
; FloatMode: 240
; IeeeMode: 1
; LDSByteSize: 0 bytes/workgroup (compile time only)
; SGPRBlocks: 0
; VGPRBlocks: 0
; NumSGPRsForWavesPerEU: 4
; NumVGPRsForWavesPerEU: 1
; Occupancy: 10
; WaveLimiterHint : 0
; COMPUTE_PGM_RSRC2:SCRATCH_EN: 0
; COMPUTE_PGM_RSRC2:USER_SGPR: 6
; COMPUTE_PGM_RSRC2:TRAP_HANDLER: 0
; COMPUTE_PGM_RSRC2:TGID_X_EN: 1
; COMPUTE_PGM_RSRC2:TGID_Y_EN: 0
; COMPUTE_PGM_RSRC2:TGID_Z_EN: 0
; COMPUTE_PGM_RSRC2:TIDIG_COMP_CNT: 0
	.section	.text._ZN7rocprim17ROCPRIM_400000_NS6detail17trampoline_kernelINS0_14default_configENS1_20scan_config_selectorIN3c107complexIdEEEEZZNS1_9scan_implILNS1_25lookback_scan_determinismE0ELb0ELb0ES3_PKS7_PS7_S7_ZZZN2at6native31launch_logcumsumexp_cuda_kernelERKNSE_10TensorBaseESI_lENKUlvE_clEvENKUlvE1_clEvEUlS7_S7_E_S7_EEDaPvRmT3_T4_T5_mT6_P12ihipStream_tbENKUlT_T0_E_clISt17integral_constantIbLb1EESZ_EEDaSU_SV_EUlSU_E0_NS1_11comp_targetILNS1_3genE9ELNS1_11target_archE1100ELNS1_3gpuE3ELNS1_3repE0EEENS1_30default_config_static_selectorELNS0_4arch9wavefront6targetE1EEEvT1_,"axG",@progbits,_ZN7rocprim17ROCPRIM_400000_NS6detail17trampoline_kernelINS0_14default_configENS1_20scan_config_selectorIN3c107complexIdEEEEZZNS1_9scan_implILNS1_25lookback_scan_determinismE0ELb0ELb0ES3_PKS7_PS7_S7_ZZZN2at6native31launch_logcumsumexp_cuda_kernelERKNSE_10TensorBaseESI_lENKUlvE_clEvENKUlvE1_clEvEUlS7_S7_E_S7_EEDaPvRmT3_T4_T5_mT6_P12ihipStream_tbENKUlT_T0_E_clISt17integral_constantIbLb1EESZ_EEDaSU_SV_EUlSU_E0_NS1_11comp_targetILNS1_3genE9ELNS1_11target_archE1100ELNS1_3gpuE3ELNS1_3repE0EEENS1_30default_config_static_selectorELNS0_4arch9wavefront6targetE1EEEvT1_,comdat
	.globl	_ZN7rocprim17ROCPRIM_400000_NS6detail17trampoline_kernelINS0_14default_configENS1_20scan_config_selectorIN3c107complexIdEEEEZZNS1_9scan_implILNS1_25lookback_scan_determinismE0ELb0ELb0ES3_PKS7_PS7_S7_ZZZN2at6native31launch_logcumsumexp_cuda_kernelERKNSE_10TensorBaseESI_lENKUlvE_clEvENKUlvE1_clEvEUlS7_S7_E_S7_EEDaPvRmT3_T4_T5_mT6_P12ihipStream_tbENKUlT_T0_E_clISt17integral_constantIbLb1EESZ_EEDaSU_SV_EUlSU_E0_NS1_11comp_targetILNS1_3genE9ELNS1_11target_archE1100ELNS1_3gpuE3ELNS1_3repE0EEENS1_30default_config_static_selectorELNS0_4arch9wavefront6targetE1EEEvT1_ ; -- Begin function _ZN7rocprim17ROCPRIM_400000_NS6detail17trampoline_kernelINS0_14default_configENS1_20scan_config_selectorIN3c107complexIdEEEEZZNS1_9scan_implILNS1_25lookback_scan_determinismE0ELb0ELb0ES3_PKS7_PS7_S7_ZZZN2at6native31launch_logcumsumexp_cuda_kernelERKNSE_10TensorBaseESI_lENKUlvE_clEvENKUlvE1_clEvEUlS7_S7_E_S7_EEDaPvRmT3_T4_T5_mT6_P12ihipStream_tbENKUlT_T0_E_clISt17integral_constantIbLb1EESZ_EEDaSU_SV_EUlSU_E0_NS1_11comp_targetILNS1_3genE9ELNS1_11target_archE1100ELNS1_3gpuE3ELNS1_3repE0EEENS1_30default_config_static_selectorELNS0_4arch9wavefront6targetE1EEEvT1_
	.p2align	8
	.type	_ZN7rocprim17ROCPRIM_400000_NS6detail17trampoline_kernelINS0_14default_configENS1_20scan_config_selectorIN3c107complexIdEEEEZZNS1_9scan_implILNS1_25lookback_scan_determinismE0ELb0ELb0ES3_PKS7_PS7_S7_ZZZN2at6native31launch_logcumsumexp_cuda_kernelERKNSE_10TensorBaseESI_lENKUlvE_clEvENKUlvE1_clEvEUlS7_S7_E_S7_EEDaPvRmT3_T4_T5_mT6_P12ihipStream_tbENKUlT_T0_E_clISt17integral_constantIbLb1EESZ_EEDaSU_SV_EUlSU_E0_NS1_11comp_targetILNS1_3genE9ELNS1_11target_archE1100ELNS1_3gpuE3ELNS1_3repE0EEENS1_30default_config_static_selectorELNS0_4arch9wavefront6targetE1EEEvT1_,@function
_ZN7rocprim17ROCPRIM_400000_NS6detail17trampoline_kernelINS0_14default_configENS1_20scan_config_selectorIN3c107complexIdEEEEZZNS1_9scan_implILNS1_25lookback_scan_determinismE0ELb0ELb0ES3_PKS7_PS7_S7_ZZZN2at6native31launch_logcumsumexp_cuda_kernelERKNSE_10TensorBaseESI_lENKUlvE_clEvENKUlvE1_clEvEUlS7_S7_E_S7_EEDaPvRmT3_T4_T5_mT6_P12ihipStream_tbENKUlT_T0_E_clISt17integral_constantIbLb1EESZ_EEDaSU_SV_EUlSU_E0_NS1_11comp_targetILNS1_3genE9ELNS1_11target_archE1100ELNS1_3gpuE3ELNS1_3repE0EEENS1_30default_config_static_selectorELNS0_4arch9wavefront6targetE1EEEvT1_: ; @_ZN7rocprim17ROCPRIM_400000_NS6detail17trampoline_kernelINS0_14default_configENS1_20scan_config_selectorIN3c107complexIdEEEEZZNS1_9scan_implILNS1_25lookback_scan_determinismE0ELb0ELb0ES3_PKS7_PS7_S7_ZZZN2at6native31launch_logcumsumexp_cuda_kernelERKNSE_10TensorBaseESI_lENKUlvE_clEvENKUlvE1_clEvEUlS7_S7_E_S7_EEDaPvRmT3_T4_T5_mT6_P12ihipStream_tbENKUlT_T0_E_clISt17integral_constantIbLb1EESZ_EEDaSU_SV_EUlSU_E0_NS1_11comp_targetILNS1_3genE9ELNS1_11target_archE1100ELNS1_3gpuE3ELNS1_3repE0EEENS1_30default_config_static_selectorELNS0_4arch9wavefront6targetE1EEEvT1_
; %bb.0:
	.section	.rodata,"a",@progbits
	.p2align	6, 0x0
	.amdhsa_kernel _ZN7rocprim17ROCPRIM_400000_NS6detail17trampoline_kernelINS0_14default_configENS1_20scan_config_selectorIN3c107complexIdEEEEZZNS1_9scan_implILNS1_25lookback_scan_determinismE0ELb0ELb0ES3_PKS7_PS7_S7_ZZZN2at6native31launch_logcumsumexp_cuda_kernelERKNSE_10TensorBaseESI_lENKUlvE_clEvENKUlvE1_clEvEUlS7_S7_E_S7_EEDaPvRmT3_T4_T5_mT6_P12ihipStream_tbENKUlT_T0_E_clISt17integral_constantIbLb1EESZ_EEDaSU_SV_EUlSU_E0_NS1_11comp_targetILNS1_3genE9ELNS1_11target_archE1100ELNS1_3gpuE3ELNS1_3repE0EEENS1_30default_config_static_selectorELNS0_4arch9wavefront6targetE1EEEvT1_
		.amdhsa_group_segment_fixed_size 0
		.amdhsa_private_segment_fixed_size 0
		.amdhsa_kernarg_size 48
		.amdhsa_user_sgpr_count 6
		.amdhsa_user_sgpr_private_segment_buffer 1
		.amdhsa_user_sgpr_dispatch_ptr 0
		.amdhsa_user_sgpr_queue_ptr 0
		.amdhsa_user_sgpr_kernarg_segment_ptr 1
		.amdhsa_user_sgpr_dispatch_id 0
		.amdhsa_user_sgpr_flat_scratch_init 0
		.amdhsa_user_sgpr_private_segment_size 0
		.amdhsa_uses_dynamic_stack 0
		.amdhsa_system_sgpr_private_segment_wavefront_offset 0
		.amdhsa_system_sgpr_workgroup_id_x 1
		.amdhsa_system_sgpr_workgroup_id_y 0
		.amdhsa_system_sgpr_workgroup_id_z 0
		.amdhsa_system_sgpr_workgroup_info 0
		.amdhsa_system_vgpr_workitem_id 0
		.amdhsa_next_free_vgpr 1
		.amdhsa_next_free_sgpr 0
		.amdhsa_reserve_vcc 0
		.amdhsa_reserve_flat_scratch 0
		.amdhsa_float_round_mode_32 0
		.amdhsa_float_round_mode_16_64 0
		.amdhsa_float_denorm_mode_32 3
		.amdhsa_float_denorm_mode_16_64 3
		.amdhsa_dx10_clamp 1
		.amdhsa_ieee_mode 1
		.amdhsa_fp16_overflow 0
		.amdhsa_exception_fp_ieee_invalid_op 0
		.amdhsa_exception_fp_denorm_src 0
		.amdhsa_exception_fp_ieee_div_zero 0
		.amdhsa_exception_fp_ieee_overflow 0
		.amdhsa_exception_fp_ieee_underflow 0
		.amdhsa_exception_fp_ieee_inexact 0
		.amdhsa_exception_int_div_zero 0
	.end_amdhsa_kernel
	.section	.text._ZN7rocprim17ROCPRIM_400000_NS6detail17trampoline_kernelINS0_14default_configENS1_20scan_config_selectorIN3c107complexIdEEEEZZNS1_9scan_implILNS1_25lookback_scan_determinismE0ELb0ELb0ES3_PKS7_PS7_S7_ZZZN2at6native31launch_logcumsumexp_cuda_kernelERKNSE_10TensorBaseESI_lENKUlvE_clEvENKUlvE1_clEvEUlS7_S7_E_S7_EEDaPvRmT3_T4_T5_mT6_P12ihipStream_tbENKUlT_T0_E_clISt17integral_constantIbLb1EESZ_EEDaSU_SV_EUlSU_E0_NS1_11comp_targetILNS1_3genE9ELNS1_11target_archE1100ELNS1_3gpuE3ELNS1_3repE0EEENS1_30default_config_static_selectorELNS0_4arch9wavefront6targetE1EEEvT1_,"axG",@progbits,_ZN7rocprim17ROCPRIM_400000_NS6detail17trampoline_kernelINS0_14default_configENS1_20scan_config_selectorIN3c107complexIdEEEEZZNS1_9scan_implILNS1_25lookback_scan_determinismE0ELb0ELb0ES3_PKS7_PS7_S7_ZZZN2at6native31launch_logcumsumexp_cuda_kernelERKNSE_10TensorBaseESI_lENKUlvE_clEvENKUlvE1_clEvEUlS7_S7_E_S7_EEDaPvRmT3_T4_T5_mT6_P12ihipStream_tbENKUlT_T0_E_clISt17integral_constantIbLb1EESZ_EEDaSU_SV_EUlSU_E0_NS1_11comp_targetILNS1_3genE9ELNS1_11target_archE1100ELNS1_3gpuE3ELNS1_3repE0EEENS1_30default_config_static_selectorELNS0_4arch9wavefront6targetE1EEEvT1_,comdat
.Lfunc_end219:
	.size	_ZN7rocprim17ROCPRIM_400000_NS6detail17trampoline_kernelINS0_14default_configENS1_20scan_config_selectorIN3c107complexIdEEEEZZNS1_9scan_implILNS1_25lookback_scan_determinismE0ELb0ELb0ES3_PKS7_PS7_S7_ZZZN2at6native31launch_logcumsumexp_cuda_kernelERKNSE_10TensorBaseESI_lENKUlvE_clEvENKUlvE1_clEvEUlS7_S7_E_S7_EEDaPvRmT3_T4_T5_mT6_P12ihipStream_tbENKUlT_T0_E_clISt17integral_constantIbLb1EESZ_EEDaSU_SV_EUlSU_E0_NS1_11comp_targetILNS1_3genE9ELNS1_11target_archE1100ELNS1_3gpuE3ELNS1_3repE0EEENS1_30default_config_static_selectorELNS0_4arch9wavefront6targetE1EEEvT1_, .Lfunc_end219-_ZN7rocprim17ROCPRIM_400000_NS6detail17trampoline_kernelINS0_14default_configENS1_20scan_config_selectorIN3c107complexIdEEEEZZNS1_9scan_implILNS1_25lookback_scan_determinismE0ELb0ELb0ES3_PKS7_PS7_S7_ZZZN2at6native31launch_logcumsumexp_cuda_kernelERKNSE_10TensorBaseESI_lENKUlvE_clEvENKUlvE1_clEvEUlS7_S7_E_S7_EEDaPvRmT3_T4_T5_mT6_P12ihipStream_tbENKUlT_T0_E_clISt17integral_constantIbLb1EESZ_EEDaSU_SV_EUlSU_E0_NS1_11comp_targetILNS1_3genE9ELNS1_11target_archE1100ELNS1_3gpuE3ELNS1_3repE0EEENS1_30default_config_static_selectorELNS0_4arch9wavefront6targetE1EEEvT1_
                                        ; -- End function
	.set _ZN7rocprim17ROCPRIM_400000_NS6detail17trampoline_kernelINS0_14default_configENS1_20scan_config_selectorIN3c107complexIdEEEEZZNS1_9scan_implILNS1_25lookback_scan_determinismE0ELb0ELb0ES3_PKS7_PS7_S7_ZZZN2at6native31launch_logcumsumexp_cuda_kernelERKNSE_10TensorBaseESI_lENKUlvE_clEvENKUlvE1_clEvEUlS7_S7_E_S7_EEDaPvRmT3_T4_T5_mT6_P12ihipStream_tbENKUlT_T0_E_clISt17integral_constantIbLb1EESZ_EEDaSU_SV_EUlSU_E0_NS1_11comp_targetILNS1_3genE9ELNS1_11target_archE1100ELNS1_3gpuE3ELNS1_3repE0EEENS1_30default_config_static_selectorELNS0_4arch9wavefront6targetE1EEEvT1_.num_vgpr, 0
	.set _ZN7rocprim17ROCPRIM_400000_NS6detail17trampoline_kernelINS0_14default_configENS1_20scan_config_selectorIN3c107complexIdEEEEZZNS1_9scan_implILNS1_25lookback_scan_determinismE0ELb0ELb0ES3_PKS7_PS7_S7_ZZZN2at6native31launch_logcumsumexp_cuda_kernelERKNSE_10TensorBaseESI_lENKUlvE_clEvENKUlvE1_clEvEUlS7_S7_E_S7_EEDaPvRmT3_T4_T5_mT6_P12ihipStream_tbENKUlT_T0_E_clISt17integral_constantIbLb1EESZ_EEDaSU_SV_EUlSU_E0_NS1_11comp_targetILNS1_3genE9ELNS1_11target_archE1100ELNS1_3gpuE3ELNS1_3repE0EEENS1_30default_config_static_selectorELNS0_4arch9wavefront6targetE1EEEvT1_.num_agpr, 0
	.set _ZN7rocprim17ROCPRIM_400000_NS6detail17trampoline_kernelINS0_14default_configENS1_20scan_config_selectorIN3c107complexIdEEEEZZNS1_9scan_implILNS1_25lookback_scan_determinismE0ELb0ELb0ES3_PKS7_PS7_S7_ZZZN2at6native31launch_logcumsumexp_cuda_kernelERKNSE_10TensorBaseESI_lENKUlvE_clEvENKUlvE1_clEvEUlS7_S7_E_S7_EEDaPvRmT3_T4_T5_mT6_P12ihipStream_tbENKUlT_T0_E_clISt17integral_constantIbLb1EESZ_EEDaSU_SV_EUlSU_E0_NS1_11comp_targetILNS1_3genE9ELNS1_11target_archE1100ELNS1_3gpuE3ELNS1_3repE0EEENS1_30default_config_static_selectorELNS0_4arch9wavefront6targetE1EEEvT1_.numbered_sgpr, 0
	.set _ZN7rocprim17ROCPRIM_400000_NS6detail17trampoline_kernelINS0_14default_configENS1_20scan_config_selectorIN3c107complexIdEEEEZZNS1_9scan_implILNS1_25lookback_scan_determinismE0ELb0ELb0ES3_PKS7_PS7_S7_ZZZN2at6native31launch_logcumsumexp_cuda_kernelERKNSE_10TensorBaseESI_lENKUlvE_clEvENKUlvE1_clEvEUlS7_S7_E_S7_EEDaPvRmT3_T4_T5_mT6_P12ihipStream_tbENKUlT_T0_E_clISt17integral_constantIbLb1EESZ_EEDaSU_SV_EUlSU_E0_NS1_11comp_targetILNS1_3genE9ELNS1_11target_archE1100ELNS1_3gpuE3ELNS1_3repE0EEENS1_30default_config_static_selectorELNS0_4arch9wavefront6targetE1EEEvT1_.num_named_barrier, 0
	.set _ZN7rocprim17ROCPRIM_400000_NS6detail17trampoline_kernelINS0_14default_configENS1_20scan_config_selectorIN3c107complexIdEEEEZZNS1_9scan_implILNS1_25lookback_scan_determinismE0ELb0ELb0ES3_PKS7_PS7_S7_ZZZN2at6native31launch_logcumsumexp_cuda_kernelERKNSE_10TensorBaseESI_lENKUlvE_clEvENKUlvE1_clEvEUlS7_S7_E_S7_EEDaPvRmT3_T4_T5_mT6_P12ihipStream_tbENKUlT_T0_E_clISt17integral_constantIbLb1EESZ_EEDaSU_SV_EUlSU_E0_NS1_11comp_targetILNS1_3genE9ELNS1_11target_archE1100ELNS1_3gpuE3ELNS1_3repE0EEENS1_30default_config_static_selectorELNS0_4arch9wavefront6targetE1EEEvT1_.private_seg_size, 0
	.set _ZN7rocprim17ROCPRIM_400000_NS6detail17trampoline_kernelINS0_14default_configENS1_20scan_config_selectorIN3c107complexIdEEEEZZNS1_9scan_implILNS1_25lookback_scan_determinismE0ELb0ELb0ES3_PKS7_PS7_S7_ZZZN2at6native31launch_logcumsumexp_cuda_kernelERKNSE_10TensorBaseESI_lENKUlvE_clEvENKUlvE1_clEvEUlS7_S7_E_S7_EEDaPvRmT3_T4_T5_mT6_P12ihipStream_tbENKUlT_T0_E_clISt17integral_constantIbLb1EESZ_EEDaSU_SV_EUlSU_E0_NS1_11comp_targetILNS1_3genE9ELNS1_11target_archE1100ELNS1_3gpuE3ELNS1_3repE0EEENS1_30default_config_static_selectorELNS0_4arch9wavefront6targetE1EEEvT1_.uses_vcc, 0
	.set _ZN7rocprim17ROCPRIM_400000_NS6detail17trampoline_kernelINS0_14default_configENS1_20scan_config_selectorIN3c107complexIdEEEEZZNS1_9scan_implILNS1_25lookback_scan_determinismE0ELb0ELb0ES3_PKS7_PS7_S7_ZZZN2at6native31launch_logcumsumexp_cuda_kernelERKNSE_10TensorBaseESI_lENKUlvE_clEvENKUlvE1_clEvEUlS7_S7_E_S7_EEDaPvRmT3_T4_T5_mT6_P12ihipStream_tbENKUlT_T0_E_clISt17integral_constantIbLb1EESZ_EEDaSU_SV_EUlSU_E0_NS1_11comp_targetILNS1_3genE9ELNS1_11target_archE1100ELNS1_3gpuE3ELNS1_3repE0EEENS1_30default_config_static_selectorELNS0_4arch9wavefront6targetE1EEEvT1_.uses_flat_scratch, 0
	.set _ZN7rocprim17ROCPRIM_400000_NS6detail17trampoline_kernelINS0_14default_configENS1_20scan_config_selectorIN3c107complexIdEEEEZZNS1_9scan_implILNS1_25lookback_scan_determinismE0ELb0ELb0ES3_PKS7_PS7_S7_ZZZN2at6native31launch_logcumsumexp_cuda_kernelERKNSE_10TensorBaseESI_lENKUlvE_clEvENKUlvE1_clEvEUlS7_S7_E_S7_EEDaPvRmT3_T4_T5_mT6_P12ihipStream_tbENKUlT_T0_E_clISt17integral_constantIbLb1EESZ_EEDaSU_SV_EUlSU_E0_NS1_11comp_targetILNS1_3genE9ELNS1_11target_archE1100ELNS1_3gpuE3ELNS1_3repE0EEENS1_30default_config_static_selectorELNS0_4arch9wavefront6targetE1EEEvT1_.has_dyn_sized_stack, 0
	.set _ZN7rocprim17ROCPRIM_400000_NS6detail17trampoline_kernelINS0_14default_configENS1_20scan_config_selectorIN3c107complexIdEEEEZZNS1_9scan_implILNS1_25lookback_scan_determinismE0ELb0ELb0ES3_PKS7_PS7_S7_ZZZN2at6native31launch_logcumsumexp_cuda_kernelERKNSE_10TensorBaseESI_lENKUlvE_clEvENKUlvE1_clEvEUlS7_S7_E_S7_EEDaPvRmT3_T4_T5_mT6_P12ihipStream_tbENKUlT_T0_E_clISt17integral_constantIbLb1EESZ_EEDaSU_SV_EUlSU_E0_NS1_11comp_targetILNS1_3genE9ELNS1_11target_archE1100ELNS1_3gpuE3ELNS1_3repE0EEENS1_30default_config_static_selectorELNS0_4arch9wavefront6targetE1EEEvT1_.has_recursion, 0
	.set _ZN7rocprim17ROCPRIM_400000_NS6detail17trampoline_kernelINS0_14default_configENS1_20scan_config_selectorIN3c107complexIdEEEEZZNS1_9scan_implILNS1_25lookback_scan_determinismE0ELb0ELb0ES3_PKS7_PS7_S7_ZZZN2at6native31launch_logcumsumexp_cuda_kernelERKNSE_10TensorBaseESI_lENKUlvE_clEvENKUlvE1_clEvEUlS7_S7_E_S7_EEDaPvRmT3_T4_T5_mT6_P12ihipStream_tbENKUlT_T0_E_clISt17integral_constantIbLb1EESZ_EEDaSU_SV_EUlSU_E0_NS1_11comp_targetILNS1_3genE9ELNS1_11target_archE1100ELNS1_3gpuE3ELNS1_3repE0EEENS1_30default_config_static_selectorELNS0_4arch9wavefront6targetE1EEEvT1_.has_indirect_call, 0
	.section	.AMDGPU.csdata,"",@progbits
; Kernel info:
; codeLenInByte = 0
; TotalNumSgprs: 4
; NumVgprs: 0
; ScratchSize: 0
; MemoryBound: 0
; FloatMode: 240
; IeeeMode: 1
; LDSByteSize: 0 bytes/workgroup (compile time only)
; SGPRBlocks: 0
; VGPRBlocks: 0
; NumSGPRsForWavesPerEU: 4
; NumVGPRsForWavesPerEU: 1
; Occupancy: 10
; WaveLimiterHint : 0
; COMPUTE_PGM_RSRC2:SCRATCH_EN: 0
; COMPUTE_PGM_RSRC2:USER_SGPR: 6
; COMPUTE_PGM_RSRC2:TRAP_HANDLER: 0
; COMPUTE_PGM_RSRC2:TGID_X_EN: 1
; COMPUTE_PGM_RSRC2:TGID_Y_EN: 0
; COMPUTE_PGM_RSRC2:TGID_Z_EN: 0
; COMPUTE_PGM_RSRC2:TIDIG_COMP_CNT: 0
	.section	.text._ZN7rocprim17ROCPRIM_400000_NS6detail17trampoline_kernelINS0_14default_configENS1_20scan_config_selectorIN3c107complexIdEEEEZZNS1_9scan_implILNS1_25lookback_scan_determinismE0ELb0ELb0ES3_PKS7_PS7_S7_ZZZN2at6native31launch_logcumsumexp_cuda_kernelERKNSE_10TensorBaseESI_lENKUlvE_clEvENKUlvE1_clEvEUlS7_S7_E_S7_EEDaPvRmT3_T4_T5_mT6_P12ihipStream_tbENKUlT_T0_E_clISt17integral_constantIbLb1EESZ_EEDaSU_SV_EUlSU_E0_NS1_11comp_targetILNS1_3genE8ELNS1_11target_archE1030ELNS1_3gpuE2ELNS1_3repE0EEENS1_30default_config_static_selectorELNS0_4arch9wavefront6targetE1EEEvT1_,"axG",@progbits,_ZN7rocprim17ROCPRIM_400000_NS6detail17trampoline_kernelINS0_14default_configENS1_20scan_config_selectorIN3c107complexIdEEEEZZNS1_9scan_implILNS1_25lookback_scan_determinismE0ELb0ELb0ES3_PKS7_PS7_S7_ZZZN2at6native31launch_logcumsumexp_cuda_kernelERKNSE_10TensorBaseESI_lENKUlvE_clEvENKUlvE1_clEvEUlS7_S7_E_S7_EEDaPvRmT3_T4_T5_mT6_P12ihipStream_tbENKUlT_T0_E_clISt17integral_constantIbLb1EESZ_EEDaSU_SV_EUlSU_E0_NS1_11comp_targetILNS1_3genE8ELNS1_11target_archE1030ELNS1_3gpuE2ELNS1_3repE0EEENS1_30default_config_static_selectorELNS0_4arch9wavefront6targetE1EEEvT1_,comdat
	.globl	_ZN7rocprim17ROCPRIM_400000_NS6detail17trampoline_kernelINS0_14default_configENS1_20scan_config_selectorIN3c107complexIdEEEEZZNS1_9scan_implILNS1_25lookback_scan_determinismE0ELb0ELb0ES3_PKS7_PS7_S7_ZZZN2at6native31launch_logcumsumexp_cuda_kernelERKNSE_10TensorBaseESI_lENKUlvE_clEvENKUlvE1_clEvEUlS7_S7_E_S7_EEDaPvRmT3_T4_T5_mT6_P12ihipStream_tbENKUlT_T0_E_clISt17integral_constantIbLb1EESZ_EEDaSU_SV_EUlSU_E0_NS1_11comp_targetILNS1_3genE8ELNS1_11target_archE1030ELNS1_3gpuE2ELNS1_3repE0EEENS1_30default_config_static_selectorELNS0_4arch9wavefront6targetE1EEEvT1_ ; -- Begin function _ZN7rocprim17ROCPRIM_400000_NS6detail17trampoline_kernelINS0_14default_configENS1_20scan_config_selectorIN3c107complexIdEEEEZZNS1_9scan_implILNS1_25lookback_scan_determinismE0ELb0ELb0ES3_PKS7_PS7_S7_ZZZN2at6native31launch_logcumsumexp_cuda_kernelERKNSE_10TensorBaseESI_lENKUlvE_clEvENKUlvE1_clEvEUlS7_S7_E_S7_EEDaPvRmT3_T4_T5_mT6_P12ihipStream_tbENKUlT_T0_E_clISt17integral_constantIbLb1EESZ_EEDaSU_SV_EUlSU_E0_NS1_11comp_targetILNS1_3genE8ELNS1_11target_archE1030ELNS1_3gpuE2ELNS1_3repE0EEENS1_30default_config_static_selectorELNS0_4arch9wavefront6targetE1EEEvT1_
	.p2align	8
	.type	_ZN7rocprim17ROCPRIM_400000_NS6detail17trampoline_kernelINS0_14default_configENS1_20scan_config_selectorIN3c107complexIdEEEEZZNS1_9scan_implILNS1_25lookback_scan_determinismE0ELb0ELb0ES3_PKS7_PS7_S7_ZZZN2at6native31launch_logcumsumexp_cuda_kernelERKNSE_10TensorBaseESI_lENKUlvE_clEvENKUlvE1_clEvEUlS7_S7_E_S7_EEDaPvRmT3_T4_T5_mT6_P12ihipStream_tbENKUlT_T0_E_clISt17integral_constantIbLb1EESZ_EEDaSU_SV_EUlSU_E0_NS1_11comp_targetILNS1_3genE8ELNS1_11target_archE1030ELNS1_3gpuE2ELNS1_3repE0EEENS1_30default_config_static_selectorELNS0_4arch9wavefront6targetE1EEEvT1_,@function
_ZN7rocprim17ROCPRIM_400000_NS6detail17trampoline_kernelINS0_14default_configENS1_20scan_config_selectorIN3c107complexIdEEEEZZNS1_9scan_implILNS1_25lookback_scan_determinismE0ELb0ELb0ES3_PKS7_PS7_S7_ZZZN2at6native31launch_logcumsumexp_cuda_kernelERKNSE_10TensorBaseESI_lENKUlvE_clEvENKUlvE1_clEvEUlS7_S7_E_S7_EEDaPvRmT3_T4_T5_mT6_P12ihipStream_tbENKUlT_T0_E_clISt17integral_constantIbLb1EESZ_EEDaSU_SV_EUlSU_E0_NS1_11comp_targetILNS1_3genE8ELNS1_11target_archE1030ELNS1_3gpuE2ELNS1_3repE0EEENS1_30default_config_static_selectorELNS0_4arch9wavefront6targetE1EEEvT1_: ; @_ZN7rocprim17ROCPRIM_400000_NS6detail17trampoline_kernelINS0_14default_configENS1_20scan_config_selectorIN3c107complexIdEEEEZZNS1_9scan_implILNS1_25lookback_scan_determinismE0ELb0ELb0ES3_PKS7_PS7_S7_ZZZN2at6native31launch_logcumsumexp_cuda_kernelERKNSE_10TensorBaseESI_lENKUlvE_clEvENKUlvE1_clEvEUlS7_S7_E_S7_EEDaPvRmT3_T4_T5_mT6_P12ihipStream_tbENKUlT_T0_E_clISt17integral_constantIbLb1EESZ_EEDaSU_SV_EUlSU_E0_NS1_11comp_targetILNS1_3genE8ELNS1_11target_archE1030ELNS1_3gpuE2ELNS1_3repE0EEENS1_30default_config_static_selectorELNS0_4arch9wavefront6targetE1EEEvT1_
; %bb.0:
	.section	.rodata,"a",@progbits
	.p2align	6, 0x0
	.amdhsa_kernel _ZN7rocprim17ROCPRIM_400000_NS6detail17trampoline_kernelINS0_14default_configENS1_20scan_config_selectorIN3c107complexIdEEEEZZNS1_9scan_implILNS1_25lookback_scan_determinismE0ELb0ELb0ES3_PKS7_PS7_S7_ZZZN2at6native31launch_logcumsumexp_cuda_kernelERKNSE_10TensorBaseESI_lENKUlvE_clEvENKUlvE1_clEvEUlS7_S7_E_S7_EEDaPvRmT3_T4_T5_mT6_P12ihipStream_tbENKUlT_T0_E_clISt17integral_constantIbLb1EESZ_EEDaSU_SV_EUlSU_E0_NS1_11comp_targetILNS1_3genE8ELNS1_11target_archE1030ELNS1_3gpuE2ELNS1_3repE0EEENS1_30default_config_static_selectorELNS0_4arch9wavefront6targetE1EEEvT1_
		.amdhsa_group_segment_fixed_size 0
		.amdhsa_private_segment_fixed_size 0
		.amdhsa_kernarg_size 48
		.amdhsa_user_sgpr_count 6
		.amdhsa_user_sgpr_private_segment_buffer 1
		.amdhsa_user_sgpr_dispatch_ptr 0
		.amdhsa_user_sgpr_queue_ptr 0
		.amdhsa_user_sgpr_kernarg_segment_ptr 1
		.amdhsa_user_sgpr_dispatch_id 0
		.amdhsa_user_sgpr_flat_scratch_init 0
		.amdhsa_user_sgpr_private_segment_size 0
		.amdhsa_uses_dynamic_stack 0
		.amdhsa_system_sgpr_private_segment_wavefront_offset 0
		.amdhsa_system_sgpr_workgroup_id_x 1
		.amdhsa_system_sgpr_workgroup_id_y 0
		.amdhsa_system_sgpr_workgroup_id_z 0
		.amdhsa_system_sgpr_workgroup_info 0
		.amdhsa_system_vgpr_workitem_id 0
		.amdhsa_next_free_vgpr 1
		.amdhsa_next_free_sgpr 0
		.amdhsa_reserve_vcc 0
		.amdhsa_reserve_flat_scratch 0
		.amdhsa_float_round_mode_32 0
		.amdhsa_float_round_mode_16_64 0
		.amdhsa_float_denorm_mode_32 3
		.amdhsa_float_denorm_mode_16_64 3
		.amdhsa_dx10_clamp 1
		.amdhsa_ieee_mode 1
		.amdhsa_fp16_overflow 0
		.amdhsa_exception_fp_ieee_invalid_op 0
		.amdhsa_exception_fp_denorm_src 0
		.amdhsa_exception_fp_ieee_div_zero 0
		.amdhsa_exception_fp_ieee_overflow 0
		.amdhsa_exception_fp_ieee_underflow 0
		.amdhsa_exception_fp_ieee_inexact 0
		.amdhsa_exception_int_div_zero 0
	.end_amdhsa_kernel
	.section	.text._ZN7rocprim17ROCPRIM_400000_NS6detail17trampoline_kernelINS0_14default_configENS1_20scan_config_selectorIN3c107complexIdEEEEZZNS1_9scan_implILNS1_25lookback_scan_determinismE0ELb0ELb0ES3_PKS7_PS7_S7_ZZZN2at6native31launch_logcumsumexp_cuda_kernelERKNSE_10TensorBaseESI_lENKUlvE_clEvENKUlvE1_clEvEUlS7_S7_E_S7_EEDaPvRmT3_T4_T5_mT6_P12ihipStream_tbENKUlT_T0_E_clISt17integral_constantIbLb1EESZ_EEDaSU_SV_EUlSU_E0_NS1_11comp_targetILNS1_3genE8ELNS1_11target_archE1030ELNS1_3gpuE2ELNS1_3repE0EEENS1_30default_config_static_selectorELNS0_4arch9wavefront6targetE1EEEvT1_,"axG",@progbits,_ZN7rocprim17ROCPRIM_400000_NS6detail17trampoline_kernelINS0_14default_configENS1_20scan_config_selectorIN3c107complexIdEEEEZZNS1_9scan_implILNS1_25lookback_scan_determinismE0ELb0ELb0ES3_PKS7_PS7_S7_ZZZN2at6native31launch_logcumsumexp_cuda_kernelERKNSE_10TensorBaseESI_lENKUlvE_clEvENKUlvE1_clEvEUlS7_S7_E_S7_EEDaPvRmT3_T4_T5_mT6_P12ihipStream_tbENKUlT_T0_E_clISt17integral_constantIbLb1EESZ_EEDaSU_SV_EUlSU_E0_NS1_11comp_targetILNS1_3genE8ELNS1_11target_archE1030ELNS1_3gpuE2ELNS1_3repE0EEENS1_30default_config_static_selectorELNS0_4arch9wavefront6targetE1EEEvT1_,comdat
.Lfunc_end220:
	.size	_ZN7rocprim17ROCPRIM_400000_NS6detail17trampoline_kernelINS0_14default_configENS1_20scan_config_selectorIN3c107complexIdEEEEZZNS1_9scan_implILNS1_25lookback_scan_determinismE0ELb0ELb0ES3_PKS7_PS7_S7_ZZZN2at6native31launch_logcumsumexp_cuda_kernelERKNSE_10TensorBaseESI_lENKUlvE_clEvENKUlvE1_clEvEUlS7_S7_E_S7_EEDaPvRmT3_T4_T5_mT6_P12ihipStream_tbENKUlT_T0_E_clISt17integral_constantIbLb1EESZ_EEDaSU_SV_EUlSU_E0_NS1_11comp_targetILNS1_3genE8ELNS1_11target_archE1030ELNS1_3gpuE2ELNS1_3repE0EEENS1_30default_config_static_selectorELNS0_4arch9wavefront6targetE1EEEvT1_, .Lfunc_end220-_ZN7rocprim17ROCPRIM_400000_NS6detail17trampoline_kernelINS0_14default_configENS1_20scan_config_selectorIN3c107complexIdEEEEZZNS1_9scan_implILNS1_25lookback_scan_determinismE0ELb0ELb0ES3_PKS7_PS7_S7_ZZZN2at6native31launch_logcumsumexp_cuda_kernelERKNSE_10TensorBaseESI_lENKUlvE_clEvENKUlvE1_clEvEUlS7_S7_E_S7_EEDaPvRmT3_T4_T5_mT6_P12ihipStream_tbENKUlT_T0_E_clISt17integral_constantIbLb1EESZ_EEDaSU_SV_EUlSU_E0_NS1_11comp_targetILNS1_3genE8ELNS1_11target_archE1030ELNS1_3gpuE2ELNS1_3repE0EEENS1_30default_config_static_selectorELNS0_4arch9wavefront6targetE1EEEvT1_
                                        ; -- End function
	.set _ZN7rocprim17ROCPRIM_400000_NS6detail17trampoline_kernelINS0_14default_configENS1_20scan_config_selectorIN3c107complexIdEEEEZZNS1_9scan_implILNS1_25lookback_scan_determinismE0ELb0ELb0ES3_PKS7_PS7_S7_ZZZN2at6native31launch_logcumsumexp_cuda_kernelERKNSE_10TensorBaseESI_lENKUlvE_clEvENKUlvE1_clEvEUlS7_S7_E_S7_EEDaPvRmT3_T4_T5_mT6_P12ihipStream_tbENKUlT_T0_E_clISt17integral_constantIbLb1EESZ_EEDaSU_SV_EUlSU_E0_NS1_11comp_targetILNS1_3genE8ELNS1_11target_archE1030ELNS1_3gpuE2ELNS1_3repE0EEENS1_30default_config_static_selectorELNS0_4arch9wavefront6targetE1EEEvT1_.num_vgpr, 0
	.set _ZN7rocprim17ROCPRIM_400000_NS6detail17trampoline_kernelINS0_14default_configENS1_20scan_config_selectorIN3c107complexIdEEEEZZNS1_9scan_implILNS1_25lookback_scan_determinismE0ELb0ELb0ES3_PKS7_PS7_S7_ZZZN2at6native31launch_logcumsumexp_cuda_kernelERKNSE_10TensorBaseESI_lENKUlvE_clEvENKUlvE1_clEvEUlS7_S7_E_S7_EEDaPvRmT3_T4_T5_mT6_P12ihipStream_tbENKUlT_T0_E_clISt17integral_constantIbLb1EESZ_EEDaSU_SV_EUlSU_E0_NS1_11comp_targetILNS1_3genE8ELNS1_11target_archE1030ELNS1_3gpuE2ELNS1_3repE0EEENS1_30default_config_static_selectorELNS0_4arch9wavefront6targetE1EEEvT1_.num_agpr, 0
	.set _ZN7rocprim17ROCPRIM_400000_NS6detail17trampoline_kernelINS0_14default_configENS1_20scan_config_selectorIN3c107complexIdEEEEZZNS1_9scan_implILNS1_25lookback_scan_determinismE0ELb0ELb0ES3_PKS7_PS7_S7_ZZZN2at6native31launch_logcumsumexp_cuda_kernelERKNSE_10TensorBaseESI_lENKUlvE_clEvENKUlvE1_clEvEUlS7_S7_E_S7_EEDaPvRmT3_T4_T5_mT6_P12ihipStream_tbENKUlT_T0_E_clISt17integral_constantIbLb1EESZ_EEDaSU_SV_EUlSU_E0_NS1_11comp_targetILNS1_3genE8ELNS1_11target_archE1030ELNS1_3gpuE2ELNS1_3repE0EEENS1_30default_config_static_selectorELNS0_4arch9wavefront6targetE1EEEvT1_.numbered_sgpr, 0
	.set _ZN7rocprim17ROCPRIM_400000_NS6detail17trampoline_kernelINS0_14default_configENS1_20scan_config_selectorIN3c107complexIdEEEEZZNS1_9scan_implILNS1_25lookback_scan_determinismE0ELb0ELb0ES3_PKS7_PS7_S7_ZZZN2at6native31launch_logcumsumexp_cuda_kernelERKNSE_10TensorBaseESI_lENKUlvE_clEvENKUlvE1_clEvEUlS7_S7_E_S7_EEDaPvRmT3_T4_T5_mT6_P12ihipStream_tbENKUlT_T0_E_clISt17integral_constantIbLb1EESZ_EEDaSU_SV_EUlSU_E0_NS1_11comp_targetILNS1_3genE8ELNS1_11target_archE1030ELNS1_3gpuE2ELNS1_3repE0EEENS1_30default_config_static_selectorELNS0_4arch9wavefront6targetE1EEEvT1_.num_named_barrier, 0
	.set _ZN7rocprim17ROCPRIM_400000_NS6detail17trampoline_kernelINS0_14default_configENS1_20scan_config_selectorIN3c107complexIdEEEEZZNS1_9scan_implILNS1_25lookback_scan_determinismE0ELb0ELb0ES3_PKS7_PS7_S7_ZZZN2at6native31launch_logcumsumexp_cuda_kernelERKNSE_10TensorBaseESI_lENKUlvE_clEvENKUlvE1_clEvEUlS7_S7_E_S7_EEDaPvRmT3_T4_T5_mT6_P12ihipStream_tbENKUlT_T0_E_clISt17integral_constantIbLb1EESZ_EEDaSU_SV_EUlSU_E0_NS1_11comp_targetILNS1_3genE8ELNS1_11target_archE1030ELNS1_3gpuE2ELNS1_3repE0EEENS1_30default_config_static_selectorELNS0_4arch9wavefront6targetE1EEEvT1_.private_seg_size, 0
	.set _ZN7rocprim17ROCPRIM_400000_NS6detail17trampoline_kernelINS0_14default_configENS1_20scan_config_selectorIN3c107complexIdEEEEZZNS1_9scan_implILNS1_25lookback_scan_determinismE0ELb0ELb0ES3_PKS7_PS7_S7_ZZZN2at6native31launch_logcumsumexp_cuda_kernelERKNSE_10TensorBaseESI_lENKUlvE_clEvENKUlvE1_clEvEUlS7_S7_E_S7_EEDaPvRmT3_T4_T5_mT6_P12ihipStream_tbENKUlT_T0_E_clISt17integral_constantIbLb1EESZ_EEDaSU_SV_EUlSU_E0_NS1_11comp_targetILNS1_3genE8ELNS1_11target_archE1030ELNS1_3gpuE2ELNS1_3repE0EEENS1_30default_config_static_selectorELNS0_4arch9wavefront6targetE1EEEvT1_.uses_vcc, 0
	.set _ZN7rocprim17ROCPRIM_400000_NS6detail17trampoline_kernelINS0_14default_configENS1_20scan_config_selectorIN3c107complexIdEEEEZZNS1_9scan_implILNS1_25lookback_scan_determinismE0ELb0ELb0ES3_PKS7_PS7_S7_ZZZN2at6native31launch_logcumsumexp_cuda_kernelERKNSE_10TensorBaseESI_lENKUlvE_clEvENKUlvE1_clEvEUlS7_S7_E_S7_EEDaPvRmT3_T4_T5_mT6_P12ihipStream_tbENKUlT_T0_E_clISt17integral_constantIbLb1EESZ_EEDaSU_SV_EUlSU_E0_NS1_11comp_targetILNS1_3genE8ELNS1_11target_archE1030ELNS1_3gpuE2ELNS1_3repE0EEENS1_30default_config_static_selectorELNS0_4arch9wavefront6targetE1EEEvT1_.uses_flat_scratch, 0
	.set _ZN7rocprim17ROCPRIM_400000_NS6detail17trampoline_kernelINS0_14default_configENS1_20scan_config_selectorIN3c107complexIdEEEEZZNS1_9scan_implILNS1_25lookback_scan_determinismE0ELb0ELb0ES3_PKS7_PS7_S7_ZZZN2at6native31launch_logcumsumexp_cuda_kernelERKNSE_10TensorBaseESI_lENKUlvE_clEvENKUlvE1_clEvEUlS7_S7_E_S7_EEDaPvRmT3_T4_T5_mT6_P12ihipStream_tbENKUlT_T0_E_clISt17integral_constantIbLb1EESZ_EEDaSU_SV_EUlSU_E0_NS1_11comp_targetILNS1_3genE8ELNS1_11target_archE1030ELNS1_3gpuE2ELNS1_3repE0EEENS1_30default_config_static_selectorELNS0_4arch9wavefront6targetE1EEEvT1_.has_dyn_sized_stack, 0
	.set _ZN7rocprim17ROCPRIM_400000_NS6detail17trampoline_kernelINS0_14default_configENS1_20scan_config_selectorIN3c107complexIdEEEEZZNS1_9scan_implILNS1_25lookback_scan_determinismE0ELb0ELb0ES3_PKS7_PS7_S7_ZZZN2at6native31launch_logcumsumexp_cuda_kernelERKNSE_10TensorBaseESI_lENKUlvE_clEvENKUlvE1_clEvEUlS7_S7_E_S7_EEDaPvRmT3_T4_T5_mT6_P12ihipStream_tbENKUlT_T0_E_clISt17integral_constantIbLb1EESZ_EEDaSU_SV_EUlSU_E0_NS1_11comp_targetILNS1_3genE8ELNS1_11target_archE1030ELNS1_3gpuE2ELNS1_3repE0EEENS1_30default_config_static_selectorELNS0_4arch9wavefront6targetE1EEEvT1_.has_recursion, 0
	.set _ZN7rocprim17ROCPRIM_400000_NS6detail17trampoline_kernelINS0_14default_configENS1_20scan_config_selectorIN3c107complexIdEEEEZZNS1_9scan_implILNS1_25lookback_scan_determinismE0ELb0ELb0ES3_PKS7_PS7_S7_ZZZN2at6native31launch_logcumsumexp_cuda_kernelERKNSE_10TensorBaseESI_lENKUlvE_clEvENKUlvE1_clEvEUlS7_S7_E_S7_EEDaPvRmT3_T4_T5_mT6_P12ihipStream_tbENKUlT_T0_E_clISt17integral_constantIbLb1EESZ_EEDaSU_SV_EUlSU_E0_NS1_11comp_targetILNS1_3genE8ELNS1_11target_archE1030ELNS1_3gpuE2ELNS1_3repE0EEENS1_30default_config_static_selectorELNS0_4arch9wavefront6targetE1EEEvT1_.has_indirect_call, 0
	.section	.AMDGPU.csdata,"",@progbits
; Kernel info:
; codeLenInByte = 0
; TotalNumSgprs: 4
; NumVgprs: 0
; ScratchSize: 0
; MemoryBound: 0
; FloatMode: 240
; IeeeMode: 1
; LDSByteSize: 0 bytes/workgroup (compile time only)
; SGPRBlocks: 0
; VGPRBlocks: 0
; NumSGPRsForWavesPerEU: 4
; NumVGPRsForWavesPerEU: 1
; Occupancy: 10
; WaveLimiterHint : 0
; COMPUTE_PGM_RSRC2:SCRATCH_EN: 0
; COMPUTE_PGM_RSRC2:USER_SGPR: 6
; COMPUTE_PGM_RSRC2:TRAP_HANDLER: 0
; COMPUTE_PGM_RSRC2:TGID_X_EN: 1
; COMPUTE_PGM_RSRC2:TGID_Y_EN: 0
; COMPUTE_PGM_RSRC2:TGID_Z_EN: 0
; COMPUTE_PGM_RSRC2:TIDIG_COMP_CNT: 0
	.section	.text._ZN7rocprim17ROCPRIM_400000_NS6detail31init_lookback_scan_state_kernelINS1_19lookback_scan_stateIN3c107complexIdEELb1ELb0EEENS1_16block_id_wrapperIjLb0EEEEEvT_jT0_jPNSA_10value_typeE,"axG",@progbits,_ZN7rocprim17ROCPRIM_400000_NS6detail31init_lookback_scan_state_kernelINS1_19lookback_scan_stateIN3c107complexIdEELb1ELb0EEENS1_16block_id_wrapperIjLb0EEEEEvT_jT0_jPNSA_10value_typeE,comdat
	.protected	_ZN7rocprim17ROCPRIM_400000_NS6detail31init_lookback_scan_state_kernelINS1_19lookback_scan_stateIN3c107complexIdEELb1ELb0EEENS1_16block_id_wrapperIjLb0EEEEEvT_jT0_jPNSA_10value_typeE ; -- Begin function _ZN7rocprim17ROCPRIM_400000_NS6detail31init_lookback_scan_state_kernelINS1_19lookback_scan_stateIN3c107complexIdEELb1ELb0EEENS1_16block_id_wrapperIjLb0EEEEEvT_jT0_jPNSA_10value_typeE
	.globl	_ZN7rocprim17ROCPRIM_400000_NS6detail31init_lookback_scan_state_kernelINS1_19lookback_scan_stateIN3c107complexIdEELb1ELb0EEENS1_16block_id_wrapperIjLb0EEEEEvT_jT0_jPNSA_10value_typeE
	.p2align	8
	.type	_ZN7rocprim17ROCPRIM_400000_NS6detail31init_lookback_scan_state_kernelINS1_19lookback_scan_stateIN3c107complexIdEELb1ELb0EEENS1_16block_id_wrapperIjLb0EEEEEvT_jT0_jPNSA_10value_typeE,@function
_ZN7rocprim17ROCPRIM_400000_NS6detail31init_lookback_scan_state_kernelINS1_19lookback_scan_stateIN3c107complexIdEELb1ELb0EEENS1_16block_id_wrapperIjLb0EEEEEvT_jT0_jPNSA_10value_typeE: ; @_ZN7rocprim17ROCPRIM_400000_NS6detail31init_lookback_scan_state_kernelINS1_19lookback_scan_stateIN3c107complexIdEELb1ELb0EEENS1_16block_id_wrapperIjLb0EEEEEvT_jT0_jPNSA_10value_typeE
; %bb.0:
	s_load_dword s0, s[4:5], 0x3c
	s_load_dwordx2 s[10:11], s[4:5], 0x28
	s_load_dwordx2 s[8:9], s[4:5], 0x10
	s_load_dword s14, s[4:5], 0x18
	s_waitcnt lgkmcnt(0)
	s_and_b32 s0, s0, 0xffff
	s_mul_i32 s6, s6, s0
	s_cmp_eq_u64 s[10:11], 0
	v_add_u32_e32 v0, s6, v0
	s_cbranch_scc1 .LBB221_9
; %bb.1:
	s_load_dword s0, s[4:5], 0x20
	s_mov_b32 s13, 0
	s_waitcnt lgkmcnt(0)
	s_cmp_lt_u32 s0, s14
	s_cselect_b32 s1, s0, 0
	v_cmp_eq_u32_e32 vcc, s1, v0
	s_and_saveexec_b64 s[6:7], vcc
	s_cbranch_execz .LBB221_8
; %bb.2:
	s_add_i32 s12, s0, 64
	v_mov_b32_e32 v1, s12
	global_load_ubyte v2, v1, s[8:9] glc
	s_load_dwordx4 s[0:3], s[4:5], 0x0
	v_mov_b32_e32 v1, 0
	s_add_u32 s4, s8, s12
	s_addc_u32 s5, s9, 0
	s_waitcnt vmcnt(0)
	v_cmp_ne_u32_sdwa s[16:17], v2, v1 src0_sel:WORD_0 src1_sel:DWORD
	s_and_b64 vcc, exec, s[16:17]
	v_readfirstlane_b32 s16, v2
	s_cbranch_vccnz .LBB221_7
; %bb.3:
	s_mov_b32 s15, 1
.LBB221_4:                              ; =>This Loop Header: Depth=1
                                        ;     Child Loop BB221_5 Depth 2
	s_mov_b32 s16, s15
.LBB221_5:                              ;   Parent Loop BB221_4 Depth=1
                                        ; =>  This Inner Loop Header: Depth=2
	s_add_i32 s16, s16, -1
	s_cmp_eq_u32 s16, 0
	s_sleep 1
	s_cbranch_scc0 .LBB221_5
; %bb.6:                                ;   in Loop: Header=BB221_4 Depth=1
	global_load_ubyte v2, v1, s[4:5] glc
	s_cmp_lt_u32 s15, 32
	s_cselect_b64 s[16:17], -1, 0
	s_cmp_lg_u64 s[16:17], 0
	s_addc_u32 s15, s15, 0
	s_waitcnt vmcnt(0)
	v_cmp_ne_u32_sdwa s[16:17], v2, v1 src0_sel:WORD_0 src1_sel:DWORD
	s_and_b64 vcc, exec, s[16:17]
	v_readfirstlane_b32 s16, v2
	s_cbranch_vccz .LBB221_4
.LBB221_7:
	s_and_b32 s4, 0xffff, s16
	s_cmp_eq_u32 s4, 1
	s_waitcnt lgkmcnt(0)
	s_cselect_b32 s3, s1, s3
	s_cselect_b32 s2, s0, s2
	s_lshl_b64 s[0:1], s[12:13], 4
	s_add_u32 s0, s2, s0
	s_addc_u32 s1, s3, s1
	v_mov_b32_e32 v5, 0
	buffer_wbinvl1_vol
	global_load_dwordx4 v[1:4], v5, s[0:1]
	s_waitcnt vmcnt(0)
	global_store_dwordx4 v5, v[1:4], s[10:11]
.LBB221_8:
	s_or_b64 exec, exec, s[6:7]
.LBB221_9:
	v_cmp_gt_u32_e32 vcc, s14, v0
	s_and_saveexec_b64 s[0:1], vcc
	s_cbranch_execnz .LBB221_12
; %bb.10:
	s_or_b64 exec, exec, s[0:1]
	v_cmp_gt_u32_e32 vcc, 64, v0
	s_and_saveexec_b64 s[0:1], vcc
	s_cbranch_execnz .LBB221_13
.LBB221_11:
	s_endpgm
.LBB221_12:
	v_add_u32_e32 v1, 64, v0
	v_mov_b32_e32 v2, 0
	global_store_byte v1, v2, s[8:9]
	s_or_b64 exec, exec, s[0:1]
	v_cmp_gt_u32_e32 vcc, 64, v0
	s_and_saveexec_b64 s[0:1], vcc
	s_cbranch_execz .LBB221_11
.LBB221_13:
	v_mov_b32_e32 v1, 0xff
	global_store_byte v0, v1, s[8:9]
	s_endpgm
	.section	.rodata,"a",@progbits
	.p2align	6, 0x0
	.amdhsa_kernel _ZN7rocprim17ROCPRIM_400000_NS6detail31init_lookback_scan_state_kernelINS1_19lookback_scan_stateIN3c107complexIdEELb1ELb0EEENS1_16block_id_wrapperIjLb0EEEEEvT_jT0_jPNSA_10value_typeE
		.amdhsa_group_segment_fixed_size 0
		.amdhsa_private_segment_fixed_size 0
		.amdhsa_kernarg_size 304
		.amdhsa_user_sgpr_count 6
		.amdhsa_user_sgpr_private_segment_buffer 1
		.amdhsa_user_sgpr_dispatch_ptr 0
		.amdhsa_user_sgpr_queue_ptr 0
		.amdhsa_user_sgpr_kernarg_segment_ptr 1
		.amdhsa_user_sgpr_dispatch_id 0
		.amdhsa_user_sgpr_flat_scratch_init 0
		.amdhsa_user_sgpr_private_segment_size 0
		.amdhsa_uses_dynamic_stack 0
		.amdhsa_system_sgpr_private_segment_wavefront_offset 0
		.amdhsa_system_sgpr_workgroup_id_x 1
		.amdhsa_system_sgpr_workgroup_id_y 0
		.amdhsa_system_sgpr_workgroup_id_z 0
		.amdhsa_system_sgpr_workgroup_info 0
		.amdhsa_system_vgpr_workitem_id 0
		.amdhsa_next_free_vgpr 6
		.amdhsa_next_free_sgpr 18
		.amdhsa_reserve_vcc 1
		.amdhsa_reserve_flat_scratch 0
		.amdhsa_float_round_mode_32 0
		.amdhsa_float_round_mode_16_64 0
		.amdhsa_float_denorm_mode_32 3
		.amdhsa_float_denorm_mode_16_64 3
		.amdhsa_dx10_clamp 1
		.amdhsa_ieee_mode 1
		.amdhsa_fp16_overflow 0
		.amdhsa_exception_fp_ieee_invalid_op 0
		.amdhsa_exception_fp_denorm_src 0
		.amdhsa_exception_fp_ieee_div_zero 0
		.amdhsa_exception_fp_ieee_overflow 0
		.amdhsa_exception_fp_ieee_underflow 0
		.amdhsa_exception_fp_ieee_inexact 0
		.amdhsa_exception_int_div_zero 0
	.end_amdhsa_kernel
	.section	.text._ZN7rocprim17ROCPRIM_400000_NS6detail31init_lookback_scan_state_kernelINS1_19lookback_scan_stateIN3c107complexIdEELb1ELb0EEENS1_16block_id_wrapperIjLb0EEEEEvT_jT0_jPNSA_10value_typeE,"axG",@progbits,_ZN7rocprim17ROCPRIM_400000_NS6detail31init_lookback_scan_state_kernelINS1_19lookback_scan_stateIN3c107complexIdEELb1ELb0EEENS1_16block_id_wrapperIjLb0EEEEEvT_jT0_jPNSA_10value_typeE,comdat
.Lfunc_end221:
	.size	_ZN7rocprim17ROCPRIM_400000_NS6detail31init_lookback_scan_state_kernelINS1_19lookback_scan_stateIN3c107complexIdEELb1ELb0EEENS1_16block_id_wrapperIjLb0EEEEEvT_jT0_jPNSA_10value_typeE, .Lfunc_end221-_ZN7rocprim17ROCPRIM_400000_NS6detail31init_lookback_scan_state_kernelINS1_19lookback_scan_stateIN3c107complexIdEELb1ELb0EEENS1_16block_id_wrapperIjLb0EEEEEvT_jT0_jPNSA_10value_typeE
                                        ; -- End function
	.set _ZN7rocprim17ROCPRIM_400000_NS6detail31init_lookback_scan_state_kernelINS1_19lookback_scan_stateIN3c107complexIdEELb1ELb0EEENS1_16block_id_wrapperIjLb0EEEEEvT_jT0_jPNSA_10value_typeE.num_vgpr, 6
	.set _ZN7rocprim17ROCPRIM_400000_NS6detail31init_lookback_scan_state_kernelINS1_19lookback_scan_stateIN3c107complexIdEELb1ELb0EEENS1_16block_id_wrapperIjLb0EEEEEvT_jT0_jPNSA_10value_typeE.num_agpr, 0
	.set _ZN7rocprim17ROCPRIM_400000_NS6detail31init_lookback_scan_state_kernelINS1_19lookback_scan_stateIN3c107complexIdEELb1ELb0EEENS1_16block_id_wrapperIjLb0EEEEEvT_jT0_jPNSA_10value_typeE.numbered_sgpr, 18
	.set _ZN7rocprim17ROCPRIM_400000_NS6detail31init_lookback_scan_state_kernelINS1_19lookback_scan_stateIN3c107complexIdEELb1ELb0EEENS1_16block_id_wrapperIjLb0EEEEEvT_jT0_jPNSA_10value_typeE.num_named_barrier, 0
	.set _ZN7rocprim17ROCPRIM_400000_NS6detail31init_lookback_scan_state_kernelINS1_19lookback_scan_stateIN3c107complexIdEELb1ELb0EEENS1_16block_id_wrapperIjLb0EEEEEvT_jT0_jPNSA_10value_typeE.private_seg_size, 0
	.set _ZN7rocprim17ROCPRIM_400000_NS6detail31init_lookback_scan_state_kernelINS1_19lookback_scan_stateIN3c107complexIdEELb1ELb0EEENS1_16block_id_wrapperIjLb0EEEEEvT_jT0_jPNSA_10value_typeE.uses_vcc, 1
	.set _ZN7rocprim17ROCPRIM_400000_NS6detail31init_lookback_scan_state_kernelINS1_19lookback_scan_stateIN3c107complexIdEELb1ELb0EEENS1_16block_id_wrapperIjLb0EEEEEvT_jT0_jPNSA_10value_typeE.uses_flat_scratch, 0
	.set _ZN7rocprim17ROCPRIM_400000_NS6detail31init_lookback_scan_state_kernelINS1_19lookback_scan_stateIN3c107complexIdEELb1ELb0EEENS1_16block_id_wrapperIjLb0EEEEEvT_jT0_jPNSA_10value_typeE.has_dyn_sized_stack, 0
	.set _ZN7rocprim17ROCPRIM_400000_NS6detail31init_lookback_scan_state_kernelINS1_19lookback_scan_stateIN3c107complexIdEELb1ELb0EEENS1_16block_id_wrapperIjLb0EEEEEvT_jT0_jPNSA_10value_typeE.has_recursion, 0
	.set _ZN7rocprim17ROCPRIM_400000_NS6detail31init_lookback_scan_state_kernelINS1_19lookback_scan_stateIN3c107complexIdEELb1ELb0EEENS1_16block_id_wrapperIjLb0EEEEEvT_jT0_jPNSA_10value_typeE.has_indirect_call, 0
	.section	.AMDGPU.csdata,"",@progbits
; Kernel info:
; codeLenInByte = 384
; TotalNumSgprs: 22
; NumVgprs: 6
; ScratchSize: 0
; MemoryBound: 0
; FloatMode: 240
; IeeeMode: 1
; LDSByteSize: 0 bytes/workgroup (compile time only)
; SGPRBlocks: 2
; VGPRBlocks: 1
; NumSGPRsForWavesPerEU: 22
; NumVGPRsForWavesPerEU: 6
; Occupancy: 10
; WaveLimiterHint : 0
; COMPUTE_PGM_RSRC2:SCRATCH_EN: 0
; COMPUTE_PGM_RSRC2:USER_SGPR: 6
; COMPUTE_PGM_RSRC2:TRAP_HANDLER: 0
; COMPUTE_PGM_RSRC2:TGID_X_EN: 1
; COMPUTE_PGM_RSRC2:TGID_Y_EN: 0
; COMPUTE_PGM_RSRC2:TGID_Z_EN: 0
; COMPUTE_PGM_RSRC2:TIDIG_COMP_CNT: 0
	.section	.text._ZN7rocprim17ROCPRIM_400000_NS6detail17trampoline_kernelINS0_14default_configENS1_20scan_config_selectorIN3c107complexIdEEEEZZNS1_9scan_implILNS1_25lookback_scan_determinismE0ELb0ELb0ES3_PKS7_PS7_S7_ZZZN2at6native31launch_logcumsumexp_cuda_kernelERKNSE_10TensorBaseESI_lENKUlvE_clEvENKUlvE1_clEvEUlS7_S7_E_S7_EEDaPvRmT3_T4_T5_mT6_P12ihipStream_tbENKUlT_T0_E_clISt17integral_constantIbLb1EESY_IbLb0EEEEDaSU_SV_EUlSU_E_NS1_11comp_targetILNS1_3genE0ELNS1_11target_archE4294967295ELNS1_3gpuE0ELNS1_3repE0EEENS1_30default_config_static_selectorELNS0_4arch9wavefront6targetE1EEEvT1_,"axG",@progbits,_ZN7rocprim17ROCPRIM_400000_NS6detail17trampoline_kernelINS0_14default_configENS1_20scan_config_selectorIN3c107complexIdEEEEZZNS1_9scan_implILNS1_25lookback_scan_determinismE0ELb0ELb0ES3_PKS7_PS7_S7_ZZZN2at6native31launch_logcumsumexp_cuda_kernelERKNSE_10TensorBaseESI_lENKUlvE_clEvENKUlvE1_clEvEUlS7_S7_E_S7_EEDaPvRmT3_T4_T5_mT6_P12ihipStream_tbENKUlT_T0_E_clISt17integral_constantIbLb1EESY_IbLb0EEEEDaSU_SV_EUlSU_E_NS1_11comp_targetILNS1_3genE0ELNS1_11target_archE4294967295ELNS1_3gpuE0ELNS1_3repE0EEENS1_30default_config_static_selectorELNS0_4arch9wavefront6targetE1EEEvT1_,comdat
	.globl	_ZN7rocprim17ROCPRIM_400000_NS6detail17trampoline_kernelINS0_14default_configENS1_20scan_config_selectorIN3c107complexIdEEEEZZNS1_9scan_implILNS1_25lookback_scan_determinismE0ELb0ELb0ES3_PKS7_PS7_S7_ZZZN2at6native31launch_logcumsumexp_cuda_kernelERKNSE_10TensorBaseESI_lENKUlvE_clEvENKUlvE1_clEvEUlS7_S7_E_S7_EEDaPvRmT3_T4_T5_mT6_P12ihipStream_tbENKUlT_T0_E_clISt17integral_constantIbLb1EESY_IbLb0EEEEDaSU_SV_EUlSU_E_NS1_11comp_targetILNS1_3genE0ELNS1_11target_archE4294967295ELNS1_3gpuE0ELNS1_3repE0EEENS1_30default_config_static_selectorELNS0_4arch9wavefront6targetE1EEEvT1_ ; -- Begin function _ZN7rocprim17ROCPRIM_400000_NS6detail17trampoline_kernelINS0_14default_configENS1_20scan_config_selectorIN3c107complexIdEEEEZZNS1_9scan_implILNS1_25lookback_scan_determinismE0ELb0ELb0ES3_PKS7_PS7_S7_ZZZN2at6native31launch_logcumsumexp_cuda_kernelERKNSE_10TensorBaseESI_lENKUlvE_clEvENKUlvE1_clEvEUlS7_S7_E_S7_EEDaPvRmT3_T4_T5_mT6_P12ihipStream_tbENKUlT_T0_E_clISt17integral_constantIbLb1EESY_IbLb0EEEEDaSU_SV_EUlSU_E_NS1_11comp_targetILNS1_3genE0ELNS1_11target_archE4294967295ELNS1_3gpuE0ELNS1_3repE0EEENS1_30default_config_static_selectorELNS0_4arch9wavefront6targetE1EEEvT1_
	.p2align	8
	.type	_ZN7rocprim17ROCPRIM_400000_NS6detail17trampoline_kernelINS0_14default_configENS1_20scan_config_selectorIN3c107complexIdEEEEZZNS1_9scan_implILNS1_25lookback_scan_determinismE0ELb0ELb0ES3_PKS7_PS7_S7_ZZZN2at6native31launch_logcumsumexp_cuda_kernelERKNSE_10TensorBaseESI_lENKUlvE_clEvENKUlvE1_clEvEUlS7_S7_E_S7_EEDaPvRmT3_T4_T5_mT6_P12ihipStream_tbENKUlT_T0_E_clISt17integral_constantIbLb1EESY_IbLb0EEEEDaSU_SV_EUlSU_E_NS1_11comp_targetILNS1_3genE0ELNS1_11target_archE4294967295ELNS1_3gpuE0ELNS1_3repE0EEENS1_30default_config_static_selectorELNS0_4arch9wavefront6targetE1EEEvT1_,@function
_ZN7rocprim17ROCPRIM_400000_NS6detail17trampoline_kernelINS0_14default_configENS1_20scan_config_selectorIN3c107complexIdEEEEZZNS1_9scan_implILNS1_25lookback_scan_determinismE0ELb0ELb0ES3_PKS7_PS7_S7_ZZZN2at6native31launch_logcumsumexp_cuda_kernelERKNSE_10TensorBaseESI_lENKUlvE_clEvENKUlvE1_clEvEUlS7_S7_E_S7_EEDaPvRmT3_T4_T5_mT6_P12ihipStream_tbENKUlT_T0_E_clISt17integral_constantIbLb1EESY_IbLb0EEEEDaSU_SV_EUlSU_E_NS1_11comp_targetILNS1_3genE0ELNS1_11target_archE4294967295ELNS1_3gpuE0ELNS1_3repE0EEENS1_30default_config_static_selectorELNS0_4arch9wavefront6targetE1EEEvT1_: ; @_ZN7rocprim17ROCPRIM_400000_NS6detail17trampoline_kernelINS0_14default_configENS1_20scan_config_selectorIN3c107complexIdEEEEZZNS1_9scan_implILNS1_25lookback_scan_determinismE0ELb0ELb0ES3_PKS7_PS7_S7_ZZZN2at6native31launch_logcumsumexp_cuda_kernelERKNSE_10TensorBaseESI_lENKUlvE_clEvENKUlvE1_clEvEUlS7_S7_E_S7_EEDaPvRmT3_T4_T5_mT6_P12ihipStream_tbENKUlT_T0_E_clISt17integral_constantIbLb1EESY_IbLb0EEEEDaSU_SV_EUlSU_E_NS1_11comp_targetILNS1_3genE0ELNS1_11target_archE4294967295ELNS1_3gpuE0ELNS1_3repE0EEENS1_30default_config_static_selectorELNS0_4arch9wavefront6targetE1EEEvT1_
; %bb.0:
	.section	.rodata,"a",@progbits
	.p2align	6, 0x0
	.amdhsa_kernel _ZN7rocprim17ROCPRIM_400000_NS6detail17trampoline_kernelINS0_14default_configENS1_20scan_config_selectorIN3c107complexIdEEEEZZNS1_9scan_implILNS1_25lookback_scan_determinismE0ELb0ELb0ES3_PKS7_PS7_S7_ZZZN2at6native31launch_logcumsumexp_cuda_kernelERKNSE_10TensorBaseESI_lENKUlvE_clEvENKUlvE1_clEvEUlS7_S7_E_S7_EEDaPvRmT3_T4_T5_mT6_P12ihipStream_tbENKUlT_T0_E_clISt17integral_constantIbLb1EESY_IbLb0EEEEDaSU_SV_EUlSU_E_NS1_11comp_targetILNS1_3genE0ELNS1_11target_archE4294967295ELNS1_3gpuE0ELNS1_3repE0EEENS1_30default_config_static_selectorELNS0_4arch9wavefront6targetE1EEEvT1_
		.amdhsa_group_segment_fixed_size 0
		.amdhsa_private_segment_fixed_size 0
		.amdhsa_kernarg_size 128
		.amdhsa_user_sgpr_count 6
		.amdhsa_user_sgpr_private_segment_buffer 1
		.amdhsa_user_sgpr_dispatch_ptr 0
		.amdhsa_user_sgpr_queue_ptr 0
		.amdhsa_user_sgpr_kernarg_segment_ptr 1
		.amdhsa_user_sgpr_dispatch_id 0
		.amdhsa_user_sgpr_flat_scratch_init 0
		.amdhsa_user_sgpr_private_segment_size 0
		.amdhsa_uses_dynamic_stack 0
		.amdhsa_system_sgpr_private_segment_wavefront_offset 0
		.amdhsa_system_sgpr_workgroup_id_x 1
		.amdhsa_system_sgpr_workgroup_id_y 0
		.amdhsa_system_sgpr_workgroup_id_z 0
		.amdhsa_system_sgpr_workgroup_info 0
		.amdhsa_system_vgpr_workitem_id 0
		.amdhsa_next_free_vgpr 1
		.amdhsa_next_free_sgpr 0
		.amdhsa_reserve_vcc 0
		.amdhsa_reserve_flat_scratch 0
		.amdhsa_float_round_mode_32 0
		.amdhsa_float_round_mode_16_64 0
		.amdhsa_float_denorm_mode_32 3
		.amdhsa_float_denorm_mode_16_64 3
		.amdhsa_dx10_clamp 1
		.amdhsa_ieee_mode 1
		.amdhsa_fp16_overflow 0
		.amdhsa_exception_fp_ieee_invalid_op 0
		.amdhsa_exception_fp_denorm_src 0
		.amdhsa_exception_fp_ieee_div_zero 0
		.amdhsa_exception_fp_ieee_overflow 0
		.amdhsa_exception_fp_ieee_underflow 0
		.amdhsa_exception_fp_ieee_inexact 0
		.amdhsa_exception_int_div_zero 0
	.end_amdhsa_kernel
	.section	.text._ZN7rocprim17ROCPRIM_400000_NS6detail17trampoline_kernelINS0_14default_configENS1_20scan_config_selectorIN3c107complexIdEEEEZZNS1_9scan_implILNS1_25lookback_scan_determinismE0ELb0ELb0ES3_PKS7_PS7_S7_ZZZN2at6native31launch_logcumsumexp_cuda_kernelERKNSE_10TensorBaseESI_lENKUlvE_clEvENKUlvE1_clEvEUlS7_S7_E_S7_EEDaPvRmT3_T4_T5_mT6_P12ihipStream_tbENKUlT_T0_E_clISt17integral_constantIbLb1EESY_IbLb0EEEEDaSU_SV_EUlSU_E_NS1_11comp_targetILNS1_3genE0ELNS1_11target_archE4294967295ELNS1_3gpuE0ELNS1_3repE0EEENS1_30default_config_static_selectorELNS0_4arch9wavefront6targetE1EEEvT1_,"axG",@progbits,_ZN7rocprim17ROCPRIM_400000_NS6detail17trampoline_kernelINS0_14default_configENS1_20scan_config_selectorIN3c107complexIdEEEEZZNS1_9scan_implILNS1_25lookback_scan_determinismE0ELb0ELb0ES3_PKS7_PS7_S7_ZZZN2at6native31launch_logcumsumexp_cuda_kernelERKNSE_10TensorBaseESI_lENKUlvE_clEvENKUlvE1_clEvEUlS7_S7_E_S7_EEDaPvRmT3_T4_T5_mT6_P12ihipStream_tbENKUlT_T0_E_clISt17integral_constantIbLb1EESY_IbLb0EEEEDaSU_SV_EUlSU_E_NS1_11comp_targetILNS1_3genE0ELNS1_11target_archE4294967295ELNS1_3gpuE0ELNS1_3repE0EEENS1_30default_config_static_selectorELNS0_4arch9wavefront6targetE1EEEvT1_,comdat
.Lfunc_end222:
	.size	_ZN7rocprim17ROCPRIM_400000_NS6detail17trampoline_kernelINS0_14default_configENS1_20scan_config_selectorIN3c107complexIdEEEEZZNS1_9scan_implILNS1_25lookback_scan_determinismE0ELb0ELb0ES3_PKS7_PS7_S7_ZZZN2at6native31launch_logcumsumexp_cuda_kernelERKNSE_10TensorBaseESI_lENKUlvE_clEvENKUlvE1_clEvEUlS7_S7_E_S7_EEDaPvRmT3_T4_T5_mT6_P12ihipStream_tbENKUlT_T0_E_clISt17integral_constantIbLb1EESY_IbLb0EEEEDaSU_SV_EUlSU_E_NS1_11comp_targetILNS1_3genE0ELNS1_11target_archE4294967295ELNS1_3gpuE0ELNS1_3repE0EEENS1_30default_config_static_selectorELNS0_4arch9wavefront6targetE1EEEvT1_, .Lfunc_end222-_ZN7rocprim17ROCPRIM_400000_NS6detail17trampoline_kernelINS0_14default_configENS1_20scan_config_selectorIN3c107complexIdEEEEZZNS1_9scan_implILNS1_25lookback_scan_determinismE0ELb0ELb0ES3_PKS7_PS7_S7_ZZZN2at6native31launch_logcumsumexp_cuda_kernelERKNSE_10TensorBaseESI_lENKUlvE_clEvENKUlvE1_clEvEUlS7_S7_E_S7_EEDaPvRmT3_T4_T5_mT6_P12ihipStream_tbENKUlT_T0_E_clISt17integral_constantIbLb1EESY_IbLb0EEEEDaSU_SV_EUlSU_E_NS1_11comp_targetILNS1_3genE0ELNS1_11target_archE4294967295ELNS1_3gpuE0ELNS1_3repE0EEENS1_30default_config_static_selectorELNS0_4arch9wavefront6targetE1EEEvT1_
                                        ; -- End function
	.set _ZN7rocprim17ROCPRIM_400000_NS6detail17trampoline_kernelINS0_14default_configENS1_20scan_config_selectorIN3c107complexIdEEEEZZNS1_9scan_implILNS1_25lookback_scan_determinismE0ELb0ELb0ES3_PKS7_PS7_S7_ZZZN2at6native31launch_logcumsumexp_cuda_kernelERKNSE_10TensorBaseESI_lENKUlvE_clEvENKUlvE1_clEvEUlS7_S7_E_S7_EEDaPvRmT3_T4_T5_mT6_P12ihipStream_tbENKUlT_T0_E_clISt17integral_constantIbLb1EESY_IbLb0EEEEDaSU_SV_EUlSU_E_NS1_11comp_targetILNS1_3genE0ELNS1_11target_archE4294967295ELNS1_3gpuE0ELNS1_3repE0EEENS1_30default_config_static_selectorELNS0_4arch9wavefront6targetE1EEEvT1_.num_vgpr, 0
	.set _ZN7rocprim17ROCPRIM_400000_NS6detail17trampoline_kernelINS0_14default_configENS1_20scan_config_selectorIN3c107complexIdEEEEZZNS1_9scan_implILNS1_25lookback_scan_determinismE0ELb0ELb0ES3_PKS7_PS7_S7_ZZZN2at6native31launch_logcumsumexp_cuda_kernelERKNSE_10TensorBaseESI_lENKUlvE_clEvENKUlvE1_clEvEUlS7_S7_E_S7_EEDaPvRmT3_T4_T5_mT6_P12ihipStream_tbENKUlT_T0_E_clISt17integral_constantIbLb1EESY_IbLb0EEEEDaSU_SV_EUlSU_E_NS1_11comp_targetILNS1_3genE0ELNS1_11target_archE4294967295ELNS1_3gpuE0ELNS1_3repE0EEENS1_30default_config_static_selectorELNS0_4arch9wavefront6targetE1EEEvT1_.num_agpr, 0
	.set _ZN7rocprim17ROCPRIM_400000_NS6detail17trampoline_kernelINS0_14default_configENS1_20scan_config_selectorIN3c107complexIdEEEEZZNS1_9scan_implILNS1_25lookback_scan_determinismE0ELb0ELb0ES3_PKS7_PS7_S7_ZZZN2at6native31launch_logcumsumexp_cuda_kernelERKNSE_10TensorBaseESI_lENKUlvE_clEvENKUlvE1_clEvEUlS7_S7_E_S7_EEDaPvRmT3_T4_T5_mT6_P12ihipStream_tbENKUlT_T0_E_clISt17integral_constantIbLb1EESY_IbLb0EEEEDaSU_SV_EUlSU_E_NS1_11comp_targetILNS1_3genE0ELNS1_11target_archE4294967295ELNS1_3gpuE0ELNS1_3repE0EEENS1_30default_config_static_selectorELNS0_4arch9wavefront6targetE1EEEvT1_.numbered_sgpr, 0
	.set _ZN7rocprim17ROCPRIM_400000_NS6detail17trampoline_kernelINS0_14default_configENS1_20scan_config_selectorIN3c107complexIdEEEEZZNS1_9scan_implILNS1_25lookback_scan_determinismE0ELb0ELb0ES3_PKS7_PS7_S7_ZZZN2at6native31launch_logcumsumexp_cuda_kernelERKNSE_10TensorBaseESI_lENKUlvE_clEvENKUlvE1_clEvEUlS7_S7_E_S7_EEDaPvRmT3_T4_T5_mT6_P12ihipStream_tbENKUlT_T0_E_clISt17integral_constantIbLb1EESY_IbLb0EEEEDaSU_SV_EUlSU_E_NS1_11comp_targetILNS1_3genE0ELNS1_11target_archE4294967295ELNS1_3gpuE0ELNS1_3repE0EEENS1_30default_config_static_selectorELNS0_4arch9wavefront6targetE1EEEvT1_.num_named_barrier, 0
	.set _ZN7rocprim17ROCPRIM_400000_NS6detail17trampoline_kernelINS0_14default_configENS1_20scan_config_selectorIN3c107complexIdEEEEZZNS1_9scan_implILNS1_25lookback_scan_determinismE0ELb0ELb0ES3_PKS7_PS7_S7_ZZZN2at6native31launch_logcumsumexp_cuda_kernelERKNSE_10TensorBaseESI_lENKUlvE_clEvENKUlvE1_clEvEUlS7_S7_E_S7_EEDaPvRmT3_T4_T5_mT6_P12ihipStream_tbENKUlT_T0_E_clISt17integral_constantIbLb1EESY_IbLb0EEEEDaSU_SV_EUlSU_E_NS1_11comp_targetILNS1_3genE0ELNS1_11target_archE4294967295ELNS1_3gpuE0ELNS1_3repE0EEENS1_30default_config_static_selectorELNS0_4arch9wavefront6targetE1EEEvT1_.private_seg_size, 0
	.set _ZN7rocprim17ROCPRIM_400000_NS6detail17trampoline_kernelINS0_14default_configENS1_20scan_config_selectorIN3c107complexIdEEEEZZNS1_9scan_implILNS1_25lookback_scan_determinismE0ELb0ELb0ES3_PKS7_PS7_S7_ZZZN2at6native31launch_logcumsumexp_cuda_kernelERKNSE_10TensorBaseESI_lENKUlvE_clEvENKUlvE1_clEvEUlS7_S7_E_S7_EEDaPvRmT3_T4_T5_mT6_P12ihipStream_tbENKUlT_T0_E_clISt17integral_constantIbLb1EESY_IbLb0EEEEDaSU_SV_EUlSU_E_NS1_11comp_targetILNS1_3genE0ELNS1_11target_archE4294967295ELNS1_3gpuE0ELNS1_3repE0EEENS1_30default_config_static_selectorELNS0_4arch9wavefront6targetE1EEEvT1_.uses_vcc, 0
	.set _ZN7rocprim17ROCPRIM_400000_NS6detail17trampoline_kernelINS0_14default_configENS1_20scan_config_selectorIN3c107complexIdEEEEZZNS1_9scan_implILNS1_25lookback_scan_determinismE0ELb0ELb0ES3_PKS7_PS7_S7_ZZZN2at6native31launch_logcumsumexp_cuda_kernelERKNSE_10TensorBaseESI_lENKUlvE_clEvENKUlvE1_clEvEUlS7_S7_E_S7_EEDaPvRmT3_T4_T5_mT6_P12ihipStream_tbENKUlT_T0_E_clISt17integral_constantIbLb1EESY_IbLb0EEEEDaSU_SV_EUlSU_E_NS1_11comp_targetILNS1_3genE0ELNS1_11target_archE4294967295ELNS1_3gpuE0ELNS1_3repE0EEENS1_30default_config_static_selectorELNS0_4arch9wavefront6targetE1EEEvT1_.uses_flat_scratch, 0
	.set _ZN7rocprim17ROCPRIM_400000_NS6detail17trampoline_kernelINS0_14default_configENS1_20scan_config_selectorIN3c107complexIdEEEEZZNS1_9scan_implILNS1_25lookback_scan_determinismE0ELb0ELb0ES3_PKS7_PS7_S7_ZZZN2at6native31launch_logcumsumexp_cuda_kernelERKNSE_10TensorBaseESI_lENKUlvE_clEvENKUlvE1_clEvEUlS7_S7_E_S7_EEDaPvRmT3_T4_T5_mT6_P12ihipStream_tbENKUlT_T0_E_clISt17integral_constantIbLb1EESY_IbLb0EEEEDaSU_SV_EUlSU_E_NS1_11comp_targetILNS1_3genE0ELNS1_11target_archE4294967295ELNS1_3gpuE0ELNS1_3repE0EEENS1_30default_config_static_selectorELNS0_4arch9wavefront6targetE1EEEvT1_.has_dyn_sized_stack, 0
	.set _ZN7rocprim17ROCPRIM_400000_NS6detail17trampoline_kernelINS0_14default_configENS1_20scan_config_selectorIN3c107complexIdEEEEZZNS1_9scan_implILNS1_25lookback_scan_determinismE0ELb0ELb0ES3_PKS7_PS7_S7_ZZZN2at6native31launch_logcumsumexp_cuda_kernelERKNSE_10TensorBaseESI_lENKUlvE_clEvENKUlvE1_clEvEUlS7_S7_E_S7_EEDaPvRmT3_T4_T5_mT6_P12ihipStream_tbENKUlT_T0_E_clISt17integral_constantIbLb1EESY_IbLb0EEEEDaSU_SV_EUlSU_E_NS1_11comp_targetILNS1_3genE0ELNS1_11target_archE4294967295ELNS1_3gpuE0ELNS1_3repE0EEENS1_30default_config_static_selectorELNS0_4arch9wavefront6targetE1EEEvT1_.has_recursion, 0
	.set _ZN7rocprim17ROCPRIM_400000_NS6detail17trampoline_kernelINS0_14default_configENS1_20scan_config_selectorIN3c107complexIdEEEEZZNS1_9scan_implILNS1_25lookback_scan_determinismE0ELb0ELb0ES3_PKS7_PS7_S7_ZZZN2at6native31launch_logcumsumexp_cuda_kernelERKNSE_10TensorBaseESI_lENKUlvE_clEvENKUlvE1_clEvEUlS7_S7_E_S7_EEDaPvRmT3_T4_T5_mT6_P12ihipStream_tbENKUlT_T0_E_clISt17integral_constantIbLb1EESY_IbLb0EEEEDaSU_SV_EUlSU_E_NS1_11comp_targetILNS1_3genE0ELNS1_11target_archE4294967295ELNS1_3gpuE0ELNS1_3repE0EEENS1_30default_config_static_selectorELNS0_4arch9wavefront6targetE1EEEvT1_.has_indirect_call, 0
	.section	.AMDGPU.csdata,"",@progbits
; Kernel info:
; codeLenInByte = 0
; TotalNumSgprs: 4
; NumVgprs: 0
; ScratchSize: 0
; MemoryBound: 0
; FloatMode: 240
; IeeeMode: 1
; LDSByteSize: 0 bytes/workgroup (compile time only)
; SGPRBlocks: 0
; VGPRBlocks: 0
; NumSGPRsForWavesPerEU: 4
; NumVGPRsForWavesPerEU: 1
; Occupancy: 10
; WaveLimiterHint : 0
; COMPUTE_PGM_RSRC2:SCRATCH_EN: 0
; COMPUTE_PGM_RSRC2:USER_SGPR: 6
; COMPUTE_PGM_RSRC2:TRAP_HANDLER: 0
; COMPUTE_PGM_RSRC2:TGID_X_EN: 1
; COMPUTE_PGM_RSRC2:TGID_Y_EN: 0
; COMPUTE_PGM_RSRC2:TGID_Z_EN: 0
; COMPUTE_PGM_RSRC2:TIDIG_COMP_CNT: 0
	.section	.text._ZN7rocprim17ROCPRIM_400000_NS6detail17trampoline_kernelINS0_14default_configENS1_20scan_config_selectorIN3c107complexIdEEEEZZNS1_9scan_implILNS1_25lookback_scan_determinismE0ELb0ELb0ES3_PKS7_PS7_S7_ZZZN2at6native31launch_logcumsumexp_cuda_kernelERKNSE_10TensorBaseESI_lENKUlvE_clEvENKUlvE1_clEvEUlS7_S7_E_S7_EEDaPvRmT3_T4_T5_mT6_P12ihipStream_tbENKUlT_T0_E_clISt17integral_constantIbLb1EESY_IbLb0EEEEDaSU_SV_EUlSU_E_NS1_11comp_targetILNS1_3genE5ELNS1_11target_archE942ELNS1_3gpuE9ELNS1_3repE0EEENS1_30default_config_static_selectorELNS0_4arch9wavefront6targetE1EEEvT1_,"axG",@progbits,_ZN7rocprim17ROCPRIM_400000_NS6detail17trampoline_kernelINS0_14default_configENS1_20scan_config_selectorIN3c107complexIdEEEEZZNS1_9scan_implILNS1_25lookback_scan_determinismE0ELb0ELb0ES3_PKS7_PS7_S7_ZZZN2at6native31launch_logcumsumexp_cuda_kernelERKNSE_10TensorBaseESI_lENKUlvE_clEvENKUlvE1_clEvEUlS7_S7_E_S7_EEDaPvRmT3_T4_T5_mT6_P12ihipStream_tbENKUlT_T0_E_clISt17integral_constantIbLb1EESY_IbLb0EEEEDaSU_SV_EUlSU_E_NS1_11comp_targetILNS1_3genE5ELNS1_11target_archE942ELNS1_3gpuE9ELNS1_3repE0EEENS1_30default_config_static_selectorELNS0_4arch9wavefront6targetE1EEEvT1_,comdat
	.globl	_ZN7rocprim17ROCPRIM_400000_NS6detail17trampoline_kernelINS0_14default_configENS1_20scan_config_selectorIN3c107complexIdEEEEZZNS1_9scan_implILNS1_25lookback_scan_determinismE0ELb0ELb0ES3_PKS7_PS7_S7_ZZZN2at6native31launch_logcumsumexp_cuda_kernelERKNSE_10TensorBaseESI_lENKUlvE_clEvENKUlvE1_clEvEUlS7_S7_E_S7_EEDaPvRmT3_T4_T5_mT6_P12ihipStream_tbENKUlT_T0_E_clISt17integral_constantIbLb1EESY_IbLb0EEEEDaSU_SV_EUlSU_E_NS1_11comp_targetILNS1_3genE5ELNS1_11target_archE942ELNS1_3gpuE9ELNS1_3repE0EEENS1_30default_config_static_selectorELNS0_4arch9wavefront6targetE1EEEvT1_ ; -- Begin function _ZN7rocprim17ROCPRIM_400000_NS6detail17trampoline_kernelINS0_14default_configENS1_20scan_config_selectorIN3c107complexIdEEEEZZNS1_9scan_implILNS1_25lookback_scan_determinismE0ELb0ELb0ES3_PKS7_PS7_S7_ZZZN2at6native31launch_logcumsumexp_cuda_kernelERKNSE_10TensorBaseESI_lENKUlvE_clEvENKUlvE1_clEvEUlS7_S7_E_S7_EEDaPvRmT3_T4_T5_mT6_P12ihipStream_tbENKUlT_T0_E_clISt17integral_constantIbLb1EESY_IbLb0EEEEDaSU_SV_EUlSU_E_NS1_11comp_targetILNS1_3genE5ELNS1_11target_archE942ELNS1_3gpuE9ELNS1_3repE0EEENS1_30default_config_static_selectorELNS0_4arch9wavefront6targetE1EEEvT1_
	.p2align	8
	.type	_ZN7rocprim17ROCPRIM_400000_NS6detail17trampoline_kernelINS0_14default_configENS1_20scan_config_selectorIN3c107complexIdEEEEZZNS1_9scan_implILNS1_25lookback_scan_determinismE0ELb0ELb0ES3_PKS7_PS7_S7_ZZZN2at6native31launch_logcumsumexp_cuda_kernelERKNSE_10TensorBaseESI_lENKUlvE_clEvENKUlvE1_clEvEUlS7_S7_E_S7_EEDaPvRmT3_T4_T5_mT6_P12ihipStream_tbENKUlT_T0_E_clISt17integral_constantIbLb1EESY_IbLb0EEEEDaSU_SV_EUlSU_E_NS1_11comp_targetILNS1_3genE5ELNS1_11target_archE942ELNS1_3gpuE9ELNS1_3repE0EEENS1_30default_config_static_selectorELNS0_4arch9wavefront6targetE1EEEvT1_,@function
_ZN7rocprim17ROCPRIM_400000_NS6detail17trampoline_kernelINS0_14default_configENS1_20scan_config_selectorIN3c107complexIdEEEEZZNS1_9scan_implILNS1_25lookback_scan_determinismE0ELb0ELb0ES3_PKS7_PS7_S7_ZZZN2at6native31launch_logcumsumexp_cuda_kernelERKNSE_10TensorBaseESI_lENKUlvE_clEvENKUlvE1_clEvEUlS7_S7_E_S7_EEDaPvRmT3_T4_T5_mT6_P12ihipStream_tbENKUlT_T0_E_clISt17integral_constantIbLb1EESY_IbLb0EEEEDaSU_SV_EUlSU_E_NS1_11comp_targetILNS1_3genE5ELNS1_11target_archE942ELNS1_3gpuE9ELNS1_3repE0EEENS1_30default_config_static_selectorELNS0_4arch9wavefront6targetE1EEEvT1_: ; @_ZN7rocprim17ROCPRIM_400000_NS6detail17trampoline_kernelINS0_14default_configENS1_20scan_config_selectorIN3c107complexIdEEEEZZNS1_9scan_implILNS1_25lookback_scan_determinismE0ELb0ELb0ES3_PKS7_PS7_S7_ZZZN2at6native31launch_logcumsumexp_cuda_kernelERKNSE_10TensorBaseESI_lENKUlvE_clEvENKUlvE1_clEvEUlS7_S7_E_S7_EEDaPvRmT3_T4_T5_mT6_P12ihipStream_tbENKUlT_T0_E_clISt17integral_constantIbLb1EESY_IbLb0EEEEDaSU_SV_EUlSU_E_NS1_11comp_targetILNS1_3genE5ELNS1_11target_archE942ELNS1_3gpuE9ELNS1_3repE0EEENS1_30default_config_static_selectorELNS0_4arch9wavefront6targetE1EEEvT1_
; %bb.0:
	.section	.rodata,"a",@progbits
	.p2align	6, 0x0
	.amdhsa_kernel _ZN7rocprim17ROCPRIM_400000_NS6detail17trampoline_kernelINS0_14default_configENS1_20scan_config_selectorIN3c107complexIdEEEEZZNS1_9scan_implILNS1_25lookback_scan_determinismE0ELb0ELb0ES3_PKS7_PS7_S7_ZZZN2at6native31launch_logcumsumexp_cuda_kernelERKNSE_10TensorBaseESI_lENKUlvE_clEvENKUlvE1_clEvEUlS7_S7_E_S7_EEDaPvRmT3_T4_T5_mT6_P12ihipStream_tbENKUlT_T0_E_clISt17integral_constantIbLb1EESY_IbLb0EEEEDaSU_SV_EUlSU_E_NS1_11comp_targetILNS1_3genE5ELNS1_11target_archE942ELNS1_3gpuE9ELNS1_3repE0EEENS1_30default_config_static_selectorELNS0_4arch9wavefront6targetE1EEEvT1_
		.amdhsa_group_segment_fixed_size 0
		.amdhsa_private_segment_fixed_size 0
		.amdhsa_kernarg_size 128
		.amdhsa_user_sgpr_count 6
		.amdhsa_user_sgpr_private_segment_buffer 1
		.amdhsa_user_sgpr_dispatch_ptr 0
		.amdhsa_user_sgpr_queue_ptr 0
		.amdhsa_user_sgpr_kernarg_segment_ptr 1
		.amdhsa_user_sgpr_dispatch_id 0
		.amdhsa_user_sgpr_flat_scratch_init 0
		.amdhsa_user_sgpr_private_segment_size 0
		.amdhsa_uses_dynamic_stack 0
		.amdhsa_system_sgpr_private_segment_wavefront_offset 0
		.amdhsa_system_sgpr_workgroup_id_x 1
		.amdhsa_system_sgpr_workgroup_id_y 0
		.amdhsa_system_sgpr_workgroup_id_z 0
		.amdhsa_system_sgpr_workgroup_info 0
		.amdhsa_system_vgpr_workitem_id 0
		.amdhsa_next_free_vgpr 1
		.amdhsa_next_free_sgpr 0
		.amdhsa_reserve_vcc 0
		.amdhsa_reserve_flat_scratch 0
		.amdhsa_float_round_mode_32 0
		.amdhsa_float_round_mode_16_64 0
		.amdhsa_float_denorm_mode_32 3
		.amdhsa_float_denorm_mode_16_64 3
		.amdhsa_dx10_clamp 1
		.amdhsa_ieee_mode 1
		.amdhsa_fp16_overflow 0
		.amdhsa_exception_fp_ieee_invalid_op 0
		.amdhsa_exception_fp_denorm_src 0
		.amdhsa_exception_fp_ieee_div_zero 0
		.amdhsa_exception_fp_ieee_overflow 0
		.amdhsa_exception_fp_ieee_underflow 0
		.amdhsa_exception_fp_ieee_inexact 0
		.amdhsa_exception_int_div_zero 0
	.end_amdhsa_kernel
	.section	.text._ZN7rocprim17ROCPRIM_400000_NS6detail17trampoline_kernelINS0_14default_configENS1_20scan_config_selectorIN3c107complexIdEEEEZZNS1_9scan_implILNS1_25lookback_scan_determinismE0ELb0ELb0ES3_PKS7_PS7_S7_ZZZN2at6native31launch_logcumsumexp_cuda_kernelERKNSE_10TensorBaseESI_lENKUlvE_clEvENKUlvE1_clEvEUlS7_S7_E_S7_EEDaPvRmT3_T4_T5_mT6_P12ihipStream_tbENKUlT_T0_E_clISt17integral_constantIbLb1EESY_IbLb0EEEEDaSU_SV_EUlSU_E_NS1_11comp_targetILNS1_3genE5ELNS1_11target_archE942ELNS1_3gpuE9ELNS1_3repE0EEENS1_30default_config_static_selectorELNS0_4arch9wavefront6targetE1EEEvT1_,"axG",@progbits,_ZN7rocprim17ROCPRIM_400000_NS6detail17trampoline_kernelINS0_14default_configENS1_20scan_config_selectorIN3c107complexIdEEEEZZNS1_9scan_implILNS1_25lookback_scan_determinismE0ELb0ELb0ES3_PKS7_PS7_S7_ZZZN2at6native31launch_logcumsumexp_cuda_kernelERKNSE_10TensorBaseESI_lENKUlvE_clEvENKUlvE1_clEvEUlS7_S7_E_S7_EEDaPvRmT3_T4_T5_mT6_P12ihipStream_tbENKUlT_T0_E_clISt17integral_constantIbLb1EESY_IbLb0EEEEDaSU_SV_EUlSU_E_NS1_11comp_targetILNS1_3genE5ELNS1_11target_archE942ELNS1_3gpuE9ELNS1_3repE0EEENS1_30default_config_static_selectorELNS0_4arch9wavefront6targetE1EEEvT1_,comdat
.Lfunc_end223:
	.size	_ZN7rocprim17ROCPRIM_400000_NS6detail17trampoline_kernelINS0_14default_configENS1_20scan_config_selectorIN3c107complexIdEEEEZZNS1_9scan_implILNS1_25lookback_scan_determinismE0ELb0ELb0ES3_PKS7_PS7_S7_ZZZN2at6native31launch_logcumsumexp_cuda_kernelERKNSE_10TensorBaseESI_lENKUlvE_clEvENKUlvE1_clEvEUlS7_S7_E_S7_EEDaPvRmT3_T4_T5_mT6_P12ihipStream_tbENKUlT_T0_E_clISt17integral_constantIbLb1EESY_IbLb0EEEEDaSU_SV_EUlSU_E_NS1_11comp_targetILNS1_3genE5ELNS1_11target_archE942ELNS1_3gpuE9ELNS1_3repE0EEENS1_30default_config_static_selectorELNS0_4arch9wavefront6targetE1EEEvT1_, .Lfunc_end223-_ZN7rocprim17ROCPRIM_400000_NS6detail17trampoline_kernelINS0_14default_configENS1_20scan_config_selectorIN3c107complexIdEEEEZZNS1_9scan_implILNS1_25lookback_scan_determinismE0ELb0ELb0ES3_PKS7_PS7_S7_ZZZN2at6native31launch_logcumsumexp_cuda_kernelERKNSE_10TensorBaseESI_lENKUlvE_clEvENKUlvE1_clEvEUlS7_S7_E_S7_EEDaPvRmT3_T4_T5_mT6_P12ihipStream_tbENKUlT_T0_E_clISt17integral_constantIbLb1EESY_IbLb0EEEEDaSU_SV_EUlSU_E_NS1_11comp_targetILNS1_3genE5ELNS1_11target_archE942ELNS1_3gpuE9ELNS1_3repE0EEENS1_30default_config_static_selectorELNS0_4arch9wavefront6targetE1EEEvT1_
                                        ; -- End function
	.set _ZN7rocprim17ROCPRIM_400000_NS6detail17trampoline_kernelINS0_14default_configENS1_20scan_config_selectorIN3c107complexIdEEEEZZNS1_9scan_implILNS1_25lookback_scan_determinismE0ELb0ELb0ES3_PKS7_PS7_S7_ZZZN2at6native31launch_logcumsumexp_cuda_kernelERKNSE_10TensorBaseESI_lENKUlvE_clEvENKUlvE1_clEvEUlS7_S7_E_S7_EEDaPvRmT3_T4_T5_mT6_P12ihipStream_tbENKUlT_T0_E_clISt17integral_constantIbLb1EESY_IbLb0EEEEDaSU_SV_EUlSU_E_NS1_11comp_targetILNS1_3genE5ELNS1_11target_archE942ELNS1_3gpuE9ELNS1_3repE0EEENS1_30default_config_static_selectorELNS0_4arch9wavefront6targetE1EEEvT1_.num_vgpr, 0
	.set _ZN7rocprim17ROCPRIM_400000_NS6detail17trampoline_kernelINS0_14default_configENS1_20scan_config_selectorIN3c107complexIdEEEEZZNS1_9scan_implILNS1_25lookback_scan_determinismE0ELb0ELb0ES3_PKS7_PS7_S7_ZZZN2at6native31launch_logcumsumexp_cuda_kernelERKNSE_10TensorBaseESI_lENKUlvE_clEvENKUlvE1_clEvEUlS7_S7_E_S7_EEDaPvRmT3_T4_T5_mT6_P12ihipStream_tbENKUlT_T0_E_clISt17integral_constantIbLb1EESY_IbLb0EEEEDaSU_SV_EUlSU_E_NS1_11comp_targetILNS1_3genE5ELNS1_11target_archE942ELNS1_3gpuE9ELNS1_3repE0EEENS1_30default_config_static_selectorELNS0_4arch9wavefront6targetE1EEEvT1_.num_agpr, 0
	.set _ZN7rocprim17ROCPRIM_400000_NS6detail17trampoline_kernelINS0_14default_configENS1_20scan_config_selectorIN3c107complexIdEEEEZZNS1_9scan_implILNS1_25lookback_scan_determinismE0ELb0ELb0ES3_PKS7_PS7_S7_ZZZN2at6native31launch_logcumsumexp_cuda_kernelERKNSE_10TensorBaseESI_lENKUlvE_clEvENKUlvE1_clEvEUlS7_S7_E_S7_EEDaPvRmT3_T4_T5_mT6_P12ihipStream_tbENKUlT_T0_E_clISt17integral_constantIbLb1EESY_IbLb0EEEEDaSU_SV_EUlSU_E_NS1_11comp_targetILNS1_3genE5ELNS1_11target_archE942ELNS1_3gpuE9ELNS1_3repE0EEENS1_30default_config_static_selectorELNS0_4arch9wavefront6targetE1EEEvT1_.numbered_sgpr, 0
	.set _ZN7rocprim17ROCPRIM_400000_NS6detail17trampoline_kernelINS0_14default_configENS1_20scan_config_selectorIN3c107complexIdEEEEZZNS1_9scan_implILNS1_25lookback_scan_determinismE0ELb0ELb0ES3_PKS7_PS7_S7_ZZZN2at6native31launch_logcumsumexp_cuda_kernelERKNSE_10TensorBaseESI_lENKUlvE_clEvENKUlvE1_clEvEUlS7_S7_E_S7_EEDaPvRmT3_T4_T5_mT6_P12ihipStream_tbENKUlT_T0_E_clISt17integral_constantIbLb1EESY_IbLb0EEEEDaSU_SV_EUlSU_E_NS1_11comp_targetILNS1_3genE5ELNS1_11target_archE942ELNS1_3gpuE9ELNS1_3repE0EEENS1_30default_config_static_selectorELNS0_4arch9wavefront6targetE1EEEvT1_.num_named_barrier, 0
	.set _ZN7rocprim17ROCPRIM_400000_NS6detail17trampoline_kernelINS0_14default_configENS1_20scan_config_selectorIN3c107complexIdEEEEZZNS1_9scan_implILNS1_25lookback_scan_determinismE0ELb0ELb0ES3_PKS7_PS7_S7_ZZZN2at6native31launch_logcumsumexp_cuda_kernelERKNSE_10TensorBaseESI_lENKUlvE_clEvENKUlvE1_clEvEUlS7_S7_E_S7_EEDaPvRmT3_T4_T5_mT6_P12ihipStream_tbENKUlT_T0_E_clISt17integral_constantIbLb1EESY_IbLb0EEEEDaSU_SV_EUlSU_E_NS1_11comp_targetILNS1_3genE5ELNS1_11target_archE942ELNS1_3gpuE9ELNS1_3repE0EEENS1_30default_config_static_selectorELNS0_4arch9wavefront6targetE1EEEvT1_.private_seg_size, 0
	.set _ZN7rocprim17ROCPRIM_400000_NS6detail17trampoline_kernelINS0_14default_configENS1_20scan_config_selectorIN3c107complexIdEEEEZZNS1_9scan_implILNS1_25lookback_scan_determinismE0ELb0ELb0ES3_PKS7_PS7_S7_ZZZN2at6native31launch_logcumsumexp_cuda_kernelERKNSE_10TensorBaseESI_lENKUlvE_clEvENKUlvE1_clEvEUlS7_S7_E_S7_EEDaPvRmT3_T4_T5_mT6_P12ihipStream_tbENKUlT_T0_E_clISt17integral_constantIbLb1EESY_IbLb0EEEEDaSU_SV_EUlSU_E_NS1_11comp_targetILNS1_3genE5ELNS1_11target_archE942ELNS1_3gpuE9ELNS1_3repE0EEENS1_30default_config_static_selectorELNS0_4arch9wavefront6targetE1EEEvT1_.uses_vcc, 0
	.set _ZN7rocprim17ROCPRIM_400000_NS6detail17trampoline_kernelINS0_14default_configENS1_20scan_config_selectorIN3c107complexIdEEEEZZNS1_9scan_implILNS1_25lookback_scan_determinismE0ELb0ELb0ES3_PKS7_PS7_S7_ZZZN2at6native31launch_logcumsumexp_cuda_kernelERKNSE_10TensorBaseESI_lENKUlvE_clEvENKUlvE1_clEvEUlS7_S7_E_S7_EEDaPvRmT3_T4_T5_mT6_P12ihipStream_tbENKUlT_T0_E_clISt17integral_constantIbLb1EESY_IbLb0EEEEDaSU_SV_EUlSU_E_NS1_11comp_targetILNS1_3genE5ELNS1_11target_archE942ELNS1_3gpuE9ELNS1_3repE0EEENS1_30default_config_static_selectorELNS0_4arch9wavefront6targetE1EEEvT1_.uses_flat_scratch, 0
	.set _ZN7rocprim17ROCPRIM_400000_NS6detail17trampoline_kernelINS0_14default_configENS1_20scan_config_selectorIN3c107complexIdEEEEZZNS1_9scan_implILNS1_25lookback_scan_determinismE0ELb0ELb0ES3_PKS7_PS7_S7_ZZZN2at6native31launch_logcumsumexp_cuda_kernelERKNSE_10TensorBaseESI_lENKUlvE_clEvENKUlvE1_clEvEUlS7_S7_E_S7_EEDaPvRmT3_T4_T5_mT6_P12ihipStream_tbENKUlT_T0_E_clISt17integral_constantIbLb1EESY_IbLb0EEEEDaSU_SV_EUlSU_E_NS1_11comp_targetILNS1_3genE5ELNS1_11target_archE942ELNS1_3gpuE9ELNS1_3repE0EEENS1_30default_config_static_selectorELNS0_4arch9wavefront6targetE1EEEvT1_.has_dyn_sized_stack, 0
	.set _ZN7rocprim17ROCPRIM_400000_NS6detail17trampoline_kernelINS0_14default_configENS1_20scan_config_selectorIN3c107complexIdEEEEZZNS1_9scan_implILNS1_25lookback_scan_determinismE0ELb0ELb0ES3_PKS7_PS7_S7_ZZZN2at6native31launch_logcumsumexp_cuda_kernelERKNSE_10TensorBaseESI_lENKUlvE_clEvENKUlvE1_clEvEUlS7_S7_E_S7_EEDaPvRmT3_T4_T5_mT6_P12ihipStream_tbENKUlT_T0_E_clISt17integral_constantIbLb1EESY_IbLb0EEEEDaSU_SV_EUlSU_E_NS1_11comp_targetILNS1_3genE5ELNS1_11target_archE942ELNS1_3gpuE9ELNS1_3repE0EEENS1_30default_config_static_selectorELNS0_4arch9wavefront6targetE1EEEvT1_.has_recursion, 0
	.set _ZN7rocprim17ROCPRIM_400000_NS6detail17trampoline_kernelINS0_14default_configENS1_20scan_config_selectorIN3c107complexIdEEEEZZNS1_9scan_implILNS1_25lookback_scan_determinismE0ELb0ELb0ES3_PKS7_PS7_S7_ZZZN2at6native31launch_logcumsumexp_cuda_kernelERKNSE_10TensorBaseESI_lENKUlvE_clEvENKUlvE1_clEvEUlS7_S7_E_S7_EEDaPvRmT3_T4_T5_mT6_P12ihipStream_tbENKUlT_T0_E_clISt17integral_constantIbLb1EESY_IbLb0EEEEDaSU_SV_EUlSU_E_NS1_11comp_targetILNS1_3genE5ELNS1_11target_archE942ELNS1_3gpuE9ELNS1_3repE0EEENS1_30default_config_static_selectorELNS0_4arch9wavefront6targetE1EEEvT1_.has_indirect_call, 0
	.section	.AMDGPU.csdata,"",@progbits
; Kernel info:
; codeLenInByte = 0
; TotalNumSgprs: 4
; NumVgprs: 0
; ScratchSize: 0
; MemoryBound: 0
; FloatMode: 240
; IeeeMode: 1
; LDSByteSize: 0 bytes/workgroup (compile time only)
; SGPRBlocks: 0
; VGPRBlocks: 0
; NumSGPRsForWavesPerEU: 4
; NumVGPRsForWavesPerEU: 1
; Occupancy: 10
; WaveLimiterHint : 0
; COMPUTE_PGM_RSRC2:SCRATCH_EN: 0
; COMPUTE_PGM_RSRC2:USER_SGPR: 6
; COMPUTE_PGM_RSRC2:TRAP_HANDLER: 0
; COMPUTE_PGM_RSRC2:TGID_X_EN: 1
; COMPUTE_PGM_RSRC2:TGID_Y_EN: 0
; COMPUTE_PGM_RSRC2:TGID_Z_EN: 0
; COMPUTE_PGM_RSRC2:TIDIG_COMP_CNT: 0
	.section	.text._ZN7rocprim17ROCPRIM_400000_NS6detail17trampoline_kernelINS0_14default_configENS1_20scan_config_selectorIN3c107complexIdEEEEZZNS1_9scan_implILNS1_25lookback_scan_determinismE0ELb0ELb0ES3_PKS7_PS7_S7_ZZZN2at6native31launch_logcumsumexp_cuda_kernelERKNSE_10TensorBaseESI_lENKUlvE_clEvENKUlvE1_clEvEUlS7_S7_E_S7_EEDaPvRmT3_T4_T5_mT6_P12ihipStream_tbENKUlT_T0_E_clISt17integral_constantIbLb1EESY_IbLb0EEEEDaSU_SV_EUlSU_E_NS1_11comp_targetILNS1_3genE4ELNS1_11target_archE910ELNS1_3gpuE8ELNS1_3repE0EEENS1_30default_config_static_selectorELNS0_4arch9wavefront6targetE1EEEvT1_,"axG",@progbits,_ZN7rocprim17ROCPRIM_400000_NS6detail17trampoline_kernelINS0_14default_configENS1_20scan_config_selectorIN3c107complexIdEEEEZZNS1_9scan_implILNS1_25lookback_scan_determinismE0ELb0ELb0ES3_PKS7_PS7_S7_ZZZN2at6native31launch_logcumsumexp_cuda_kernelERKNSE_10TensorBaseESI_lENKUlvE_clEvENKUlvE1_clEvEUlS7_S7_E_S7_EEDaPvRmT3_T4_T5_mT6_P12ihipStream_tbENKUlT_T0_E_clISt17integral_constantIbLb1EESY_IbLb0EEEEDaSU_SV_EUlSU_E_NS1_11comp_targetILNS1_3genE4ELNS1_11target_archE910ELNS1_3gpuE8ELNS1_3repE0EEENS1_30default_config_static_selectorELNS0_4arch9wavefront6targetE1EEEvT1_,comdat
	.globl	_ZN7rocprim17ROCPRIM_400000_NS6detail17trampoline_kernelINS0_14default_configENS1_20scan_config_selectorIN3c107complexIdEEEEZZNS1_9scan_implILNS1_25lookback_scan_determinismE0ELb0ELb0ES3_PKS7_PS7_S7_ZZZN2at6native31launch_logcumsumexp_cuda_kernelERKNSE_10TensorBaseESI_lENKUlvE_clEvENKUlvE1_clEvEUlS7_S7_E_S7_EEDaPvRmT3_T4_T5_mT6_P12ihipStream_tbENKUlT_T0_E_clISt17integral_constantIbLb1EESY_IbLb0EEEEDaSU_SV_EUlSU_E_NS1_11comp_targetILNS1_3genE4ELNS1_11target_archE910ELNS1_3gpuE8ELNS1_3repE0EEENS1_30default_config_static_selectorELNS0_4arch9wavefront6targetE1EEEvT1_ ; -- Begin function _ZN7rocprim17ROCPRIM_400000_NS6detail17trampoline_kernelINS0_14default_configENS1_20scan_config_selectorIN3c107complexIdEEEEZZNS1_9scan_implILNS1_25lookback_scan_determinismE0ELb0ELb0ES3_PKS7_PS7_S7_ZZZN2at6native31launch_logcumsumexp_cuda_kernelERKNSE_10TensorBaseESI_lENKUlvE_clEvENKUlvE1_clEvEUlS7_S7_E_S7_EEDaPvRmT3_T4_T5_mT6_P12ihipStream_tbENKUlT_T0_E_clISt17integral_constantIbLb1EESY_IbLb0EEEEDaSU_SV_EUlSU_E_NS1_11comp_targetILNS1_3genE4ELNS1_11target_archE910ELNS1_3gpuE8ELNS1_3repE0EEENS1_30default_config_static_selectorELNS0_4arch9wavefront6targetE1EEEvT1_
	.p2align	8
	.type	_ZN7rocprim17ROCPRIM_400000_NS6detail17trampoline_kernelINS0_14default_configENS1_20scan_config_selectorIN3c107complexIdEEEEZZNS1_9scan_implILNS1_25lookback_scan_determinismE0ELb0ELb0ES3_PKS7_PS7_S7_ZZZN2at6native31launch_logcumsumexp_cuda_kernelERKNSE_10TensorBaseESI_lENKUlvE_clEvENKUlvE1_clEvEUlS7_S7_E_S7_EEDaPvRmT3_T4_T5_mT6_P12ihipStream_tbENKUlT_T0_E_clISt17integral_constantIbLb1EESY_IbLb0EEEEDaSU_SV_EUlSU_E_NS1_11comp_targetILNS1_3genE4ELNS1_11target_archE910ELNS1_3gpuE8ELNS1_3repE0EEENS1_30default_config_static_selectorELNS0_4arch9wavefront6targetE1EEEvT1_,@function
_ZN7rocprim17ROCPRIM_400000_NS6detail17trampoline_kernelINS0_14default_configENS1_20scan_config_selectorIN3c107complexIdEEEEZZNS1_9scan_implILNS1_25lookback_scan_determinismE0ELb0ELb0ES3_PKS7_PS7_S7_ZZZN2at6native31launch_logcumsumexp_cuda_kernelERKNSE_10TensorBaseESI_lENKUlvE_clEvENKUlvE1_clEvEUlS7_S7_E_S7_EEDaPvRmT3_T4_T5_mT6_P12ihipStream_tbENKUlT_T0_E_clISt17integral_constantIbLb1EESY_IbLb0EEEEDaSU_SV_EUlSU_E_NS1_11comp_targetILNS1_3genE4ELNS1_11target_archE910ELNS1_3gpuE8ELNS1_3repE0EEENS1_30default_config_static_selectorELNS0_4arch9wavefront6targetE1EEEvT1_: ; @_ZN7rocprim17ROCPRIM_400000_NS6detail17trampoline_kernelINS0_14default_configENS1_20scan_config_selectorIN3c107complexIdEEEEZZNS1_9scan_implILNS1_25lookback_scan_determinismE0ELb0ELb0ES3_PKS7_PS7_S7_ZZZN2at6native31launch_logcumsumexp_cuda_kernelERKNSE_10TensorBaseESI_lENKUlvE_clEvENKUlvE1_clEvEUlS7_S7_E_S7_EEDaPvRmT3_T4_T5_mT6_P12ihipStream_tbENKUlT_T0_E_clISt17integral_constantIbLb1EESY_IbLb0EEEEDaSU_SV_EUlSU_E_NS1_11comp_targetILNS1_3genE4ELNS1_11target_archE910ELNS1_3gpuE8ELNS1_3repE0EEENS1_30default_config_static_selectorELNS0_4arch9wavefront6targetE1EEEvT1_
; %bb.0:
	.section	.rodata,"a",@progbits
	.p2align	6, 0x0
	.amdhsa_kernel _ZN7rocprim17ROCPRIM_400000_NS6detail17trampoline_kernelINS0_14default_configENS1_20scan_config_selectorIN3c107complexIdEEEEZZNS1_9scan_implILNS1_25lookback_scan_determinismE0ELb0ELb0ES3_PKS7_PS7_S7_ZZZN2at6native31launch_logcumsumexp_cuda_kernelERKNSE_10TensorBaseESI_lENKUlvE_clEvENKUlvE1_clEvEUlS7_S7_E_S7_EEDaPvRmT3_T4_T5_mT6_P12ihipStream_tbENKUlT_T0_E_clISt17integral_constantIbLb1EESY_IbLb0EEEEDaSU_SV_EUlSU_E_NS1_11comp_targetILNS1_3genE4ELNS1_11target_archE910ELNS1_3gpuE8ELNS1_3repE0EEENS1_30default_config_static_selectorELNS0_4arch9wavefront6targetE1EEEvT1_
		.amdhsa_group_segment_fixed_size 0
		.amdhsa_private_segment_fixed_size 0
		.amdhsa_kernarg_size 128
		.amdhsa_user_sgpr_count 6
		.amdhsa_user_sgpr_private_segment_buffer 1
		.amdhsa_user_sgpr_dispatch_ptr 0
		.amdhsa_user_sgpr_queue_ptr 0
		.amdhsa_user_sgpr_kernarg_segment_ptr 1
		.amdhsa_user_sgpr_dispatch_id 0
		.amdhsa_user_sgpr_flat_scratch_init 0
		.amdhsa_user_sgpr_private_segment_size 0
		.amdhsa_uses_dynamic_stack 0
		.amdhsa_system_sgpr_private_segment_wavefront_offset 0
		.amdhsa_system_sgpr_workgroup_id_x 1
		.amdhsa_system_sgpr_workgroup_id_y 0
		.amdhsa_system_sgpr_workgroup_id_z 0
		.amdhsa_system_sgpr_workgroup_info 0
		.amdhsa_system_vgpr_workitem_id 0
		.amdhsa_next_free_vgpr 1
		.amdhsa_next_free_sgpr 0
		.amdhsa_reserve_vcc 0
		.amdhsa_reserve_flat_scratch 0
		.amdhsa_float_round_mode_32 0
		.amdhsa_float_round_mode_16_64 0
		.amdhsa_float_denorm_mode_32 3
		.amdhsa_float_denorm_mode_16_64 3
		.amdhsa_dx10_clamp 1
		.amdhsa_ieee_mode 1
		.amdhsa_fp16_overflow 0
		.amdhsa_exception_fp_ieee_invalid_op 0
		.amdhsa_exception_fp_denorm_src 0
		.amdhsa_exception_fp_ieee_div_zero 0
		.amdhsa_exception_fp_ieee_overflow 0
		.amdhsa_exception_fp_ieee_underflow 0
		.amdhsa_exception_fp_ieee_inexact 0
		.amdhsa_exception_int_div_zero 0
	.end_amdhsa_kernel
	.section	.text._ZN7rocprim17ROCPRIM_400000_NS6detail17trampoline_kernelINS0_14default_configENS1_20scan_config_selectorIN3c107complexIdEEEEZZNS1_9scan_implILNS1_25lookback_scan_determinismE0ELb0ELb0ES3_PKS7_PS7_S7_ZZZN2at6native31launch_logcumsumexp_cuda_kernelERKNSE_10TensorBaseESI_lENKUlvE_clEvENKUlvE1_clEvEUlS7_S7_E_S7_EEDaPvRmT3_T4_T5_mT6_P12ihipStream_tbENKUlT_T0_E_clISt17integral_constantIbLb1EESY_IbLb0EEEEDaSU_SV_EUlSU_E_NS1_11comp_targetILNS1_3genE4ELNS1_11target_archE910ELNS1_3gpuE8ELNS1_3repE0EEENS1_30default_config_static_selectorELNS0_4arch9wavefront6targetE1EEEvT1_,"axG",@progbits,_ZN7rocprim17ROCPRIM_400000_NS6detail17trampoline_kernelINS0_14default_configENS1_20scan_config_selectorIN3c107complexIdEEEEZZNS1_9scan_implILNS1_25lookback_scan_determinismE0ELb0ELb0ES3_PKS7_PS7_S7_ZZZN2at6native31launch_logcumsumexp_cuda_kernelERKNSE_10TensorBaseESI_lENKUlvE_clEvENKUlvE1_clEvEUlS7_S7_E_S7_EEDaPvRmT3_T4_T5_mT6_P12ihipStream_tbENKUlT_T0_E_clISt17integral_constantIbLb1EESY_IbLb0EEEEDaSU_SV_EUlSU_E_NS1_11comp_targetILNS1_3genE4ELNS1_11target_archE910ELNS1_3gpuE8ELNS1_3repE0EEENS1_30default_config_static_selectorELNS0_4arch9wavefront6targetE1EEEvT1_,comdat
.Lfunc_end224:
	.size	_ZN7rocprim17ROCPRIM_400000_NS6detail17trampoline_kernelINS0_14default_configENS1_20scan_config_selectorIN3c107complexIdEEEEZZNS1_9scan_implILNS1_25lookback_scan_determinismE0ELb0ELb0ES3_PKS7_PS7_S7_ZZZN2at6native31launch_logcumsumexp_cuda_kernelERKNSE_10TensorBaseESI_lENKUlvE_clEvENKUlvE1_clEvEUlS7_S7_E_S7_EEDaPvRmT3_T4_T5_mT6_P12ihipStream_tbENKUlT_T0_E_clISt17integral_constantIbLb1EESY_IbLb0EEEEDaSU_SV_EUlSU_E_NS1_11comp_targetILNS1_3genE4ELNS1_11target_archE910ELNS1_3gpuE8ELNS1_3repE0EEENS1_30default_config_static_selectorELNS0_4arch9wavefront6targetE1EEEvT1_, .Lfunc_end224-_ZN7rocprim17ROCPRIM_400000_NS6detail17trampoline_kernelINS0_14default_configENS1_20scan_config_selectorIN3c107complexIdEEEEZZNS1_9scan_implILNS1_25lookback_scan_determinismE0ELb0ELb0ES3_PKS7_PS7_S7_ZZZN2at6native31launch_logcumsumexp_cuda_kernelERKNSE_10TensorBaseESI_lENKUlvE_clEvENKUlvE1_clEvEUlS7_S7_E_S7_EEDaPvRmT3_T4_T5_mT6_P12ihipStream_tbENKUlT_T0_E_clISt17integral_constantIbLb1EESY_IbLb0EEEEDaSU_SV_EUlSU_E_NS1_11comp_targetILNS1_3genE4ELNS1_11target_archE910ELNS1_3gpuE8ELNS1_3repE0EEENS1_30default_config_static_selectorELNS0_4arch9wavefront6targetE1EEEvT1_
                                        ; -- End function
	.set _ZN7rocprim17ROCPRIM_400000_NS6detail17trampoline_kernelINS0_14default_configENS1_20scan_config_selectorIN3c107complexIdEEEEZZNS1_9scan_implILNS1_25lookback_scan_determinismE0ELb0ELb0ES3_PKS7_PS7_S7_ZZZN2at6native31launch_logcumsumexp_cuda_kernelERKNSE_10TensorBaseESI_lENKUlvE_clEvENKUlvE1_clEvEUlS7_S7_E_S7_EEDaPvRmT3_T4_T5_mT6_P12ihipStream_tbENKUlT_T0_E_clISt17integral_constantIbLb1EESY_IbLb0EEEEDaSU_SV_EUlSU_E_NS1_11comp_targetILNS1_3genE4ELNS1_11target_archE910ELNS1_3gpuE8ELNS1_3repE0EEENS1_30default_config_static_selectorELNS0_4arch9wavefront6targetE1EEEvT1_.num_vgpr, 0
	.set _ZN7rocprim17ROCPRIM_400000_NS6detail17trampoline_kernelINS0_14default_configENS1_20scan_config_selectorIN3c107complexIdEEEEZZNS1_9scan_implILNS1_25lookback_scan_determinismE0ELb0ELb0ES3_PKS7_PS7_S7_ZZZN2at6native31launch_logcumsumexp_cuda_kernelERKNSE_10TensorBaseESI_lENKUlvE_clEvENKUlvE1_clEvEUlS7_S7_E_S7_EEDaPvRmT3_T4_T5_mT6_P12ihipStream_tbENKUlT_T0_E_clISt17integral_constantIbLb1EESY_IbLb0EEEEDaSU_SV_EUlSU_E_NS1_11comp_targetILNS1_3genE4ELNS1_11target_archE910ELNS1_3gpuE8ELNS1_3repE0EEENS1_30default_config_static_selectorELNS0_4arch9wavefront6targetE1EEEvT1_.num_agpr, 0
	.set _ZN7rocprim17ROCPRIM_400000_NS6detail17trampoline_kernelINS0_14default_configENS1_20scan_config_selectorIN3c107complexIdEEEEZZNS1_9scan_implILNS1_25lookback_scan_determinismE0ELb0ELb0ES3_PKS7_PS7_S7_ZZZN2at6native31launch_logcumsumexp_cuda_kernelERKNSE_10TensorBaseESI_lENKUlvE_clEvENKUlvE1_clEvEUlS7_S7_E_S7_EEDaPvRmT3_T4_T5_mT6_P12ihipStream_tbENKUlT_T0_E_clISt17integral_constantIbLb1EESY_IbLb0EEEEDaSU_SV_EUlSU_E_NS1_11comp_targetILNS1_3genE4ELNS1_11target_archE910ELNS1_3gpuE8ELNS1_3repE0EEENS1_30default_config_static_selectorELNS0_4arch9wavefront6targetE1EEEvT1_.numbered_sgpr, 0
	.set _ZN7rocprim17ROCPRIM_400000_NS6detail17trampoline_kernelINS0_14default_configENS1_20scan_config_selectorIN3c107complexIdEEEEZZNS1_9scan_implILNS1_25lookback_scan_determinismE0ELb0ELb0ES3_PKS7_PS7_S7_ZZZN2at6native31launch_logcumsumexp_cuda_kernelERKNSE_10TensorBaseESI_lENKUlvE_clEvENKUlvE1_clEvEUlS7_S7_E_S7_EEDaPvRmT3_T4_T5_mT6_P12ihipStream_tbENKUlT_T0_E_clISt17integral_constantIbLb1EESY_IbLb0EEEEDaSU_SV_EUlSU_E_NS1_11comp_targetILNS1_3genE4ELNS1_11target_archE910ELNS1_3gpuE8ELNS1_3repE0EEENS1_30default_config_static_selectorELNS0_4arch9wavefront6targetE1EEEvT1_.num_named_barrier, 0
	.set _ZN7rocprim17ROCPRIM_400000_NS6detail17trampoline_kernelINS0_14default_configENS1_20scan_config_selectorIN3c107complexIdEEEEZZNS1_9scan_implILNS1_25lookback_scan_determinismE0ELb0ELb0ES3_PKS7_PS7_S7_ZZZN2at6native31launch_logcumsumexp_cuda_kernelERKNSE_10TensorBaseESI_lENKUlvE_clEvENKUlvE1_clEvEUlS7_S7_E_S7_EEDaPvRmT3_T4_T5_mT6_P12ihipStream_tbENKUlT_T0_E_clISt17integral_constantIbLb1EESY_IbLb0EEEEDaSU_SV_EUlSU_E_NS1_11comp_targetILNS1_3genE4ELNS1_11target_archE910ELNS1_3gpuE8ELNS1_3repE0EEENS1_30default_config_static_selectorELNS0_4arch9wavefront6targetE1EEEvT1_.private_seg_size, 0
	.set _ZN7rocprim17ROCPRIM_400000_NS6detail17trampoline_kernelINS0_14default_configENS1_20scan_config_selectorIN3c107complexIdEEEEZZNS1_9scan_implILNS1_25lookback_scan_determinismE0ELb0ELb0ES3_PKS7_PS7_S7_ZZZN2at6native31launch_logcumsumexp_cuda_kernelERKNSE_10TensorBaseESI_lENKUlvE_clEvENKUlvE1_clEvEUlS7_S7_E_S7_EEDaPvRmT3_T4_T5_mT6_P12ihipStream_tbENKUlT_T0_E_clISt17integral_constantIbLb1EESY_IbLb0EEEEDaSU_SV_EUlSU_E_NS1_11comp_targetILNS1_3genE4ELNS1_11target_archE910ELNS1_3gpuE8ELNS1_3repE0EEENS1_30default_config_static_selectorELNS0_4arch9wavefront6targetE1EEEvT1_.uses_vcc, 0
	.set _ZN7rocprim17ROCPRIM_400000_NS6detail17trampoline_kernelINS0_14default_configENS1_20scan_config_selectorIN3c107complexIdEEEEZZNS1_9scan_implILNS1_25lookback_scan_determinismE0ELb0ELb0ES3_PKS7_PS7_S7_ZZZN2at6native31launch_logcumsumexp_cuda_kernelERKNSE_10TensorBaseESI_lENKUlvE_clEvENKUlvE1_clEvEUlS7_S7_E_S7_EEDaPvRmT3_T4_T5_mT6_P12ihipStream_tbENKUlT_T0_E_clISt17integral_constantIbLb1EESY_IbLb0EEEEDaSU_SV_EUlSU_E_NS1_11comp_targetILNS1_3genE4ELNS1_11target_archE910ELNS1_3gpuE8ELNS1_3repE0EEENS1_30default_config_static_selectorELNS0_4arch9wavefront6targetE1EEEvT1_.uses_flat_scratch, 0
	.set _ZN7rocprim17ROCPRIM_400000_NS6detail17trampoline_kernelINS0_14default_configENS1_20scan_config_selectorIN3c107complexIdEEEEZZNS1_9scan_implILNS1_25lookback_scan_determinismE0ELb0ELb0ES3_PKS7_PS7_S7_ZZZN2at6native31launch_logcumsumexp_cuda_kernelERKNSE_10TensorBaseESI_lENKUlvE_clEvENKUlvE1_clEvEUlS7_S7_E_S7_EEDaPvRmT3_T4_T5_mT6_P12ihipStream_tbENKUlT_T0_E_clISt17integral_constantIbLb1EESY_IbLb0EEEEDaSU_SV_EUlSU_E_NS1_11comp_targetILNS1_3genE4ELNS1_11target_archE910ELNS1_3gpuE8ELNS1_3repE0EEENS1_30default_config_static_selectorELNS0_4arch9wavefront6targetE1EEEvT1_.has_dyn_sized_stack, 0
	.set _ZN7rocprim17ROCPRIM_400000_NS6detail17trampoline_kernelINS0_14default_configENS1_20scan_config_selectorIN3c107complexIdEEEEZZNS1_9scan_implILNS1_25lookback_scan_determinismE0ELb0ELb0ES3_PKS7_PS7_S7_ZZZN2at6native31launch_logcumsumexp_cuda_kernelERKNSE_10TensorBaseESI_lENKUlvE_clEvENKUlvE1_clEvEUlS7_S7_E_S7_EEDaPvRmT3_T4_T5_mT6_P12ihipStream_tbENKUlT_T0_E_clISt17integral_constantIbLb1EESY_IbLb0EEEEDaSU_SV_EUlSU_E_NS1_11comp_targetILNS1_3genE4ELNS1_11target_archE910ELNS1_3gpuE8ELNS1_3repE0EEENS1_30default_config_static_selectorELNS0_4arch9wavefront6targetE1EEEvT1_.has_recursion, 0
	.set _ZN7rocprim17ROCPRIM_400000_NS6detail17trampoline_kernelINS0_14default_configENS1_20scan_config_selectorIN3c107complexIdEEEEZZNS1_9scan_implILNS1_25lookback_scan_determinismE0ELb0ELb0ES3_PKS7_PS7_S7_ZZZN2at6native31launch_logcumsumexp_cuda_kernelERKNSE_10TensorBaseESI_lENKUlvE_clEvENKUlvE1_clEvEUlS7_S7_E_S7_EEDaPvRmT3_T4_T5_mT6_P12ihipStream_tbENKUlT_T0_E_clISt17integral_constantIbLb1EESY_IbLb0EEEEDaSU_SV_EUlSU_E_NS1_11comp_targetILNS1_3genE4ELNS1_11target_archE910ELNS1_3gpuE8ELNS1_3repE0EEENS1_30default_config_static_selectorELNS0_4arch9wavefront6targetE1EEEvT1_.has_indirect_call, 0
	.section	.AMDGPU.csdata,"",@progbits
; Kernel info:
; codeLenInByte = 0
; TotalNumSgprs: 4
; NumVgprs: 0
; ScratchSize: 0
; MemoryBound: 0
; FloatMode: 240
; IeeeMode: 1
; LDSByteSize: 0 bytes/workgroup (compile time only)
; SGPRBlocks: 0
; VGPRBlocks: 0
; NumSGPRsForWavesPerEU: 4
; NumVGPRsForWavesPerEU: 1
; Occupancy: 10
; WaveLimiterHint : 0
; COMPUTE_PGM_RSRC2:SCRATCH_EN: 0
; COMPUTE_PGM_RSRC2:USER_SGPR: 6
; COMPUTE_PGM_RSRC2:TRAP_HANDLER: 0
; COMPUTE_PGM_RSRC2:TGID_X_EN: 1
; COMPUTE_PGM_RSRC2:TGID_Y_EN: 0
; COMPUTE_PGM_RSRC2:TGID_Z_EN: 0
; COMPUTE_PGM_RSRC2:TIDIG_COMP_CNT: 0
	.section	.text._ZN7rocprim17ROCPRIM_400000_NS6detail17trampoline_kernelINS0_14default_configENS1_20scan_config_selectorIN3c107complexIdEEEEZZNS1_9scan_implILNS1_25lookback_scan_determinismE0ELb0ELb0ES3_PKS7_PS7_S7_ZZZN2at6native31launch_logcumsumexp_cuda_kernelERKNSE_10TensorBaseESI_lENKUlvE_clEvENKUlvE1_clEvEUlS7_S7_E_S7_EEDaPvRmT3_T4_T5_mT6_P12ihipStream_tbENKUlT_T0_E_clISt17integral_constantIbLb1EESY_IbLb0EEEEDaSU_SV_EUlSU_E_NS1_11comp_targetILNS1_3genE3ELNS1_11target_archE908ELNS1_3gpuE7ELNS1_3repE0EEENS1_30default_config_static_selectorELNS0_4arch9wavefront6targetE1EEEvT1_,"axG",@progbits,_ZN7rocprim17ROCPRIM_400000_NS6detail17trampoline_kernelINS0_14default_configENS1_20scan_config_selectorIN3c107complexIdEEEEZZNS1_9scan_implILNS1_25lookback_scan_determinismE0ELb0ELb0ES3_PKS7_PS7_S7_ZZZN2at6native31launch_logcumsumexp_cuda_kernelERKNSE_10TensorBaseESI_lENKUlvE_clEvENKUlvE1_clEvEUlS7_S7_E_S7_EEDaPvRmT3_T4_T5_mT6_P12ihipStream_tbENKUlT_T0_E_clISt17integral_constantIbLb1EESY_IbLb0EEEEDaSU_SV_EUlSU_E_NS1_11comp_targetILNS1_3genE3ELNS1_11target_archE908ELNS1_3gpuE7ELNS1_3repE0EEENS1_30default_config_static_selectorELNS0_4arch9wavefront6targetE1EEEvT1_,comdat
	.globl	_ZN7rocprim17ROCPRIM_400000_NS6detail17trampoline_kernelINS0_14default_configENS1_20scan_config_selectorIN3c107complexIdEEEEZZNS1_9scan_implILNS1_25lookback_scan_determinismE0ELb0ELb0ES3_PKS7_PS7_S7_ZZZN2at6native31launch_logcumsumexp_cuda_kernelERKNSE_10TensorBaseESI_lENKUlvE_clEvENKUlvE1_clEvEUlS7_S7_E_S7_EEDaPvRmT3_T4_T5_mT6_P12ihipStream_tbENKUlT_T0_E_clISt17integral_constantIbLb1EESY_IbLb0EEEEDaSU_SV_EUlSU_E_NS1_11comp_targetILNS1_3genE3ELNS1_11target_archE908ELNS1_3gpuE7ELNS1_3repE0EEENS1_30default_config_static_selectorELNS0_4arch9wavefront6targetE1EEEvT1_ ; -- Begin function _ZN7rocprim17ROCPRIM_400000_NS6detail17trampoline_kernelINS0_14default_configENS1_20scan_config_selectorIN3c107complexIdEEEEZZNS1_9scan_implILNS1_25lookback_scan_determinismE0ELb0ELb0ES3_PKS7_PS7_S7_ZZZN2at6native31launch_logcumsumexp_cuda_kernelERKNSE_10TensorBaseESI_lENKUlvE_clEvENKUlvE1_clEvEUlS7_S7_E_S7_EEDaPvRmT3_T4_T5_mT6_P12ihipStream_tbENKUlT_T0_E_clISt17integral_constantIbLb1EESY_IbLb0EEEEDaSU_SV_EUlSU_E_NS1_11comp_targetILNS1_3genE3ELNS1_11target_archE908ELNS1_3gpuE7ELNS1_3repE0EEENS1_30default_config_static_selectorELNS0_4arch9wavefront6targetE1EEEvT1_
	.p2align	8
	.type	_ZN7rocprim17ROCPRIM_400000_NS6detail17trampoline_kernelINS0_14default_configENS1_20scan_config_selectorIN3c107complexIdEEEEZZNS1_9scan_implILNS1_25lookback_scan_determinismE0ELb0ELb0ES3_PKS7_PS7_S7_ZZZN2at6native31launch_logcumsumexp_cuda_kernelERKNSE_10TensorBaseESI_lENKUlvE_clEvENKUlvE1_clEvEUlS7_S7_E_S7_EEDaPvRmT3_T4_T5_mT6_P12ihipStream_tbENKUlT_T0_E_clISt17integral_constantIbLb1EESY_IbLb0EEEEDaSU_SV_EUlSU_E_NS1_11comp_targetILNS1_3genE3ELNS1_11target_archE908ELNS1_3gpuE7ELNS1_3repE0EEENS1_30default_config_static_selectorELNS0_4arch9wavefront6targetE1EEEvT1_,@function
_ZN7rocprim17ROCPRIM_400000_NS6detail17trampoline_kernelINS0_14default_configENS1_20scan_config_selectorIN3c107complexIdEEEEZZNS1_9scan_implILNS1_25lookback_scan_determinismE0ELb0ELb0ES3_PKS7_PS7_S7_ZZZN2at6native31launch_logcumsumexp_cuda_kernelERKNSE_10TensorBaseESI_lENKUlvE_clEvENKUlvE1_clEvEUlS7_S7_E_S7_EEDaPvRmT3_T4_T5_mT6_P12ihipStream_tbENKUlT_T0_E_clISt17integral_constantIbLb1EESY_IbLb0EEEEDaSU_SV_EUlSU_E_NS1_11comp_targetILNS1_3genE3ELNS1_11target_archE908ELNS1_3gpuE7ELNS1_3repE0EEENS1_30default_config_static_selectorELNS0_4arch9wavefront6targetE1EEEvT1_: ; @_ZN7rocprim17ROCPRIM_400000_NS6detail17trampoline_kernelINS0_14default_configENS1_20scan_config_selectorIN3c107complexIdEEEEZZNS1_9scan_implILNS1_25lookback_scan_determinismE0ELb0ELb0ES3_PKS7_PS7_S7_ZZZN2at6native31launch_logcumsumexp_cuda_kernelERKNSE_10TensorBaseESI_lENKUlvE_clEvENKUlvE1_clEvEUlS7_S7_E_S7_EEDaPvRmT3_T4_T5_mT6_P12ihipStream_tbENKUlT_T0_E_clISt17integral_constantIbLb1EESY_IbLb0EEEEDaSU_SV_EUlSU_E_NS1_11comp_targetILNS1_3genE3ELNS1_11target_archE908ELNS1_3gpuE7ELNS1_3repE0EEENS1_30default_config_static_selectorELNS0_4arch9wavefront6targetE1EEEvT1_
; %bb.0:
	.section	.rodata,"a",@progbits
	.p2align	6, 0x0
	.amdhsa_kernel _ZN7rocprim17ROCPRIM_400000_NS6detail17trampoline_kernelINS0_14default_configENS1_20scan_config_selectorIN3c107complexIdEEEEZZNS1_9scan_implILNS1_25lookback_scan_determinismE0ELb0ELb0ES3_PKS7_PS7_S7_ZZZN2at6native31launch_logcumsumexp_cuda_kernelERKNSE_10TensorBaseESI_lENKUlvE_clEvENKUlvE1_clEvEUlS7_S7_E_S7_EEDaPvRmT3_T4_T5_mT6_P12ihipStream_tbENKUlT_T0_E_clISt17integral_constantIbLb1EESY_IbLb0EEEEDaSU_SV_EUlSU_E_NS1_11comp_targetILNS1_3genE3ELNS1_11target_archE908ELNS1_3gpuE7ELNS1_3repE0EEENS1_30default_config_static_selectorELNS0_4arch9wavefront6targetE1EEEvT1_
		.amdhsa_group_segment_fixed_size 0
		.amdhsa_private_segment_fixed_size 0
		.amdhsa_kernarg_size 128
		.amdhsa_user_sgpr_count 6
		.amdhsa_user_sgpr_private_segment_buffer 1
		.amdhsa_user_sgpr_dispatch_ptr 0
		.amdhsa_user_sgpr_queue_ptr 0
		.amdhsa_user_sgpr_kernarg_segment_ptr 1
		.amdhsa_user_sgpr_dispatch_id 0
		.amdhsa_user_sgpr_flat_scratch_init 0
		.amdhsa_user_sgpr_private_segment_size 0
		.amdhsa_uses_dynamic_stack 0
		.amdhsa_system_sgpr_private_segment_wavefront_offset 0
		.amdhsa_system_sgpr_workgroup_id_x 1
		.amdhsa_system_sgpr_workgroup_id_y 0
		.amdhsa_system_sgpr_workgroup_id_z 0
		.amdhsa_system_sgpr_workgroup_info 0
		.amdhsa_system_vgpr_workitem_id 0
		.amdhsa_next_free_vgpr 1
		.amdhsa_next_free_sgpr 0
		.amdhsa_reserve_vcc 0
		.amdhsa_reserve_flat_scratch 0
		.amdhsa_float_round_mode_32 0
		.amdhsa_float_round_mode_16_64 0
		.amdhsa_float_denorm_mode_32 3
		.amdhsa_float_denorm_mode_16_64 3
		.amdhsa_dx10_clamp 1
		.amdhsa_ieee_mode 1
		.amdhsa_fp16_overflow 0
		.amdhsa_exception_fp_ieee_invalid_op 0
		.amdhsa_exception_fp_denorm_src 0
		.amdhsa_exception_fp_ieee_div_zero 0
		.amdhsa_exception_fp_ieee_overflow 0
		.amdhsa_exception_fp_ieee_underflow 0
		.amdhsa_exception_fp_ieee_inexact 0
		.amdhsa_exception_int_div_zero 0
	.end_amdhsa_kernel
	.section	.text._ZN7rocprim17ROCPRIM_400000_NS6detail17trampoline_kernelINS0_14default_configENS1_20scan_config_selectorIN3c107complexIdEEEEZZNS1_9scan_implILNS1_25lookback_scan_determinismE0ELb0ELb0ES3_PKS7_PS7_S7_ZZZN2at6native31launch_logcumsumexp_cuda_kernelERKNSE_10TensorBaseESI_lENKUlvE_clEvENKUlvE1_clEvEUlS7_S7_E_S7_EEDaPvRmT3_T4_T5_mT6_P12ihipStream_tbENKUlT_T0_E_clISt17integral_constantIbLb1EESY_IbLb0EEEEDaSU_SV_EUlSU_E_NS1_11comp_targetILNS1_3genE3ELNS1_11target_archE908ELNS1_3gpuE7ELNS1_3repE0EEENS1_30default_config_static_selectorELNS0_4arch9wavefront6targetE1EEEvT1_,"axG",@progbits,_ZN7rocprim17ROCPRIM_400000_NS6detail17trampoline_kernelINS0_14default_configENS1_20scan_config_selectorIN3c107complexIdEEEEZZNS1_9scan_implILNS1_25lookback_scan_determinismE0ELb0ELb0ES3_PKS7_PS7_S7_ZZZN2at6native31launch_logcumsumexp_cuda_kernelERKNSE_10TensorBaseESI_lENKUlvE_clEvENKUlvE1_clEvEUlS7_S7_E_S7_EEDaPvRmT3_T4_T5_mT6_P12ihipStream_tbENKUlT_T0_E_clISt17integral_constantIbLb1EESY_IbLb0EEEEDaSU_SV_EUlSU_E_NS1_11comp_targetILNS1_3genE3ELNS1_11target_archE908ELNS1_3gpuE7ELNS1_3repE0EEENS1_30default_config_static_selectorELNS0_4arch9wavefront6targetE1EEEvT1_,comdat
.Lfunc_end225:
	.size	_ZN7rocprim17ROCPRIM_400000_NS6detail17trampoline_kernelINS0_14default_configENS1_20scan_config_selectorIN3c107complexIdEEEEZZNS1_9scan_implILNS1_25lookback_scan_determinismE0ELb0ELb0ES3_PKS7_PS7_S7_ZZZN2at6native31launch_logcumsumexp_cuda_kernelERKNSE_10TensorBaseESI_lENKUlvE_clEvENKUlvE1_clEvEUlS7_S7_E_S7_EEDaPvRmT3_T4_T5_mT6_P12ihipStream_tbENKUlT_T0_E_clISt17integral_constantIbLb1EESY_IbLb0EEEEDaSU_SV_EUlSU_E_NS1_11comp_targetILNS1_3genE3ELNS1_11target_archE908ELNS1_3gpuE7ELNS1_3repE0EEENS1_30default_config_static_selectorELNS0_4arch9wavefront6targetE1EEEvT1_, .Lfunc_end225-_ZN7rocprim17ROCPRIM_400000_NS6detail17trampoline_kernelINS0_14default_configENS1_20scan_config_selectorIN3c107complexIdEEEEZZNS1_9scan_implILNS1_25lookback_scan_determinismE0ELb0ELb0ES3_PKS7_PS7_S7_ZZZN2at6native31launch_logcumsumexp_cuda_kernelERKNSE_10TensorBaseESI_lENKUlvE_clEvENKUlvE1_clEvEUlS7_S7_E_S7_EEDaPvRmT3_T4_T5_mT6_P12ihipStream_tbENKUlT_T0_E_clISt17integral_constantIbLb1EESY_IbLb0EEEEDaSU_SV_EUlSU_E_NS1_11comp_targetILNS1_3genE3ELNS1_11target_archE908ELNS1_3gpuE7ELNS1_3repE0EEENS1_30default_config_static_selectorELNS0_4arch9wavefront6targetE1EEEvT1_
                                        ; -- End function
	.set _ZN7rocprim17ROCPRIM_400000_NS6detail17trampoline_kernelINS0_14default_configENS1_20scan_config_selectorIN3c107complexIdEEEEZZNS1_9scan_implILNS1_25lookback_scan_determinismE0ELb0ELb0ES3_PKS7_PS7_S7_ZZZN2at6native31launch_logcumsumexp_cuda_kernelERKNSE_10TensorBaseESI_lENKUlvE_clEvENKUlvE1_clEvEUlS7_S7_E_S7_EEDaPvRmT3_T4_T5_mT6_P12ihipStream_tbENKUlT_T0_E_clISt17integral_constantIbLb1EESY_IbLb0EEEEDaSU_SV_EUlSU_E_NS1_11comp_targetILNS1_3genE3ELNS1_11target_archE908ELNS1_3gpuE7ELNS1_3repE0EEENS1_30default_config_static_selectorELNS0_4arch9wavefront6targetE1EEEvT1_.num_vgpr, 0
	.set _ZN7rocprim17ROCPRIM_400000_NS6detail17trampoline_kernelINS0_14default_configENS1_20scan_config_selectorIN3c107complexIdEEEEZZNS1_9scan_implILNS1_25lookback_scan_determinismE0ELb0ELb0ES3_PKS7_PS7_S7_ZZZN2at6native31launch_logcumsumexp_cuda_kernelERKNSE_10TensorBaseESI_lENKUlvE_clEvENKUlvE1_clEvEUlS7_S7_E_S7_EEDaPvRmT3_T4_T5_mT6_P12ihipStream_tbENKUlT_T0_E_clISt17integral_constantIbLb1EESY_IbLb0EEEEDaSU_SV_EUlSU_E_NS1_11comp_targetILNS1_3genE3ELNS1_11target_archE908ELNS1_3gpuE7ELNS1_3repE0EEENS1_30default_config_static_selectorELNS0_4arch9wavefront6targetE1EEEvT1_.num_agpr, 0
	.set _ZN7rocprim17ROCPRIM_400000_NS6detail17trampoline_kernelINS0_14default_configENS1_20scan_config_selectorIN3c107complexIdEEEEZZNS1_9scan_implILNS1_25lookback_scan_determinismE0ELb0ELb0ES3_PKS7_PS7_S7_ZZZN2at6native31launch_logcumsumexp_cuda_kernelERKNSE_10TensorBaseESI_lENKUlvE_clEvENKUlvE1_clEvEUlS7_S7_E_S7_EEDaPvRmT3_T4_T5_mT6_P12ihipStream_tbENKUlT_T0_E_clISt17integral_constantIbLb1EESY_IbLb0EEEEDaSU_SV_EUlSU_E_NS1_11comp_targetILNS1_3genE3ELNS1_11target_archE908ELNS1_3gpuE7ELNS1_3repE0EEENS1_30default_config_static_selectorELNS0_4arch9wavefront6targetE1EEEvT1_.numbered_sgpr, 0
	.set _ZN7rocprim17ROCPRIM_400000_NS6detail17trampoline_kernelINS0_14default_configENS1_20scan_config_selectorIN3c107complexIdEEEEZZNS1_9scan_implILNS1_25lookback_scan_determinismE0ELb0ELb0ES3_PKS7_PS7_S7_ZZZN2at6native31launch_logcumsumexp_cuda_kernelERKNSE_10TensorBaseESI_lENKUlvE_clEvENKUlvE1_clEvEUlS7_S7_E_S7_EEDaPvRmT3_T4_T5_mT6_P12ihipStream_tbENKUlT_T0_E_clISt17integral_constantIbLb1EESY_IbLb0EEEEDaSU_SV_EUlSU_E_NS1_11comp_targetILNS1_3genE3ELNS1_11target_archE908ELNS1_3gpuE7ELNS1_3repE0EEENS1_30default_config_static_selectorELNS0_4arch9wavefront6targetE1EEEvT1_.num_named_barrier, 0
	.set _ZN7rocprim17ROCPRIM_400000_NS6detail17trampoline_kernelINS0_14default_configENS1_20scan_config_selectorIN3c107complexIdEEEEZZNS1_9scan_implILNS1_25lookback_scan_determinismE0ELb0ELb0ES3_PKS7_PS7_S7_ZZZN2at6native31launch_logcumsumexp_cuda_kernelERKNSE_10TensorBaseESI_lENKUlvE_clEvENKUlvE1_clEvEUlS7_S7_E_S7_EEDaPvRmT3_T4_T5_mT6_P12ihipStream_tbENKUlT_T0_E_clISt17integral_constantIbLb1EESY_IbLb0EEEEDaSU_SV_EUlSU_E_NS1_11comp_targetILNS1_3genE3ELNS1_11target_archE908ELNS1_3gpuE7ELNS1_3repE0EEENS1_30default_config_static_selectorELNS0_4arch9wavefront6targetE1EEEvT1_.private_seg_size, 0
	.set _ZN7rocprim17ROCPRIM_400000_NS6detail17trampoline_kernelINS0_14default_configENS1_20scan_config_selectorIN3c107complexIdEEEEZZNS1_9scan_implILNS1_25lookback_scan_determinismE0ELb0ELb0ES3_PKS7_PS7_S7_ZZZN2at6native31launch_logcumsumexp_cuda_kernelERKNSE_10TensorBaseESI_lENKUlvE_clEvENKUlvE1_clEvEUlS7_S7_E_S7_EEDaPvRmT3_T4_T5_mT6_P12ihipStream_tbENKUlT_T0_E_clISt17integral_constantIbLb1EESY_IbLb0EEEEDaSU_SV_EUlSU_E_NS1_11comp_targetILNS1_3genE3ELNS1_11target_archE908ELNS1_3gpuE7ELNS1_3repE0EEENS1_30default_config_static_selectorELNS0_4arch9wavefront6targetE1EEEvT1_.uses_vcc, 0
	.set _ZN7rocprim17ROCPRIM_400000_NS6detail17trampoline_kernelINS0_14default_configENS1_20scan_config_selectorIN3c107complexIdEEEEZZNS1_9scan_implILNS1_25lookback_scan_determinismE0ELb0ELb0ES3_PKS7_PS7_S7_ZZZN2at6native31launch_logcumsumexp_cuda_kernelERKNSE_10TensorBaseESI_lENKUlvE_clEvENKUlvE1_clEvEUlS7_S7_E_S7_EEDaPvRmT3_T4_T5_mT6_P12ihipStream_tbENKUlT_T0_E_clISt17integral_constantIbLb1EESY_IbLb0EEEEDaSU_SV_EUlSU_E_NS1_11comp_targetILNS1_3genE3ELNS1_11target_archE908ELNS1_3gpuE7ELNS1_3repE0EEENS1_30default_config_static_selectorELNS0_4arch9wavefront6targetE1EEEvT1_.uses_flat_scratch, 0
	.set _ZN7rocprim17ROCPRIM_400000_NS6detail17trampoline_kernelINS0_14default_configENS1_20scan_config_selectorIN3c107complexIdEEEEZZNS1_9scan_implILNS1_25lookback_scan_determinismE0ELb0ELb0ES3_PKS7_PS7_S7_ZZZN2at6native31launch_logcumsumexp_cuda_kernelERKNSE_10TensorBaseESI_lENKUlvE_clEvENKUlvE1_clEvEUlS7_S7_E_S7_EEDaPvRmT3_T4_T5_mT6_P12ihipStream_tbENKUlT_T0_E_clISt17integral_constantIbLb1EESY_IbLb0EEEEDaSU_SV_EUlSU_E_NS1_11comp_targetILNS1_3genE3ELNS1_11target_archE908ELNS1_3gpuE7ELNS1_3repE0EEENS1_30default_config_static_selectorELNS0_4arch9wavefront6targetE1EEEvT1_.has_dyn_sized_stack, 0
	.set _ZN7rocprim17ROCPRIM_400000_NS6detail17trampoline_kernelINS0_14default_configENS1_20scan_config_selectorIN3c107complexIdEEEEZZNS1_9scan_implILNS1_25lookback_scan_determinismE0ELb0ELb0ES3_PKS7_PS7_S7_ZZZN2at6native31launch_logcumsumexp_cuda_kernelERKNSE_10TensorBaseESI_lENKUlvE_clEvENKUlvE1_clEvEUlS7_S7_E_S7_EEDaPvRmT3_T4_T5_mT6_P12ihipStream_tbENKUlT_T0_E_clISt17integral_constantIbLb1EESY_IbLb0EEEEDaSU_SV_EUlSU_E_NS1_11comp_targetILNS1_3genE3ELNS1_11target_archE908ELNS1_3gpuE7ELNS1_3repE0EEENS1_30default_config_static_selectorELNS0_4arch9wavefront6targetE1EEEvT1_.has_recursion, 0
	.set _ZN7rocprim17ROCPRIM_400000_NS6detail17trampoline_kernelINS0_14default_configENS1_20scan_config_selectorIN3c107complexIdEEEEZZNS1_9scan_implILNS1_25lookback_scan_determinismE0ELb0ELb0ES3_PKS7_PS7_S7_ZZZN2at6native31launch_logcumsumexp_cuda_kernelERKNSE_10TensorBaseESI_lENKUlvE_clEvENKUlvE1_clEvEUlS7_S7_E_S7_EEDaPvRmT3_T4_T5_mT6_P12ihipStream_tbENKUlT_T0_E_clISt17integral_constantIbLb1EESY_IbLb0EEEEDaSU_SV_EUlSU_E_NS1_11comp_targetILNS1_3genE3ELNS1_11target_archE908ELNS1_3gpuE7ELNS1_3repE0EEENS1_30default_config_static_selectorELNS0_4arch9wavefront6targetE1EEEvT1_.has_indirect_call, 0
	.section	.AMDGPU.csdata,"",@progbits
; Kernel info:
; codeLenInByte = 0
; TotalNumSgprs: 4
; NumVgprs: 0
; ScratchSize: 0
; MemoryBound: 0
; FloatMode: 240
; IeeeMode: 1
; LDSByteSize: 0 bytes/workgroup (compile time only)
; SGPRBlocks: 0
; VGPRBlocks: 0
; NumSGPRsForWavesPerEU: 4
; NumVGPRsForWavesPerEU: 1
; Occupancy: 10
; WaveLimiterHint : 0
; COMPUTE_PGM_RSRC2:SCRATCH_EN: 0
; COMPUTE_PGM_RSRC2:USER_SGPR: 6
; COMPUTE_PGM_RSRC2:TRAP_HANDLER: 0
; COMPUTE_PGM_RSRC2:TGID_X_EN: 1
; COMPUTE_PGM_RSRC2:TGID_Y_EN: 0
; COMPUTE_PGM_RSRC2:TGID_Z_EN: 0
; COMPUTE_PGM_RSRC2:TIDIG_COMP_CNT: 0
	.section	.text._ZN7rocprim17ROCPRIM_400000_NS6detail17trampoline_kernelINS0_14default_configENS1_20scan_config_selectorIN3c107complexIdEEEEZZNS1_9scan_implILNS1_25lookback_scan_determinismE0ELb0ELb0ES3_PKS7_PS7_S7_ZZZN2at6native31launch_logcumsumexp_cuda_kernelERKNSE_10TensorBaseESI_lENKUlvE_clEvENKUlvE1_clEvEUlS7_S7_E_S7_EEDaPvRmT3_T4_T5_mT6_P12ihipStream_tbENKUlT_T0_E_clISt17integral_constantIbLb1EESY_IbLb0EEEEDaSU_SV_EUlSU_E_NS1_11comp_targetILNS1_3genE2ELNS1_11target_archE906ELNS1_3gpuE6ELNS1_3repE0EEENS1_30default_config_static_selectorELNS0_4arch9wavefront6targetE1EEEvT1_,"axG",@progbits,_ZN7rocprim17ROCPRIM_400000_NS6detail17trampoline_kernelINS0_14default_configENS1_20scan_config_selectorIN3c107complexIdEEEEZZNS1_9scan_implILNS1_25lookback_scan_determinismE0ELb0ELb0ES3_PKS7_PS7_S7_ZZZN2at6native31launch_logcumsumexp_cuda_kernelERKNSE_10TensorBaseESI_lENKUlvE_clEvENKUlvE1_clEvEUlS7_S7_E_S7_EEDaPvRmT3_T4_T5_mT6_P12ihipStream_tbENKUlT_T0_E_clISt17integral_constantIbLb1EESY_IbLb0EEEEDaSU_SV_EUlSU_E_NS1_11comp_targetILNS1_3genE2ELNS1_11target_archE906ELNS1_3gpuE6ELNS1_3repE0EEENS1_30default_config_static_selectorELNS0_4arch9wavefront6targetE1EEEvT1_,comdat
	.globl	_ZN7rocprim17ROCPRIM_400000_NS6detail17trampoline_kernelINS0_14default_configENS1_20scan_config_selectorIN3c107complexIdEEEEZZNS1_9scan_implILNS1_25lookback_scan_determinismE0ELb0ELb0ES3_PKS7_PS7_S7_ZZZN2at6native31launch_logcumsumexp_cuda_kernelERKNSE_10TensorBaseESI_lENKUlvE_clEvENKUlvE1_clEvEUlS7_S7_E_S7_EEDaPvRmT3_T4_T5_mT6_P12ihipStream_tbENKUlT_T0_E_clISt17integral_constantIbLb1EESY_IbLb0EEEEDaSU_SV_EUlSU_E_NS1_11comp_targetILNS1_3genE2ELNS1_11target_archE906ELNS1_3gpuE6ELNS1_3repE0EEENS1_30default_config_static_selectorELNS0_4arch9wavefront6targetE1EEEvT1_ ; -- Begin function _ZN7rocprim17ROCPRIM_400000_NS6detail17trampoline_kernelINS0_14default_configENS1_20scan_config_selectorIN3c107complexIdEEEEZZNS1_9scan_implILNS1_25lookback_scan_determinismE0ELb0ELb0ES3_PKS7_PS7_S7_ZZZN2at6native31launch_logcumsumexp_cuda_kernelERKNSE_10TensorBaseESI_lENKUlvE_clEvENKUlvE1_clEvEUlS7_S7_E_S7_EEDaPvRmT3_T4_T5_mT6_P12ihipStream_tbENKUlT_T0_E_clISt17integral_constantIbLb1EESY_IbLb0EEEEDaSU_SV_EUlSU_E_NS1_11comp_targetILNS1_3genE2ELNS1_11target_archE906ELNS1_3gpuE6ELNS1_3repE0EEENS1_30default_config_static_selectorELNS0_4arch9wavefront6targetE1EEEvT1_
	.p2align	8
	.type	_ZN7rocprim17ROCPRIM_400000_NS6detail17trampoline_kernelINS0_14default_configENS1_20scan_config_selectorIN3c107complexIdEEEEZZNS1_9scan_implILNS1_25lookback_scan_determinismE0ELb0ELb0ES3_PKS7_PS7_S7_ZZZN2at6native31launch_logcumsumexp_cuda_kernelERKNSE_10TensorBaseESI_lENKUlvE_clEvENKUlvE1_clEvEUlS7_S7_E_S7_EEDaPvRmT3_T4_T5_mT6_P12ihipStream_tbENKUlT_T0_E_clISt17integral_constantIbLb1EESY_IbLb0EEEEDaSU_SV_EUlSU_E_NS1_11comp_targetILNS1_3genE2ELNS1_11target_archE906ELNS1_3gpuE6ELNS1_3repE0EEENS1_30default_config_static_selectorELNS0_4arch9wavefront6targetE1EEEvT1_,@function
_ZN7rocprim17ROCPRIM_400000_NS6detail17trampoline_kernelINS0_14default_configENS1_20scan_config_selectorIN3c107complexIdEEEEZZNS1_9scan_implILNS1_25lookback_scan_determinismE0ELb0ELb0ES3_PKS7_PS7_S7_ZZZN2at6native31launch_logcumsumexp_cuda_kernelERKNSE_10TensorBaseESI_lENKUlvE_clEvENKUlvE1_clEvEUlS7_S7_E_S7_EEDaPvRmT3_T4_T5_mT6_P12ihipStream_tbENKUlT_T0_E_clISt17integral_constantIbLb1EESY_IbLb0EEEEDaSU_SV_EUlSU_E_NS1_11comp_targetILNS1_3genE2ELNS1_11target_archE906ELNS1_3gpuE6ELNS1_3repE0EEENS1_30default_config_static_selectorELNS0_4arch9wavefront6targetE1EEEvT1_: ; @_ZN7rocprim17ROCPRIM_400000_NS6detail17trampoline_kernelINS0_14default_configENS1_20scan_config_selectorIN3c107complexIdEEEEZZNS1_9scan_implILNS1_25lookback_scan_determinismE0ELb0ELb0ES3_PKS7_PS7_S7_ZZZN2at6native31launch_logcumsumexp_cuda_kernelERKNSE_10TensorBaseESI_lENKUlvE_clEvENKUlvE1_clEvEUlS7_S7_E_S7_EEDaPvRmT3_T4_T5_mT6_P12ihipStream_tbENKUlT_T0_E_clISt17integral_constantIbLb1EESY_IbLb0EEEEDaSU_SV_EUlSU_E_NS1_11comp_targetILNS1_3genE2ELNS1_11target_archE906ELNS1_3gpuE6ELNS1_3repE0EEENS1_30default_config_static_selectorELNS0_4arch9wavefront6targetE1EEEvT1_
; %bb.0:
	s_endpgm
	.section	.rodata,"a",@progbits
	.p2align	6, 0x0
	.amdhsa_kernel _ZN7rocprim17ROCPRIM_400000_NS6detail17trampoline_kernelINS0_14default_configENS1_20scan_config_selectorIN3c107complexIdEEEEZZNS1_9scan_implILNS1_25lookback_scan_determinismE0ELb0ELb0ES3_PKS7_PS7_S7_ZZZN2at6native31launch_logcumsumexp_cuda_kernelERKNSE_10TensorBaseESI_lENKUlvE_clEvENKUlvE1_clEvEUlS7_S7_E_S7_EEDaPvRmT3_T4_T5_mT6_P12ihipStream_tbENKUlT_T0_E_clISt17integral_constantIbLb1EESY_IbLb0EEEEDaSU_SV_EUlSU_E_NS1_11comp_targetILNS1_3genE2ELNS1_11target_archE906ELNS1_3gpuE6ELNS1_3repE0EEENS1_30default_config_static_selectorELNS0_4arch9wavefront6targetE1EEEvT1_
		.amdhsa_group_segment_fixed_size 0
		.amdhsa_private_segment_fixed_size 0
		.amdhsa_kernarg_size 128
		.amdhsa_user_sgpr_count 6
		.amdhsa_user_sgpr_private_segment_buffer 1
		.amdhsa_user_sgpr_dispatch_ptr 0
		.amdhsa_user_sgpr_queue_ptr 0
		.amdhsa_user_sgpr_kernarg_segment_ptr 1
		.amdhsa_user_sgpr_dispatch_id 0
		.amdhsa_user_sgpr_flat_scratch_init 0
		.amdhsa_user_sgpr_private_segment_size 0
		.amdhsa_uses_dynamic_stack 0
		.amdhsa_system_sgpr_private_segment_wavefront_offset 0
		.amdhsa_system_sgpr_workgroup_id_x 1
		.amdhsa_system_sgpr_workgroup_id_y 0
		.amdhsa_system_sgpr_workgroup_id_z 0
		.amdhsa_system_sgpr_workgroup_info 0
		.amdhsa_system_vgpr_workitem_id 0
		.amdhsa_next_free_vgpr 1
		.amdhsa_next_free_sgpr 0
		.amdhsa_reserve_vcc 0
		.amdhsa_reserve_flat_scratch 0
		.amdhsa_float_round_mode_32 0
		.amdhsa_float_round_mode_16_64 0
		.amdhsa_float_denorm_mode_32 3
		.amdhsa_float_denorm_mode_16_64 3
		.amdhsa_dx10_clamp 1
		.amdhsa_ieee_mode 1
		.amdhsa_fp16_overflow 0
		.amdhsa_exception_fp_ieee_invalid_op 0
		.amdhsa_exception_fp_denorm_src 0
		.amdhsa_exception_fp_ieee_div_zero 0
		.amdhsa_exception_fp_ieee_overflow 0
		.amdhsa_exception_fp_ieee_underflow 0
		.amdhsa_exception_fp_ieee_inexact 0
		.amdhsa_exception_int_div_zero 0
	.end_amdhsa_kernel
	.section	.text._ZN7rocprim17ROCPRIM_400000_NS6detail17trampoline_kernelINS0_14default_configENS1_20scan_config_selectorIN3c107complexIdEEEEZZNS1_9scan_implILNS1_25lookback_scan_determinismE0ELb0ELb0ES3_PKS7_PS7_S7_ZZZN2at6native31launch_logcumsumexp_cuda_kernelERKNSE_10TensorBaseESI_lENKUlvE_clEvENKUlvE1_clEvEUlS7_S7_E_S7_EEDaPvRmT3_T4_T5_mT6_P12ihipStream_tbENKUlT_T0_E_clISt17integral_constantIbLb1EESY_IbLb0EEEEDaSU_SV_EUlSU_E_NS1_11comp_targetILNS1_3genE2ELNS1_11target_archE906ELNS1_3gpuE6ELNS1_3repE0EEENS1_30default_config_static_selectorELNS0_4arch9wavefront6targetE1EEEvT1_,"axG",@progbits,_ZN7rocprim17ROCPRIM_400000_NS6detail17trampoline_kernelINS0_14default_configENS1_20scan_config_selectorIN3c107complexIdEEEEZZNS1_9scan_implILNS1_25lookback_scan_determinismE0ELb0ELb0ES3_PKS7_PS7_S7_ZZZN2at6native31launch_logcumsumexp_cuda_kernelERKNSE_10TensorBaseESI_lENKUlvE_clEvENKUlvE1_clEvEUlS7_S7_E_S7_EEDaPvRmT3_T4_T5_mT6_P12ihipStream_tbENKUlT_T0_E_clISt17integral_constantIbLb1EESY_IbLb0EEEEDaSU_SV_EUlSU_E_NS1_11comp_targetILNS1_3genE2ELNS1_11target_archE906ELNS1_3gpuE6ELNS1_3repE0EEENS1_30default_config_static_selectorELNS0_4arch9wavefront6targetE1EEEvT1_,comdat
.Lfunc_end226:
	.size	_ZN7rocprim17ROCPRIM_400000_NS6detail17trampoline_kernelINS0_14default_configENS1_20scan_config_selectorIN3c107complexIdEEEEZZNS1_9scan_implILNS1_25lookback_scan_determinismE0ELb0ELb0ES3_PKS7_PS7_S7_ZZZN2at6native31launch_logcumsumexp_cuda_kernelERKNSE_10TensorBaseESI_lENKUlvE_clEvENKUlvE1_clEvEUlS7_S7_E_S7_EEDaPvRmT3_T4_T5_mT6_P12ihipStream_tbENKUlT_T0_E_clISt17integral_constantIbLb1EESY_IbLb0EEEEDaSU_SV_EUlSU_E_NS1_11comp_targetILNS1_3genE2ELNS1_11target_archE906ELNS1_3gpuE6ELNS1_3repE0EEENS1_30default_config_static_selectorELNS0_4arch9wavefront6targetE1EEEvT1_, .Lfunc_end226-_ZN7rocprim17ROCPRIM_400000_NS6detail17trampoline_kernelINS0_14default_configENS1_20scan_config_selectorIN3c107complexIdEEEEZZNS1_9scan_implILNS1_25lookback_scan_determinismE0ELb0ELb0ES3_PKS7_PS7_S7_ZZZN2at6native31launch_logcumsumexp_cuda_kernelERKNSE_10TensorBaseESI_lENKUlvE_clEvENKUlvE1_clEvEUlS7_S7_E_S7_EEDaPvRmT3_T4_T5_mT6_P12ihipStream_tbENKUlT_T0_E_clISt17integral_constantIbLb1EESY_IbLb0EEEEDaSU_SV_EUlSU_E_NS1_11comp_targetILNS1_3genE2ELNS1_11target_archE906ELNS1_3gpuE6ELNS1_3repE0EEENS1_30default_config_static_selectorELNS0_4arch9wavefront6targetE1EEEvT1_
                                        ; -- End function
	.set _ZN7rocprim17ROCPRIM_400000_NS6detail17trampoline_kernelINS0_14default_configENS1_20scan_config_selectorIN3c107complexIdEEEEZZNS1_9scan_implILNS1_25lookback_scan_determinismE0ELb0ELb0ES3_PKS7_PS7_S7_ZZZN2at6native31launch_logcumsumexp_cuda_kernelERKNSE_10TensorBaseESI_lENKUlvE_clEvENKUlvE1_clEvEUlS7_S7_E_S7_EEDaPvRmT3_T4_T5_mT6_P12ihipStream_tbENKUlT_T0_E_clISt17integral_constantIbLb1EESY_IbLb0EEEEDaSU_SV_EUlSU_E_NS1_11comp_targetILNS1_3genE2ELNS1_11target_archE906ELNS1_3gpuE6ELNS1_3repE0EEENS1_30default_config_static_selectorELNS0_4arch9wavefront6targetE1EEEvT1_.num_vgpr, 0
	.set _ZN7rocprim17ROCPRIM_400000_NS6detail17trampoline_kernelINS0_14default_configENS1_20scan_config_selectorIN3c107complexIdEEEEZZNS1_9scan_implILNS1_25lookback_scan_determinismE0ELb0ELb0ES3_PKS7_PS7_S7_ZZZN2at6native31launch_logcumsumexp_cuda_kernelERKNSE_10TensorBaseESI_lENKUlvE_clEvENKUlvE1_clEvEUlS7_S7_E_S7_EEDaPvRmT3_T4_T5_mT6_P12ihipStream_tbENKUlT_T0_E_clISt17integral_constantIbLb1EESY_IbLb0EEEEDaSU_SV_EUlSU_E_NS1_11comp_targetILNS1_3genE2ELNS1_11target_archE906ELNS1_3gpuE6ELNS1_3repE0EEENS1_30default_config_static_selectorELNS0_4arch9wavefront6targetE1EEEvT1_.num_agpr, 0
	.set _ZN7rocprim17ROCPRIM_400000_NS6detail17trampoline_kernelINS0_14default_configENS1_20scan_config_selectorIN3c107complexIdEEEEZZNS1_9scan_implILNS1_25lookback_scan_determinismE0ELb0ELb0ES3_PKS7_PS7_S7_ZZZN2at6native31launch_logcumsumexp_cuda_kernelERKNSE_10TensorBaseESI_lENKUlvE_clEvENKUlvE1_clEvEUlS7_S7_E_S7_EEDaPvRmT3_T4_T5_mT6_P12ihipStream_tbENKUlT_T0_E_clISt17integral_constantIbLb1EESY_IbLb0EEEEDaSU_SV_EUlSU_E_NS1_11comp_targetILNS1_3genE2ELNS1_11target_archE906ELNS1_3gpuE6ELNS1_3repE0EEENS1_30default_config_static_selectorELNS0_4arch9wavefront6targetE1EEEvT1_.numbered_sgpr, 0
	.set _ZN7rocprim17ROCPRIM_400000_NS6detail17trampoline_kernelINS0_14default_configENS1_20scan_config_selectorIN3c107complexIdEEEEZZNS1_9scan_implILNS1_25lookback_scan_determinismE0ELb0ELb0ES3_PKS7_PS7_S7_ZZZN2at6native31launch_logcumsumexp_cuda_kernelERKNSE_10TensorBaseESI_lENKUlvE_clEvENKUlvE1_clEvEUlS7_S7_E_S7_EEDaPvRmT3_T4_T5_mT6_P12ihipStream_tbENKUlT_T0_E_clISt17integral_constantIbLb1EESY_IbLb0EEEEDaSU_SV_EUlSU_E_NS1_11comp_targetILNS1_3genE2ELNS1_11target_archE906ELNS1_3gpuE6ELNS1_3repE0EEENS1_30default_config_static_selectorELNS0_4arch9wavefront6targetE1EEEvT1_.num_named_barrier, 0
	.set _ZN7rocprim17ROCPRIM_400000_NS6detail17trampoline_kernelINS0_14default_configENS1_20scan_config_selectorIN3c107complexIdEEEEZZNS1_9scan_implILNS1_25lookback_scan_determinismE0ELb0ELb0ES3_PKS7_PS7_S7_ZZZN2at6native31launch_logcumsumexp_cuda_kernelERKNSE_10TensorBaseESI_lENKUlvE_clEvENKUlvE1_clEvEUlS7_S7_E_S7_EEDaPvRmT3_T4_T5_mT6_P12ihipStream_tbENKUlT_T0_E_clISt17integral_constantIbLb1EESY_IbLb0EEEEDaSU_SV_EUlSU_E_NS1_11comp_targetILNS1_3genE2ELNS1_11target_archE906ELNS1_3gpuE6ELNS1_3repE0EEENS1_30default_config_static_selectorELNS0_4arch9wavefront6targetE1EEEvT1_.private_seg_size, 0
	.set _ZN7rocprim17ROCPRIM_400000_NS6detail17trampoline_kernelINS0_14default_configENS1_20scan_config_selectorIN3c107complexIdEEEEZZNS1_9scan_implILNS1_25lookback_scan_determinismE0ELb0ELb0ES3_PKS7_PS7_S7_ZZZN2at6native31launch_logcumsumexp_cuda_kernelERKNSE_10TensorBaseESI_lENKUlvE_clEvENKUlvE1_clEvEUlS7_S7_E_S7_EEDaPvRmT3_T4_T5_mT6_P12ihipStream_tbENKUlT_T0_E_clISt17integral_constantIbLb1EESY_IbLb0EEEEDaSU_SV_EUlSU_E_NS1_11comp_targetILNS1_3genE2ELNS1_11target_archE906ELNS1_3gpuE6ELNS1_3repE0EEENS1_30default_config_static_selectorELNS0_4arch9wavefront6targetE1EEEvT1_.uses_vcc, 0
	.set _ZN7rocprim17ROCPRIM_400000_NS6detail17trampoline_kernelINS0_14default_configENS1_20scan_config_selectorIN3c107complexIdEEEEZZNS1_9scan_implILNS1_25lookback_scan_determinismE0ELb0ELb0ES3_PKS7_PS7_S7_ZZZN2at6native31launch_logcumsumexp_cuda_kernelERKNSE_10TensorBaseESI_lENKUlvE_clEvENKUlvE1_clEvEUlS7_S7_E_S7_EEDaPvRmT3_T4_T5_mT6_P12ihipStream_tbENKUlT_T0_E_clISt17integral_constantIbLb1EESY_IbLb0EEEEDaSU_SV_EUlSU_E_NS1_11comp_targetILNS1_3genE2ELNS1_11target_archE906ELNS1_3gpuE6ELNS1_3repE0EEENS1_30default_config_static_selectorELNS0_4arch9wavefront6targetE1EEEvT1_.uses_flat_scratch, 0
	.set _ZN7rocprim17ROCPRIM_400000_NS6detail17trampoline_kernelINS0_14default_configENS1_20scan_config_selectorIN3c107complexIdEEEEZZNS1_9scan_implILNS1_25lookback_scan_determinismE0ELb0ELb0ES3_PKS7_PS7_S7_ZZZN2at6native31launch_logcumsumexp_cuda_kernelERKNSE_10TensorBaseESI_lENKUlvE_clEvENKUlvE1_clEvEUlS7_S7_E_S7_EEDaPvRmT3_T4_T5_mT6_P12ihipStream_tbENKUlT_T0_E_clISt17integral_constantIbLb1EESY_IbLb0EEEEDaSU_SV_EUlSU_E_NS1_11comp_targetILNS1_3genE2ELNS1_11target_archE906ELNS1_3gpuE6ELNS1_3repE0EEENS1_30default_config_static_selectorELNS0_4arch9wavefront6targetE1EEEvT1_.has_dyn_sized_stack, 0
	.set _ZN7rocprim17ROCPRIM_400000_NS6detail17trampoline_kernelINS0_14default_configENS1_20scan_config_selectorIN3c107complexIdEEEEZZNS1_9scan_implILNS1_25lookback_scan_determinismE0ELb0ELb0ES3_PKS7_PS7_S7_ZZZN2at6native31launch_logcumsumexp_cuda_kernelERKNSE_10TensorBaseESI_lENKUlvE_clEvENKUlvE1_clEvEUlS7_S7_E_S7_EEDaPvRmT3_T4_T5_mT6_P12ihipStream_tbENKUlT_T0_E_clISt17integral_constantIbLb1EESY_IbLb0EEEEDaSU_SV_EUlSU_E_NS1_11comp_targetILNS1_3genE2ELNS1_11target_archE906ELNS1_3gpuE6ELNS1_3repE0EEENS1_30default_config_static_selectorELNS0_4arch9wavefront6targetE1EEEvT1_.has_recursion, 0
	.set _ZN7rocprim17ROCPRIM_400000_NS6detail17trampoline_kernelINS0_14default_configENS1_20scan_config_selectorIN3c107complexIdEEEEZZNS1_9scan_implILNS1_25lookback_scan_determinismE0ELb0ELb0ES3_PKS7_PS7_S7_ZZZN2at6native31launch_logcumsumexp_cuda_kernelERKNSE_10TensorBaseESI_lENKUlvE_clEvENKUlvE1_clEvEUlS7_S7_E_S7_EEDaPvRmT3_T4_T5_mT6_P12ihipStream_tbENKUlT_T0_E_clISt17integral_constantIbLb1EESY_IbLb0EEEEDaSU_SV_EUlSU_E_NS1_11comp_targetILNS1_3genE2ELNS1_11target_archE906ELNS1_3gpuE6ELNS1_3repE0EEENS1_30default_config_static_selectorELNS0_4arch9wavefront6targetE1EEEvT1_.has_indirect_call, 0
	.section	.AMDGPU.csdata,"",@progbits
; Kernel info:
; codeLenInByte = 4
; TotalNumSgprs: 4
; NumVgprs: 0
; ScratchSize: 0
; MemoryBound: 0
; FloatMode: 240
; IeeeMode: 1
; LDSByteSize: 0 bytes/workgroup (compile time only)
; SGPRBlocks: 0
; VGPRBlocks: 0
; NumSGPRsForWavesPerEU: 4
; NumVGPRsForWavesPerEU: 1
; Occupancy: 10
; WaveLimiterHint : 0
; COMPUTE_PGM_RSRC2:SCRATCH_EN: 0
; COMPUTE_PGM_RSRC2:USER_SGPR: 6
; COMPUTE_PGM_RSRC2:TRAP_HANDLER: 0
; COMPUTE_PGM_RSRC2:TGID_X_EN: 1
; COMPUTE_PGM_RSRC2:TGID_Y_EN: 0
; COMPUTE_PGM_RSRC2:TGID_Z_EN: 0
; COMPUTE_PGM_RSRC2:TIDIG_COMP_CNT: 0
	.section	.text._ZN7rocprim17ROCPRIM_400000_NS6detail17trampoline_kernelINS0_14default_configENS1_20scan_config_selectorIN3c107complexIdEEEEZZNS1_9scan_implILNS1_25lookback_scan_determinismE0ELb0ELb0ES3_PKS7_PS7_S7_ZZZN2at6native31launch_logcumsumexp_cuda_kernelERKNSE_10TensorBaseESI_lENKUlvE_clEvENKUlvE1_clEvEUlS7_S7_E_S7_EEDaPvRmT3_T4_T5_mT6_P12ihipStream_tbENKUlT_T0_E_clISt17integral_constantIbLb1EESY_IbLb0EEEEDaSU_SV_EUlSU_E_NS1_11comp_targetILNS1_3genE10ELNS1_11target_archE1201ELNS1_3gpuE5ELNS1_3repE0EEENS1_30default_config_static_selectorELNS0_4arch9wavefront6targetE1EEEvT1_,"axG",@progbits,_ZN7rocprim17ROCPRIM_400000_NS6detail17trampoline_kernelINS0_14default_configENS1_20scan_config_selectorIN3c107complexIdEEEEZZNS1_9scan_implILNS1_25lookback_scan_determinismE0ELb0ELb0ES3_PKS7_PS7_S7_ZZZN2at6native31launch_logcumsumexp_cuda_kernelERKNSE_10TensorBaseESI_lENKUlvE_clEvENKUlvE1_clEvEUlS7_S7_E_S7_EEDaPvRmT3_T4_T5_mT6_P12ihipStream_tbENKUlT_T0_E_clISt17integral_constantIbLb1EESY_IbLb0EEEEDaSU_SV_EUlSU_E_NS1_11comp_targetILNS1_3genE10ELNS1_11target_archE1201ELNS1_3gpuE5ELNS1_3repE0EEENS1_30default_config_static_selectorELNS0_4arch9wavefront6targetE1EEEvT1_,comdat
	.globl	_ZN7rocprim17ROCPRIM_400000_NS6detail17trampoline_kernelINS0_14default_configENS1_20scan_config_selectorIN3c107complexIdEEEEZZNS1_9scan_implILNS1_25lookback_scan_determinismE0ELb0ELb0ES3_PKS7_PS7_S7_ZZZN2at6native31launch_logcumsumexp_cuda_kernelERKNSE_10TensorBaseESI_lENKUlvE_clEvENKUlvE1_clEvEUlS7_S7_E_S7_EEDaPvRmT3_T4_T5_mT6_P12ihipStream_tbENKUlT_T0_E_clISt17integral_constantIbLb1EESY_IbLb0EEEEDaSU_SV_EUlSU_E_NS1_11comp_targetILNS1_3genE10ELNS1_11target_archE1201ELNS1_3gpuE5ELNS1_3repE0EEENS1_30default_config_static_selectorELNS0_4arch9wavefront6targetE1EEEvT1_ ; -- Begin function _ZN7rocprim17ROCPRIM_400000_NS6detail17trampoline_kernelINS0_14default_configENS1_20scan_config_selectorIN3c107complexIdEEEEZZNS1_9scan_implILNS1_25lookback_scan_determinismE0ELb0ELb0ES3_PKS7_PS7_S7_ZZZN2at6native31launch_logcumsumexp_cuda_kernelERKNSE_10TensorBaseESI_lENKUlvE_clEvENKUlvE1_clEvEUlS7_S7_E_S7_EEDaPvRmT3_T4_T5_mT6_P12ihipStream_tbENKUlT_T0_E_clISt17integral_constantIbLb1EESY_IbLb0EEEEDaSU_SV_EUlSU_E_NS1_11comp_targetILNS1_3genE10ELNS1_11target_archE1201ELNS1_3gpuE5ELNS1_3repE0EEENS1_30default_config_static_selectorELNS0_4arch9wavefront6targetE1EEEvT1_
	.p2align	8
	.type	_ZN7rocprim17ROCPRIM_400000_NS6detail17trampoline_kernelINS0_14default_configENS1_20scan_config_selectorIN3c107complexIdEEEEZZNS1_9scan_implILNS1_25lookback_scan_determinismE0ELb0ELb0ES3_PKS7_PS7_S7_ZZZN2at6native31launch_logcumsumexp_cuda_kernelERKNSE_10TensorBaseESI_lENKUlvE_clEvENKUlvE1_clEvEUlS7_S7_E_S7_EEDaPvRmT3_T4_T5_mT6_P12ihipStream_tbENKUlT_T0_E_clISt17integral_constantIbLb1EESY_IbLb0EEEEDaSU_SV_EUlSU_E_NS1_11comp_targetILNS1_3genE10ELNS1_11target_archE1201ELNS1_3gpuE5ELNS1_3repE0EEENS1_30default_config_static_selectorELNS0_4arch9wavefront6targetE1EEEvT1_,@function
_ZN7rocprim17ROCPRIM_400000_NS6detail17trampoline_kernelINS0_14default_configENS1_20scan_config_selectorIN3c107complexIdEEEEZZNS1_9scan_implILNS1_25lookback_scan_determinismE0ELb0ELb0ES3_PKS7_PS7_S7_ZZZN2at6native31launch_logcumsumexp_cuda_kernelERKNSE_10TensorBaseESI_lENKUlvE_clEvENKUlvE1_clEvEUlS7_S7_E_S7_EEDaPvRmT3_T4_T5_mT6_P12ihipStream_tbENKUlT_T0_E_clISt17integral_constantIbLb1EESY_IbLb0EEEEDaSU_SV_EUlSU_E_NS1_11comp_targetILNS1_3genE10ELNS1_11target_archE1201ELNS1_3gpuE5ELNS1_3repE0EEENS1_30default_config_static_selectorELNS0_4arch9wavefront6targetE1EEEvT1_: ; @_ZN7rocprim17ROCPRIM_400000_NS6detail17trampoline_kernelINS0_14default_configENS1_20scan_config_selectorIN3c107complexIdEEEEZZNS1_9scan_implILNS1_25lookback_scan_determinismE0ELb0ELb0ES3_PKS7_PS7_S7_ZZZN2at6native31launch_logcumsumexp_cuda_kernelERKNSE_10TensorBaseESI_lENKUlvE_clEvENKUlvE1_clEvEUlS7_S7_E_S7_EEDaPvRmT3_T4_T5_mT6_P12ihipStream_tbENKUlT_T0_E_clISt17integral_constantIbLb1EESY_IbLb0EEEEDaSU_SV_EUlSU_E_NS1_11comp_targetILNS1_3genE10ELNS1_11target_archE1201ELNS1_3gpuE5ELNS1_3repE0EEENS1_30default_config_static_selectorELNS0_4arch9wavefront6targetE1EEEvT1_
; %bb.0:
	.section	.rodata,"a",@progbits
	.p2align	6, 0x0
	.amdhsa_kernel _ZN7rocprim17ROCPRIM_400000_NS6detail17trampoline_kernelINS0_14default_configENS1_20scan_config_selectorIN3c107complexIdEEEEZZNS1_9scan_implILNS1_25lookback_scan_determinismE0ELb0ELb0ES3_PKS7_PS7_S7_ZZZN2at6native31launch_logcumsumexp_cuda_kernelERKNSE_10TensorBaseESI_lENKUlvE_clEvENKUlvE1_clEvEUlS7_S7_E_S7_EEDaPvRmT3_T4_T5_mT6_P12ihipStream_tbENKUlT_T0_E_clISt17integral_constantIbLb1EESY_IbLb0EEEEDaSU_SV_EUlSU_E_NS1_11comp_targetILNS1_3genE10ELNS1_11target_archE1201ELNS1_3gpuE5ELNS1_3repE0EEENS1_30default_config_static_selectorELNS0_4arch9wavefront6targetE1EEEvT1_
		.amdhsa_group_segment_fixed_size 0
		.amdhsa_private_segment_fixed_size 0
		.amdhsa_kernarg_size 128
		.amdhsa_user_sgpr_count 6
		.amdhsa_user_sgpr_private_segment_buffer 1
		.amdhsa_user_sgpr_dispatch_ptr 0
		.amdhsa_user_sgpr_queue_ptr 0
		.amdhsa_user_sgpr_kernarg_segment_ptr 1
		.amdhsa_user_sgpr_dispatch_id 0
		.amdhsa_user_sgpr_flat_scratch_init 0
		.amdhsa_user_sgpr_private_segment_size 0
		.amdhsa_uses_dynamic_stack 0
		.amdhsa_system_sgpr_private_segment_wavefront_offset 0
		.amdhsa_system_sgpr_workgroup_id_x 1
		.amdhsa_system_sgpr_workgroup_id_y 0
		.amdhsa_system_sgpr_workgroup_id_z 0
		.amdhsa_system_sgpr_workgroup_info 0
		.amdhsa_system_vgpr_workitem_id 0
		.amdhsa_next_free_vgpr 1
		.amdhsa_next_free_sgpr 0
		.amdhsa_reserve_vcc 0
		.amdhsa_reserve_flat_scratch 0
		.amdhsa_float_round_mode_32 0
		.amdhsa_float_round_mode_16_64 0
		.amdhsa_float_denorm_mode_32 3
		.amdhsa_float_denorm_mode_16_64 3
		.amdhsa_dx10_clamp 1
		.amdhsa_ieee_mode 1
		.amdhsa_fp16_overflow 0
		.amdhsa_exception_fp_ieee_invalid_op 0
		.amdhsa_exception_fp_denorm_src 0
		.amdhsa_exception_fp_ieee_div_zero 0
		.amdhsa_exception_fp_ieee_overflow 0
		.amdhsa_exception_fp_ieee_underflow 0
		.amdhsa_exception_fp_ieee_inexact 0
		.amdhsa_exception_int_div_zero 0
	.end_amdhsa_kernel
	.section	.text._ZN7rocprim17ROCPRIM_400000_NS6detail17trampoline_kernelINS0_14default_configENS1_20scan_config_selectorIN3c107complexIdEEEEZZNS1_9scan_implILNS1_25lookback_scan_determinismE0ELb0ELb0ES3_PKS7_PS7_S7_ZZZN2at6native31launch_logcumsumexp_cuda_kernelERKNSE_10TensorBaseESI_lENKUlvE_clEvENKUlvE1_clEvEUlS7_S7_E_S7_EEDaPvRmT3_T4_T5_mT6_P12ihipStream_tbENKUlT_T0_E_clISt17integral_constantIbLb1EESY_IbLb0EEEEDaSU_SV_EUlSU_E_NS1_11comp_targetILNS1_3genE10ELNS1_11target_archE1201ELNS1_3gpuE5ELNS1_3repE0EEENS1_30default_config_static_selectorELNS0_4arch9wavefront6targetE1EEEvT1_,"axG",@progbits,_ZN7rocprim17ROCPRIM_400000_NS6detail17trampoline_kernelINS0_14default_configENS1_20scan_config_selectorIN3c107complexIdEEEEZZNS1_9scan_implILNS1_25lookback_scan_determinismE0ELb0ELb0ES3_PKS7_PS7_S7_ZZZN2at6native31launch_logcumsumexp_cuda_kernelERKNSE_10TensorBaseESI_lENKUlvE_clEvENKUlvE1_clEvEUlS7_S7_E_S7_EEDaPvRmT3_T4_T5_mT6_P12ihipStream_tbENKUlT_T0_E_clISt17integral_constantIbLb1EESY_IbLb0EEEEDaSU_SV_EUlSU_E_NS1_11comp_targetILNS1_3genE10ELNS1_11target_archE1201ELNS1_3gpuE5ELNS1_3repE0EEENS1_30default_config_static_selectorELNS0_4arch9wavefront6targetE1EEEvT1_,comdat
.Lfunc_end227:
	.size	_ZN7rocprim17ROCPRIM_400000_NS6detail17trampoline_kernelINS0_14default_configENS1_20scan_config_selectorIN3c107complexIdEEEEZZNS1_9scan_implILNS1_25lookback_scan_determinismE0ELb0ELb0ES3_PKS7_PS7_S7_ZZZN2at6native31launch_logcumsumexp_cuda_kernelERKNSE_10TensorBaseESI_lENKUlvE_clEvENKUlvE1_clEvEUlS7_S7_E_S7_EEDaPvRmT3_T4_T5_mT6_P12ihipStream_tbENKUlT_T0_E_clISt17integral_constantIbLb1EESY_IbLb0EEEEDaSU_SV_EUlSU_E_NS1_11comp_targetILNS1_3genE10ELNS1_11target_archE1201ELNS1_3gpuE5ELNS1_3repE0EEENS1_30default_config_static_selectorELNS0_4arch9wavefront6targetE1EEEvT1_, .Lfunc_end227-_ZN7rocprim17ROCPRIM_400000_NS6detail17trampoline_kernelINS0_14default_configENS1_20scan_config_selectorIN3c107complexIdEEEEZZNS1_9scan_implILNS1_25lookback_scan_determinismE0ELb0ELb0ES3_PKS7_PS7_S7_ZZZN2at6native31launch_logcumsumexp_cuda_kernelERKNSE_10TensorBaseESI_lENKUlvE_clEvENKUlvE1_clEvEUlS7_S7_E_S7_EEDaPvRmT3_T4_T5_mT6_P12ihipStream_tbENKUlT_T0_E_clISt17integral_constantIbLb1EESY_IbLb0EEEEDaSU_SV_EUlSU_E_NS1_11comp_targetILNS1_3genE10ELNS1_11target_archE1201ELNS1_3gpuE5ELNS1_3repE0EEENS1_30default_config_static_selectorELNS0_4arch9wavefront6targetE1EEEvT1_
                                        ; -- End function
	.set _ZN7rocprim17ROCPRIM_400000_NS6detail17trampoline_kernelINS0_14default_configENS1_20scan_config_selectorIN3c107complexIdEEEEZZNS1_9scan_implILNS1_25lookback_scan_determinismE0ELb0ELb0ES3_PKS7_PS7_S7_ZZZN2at6native31launch_logcumsumexp_cuda_kernelERKNSE_10TensorBaseESI_lENKUlvE_clEvENKUlvE1_clEvEUlS7_S7_E_S7_EEDaPvRmT3_T4_T5_mT6_P12ihipStream_tbENKUlT_T0_E_clISt17integral_constantIbLb1EESY_IbLb0EEEEDaSU_SV_EUlSU_E_NS1_11comp_targetILNS1_3genE10ELNS1_11target_archE1201ELNS1_3gpuE5ELNS1_3repE0EEENS1_30default_config_static_selectorELNS0_4arch9wavefront6targetE1EEEvT1_.num_vgpr, 0
	.set _ZN7rocprim17ROCPRIM_400000_NS6detail17trampoline_kernelINS0_14default_configENS1_20scan_config_selectorIN3c107complexIdEEEEZZNS1_9scan_implILNS1_25lookback_scan_determinismE0ELb0ELb0ES3_PKS7_PS7_S7_ZZZN2at6native31launch_logcumsumexp_cuda_kernelERKNSE_10TensorBaseESI_lENKUlvE_clEvENKUlvE1_clEvEUlS7_S7_E_S7_EEDaPvRmT3_T4_T5_mT6_P12ihipStream_tbENKUlT_T0_E_clISt17integral_constantIbLb1EESY_IbLb0EEEEDaSU_SV_EUlSU_E_NS1_11comp_targetILNS1_3genE10ELNS1_11target_archE1201ELNS1_3gpuE5ELNS1_3repE0EEENS1_30default_config_static_selectorELNS0_4arch9wavefront6targetE1EEEvT1_.num_agpr, 0
	.set _ZN7rocprim17ROCPRIM_400000_NS6detail17trampoline_kernelINS0_14default_configENS1_20scan_config_selectorIN3c107complexIdEEEEZZNS1_9scan_implILNS1_25lookback_scan_determinismE0ELb0ELb0ES3_PKS7_PS7_S7_ZZZN2at6native31launch_logcumsumexp_cuda_kernelERKNSE_10TensorBaseESI_lENKUlvE_clEvENKUlvE1_clEvEUlS7_S7_E_S7_EEDaPvRmT3_T4_T5_mT6_P12ihipStream_tbENKUlT_T0_E_clISt17integral_constantIbLb1EESY_IbLb0EEEEDaSU_SV_EUlSU_E_NS1_11comp_targetILNS1_3genE10ELNS1_11target_archE1201ELNS1_3gpuE5ELNS1_3repE0EEENS1_30default_config_static_selectorELNS0_4arch9wavefront6targetE1EEEvT1_.numbered_sgpr, 0
	.set _ZN7rocprim17ROCPRIM_400000_NS6detail17trampoline_kernelINS0_14default_configENS1_20scan_config_selectorIN3c107complexIdEEEEZZNS1_9scan_implILNS1_25lookback_scan_determinismE0ELb0ELb0ES3_PKS7_PS7_S7_ZZZN2at6native31launch_logcumsumexp_cuda_kernelERKNSE_10TensorBaseESI_lENKUlvE_clEvENKUlvE1_clEvEUlS7_S7_E_S7_EEDaPvRmT3_T4_T5_mT6_P12ihipStream_tbENKUlT_T0_E_clISt17integral_constantIbLb1EESY_IbLb0EEEEDaSU_SV_EUlSU_E_NS1_11comp_targetILNS1_3genE10ELNS1_11target_archE1201ELNS1_3gpuE5ELNS1_3repE0EEENS1_30default_config_static_selectorELNS0_4arch9wavefront6targetE1EEEvT1_.num_named_barrier, 0
	.set _ZN7rocprim17ROCPRIM_400000_NS6detail17trampoline_kernelINS0_14default_configENS1_20scan_config_selectorIN3c107complexIdEEEEZZNS1_9scan_implILNS1_25lookback_scan_determinismE0ELb0ELb0ES3_PKS7_PS7_S7_ZZZN2at6native31launch_logcumsumexp_cuda_kernelERKNSE_10TensorBaseESI_lENKUlvE_clEvENKUlvE1_clEvEUlS7_S7_E_S7_EEDaPvRmT3_T4_T5_mT6_P12ihipStream_tbENKUlT_T0_E_clISt17integral_constantIbLb1EESY_IbLb0EEEEDaSU_SV_EUlSU_E_NS1_11comp_targetILNS1_3genE10ELNS1_11target_archE1201ELNS1_3gpuE5ELNS1_3repE0EEENS1_30default_config_static_selectorELNS0_4arch9wavefront6targetE1EEEvT1_.private_seg_size, 0
	.set _ZN7rocprim17ROCPRIM_400000_NS6detail17trampoline_kernelINS0_14default_configENS1_20scan_config_selectorIN3c107complexIdEEEEZZNS1_9scan_implILNS1_25lookback_scan_determinismE0ELb0ELb0ES3_PKS7_PS7_S7_ZZZN2at6native31launch_logcumsumexp_cuda_kernelERKNSE_10TensorBaseESI_lENKUlvE_clEvENKUlvE1_clEvEUlS7_S7_E_S7_EEDaPvRmT3_T4_T5_mT6_P12ihipStream_tbENKUlT_T0_E_clISt17integral_constantIbLb1EESY_IbLb0EEEEDaSU_SV_EUlSU_E_NS1_11comp_targetILNS1_3genE10ELNS1_11target_archE1201ELNS1_3gpuE5ELNS1_3repE0EEENS1_30default_config_static_selectorELNS0_4arch9wavefront6targetE1EEEvT1_.uses_vcc, 0
	.set _ZN7rocprim17ROCPRIM_400000_NS6detail17trampoline_kernelINS0_14default_configENS1_20scan_config_selectorIN3c107complexIdEEEEZZNS1_9scan_implILNS1_25lookback_scan_determinismE0ELb0ELb0ES3_PKS7_PS7_S7_ZZZN2at6native31launch_logcumsumexp_cuda_kernelERKNSE_10TensorBaseESI_lENKUlvE_clEvENKUlvE1_clEvEUlS7_S7_E_S7_EEDaPvRmT3_T4_T5_mT6_P12ihipStream_tbENKUlT_T0_E_clISt17integral_constantIbLb1EESY_IbLb0EEEEDaSU_SV_EUlSU_E_NS1_11comp_targetILNS1_3genE10ELNS1_11target_archE1201ELNS1_3gpuE5ELNS1_3repE0EEENS1_30default_config_static_selectorELNS0_4arch9wavefront6targetE1EEEvT1_.uses_flat_scratch, 0
	.set _ZN7rocprim17ROCPRIM_400000_NS6detail17trampoline_kernelINS0_14default_configENS1_20scan_config_selectorIN3c107complexIdEEEEZZNS1_9scan_implILNS1_25lookback_scan_determinismE0ELb0ELb0ES3_PKS7_PS7_S7_ZZZN2at6native31launch_logcumsumexp_cuda_kernelERKNSE_10TensorBaseESI_lENKUlvE_clEvENKUlvE1_clEvEUlS7_S7_E_S7_EEDaPvRmT3_T4_T5_mT6_P12ihipStream_tbENKUlT_T0_E_clISt17integral_constantIbLb1EESY_IbLb0EEEEDaSU_SV_EUlSU_E_NS1_11comp_targetILNS1_3genE10ELNS1_11target_archE1201ELNS1_3gpuE5ELNS1_3repE0EEENS1_30default_config_static_selectorELNS0_4arch9wavefront6targetE1EEEvT1_.has_dyn_sized_stack, 0
	.set _ZN7rocprim17ROCPRIM_400000_NS6detail17trampoline_kernelINS0_14default_configENS1_20scan_config_selectorIN3c107complexIdEEEEZZNS1_9scan_implILNS1_25lookback_scan_determinismE0ELb0ELb0ES3_PKS7_PS7_S7_ZZZN2at6native31launch_logcumsumexp_cuda_kernelERKNSE_10TensorBaseESI_lENKUlvE_clEvENKUlvE1_clEvEUlS7_S7_E_S7_EEDaPvRmT3_T4_T5_mT6_P12ihipStream_tbENKUlT_T0_E_clISt17integral_constantIbLb1EESY_IbLb0EEEEDaSU_SV_EUlSU_E_NS1_11comp_targetILNS1_3genE10ELNS1_11target_archE1201ELNS1_3gpuE5ELNS1_3repE0EEENS1_30default_config_static_selectorELNS0_4arch9wavefront6targetE1EEEvT1_.has_recursion, 0
	.set _ZN7rocprim17ROCPRIM_400000_NS6detail17trampoline_kernelINS0_14default_configENS1_20scan_config_selectorIN3c107complexIdEEEEZZNS1_9scan_implILNS1_25lookback_scan_determinismE0ELb0ELb0ES3_PKS7_PS7_S7_ZZZN2at6native31launch_logcumsumexp_cuda_kernelERKNSE_10TensorBaseESI_lENKUlvE_clEvENKUlvE1_clEvEUlS7_S7_E_S7_EEDaPvRmT3_T4_T5_mT6_P12ihipStream_tbENKUlT_T0_E_clISt17integral_constantIbLb1EESY_IbLb0EEEEDaSU_SV_EUlSU_E_NS1_11comp_targetILNS1_3genE10ELNS1_11target_archE1201ELNS1_3gpuE5ELNS1_3repE0EEENS1_30default_config_static_selectorELNS0_4arch9wavefront6targetE1EEEvT1_.has_indirect_call, 0
	.section	.AMDGPU.csdata,"",@progbits
; Kernel info:
; codeLenInByte = 0
; TotalNumSgprs: 4
; NumVgprs: 0
; ScratchSize: 0
; MemoryBound: 0
; FloatMode: 240
; IeeeMode: 1
; LDSByteSize: 0 bytes/workgroup (compile time only)
; SGPRBlocks: 0
; VGPRBlocks: 0
; NumSGPRsForWavesPerEU: 4
; NumVGPRsForWavesPerEU: 1
; Occupancy: 10
; WaveLimiterHint : 0
; COMPUTE_PGM_RSRC2:SCRATCH_EN: 0
; COMPUTE_PGM_RSRC2:USER_SGPR: 6
; COMPUTE_PGM_RSRC2:TRAP_HANDLER: 0
; COMPUTE_PGM_RSRC2:TGID_X_EN: 1
; COMPUTE_PGM_RSRC2:TGID_Y_EN: 0
; COMPUTE_PGM_RSRC2:TGID_Z_EN: 0
; COMPUTE_PGM_RSRC2:TIDIG_COMP_CNT: 0
	.section	.text._ZN7rocprim17ROCPRIM_400000_NS6detail17trampoline_kernelINS0_14default_configENS1_20scan_config_selectorIN3c107complexIdEEEEZZNS1_9scan_implILNS1_25lookback_scan_determinismE0ELb0ELb0ES3_PKS7_PS7_S7_ZZZN2at6native31launch_logcumsumexp_cuda_kernelERKNSE_10TensorBaseESI_lENKUlvE_clEvENKUlvE1_clEvEUlS7_S7_E_S7_EEDaPvRmT3_T4_T5_mT6_P12ihipStream_tbENKUlT_T0_E_clISt17integral_constantIbLb1EESY_IbLb0EEEEDaSU_SV_EUlSU_E_NS1_11comp_targetILNS1_3genE10ELNS1_11target_archE1200ELNS1_3gpuE4ELNS1_3repE0EEENS1_30default_config_static_selectorELNS0_4arch9wavefront6targetE1EEEvT1_,"axG",@progbits,_ZN7rocprim17ROCPRIM_400000_NS6detail17trampoline_kernelINS0_14default_configENS1_20scan_config_selectorIN3c107complexIdEEEEZZNS1_9scan_implILNS1_25lookback_scan_determinismE0ELb0ELb0ES3_PKS7_PS7_S7_ZZZN2at6native31launch_logcumsumexp_cuda_kernelERKNSE_10TensorBaseESI_lENKUlvE_clEvENKUlvE1_clEvEUlS7_S7_E_S7_EEDaPvRmT3_T4_T5_mT6_P12ihipStream_tbENKUlT_T0_E_clISt17integral_constantIbLb1EESY_IbLb0EEEEDaSU_SV_EUlSU_E_NS1_11comp_targetILNS1_3genE10ELNS1_11target_archE1200ELNS1_3gpuE4ELNS1_3repE0EEENS1_30default_config_static_selectorELNS0_4arch9wavefront6targetE1EEEvT1_,comdat
	.globl	_ZN7rocprim17ROCPRIM_400000_NS6detail17trampoline_kernelINS0_14default_configENS1_20scan_config_selectorIN3c107complexIdEEEEZZNS1_9scan_implILNS1_25lookback_scan_determinismE0ELb0ELb0ES3_PKS7_PS7_S7_ZZZN2at6native31launch_logcumsumexp_cuda_kernelERKNSE_10TensorBaseESI_lENKUlvE_clEvENKUlvE1_clEvEUlS7_S7_E_S7_EEDaPvRmT3_T4_T5_mT6_P12ihipStream_tbENKUlT_T0_E_clISt17integral_constantIbLb1EESY_IbLb0EEEEDaSU_SV_EUlSU_E_NS1_11comp_targetILNS1_3genE10ELNS1_11target_archE1200ELNS1_3gpuE4ELNS1_3repE0EEENS1_30default_config_static_selectorELNS0_4arch9wavefront6targetE1EEEvT1_ ; -- Begin function _ZN7rocprim17ROCPRIM_400000_NS6detail17trampoline_kernelINS0_14default_configENS1_20scan_config_selectorIN3c107complexIdEEEEZZNS1_9scan_implILNS1_25lookback_scan_determinismE0ELb0ELb0ES3_PKS7_PS7_S7_ZZZN2at6native31launch_logcumsumexp_cuda_kernelERKNSE_10TensorBaseESI_lENKUlvE_clEvENKUlvE1_clEvEUlS7_S7_E_S7_EEDaPvRmT3_T4_T5_mT6_P12ihipStream_tbENKUlT_T0_E_clISt17integral_constantIbLb1EESY_IbLb0EEEEDaSU_SV_EUlSU_E_NS1_11comp_targetILNS1_3genE10ELNS1_11target_archE1200ELNS1_3gpuE4ELNS1_3repE0EEENS1_30default_config_static_selectorELNS0_4arch9wavefront6targetE1EEEvT1_
	.p2align	8
	.type	_ZN7rocprim17ROCPRIM_400000_NS6detail17trampoline_kernelINS0_14default_configENS1_20scan_config_selectorIN3c107complexIdEEEEZZNS1_9scan_implILNS1_25lookback_scan_determinismE0ELb0ELb0ES3_PKS7_PS7_S7_ZZZN2at6native31launch_logcumsumexp_cuda_kernelERKNSE_10TensorBaseESI_lENKUlvE_clEvENKUlvE1_clEvEUlS7_S7_E_S7_EEDaPvRmT3_T4_T5_mT6_P12ihipStream_tbENKUlT_T0_E_clISt17integral_constantIbLb1EESY_IbLb0EEEEDaSU_SV_EUlSU_E_NS1_11comp_targetILNS1_3genE10ELNS1_11target_archE1200ELNS1_3gpuE4ELNS1_3repE0EEENS1_30default_config_static_selectorELNS0_4arch9wavefront6targetE1EEEvT1_,@function
_ZN7rocprim17ROCPRIM_400000_NS6detail17trampoline_kernelINS0_14default_configENS1_20scan_config_selectorIN3c107complexIdEEEEZZNS1_9scan_implILNS1_25lookback_scan_determinismE0ELb0ELb0ES3_PKS7_PS7_S7_ZZZN2at6native31launch_logcumsumexp_cuda_kernelERKNSE_10TensorBaseESI_lENKUlvE_clEvENKUlvE1_clEvEUlS7_S7_E_S7_EEDaPvRmT3_T4_T5_mT6_P12ihipStream_tbENKUlT_T0_E_clISt17integral_constantIbLb1EESY_IbLb0EEEEDaSU_SV_EUlSU_E_NS1_11comp_targetILNS1_3genE10ELNS1_11target_archE1200ELNS1_3gpuE4ELNS1_3repE0EEENS1_30default_config_static_selectorELNS0_4arch9wavefront6targetE1EEEvT1_: ; @_ZN7rocprim17ROCPRIM_400000_NS6detail17trampoline_kernelINS0_14default_configENS1_20scan_config_selectorIN3c107complexIdEEEEZZNS1_9scan_implILNS1_25lookback_scan_determinismE0ELb0ELb0ES3_PKS7_PS7_S7_ZZZN2at6native31launch_logcumsumexp_cuda_kernelERKNSE_10TensorBaseESI_lENKUlvE_clEvENKUlvE1_clEvEUlS7_S7_E_S7_EEDaPvRmT3_T4_T5_mT6_P12ihipStream_tbENKUlT_T0_E_clISt17integral_constantIbLb1EESY_IbLb0EEEEDaSU_SV_EUlSU_E_NS1_11comp_targetILNS1_3genE10ELNS1_11target_archE1200ELNS1_3gpuE4ELNS1_3repE0EEENS1_30default_config_static_selectorELNS0_4arch9wavefront6targetE1EEEvT1_
; %bb.0:
	.section	.rodata,"a",@progbits
	.p2align	6, 0x0
	.amdhsa_kernel _ZN7rocprim17ROCPRIM_400000_NS6detail17trampoline_kernelINS0_14default_configENS1_20scan_config_selectorIN3c107complexIdEEEEZZNS1_9scan_implILNS1_25lookback_scan_determinismE0ELb0ELb0ES3_PKS7_PS7_S7_ZZZN2at6native31launch_logcumsumexp_cuda_kernelERKNSE_10TensorBaseESI_lENKUlvE_clEvENKUlvE1_clEvEUlS7_S7_E_S7_EEDaPvRmT3_T4_T5_mT6_P12ihipStream_tbENKUlT_T0_E_clISt17integral_constantIbLb1EESY_IbLb0EEEEDaSU_SV_EUlSU_E_NS1_11comp_targetILNS1_3genE10ELNS1_11target_archE1200ELNS1_3gpuE4ELNS1_3repE0EEENS1_30default_config_static_selectorELNS0_4arch9wavefront6targetE1EEEvT1_
		.amdhsa_group_segment_fixed_size 0
		.amdhsa_private_segment_fixed_size 0
		.amdhsa_kernarg_size 128
		.amdhsa_user_sgpr_count 6
		.amdhsa_user_sgpr_private_segment_buffer 1
		.amdhsa_user_sgpr_dispatch_ptr 0
		.amdhsa_user_sgpr_queue_ptr 0
		.amdhsa_user_sgpr_kernarg_segment_ptr 1
		.amdhsa_user_sgpr_dispatch_id 0
		.amdhsa_user_sgpr_flat_scratch_init 0
		.amdhsa_user_sgpr_private_segment_size 0
		.amdhsa_uses_dynamic_stack 0
		.amdhsa_system_sgpr_private_segment_wavefront_offset 0
		.amdhsa_system_sgpr_workgroup_id_x 1
		.amdhsa_system_sgpr_workgroup_id_y 0
		.amdhsa_system_sgpr_workgroup_id_z 0
		.amdhsa_system_sgpr_workgroup_info 0
		.amdhsa_system_vgpr_workitem_id 0
		.amdhsa_next_free_vgpr 1
		.amdhsa_next_free_sgpr 0
		.amdhsa_reserve_vcc 0
		.amdhsa_reserve_flat_scratch 0
		.amdhsa_float_round_mode_32 0
		.amdhsa_float_round_mode_16_64 0
		.amdhsa_float_denorm_mode_32 3
		.amdhsa_float_denorm_mode_16_64 3
		.amdhsa_dx10_clamp 1
		.amdhsa_ieee_mode 1
		.amdhsa_fp16_overflow 0
		.amdhsa_exception_fp_ieee_invalid_op 0
		.amdhsa_exception_fp_denorm_src 0
		.amdhsa_exception_fp_ieee_div_zero 0
		.amdhsa_exception_fp_ieee_overflow 0
		.amdhsa_exception_fp_ieee_underflow 0
		.amdhsa_exception_fp_ieee_inexact 0
		.amdhsa_exception_int_div_zero 0
	.end_amdhsa_kernel
	.section	.text._ZN7rocprim17ROCPRIM_400000_NS6detail17trampoline_kernelINS0_14default_configENS1_20scan_config_selectorIN3c107complexIdEEEEZZNS1_9scan_implILNS1_25lookback_scan_determinismE0ELb0ELb0ES3_PKS7_PS7_S7_ZZZN2at6native31launch_logcumsumexp_cuda_kernelERKNSE_10TensorBaseESI_lENKUlvE_clEvENKUlvE1_clEvEUlS7_S7_E_S7_EEDaPvRmT3_T4_T5_mT6_P12ihipStream_tbENKUlT_T0_E_clISt17integral_constantIbLb1EESY_IbLb0EEEEDaSU_SV_EUlSU_E_NS1_11comp_targetILNS1_3genE10ELNS1_11target_archE1200ELNS1_3gpuE4ELNS1_3repE0EEENS1_30default_config_static_selectorELNS0_4arch9wavefront6targetE1EEEvT1_,"axG",@progbits,_ZN7rocprim17ROCPRIM_400000_NS6detail17trampoline_kernelINS0_14default_configENS1_20scan_config_selectorIN3c107complexIdEEEEZZNS1_9scan_implILNS1_25lookback_scan_determinismE0ELb0ELb0ES3_PKS7_PS7_S7_ZZZN2at6native31launch_logcumsumexp_cuda_kernelERKNSE_10TensorBaseESI_lENKUlvE_clEvENKUlvE1_clEvEUlS7_S7_E_S7_EEDaPvRmT3_T4_T5_mT6_P12ihipStream_tbENKUlT_T0_E_clISt17integral_constantIbLb1EESY_IbLb0EEEEDaSU_SV_EUlSU_E_NS1_11comp_targetILNS1_3genE10ELNS1_11target_archE1200ELNS1_3gpuE4ELNS1_3repE0EEENS1_30default_config_static_selectorELNS0_4arch9wavefront6targetE1EEEvT1_,comdat
.Lfunc_end228:
	.size	_ZN7rocprim17ROCPRIM_400000_NS6detail17trampoline_kernelINS0_14default_configENS1_20scan_config_selectorIN3c107complexIdEEEEZZNS1_9scan_implILNS1_25lookback_scan_determinismE0ELb0ELb0ES3_PKS7_PS7_S7_ZZZN2at6native31launch_logcumsumexp_cuda_kernelERKNSE_10TensorBaseESI_lENKUlvE_clEvENKUlvE1_clEvEUlS7_S7_E_S7_EEDaPvRmT3_T4_T5_mT6_P12ihipStream_tbENKUlT_T0_E_clISt17integral_constantIbLb1EESY_IbLb0EEEEDaSU_SV_EUlSU_E_NS1_11comp_targetILNS1_3genE10ELNS1_11target_archE1200ELNS1_3gpuE4ELNS1_3repE0EEENS1_30default_config_static_selectorELNS0_4arch9wavefront6targetE1EEEvT1_, .Lfunc_end228-_ZN7rocprim17ROCPRIM_400000_NS6detail17trampoline_kernelINS0_14default_configENS1_20scan_config_selectorIN3c107complexIdEEEEZZNS1_9scan_implILNS1_25lookback_scan_determinismE0ELb0ELb0ES3_PKS7_PS7_S7_ZZZN2at6native31launch_logcumsumexp_cuda_kernelERKNSE_10TensorBaseESI_lENKUlvE_clEvENKUlvE1_clEvEUlS7_S7_E_S7_EEDaPvRmT3_T4_T5_mT6_P12ihipStream_tbENKUlT_T0_E_clISt17integral_constantIbLb1EESY_IbLb0EEEEDaSU_SV_EUlSU_E_NS1_11comp_targetILNS1_3genE10ELNS1_11target_archE1200ELNS1_3gpuE4ELNS1_3repE0EEENS1_30default_config_static_selectorELNS0_4arch9wavefront6targetE1EEEvT1_
                                        ; -- End function
	.set _ZN7rocprim17ROCPRIM_400000_NS6detail17trampoline_kernelINS0_14default_configENS1_20scan_config_selectorIN3c107complexIdEEEEZZNS1_9scan_implILNS1_25lookback_scan_determinismE0ELb0ELb0ES3_PKS7_PS7_S7_ZZZN2at6native31launch_logcumsumexp_cuda_kernelERKNSE_10TensorBaseESI_lENKUlvE_clEvENKUlvE1_clEvEUlS7_S7_E_S7_EEDaPvRmT3_T4_T5_mT6_P12ihipStream_tbENKUlT_T0_E_clISt17integral_constantIbLb1EESY_IbLb0EEEEDaSU_SV_EUlSU_E_NS1_11comp_targetILNS1_3genE10ELNS1_11target_archE1200ELNS1_3gpuE4ELNS1_3repE0EEENS1_30default_config_static_selectorELNS0_4arch9wavefront6targetE1EEEvT1_.num_vgpr, 0
	.set _ZN7rocprim17ROCPRIM_400000_NS6detail17trampoline_kernelINS0_14default_configENS1_20scan_config_selectorIN3c107complexIdEEEEZZNS1_9scan_implILNS1_25lookback_scan_determinismE0ELb0ELb0ES3_PKS7_PS7_S7_ZZZN2at6native31launch_logcumsumexp_cuda_kernelERKNSE_10TensorBaseESI_lENKUlvE_clEvENKUlvE1_clEvEUlS7_S7_E_S7_EEDaPvRmT3_T4_T5_mT6_P12ihipStream_tbENKUlT_T0_E_clISt17integral_constantIbLb1EESY_IbLb0EEEEDaSU_SV_EUlSU_E_NS1_11comp_targetILNS1_3genE10ELNS1_11target_archE1200ELNS1_3gpuE4ELNS1_3repE0EEENS1_30default_config_static_selectorELNS0_4arch9wavefront6targetE1EEEvT1_.num_agpr, 0
	.set _ZN7rocprim17ROCPRIM_400000_NS6detail17trampoline_kernelINS0_14default_configENS1_20scan_config_selectorIN3c107complexIdEEEEZZNS1_9scan_implILNS1_25lookback_scan_determinismE0ELb0ELb0ES3_PKS7_PS7_S7_ZZZN2at6native31launch_logcumsumexp_cuda_kernelERKNSE_10TensorBaseESI_lENKUlvE_clEvENKUlvE1_clEvEUlS7_S7_E_S7_EEDaPvRmT3_T4_T5_mT6_P12ihipStream_tbENKUlT_T0_E_clISt17integral_constantIbLb1EESY_IbLb0EEEEDaSU_SV_EUlSU_E_NS1_11comp_targetILNS1_3genE10ELNS1_11target_archE1200ELNS1_3gpuE4ELNS1_3repE0EEENS1_30default_config_static_selectorELNS0_4arch9wavefront6targetE1EEEvT1_.numbered_sgpr, 0
	.set _ZN7rocprim17ROCPRIM_400000_NS6detail17trampoline_kernelINS0_14default_configENS1_20scan_config_selectorIN3c107complexIdEEEEZZNS1_9scan_implILNS1_25lookback_scan_determinismE0ELb0ELb0ES3_PKS7_PS7_S7_ZZZN2at6native31launch_logcumsumexp_cuda_kernelERKNSE_10TensorBaseESI_lENKUlvE_clEvENKUlvE1_clEvEUlS7_S7_E_S7_EEDaPvRmT3_T4_T5_mT6_P12ihipStream_tbENKUlT_T0_E_clISt17integral_constantIbLb1EESY_IbLb0EEEEDaSU_SV_EUlSU_E_NS1_11comp_targetILNS1_3genE10ELNS1_11target_archE1200ELNS1_3gpuE4ELNS1_3repE0EEENS1_30default_config_static_selectorELNS0_4arch9wavefront6targetE1EEEvT1_.num_named_barrier, 0
	.set _ZN7rocprim17ROCPRIM_400000_NS6detail17trampoline_kernelINS0_14default_configENS1_20scan_config_selectorIN3c107complexIdEEEEZZNS1_9scan_implILNS1_25lookback_scan_determinismE0ELb0ELb0ES3_PKS7_PS7_S7_ZZZN2at6native31launch_logcumsumexp_cuda_kernelERKNSE_10TensorBaseESI_lENKUlvE_clEvENKUlvE1_clEvEUlS7_S7_E_S7_EEDaPvRmT3_T4_T5_mT6_P12ihipStream_tbENKUlT_T0_E_clISt17integral_constantIbLb1EESY_IbLb0EEEEDaSU_SV_EUlSU_E_NS1_11comp_targetILNS1_3genE10ELNS1_11target_archE1200ELNS1_3gpuE4ELNS1_3repE0EEENS1_30default_config_static_selectorELNS0_4arch9wavefront6targetE1EEEvT1_.private_seg_size, 0
	.set _ZN7rocprim17ROCPRIM_400000_NS6detail17trampoline_kernelINS0_14default_configENS1_20scan_config_selectorIN3c107complexIdEEEEZZNS1_9scan_implILNS1_25lookback_scan_determinismE0ELb0ELb0ES3_PKS7_PS7_S7_ZZZN2at6native31launch_logcumsumexp_cuda_kernelERKNSE_10TensorBaseESI_lENKUlvE_clEvENKUlvE1_clEvEUlS7_S7_E_S7_EEDaPvRmT3_T4_T5_mT6_P12ihipStream_tbENKUlT_T0_E_clISt17integral_constantIbLb1EESY_IbLb0EEEEDaSU_SV_EUlSU_E_NS1_11comp_targetILNS1_3genE10ELNS1_11target_archE1200ELNS1_3gpuE4ELNS1_3repE0EEENS1_30default_config_static_selectorELNS0_4arch9wavefront6targetE1EEEvT1_.uses_vcc, 0
	.set _ZN7rocprim17ROCPRIM_400000_NS6detail17trampoline_kernelINS0_14default_configENS1_20scan_config_selectorIN3c107complexIdEEEEZZNS1_9scan_implILNS1_25lookback_scan_determinismE0ELb0ELb0ES3_PKS7_PS7_S7_ZZZN2at6native31launch_logcumsumexp_cuda_kernelERKNSE_10TensorBaseESI_lENKUlvE_clEvENKUlvE1_clEvEUlS7_S7_E_S7_EEDaPvRmT3_T4_T5_mT6_P12ihipStream_tbENKUlT_T0_E_clISt17integral_constantIbLb1EESY_IbLb0EEEEDaSU_SV_EUlSU_E_NS1_11comp_targetILNS1_3genE10ELNS1_11target_archE1200ELNS1_3gpuE4ELNS1_3repE0EEENS1_30default_config_static_selectorELNS0_4arch9wavefront6targetE1EEEvT1_.uses_flat_scratch, 0
	.set _ZN7rocprim17ROCPRIM_400000_NS6detail17trampoline_kernelINS0_14default_configENS1_20scan_config_selectorIN3c107complexIdEEEEZZNS1_9scan_implILNS1_25lookback_scan_determinismE0ELb0ELb0ES3_PKS7_PS7_S7_ZZZN2at6native31launch_logcumsumexp_cuda_kernelERKNSE_10TensorBaseESI_lENKUlvE_clEvENKUlvE1_clEvEUlS7_S7_E_S7_EEDaPvRmT3_T4_T5_mT6_P12ihipStream_tbENKUlT_T0_E_clISt17integral_constantIbLb1EESY_IbLb0EEEEDaSU_SV_EUlSU_E_NS1_11comp_targetILNS1_3genE10ELNS1_11target_archE1200ELNS1_3gpuE4ELNS1_3repE0EEENS1_30default_config_static_selectorELNS0_4arch9wavefront6targetE1EEEvT1_.has_dyn_sized_stack, 0
	.set _ZN7rocprim17ROCPRIM_400000_NS6detail17trampoline_kernelINS0_14default_configENS1_20scan_config_selectorIN3c107complexIdEEEEZZNS1_9scan_implILNS1_25lookback_scan_determinismE0ELb0ELb0ES3_PKS7_PS7_S7_ZZZN2at6native31launch_logcumsumexp_cuda_kernelERKNSE_10TensorBaseESI_lENKUlvE_clEvENKUlvE1_clEvEUlS7_S7_E_S7_EEDaPvRmT3_T4_T5_mT6_P12ihipStream_tbENKUlT_T0_E_clISt17integral_constantIbLb1EESY_IbLb0EEEEDaSU_SV_EUlSU_E_NS1_11comp_targetILNS1_3genE10ELNS1_11target_archE1200ELNS1_3gpuE4ELNS1_3repE0EEENS1_30default_config_static_selectorELNS0_4arch9wavefront6targetE1EEEvT1_.has_recursion, 0
	.set _ZN7rocprim17ROCPRIM_400000_NS6detail17trampoline_kernelINS0_14default_configENS1_20scan_config_selectorIN3c107complexIdEEEEZZNS1_9scan_implILNS1_25lookback_scan_determinismE0ELb0ELb0ES3_PKS7_PS7_S7_ZZZN2at6native31launch_logcumsumexp_cuda_kernelERKNSE_10TensorBaseESI_lENKUlvE_clEvENKUlvE1_clEvEUlS7_S7_E_S7_EEDaPvRmT3_T4_T5_mT6_P12ihipStream_tbENKUlT_T0_E_clISt17integral_constantIbLb1EESY_IbLb0EEEEDaSU_SV_EUlSU_E_NS1_11comp_targetILNS1_3genE10ELNS1_11target_archE1200ELNS1_3gpuE4ELNS1_3repE0EEENS1_30default_config_static_selectorELNS0_4arch9wavefront6targetE1EEEvT1_.has_indirect_call, 0
	.section	.AMDGPU.csdata,"",@progbits
; Kernel info:
; codeLenInByte = 0
; TotalNumSgprs: 4
; NumVgprs: 0
; ScratchSize: 0
; MemoryBound: 0
; FloatMode: 240
; IeeeMode: 1
; LDSByteSize: 0 bytes/workgroup (compile time only)
; SGPRBlocks: 0
; VGPRBlocks: 0
; NumSGPRsForWavesPerEU: 4
; NumVGPRsForWavesPerEU: 1
; Occupancy: 10
; WaveLimiterHint : 0
; COMPUTE_PGM_RSRC2:SCRATCH_EN: 0
; COMPUTE_PGM_RSRC2:USER_SGPR: 6
; COMPUTE_PGM_RSRC2:TRAP_HANDLER: 0
; COMPUTE_PGM_RSRC2:TGID_X_EN: 1
; COMPUTE_PGM_RSRC2:TGID_Y_EN: 0
; COMPUTE_PGM_RSRC2:TGID_Z_EN: 0
; COMPUTE_PGM_RSRC2:TIDIG_COMP_CNT: 0
	.section	.text._ZN7rocprim17ROCPRIM_400000_NS6detail17trampoline_kernelINS0_14default_configENS1_20scan_config_selectorIN3c107complexIdEEEEZZNS1_9scan_implILNS1_25lookback_scan_determinismE0ELb0ELb0ES3_PKS7_PS7_S7_ZZZN2at6native31launch_logcumsumexp_cuda_kernelERKNSE_10TensorBaseESI_lENKUlvE_clEvENKUlvE1_clEvEUlS7_S7_E_S7_EEDaPvRmT3_T4_T5_mT6_P12ihipStream_tbENKUlT_T0_E_clISt17integral_constantIbLb1EESY_IbLb0EEEEDaSU_SV_EUlSU_E_NS1_11comp_targetILNS1_3genE9ELNS1_11target_archE1100ELNS1_3gpuE3ELNS1_3repE0EEENS1_30default_config_static_selectorELNS0_4arch9wavefront6targetE1EEEvT1_,"axG",@progbits,_ZN7rocprim17ROCPRIM_400000_NS6detail17trampoline_kernelINS0_14default_configENS1_20scan_config_selectorIN3c107complexIdEEEEZZNS1_9scan_implILNS1_25lookback_scan_determinismE0ELb0ELb0ES3_PKS7_PS7_S7_ZZZN2at6native31launch_logcumsumexp_cuda_kernelERKNSE_10TensorBaseESI_lENKUlvE_clEvENKUlvE1_clEvEUlS7_S7_E_S7_EEDaPvRmT3_T4_T5_mT6_P12ihipStream_tbENKUlT_T0_E_clISt17integral_constantIbLb1EESY_IbLb0EEEEDaSU_SV_EUlSU_E_NS1_11comp_targetILNS1_3genE9ELNS1_11target_archE1100ELNS1_3gpuE3ELNS1_3repE0EEENS1_30default_config_static_selectorELNS0_4arch9wavefront6targetE1EEEvT1_,comdat
	.globl	_ZN7rocprim17ROCPRIM_400000_NS6detail17trampoline_kernelINS0_14default_configENS1_20scan_config_selectorIN3c107complexIdEEEEZZNS1_9scan_implILNS1_25lookback_scan_determinismE0ELb0ELb0ES3_PKS7_PS7_S7_ZZZN2at6native31launch_logcumsumexp_cuda_kernelERKNSE_10TensorBaseESI_lENKUlvE_clEvENKUlvE1_clEvEUlS7_S7_E_S7_EEDaPvRmT3_T4_T5_mT6_P12ihipStream_tbENKUlT_T0_E_clISt17integral_constantIbLb1EESY_IbLb0EEEEDaSU_SV_EUlSU_E_NS1_11comp_targetILNS1_3genE9ELNS1_11target_archE1100ELNS1_3gpuE3ELNS1_3repE0EEENS1_30default_config_static_selectorELNS0_4arch9wavefront6targetE1EEEvT1_ ; -- Begin function _ZN7rocprim17ROCPRIM_400000_NS6detail17trampoline_kernelINS0_14default_configENS1_20scan_config_selectorIN3c107complexIdEEEEZZNS1_9scan_implILNS1_25lookback_scan_determinismE0ELb0ELb0ES3_PKS7_PS7_S7_ZZZN2at6native31launch_logcumsumexp_cuda_kernelERKNSE_10TensorBaseESI_lENKUlvE_clEvENKUlvE1_clEvEUlS7_S7_E_S7_EEDaPvRmT3_T4_T5_mT6_P12ihipStream_tbENKUlT_T0_E_clISt17integral_constantIbLb1EESY_IbLb0EEEEDaSU_SV_EUlSU_E_NS1_11comp_targetILNS1_3genE9ELNS1_11target_archE1100ELNS1_3gpuE3ELNS1_3repE0EEENS1_30default_config_static_selectorELNS0_4arch9wavefront6targetE1EEEvT1_
	.p2align	8
	.type	_ZN7rocprim17ROCPRIM_400000_NS6detail17trampoline_kernelINS0_14default_configENS1_20scan_config_selectorIN3c107complexIdEEEEZZNS1_9scan_implILNS1_25lookback_scan_determinismE0ELb0ELb0ES3_PKS7_PS7_S7_ZZZN2at6native31launch_logcumsumexp_cuda_kernelERKNSE_10TensorBaseESI_lENKUlvE_clEvENKUlvE1_clEvEUlS7_S7_E_S7_EEDaPvRmT3_T4_T5_mT6_P12ihipStream_tbENKUlT_T0_E_clISt17integral_constantIbLb1EESY_IbLb0EEEEDaSU_SV_EUlSU_E_NS1_11comp_targetILNS1_3genE9ELNS1_11target_archE1100ELNS1_3gpuE3ELNS1_3repE0EEENS1_30default_config_static_selectorELNS0_4arch9wavefront6targetE1EEEvT1_,@function
_ZN7rocprim17ROCPRIM_400000_NS6detail17trampoline_kernelINS0_14default_configENS1_20scan_config_selectorIN3c107complexIdEEEEZZNS1_9scan_implILNS1_25lookback_scan_determinismE0ELb0ELb0ES3_PKS7_PS7_S7_ZZZN2at6native31launch_logcumsumexp_cuda_kernelERKNSE_10TensorBaseESI_lENKUlvE_clEvENKUlvE1_clEvEUlS7_S7_E_S7_EEDaPvRmT3_T4_T5_mT6_P12ihipStream_tbENKUlT_T0_E_clISt17integral_constantIbLb1EESY_IbLb0EEEEDaSU_SV_EUlSU_E_NS1_11comp_targetILNS1_3genE9ELNS1_11target_archE1100ELNS1_3gpuE3ELNS1_3repE0EEENS1_30default_config_static_selectorELNS0_4arch9wavefront6targetE1EEEvT1_: ; @_ZN7rocprim17ROCPRIM_400000_NS6detail17trampoline_kernelINS0_14default_configENS1_20scan_config_selectorIN3c107complexIdEEEEZZNS1_9scan_implILNS1_25lookback_scan_determinismE0ELb0ELb0ES3_PKS7_PS7_S7_ZZZN2at6native31launch_logcumsumexp_cuda_kernelERKNSE_10TensorBaseESI_lENKUlvE_clEvENKUlvE1_clEvEUlS7_S7_E_S7_EEDaPvRmT3_T4_T5_mT6_P12ihipStream_tbENKUlT_T0_E_clISt17integral_constantIbLb1EESY_IbLb0EEEEDaSU_SV_EUlSU_E_NS1_11comp_targetILNS1_3genE9ELNS1_11target_archE1100ELNS1_3gpuE3ELNS1_3repE0EEENS1_30default_config_static_selectorELNS0_4arch9wavefront6targetE1EEEvT1_
; %bb.0:
	.section	.rodata,"a",@progbits
	.p2align	6, 0x0
	.amdhsa_kernel _ZN7rocprim17ROCPRIM_400000_NS6detail17trampoline_kernelINS0_14default_configENS1_20scan_config_selectorIN3c107complexIdEEEEZZNS1_9scan_implILNS1_25lookback_scan_determinismE0ELb0ELb0ES3_PKS7_PS7_S7_ZZZN2at6native31launch_logcumsumexp_cuda_kernelERKNSE_10TensorBaseESI_lENKUlvE_clEvENKUlvE1_clEvEUlS7_S7_E_S7_EEDaPvRmT3_T4_T5_mT6_P12ihipStream_tbENKUlT_T0_E_clISt17integral_constantIbLb1EESY_IbLb0EEEEDaSU_SV_EUlSU_E_NS1_11comp_targetILNS1_3genE9ELNS1_11target_archE1100ELNS1_3gpuE3ELNS1_3repE0EEENS1_30default_config_static_selectorELNS0_4arch9wavefront6targetE1EEEvT1_
		.amdhsa_group_segment_fixed_size 0
		.amdhsa_private_segment_fixed_size 0
		.amdhsa_kernarg_size 128
		.amdhsa_user_sgpr_count 6
		.amdhsa_user_sgpr_private_segment_buffer 1
		.amdhsa_user_sgpr_dispatch_ptr 0
		.amdhsa_user_sgpr_queue_ptr 0
		.amdhsa_user_sgpr_kernarg_segment_ptr 1
		.amdhsa_user_sgpr_dispatch_id 0
		.amdhsa_user_sgpr_flat_scratch_init 0
		.amdhsa_user_sgpr_private_segment_size 0
		.amdhsa_uses_dynamic_stack 0
		.amdhsa_system_sgpr_private_segment_wavefront_offset 0
		.amdhsa_system_sgpr_workgroup_id_x 1
		.amdhsa_system_sgpr_workgroup_id_y 0
		.amdhsa_system_sgpr_workgroup_id_z 0
		.amdhsa_system_sgpr_workgroup_info 0
		.amdhsa_system_vgpr_workitem_id 0
		.amdhsa_next_free_vgpr 1
		.amdhsa_next_free_sgpr 0
		.amdhsa_reserve_vcc 0
		.amdhsa_reserve_flat_scratch 0
		.amdhsa_float_round_mode_32 0
		.amdhsa_float_round_mode_16_64 0
		.amdhsa_float_denorm_mode_32 3
		.amdhsa_float_denorm_mode_16_64 3
		.amdhsa_dx10_clamp 1
		.amdhsa_ieee_mode 1
		.amdhsa_fp16_overflow 0
		.amdhsa_exception_fp_ieee_invalid_op 0
		.amdhsa_exception_fp_denorm_src 0
		.amdhsa_exception_fp_ieee_div_zero 0
		.amdhsa_exception_fp_ieee_overflow 0
		.amdhsa_exception_fp_ieee_underflow 0
		.amdhsa_exception_fp_ieee_inexact 0
		.amdhsa_exception_int_div_zero 0
	.end_amdhsa_kernel
	.section	.text._ZN7rocprim17ROCPRIM_400000_NS6detail17trampoline_kernelINS0_14default_configENS1_20scan_config_selectorIN3c107complexIdEEEEZZNS1_9scan_implILNS1_25lookback_scan_determinismE0ELb0ELb0ES3_PKS7_PS7_S7_ZZZN2at6native31launch_logcumsumexp_cuda_kernelERKNSE_10TensorBaseESI_lENKUlvE_clEvENKUlvE1_clEvEUlS7_S7_E_S7_EEDaPvRmT3_T4_T5_mT6_P12ihipStream_tbENKUlT_T0_E_clISt17integral_constantIbLb1EESY_IbLb0EEEEDaSU_SV_EUlSU_E_NS1_11comp_targetILNS1_3genE9ELNS1_11target_archE1100ELNS1_3gpuE3ELNS1_3repE0EEENS1_30default_config_static_selectorELNS0_4arch9wavefront6targetE1EEEvT1_,"axG",@progbits,_ZN7rocprim17ROCPRIM_400000_NS6detail17trampoline_kernelINS0_14default_configENS1_20scan_config_selectorIN3c107complexIdEEEEZZNS1_9scan_implILNS1_25lookback_scan_determinismE0ELb0ELb0ES3_PKS7_PS7_S7_ZZZN2at6native31launch_logcumsumexp_cuda_kernelERKNSE_10TensorBaseESI_lENKUlvE_clEvENKUlvE1_clEvEUlS7_S7_E_S7_EEDaPvRmT3_T4_T5_mT6_P12ihipStream_tbENKUlT_T0_E_clISt17integral_constantIbLb1EESY_IbLb0EEEEDaSU_SV_EUlSU_E_NS1_11comp_targetILNS1_3genE9ELNS1_11target_archE1100ELNS1_3gpuE3ELNS1_3repE0EEENS1_30default_config_static_selectorELNS0_4arch9wavefront6targetE1EEEvT1_,comdat
.Lfunc_end229:
	.size	_ZN7rocprim17ROCPRIM_400000_NS6detail17trampoline_kernelINS0_14default_configENS1_20scan_config_selectorIN3c107complexIdEEEEZZNS1_9scan_implILNS1_25lookback_scan_determinismE0ELb0ELb0ES3_PKS7_PS7_S7_ZZZN2at6native31launch_logcumsumexp_cuda_kernelERKNSE_10TensorBaseESI_lENKUlvE_clEvENKUlvE1_clEvEUlS7_S7_E_S7_EEDaPvRmT3_T4_T5_mT6_P12ihipStream_tbENKUlT_T0_E_clISt17integral_constantIbLb1EESY_IbLb0EEEEDaSU_SV_EUlSU_E_NS1_11comp_targetILNS1_3genE9ELNS1_11target_archE1100ELNS1_3gpuE3ELNS1_3repE0EEENS1_30default_config_static_selectorELNS0_4arch9wavefront6targetE1EEEvT1_, .Lfunc_end229-_ZN7rocprim17ROCPRIM_400000_NS6detail17trampoline_kernelINS0_14default_configENS1_20scan_config_selectorIN3c107complexIdEEEEZZNS1_9scan_implILNS1_25lookback_scan_determinismE0ELb0ELb0ES3_PKS7_PS7_S7_ZZZN2at6native31launch_logcumsumexp_cuda_kernelERKNSE_10TensorBaseESI_lENKUlvE_clEvENKUlvE1_clEvEUlS7_S7_E_S7_EEDaPvRmT3_T4_T5_mT6_P12ihipStream_tbENKUlT_T0_E_clISt17integral_constantIbLb1EESY_IbLb0EEEEDaSU_SV_EUlSU_E_NS1_11comp_targetILNS1_3genE9ELNS1_11target_archE1100ELNS1_3gpuE3ELNS1_3repE0EEENS1_30default_config_static_selectorELNS0_4arch9wavefront6targetE1EEEvT1_
                                        ; -- End function
	.set _ZN7rocprim17ROCPRIM_400000_NS6detail17trampoline_kernelINS0_14default_configENS1_20scan_config_selectorIN3c107complexIdEEEEZZNS1_9scan_implILNS1_25lookback_scan_determinismE0ELb0ELb0ES3_PKS7_PS7_S7_ZZZN2at6native31launch_logcumsumexp_cuda_kernelERKNSE_10TensorBaseESI_lENKUlvE_clEvENKUlvE1_clEvEUlS7_S7_E_S7_EEDaPvRmT3_T4_T5_mT6_P12ihipStream_tbENKUlT_T0_E_clISt17integral_constantIbLb1EESY_IbLb0EEEEDaSU_SV_EUlSU_E_NS1_11comp_targetILNS1_3genE9ELNS1_11target_archE1100ELNS1_3gpuE3ELNS1_3repE0EEENS1_30default_config_static_selectorELNS0_4arch9wavefront6targetE1EEEvT1_.num_vgpr, 0
	.set _ZN7rocprim17ROCPRIM_400000_NS6detail17trampoline_kernelINS0_14default_configENS1_20scan_config_selectorIN3c107complexIdEEEEZZNS1_9scan_implILNS1_25lookback_scan_determinismE0ELb0ELb0ES3_PKS7_PS7_S7_ZZZN2at6native31launch_logcumsumexp_cuda_kernelERKNSE_10TensorBaseESI_lENKUlvE_clEvENKUlvE1_clEvEUlS7_S7_E_S7_EEDaPvRmT3_T4_T5_mT6_P12ihipStream_tbENKUlT_T0_E_clISt17integral_constantIbLb1EESY_IbLb0EEEEDaSU_SV_EUlSU_E_NS1_11comp_targetILNS1_3genE9ELNS1_11target_archE1100ELNS1_3gpuE3ELNS1_3repE0EEENS1_30default_config_static_selectorELNS0_4arch9wavefront6targetE1EEEvT1_.num_agpr, 0
	.set _ZN7rocprim17ROCPRIM_400000_NS6detail17trampoline_kernelINS0_14default_configENS1_20scan_config_selectorIN3c107complexIdEEEEZZNS1_9scan_implILNS1_25lookback_scan_determinismE0ELb0ELb0ES3_PKS7_PS7_S7_ZZZN2at6native31launch_logcumsumexp_cuda_kernelERKNSE_10TensorBaseESI_lENKUlvE_clEvENKUlvE1_clEvEUlS7_S7_E_S7_EEDaPvRmT3_T4_T5_mT6_P12ihipStream_tbENKUlT_T0_E_clISt17integral_constantIbLb1EESY_IbLb0EEEEDaSU_SV_EUlSU_E_NS1_11comp_targetILNS1_3genE9ELNS1_11target_archE1100ELNS1_3gpuE3ELNS1_3repE0EEENS1_30default_config_static_selectorELNS0_4arch9wavefront6targetE1EEEvT1_.numbered_sgpr, 0
	.set _ZN7rocprim17ROCPRIM_400000_NS6detail17trampoline_kernelINS0_14default_configENS1_20scan_config_selectorIN3c107complexIdEEEEZZNS1_9scan_implILNS1_25lookback_scan_determinismE0ELb0ELb0ES3_PKS7_PS7_S7_ZZZN2at6native31launch_logcumsumexp_cuda_kernelERKNSE_10TensorBaseESI_lENKUlvE_clEvENKUlvE1_clEvEUlS7_S7_E_S7_EEDaPvRmT3_T4_T5_mT6_P12ihipStream_tbENKUlT_T0_E_clISt17integral_constantIbLb1EESY_IbLb0EEEEDaSU_SV_EUlSU_E_NS1_11comp_targetILNS1_3genE9ELNS1_11target_archE1100ELNS1_3gpuE3ELNS1_3repE0EEENS1_30default_config_static_selectorELNS0_4arch9wavefront6targetE1EEEvT1_.num_named_barrier, 0
	.set _ZN7rocprim17ROCPRIM_400000_NS6detail17trampoline_kernelINS0_14default_configENS1_20scan_config_selectorIN3c107complexIdEEEEZZNS1_9scan_implILNS1_25lookback_scan_determinismE0ELb0ELb0ES3_PKS7_PS7_S7_ZZZN2at6native31launch_logcumsumexp_cuda_kernelERKNSE_10TensorBaseESI_lENKUlvE_clEvENKUlvE1_clEvEUlS7_S7_E_S7_EEDaPvRmT3_T4_T5_mT6_P12ihipStream_tbENKUlT_T0_E_clISt17integral_constantIbLb1EESY_IbLb0EEEEDaSU_SV_EUlSU_E_NS1_11comp_targetILNS1_3genE9ELNS1_11target_archE1100ELNS1_3gpuE3ELNS1_3repE0EEENS1_30default_config_static_selectorELNS0_4arch9wavefront6targetE1EEEvT1_.private_seg_size, 0
	.set _ZN7rocprim17ROCPRIM_400000_NS6detail17trampoline_kernelINS0_14default_configENS1_20scan_config_selectorIN3c107complexIdEEEEZZNS1_9scan_implILNS1_25lookback_scan_determinismE0ELb0ELb0ES3_PKS7_PS7_S7_ZZZN2at6native31launch_logcumsumexp_cuda_kernelERKNSE_10TensorBaseESI_lENKUlvE_clEvENKUlvE1_clEvEUlS7_S7_E_S7_EEDaPvRmT3_T4_T5_mT6_P12ihipStream_tbENKUlT_T0_E_clISt17integral_constantIbLb1EESY_IbLb0EEEEDaSU_SV_EUlSU_E_NS1_11comp_targetILNS1_3genE9ELNS1_11target_archE1100ELNS1_3gpuE3ELNS1_3repE0EEENS1_30default_config_static_selectorELNS0_4arch9wavefront6targetE1EEEvT1_.uses_vcc, 0
	.set _ZN7rocprim17ROCPRIM_400000_NS6detail17trampoline_kernelINS0_14default_configENS1_20scan_config_selectorIN3c107complexIdEEEEZZNS1_9scan_implILNS1_25lookback_scan_determinismE0ELb0ELb0ES3_PKS7_PS7_S7_ZZZN2at6native31launch_logcumsumexp_cuda_kernelERKNSE_10TensorBaseESI_lENKUlvE_clEvENKUlvE1_clEvEUlS7_S7_E_S7_EEDaPvRmT3_T4_T5_mT6_P12ihipStream_tbENKUlT_T0_E_clISt17integral_constantIbLb1EESY_IbLb0EEEEDaSU_SV_EUlSU_E_NS1_11comp_targetILNS1_3genE9ELNS1_11target_archE1100ELNS1_3gpuE3ELNS1_3repE0EEENS1_30default_config_static_selectorELNS0_4arch9wavefront6targetE1EEEvT1_.uses_flat_scratch, 0
	.set _ZN7rocprim17ROCPRIM_400000_NS6detail17trampoline_kernelINS0_14default_configENS1_20scan_config_selectorIN3c107complexIdEEEEZZNS1_9scan_implILNS1_25lookback_scan_determinismE0ELb0ELb0ES3_PKS7_PS7_S7_ZZZN2at6native31launch_logcumsumexp_cuda_kernelERKNSE_10TensorBaseESI_lENKUlvE_clEvENKUlvE1_clEvEUlS7_S7_E_S7_EEDaPvRmT3_T4_T5_mT6_P12ihipStream_tbENKUlT_T0_E_clISt17integral_constantIbLb1EESY_IbLb0EEEEDaSU_SV_EUlSU_E_NS1_11comp_targetILNS1_3genE9ELNS1_11target_archE1100ELNS1_3gpuE3ELNS1_3repE0EEENS1_30default_config_static_selectorELNS0_4arch9wavefront6targetE1EEEvT1_.has_dyn_sized_stack, 0
	.set _ZN7rocprim17ROCPRIM_400000_NS6detail17trampoline_kernelINS0_14default_configENS1_20scan_config_selectorIN3c107complexIdEEEEZZNS1_9scan_implILNS1_25lookback_scan_determinismE0ELb0ELb0ES3_PKS7_PS7_S7_ZZZN2at6native31launch_logcumsumexp_cuda_kernelERKNSE_10TensorBaseESI_lENKUlvE_clEvENKUlvE1_clEvEUlS7_S7_E_S7_EEDaPvRmT3_T4_T5_mT6_P12ihipStream_tbENKUlT_T0_E_clISt17integral_constantIbLb1EESY_IbLb0EEEEDaSU_SV_EUlSU_E_NS1_11comp_targetILNS1_3genE9ELNS1_11target_archE1100ELNS1_3gpuE3ELNS1_3repE0EEENS1_30default_config_static_selectorELNS0_4arch9wavefront6targetE1EEEvT1_.has_recursion, 0
	.set _ZN7rocprim17ROCPRIM_400000_NS6detail17trampoline_kernelINS0_14default_configENS1_20scan_config_selectorIN3c107complexIdEEEEZZNS1_9scan_implILNS1_25lookback_scan_determinismE0ELb0ELb0ES3_PKS7_PS7_S7_ZZZN2at6native31launch_logcumsumexp_cuda_kernelERKNSE_10TensorBaseESI_lENKUlvE_clEvENKUlvE1_clEvEUlS7_S7_E_S7_EEDaPvRmT3_T4_T5_mT6_P12ihipStream_tbENKUlT_T0_E_clISt17integral_constantIbLb1EESY_IbLb0EEEEDaSU_SV_EUlSU_E_NS1_11comp_targetILNS1_3genE9ELNS1_11target_archE1100ELNS1_3gpuE3ELNS1_3repE0EEENS1_30default_config_static_selectorELNS0_4arch9wavefront6targetE1EEEvT1_.has_indirect_call, 0
	.section	.AMDGPU.csdata,"",@progbits
; Kernel info:
; codeLenInByte = 0
; TotalNumSgprs: 4
; NumVgprs: 0
; ScratchSize: 0
; MemoryBound: 0
; FloatMode: 240
; IeeeMode: 1
; LDSByteSize: 0 bytes/workgroup (compile time only)
; SGPRBlocks: 0
; VGPRBlocks: 0
; NumSGPRsForWavesPerEU: 4
; NumVGPRsForWavesPerEU: 1
; Occupancy: 10
; WaveLimiterHint : 0
; COMPUTE_PGM_RSRC2:SCRATCH_EN: 0
; COMPUTE_PGM_RSRC2:USER_SGPR: 6
; COMPUTE_PGM_RSRC2:TRAP_HANDLER: 0
; COMPUTE_PGM_RSRC2:TGID_X_EN: 1
; COMPUTE_PGM_RSRC2:TGID_Y_EN: 0
; COMPUTE_PGM_RSRC2:TGID_Z_EN: 0
; COMPUTE_PGM_RSRC2:TIDIG_COMP_CNT: 0
	.section	.text._ZN7rocprim17ROCPRIM_400000_NS6detail17trampoline_kernelINS0_14default_configENS1_20scan_config_selectorIN3c107complexIdEEEEZZNS1_9scan_implILNS1_25lookback_scan_determinismE0ELb0ELb0ES3_PKS7_PS7_S7_ZZZN2at6native31launch_logcumsumexp_cuda_kernelERKNSE_10TensorBaseESI_lENKUlvE_clEvENKUlvE1_clEvEUlS7_S7_E_S7_EEDaPvRmT3_T4_T5_mT6_P12ihipStream_tbENKUlT_T0_E_clISt17integral_constantIbLb1EESY_IbLb0EEEEDaSU_SV_EUlSU_E_NS1_11comp_targetILNS1_3genE8ELNS1_11target_archE1030ELNS1_3gpuE2ELNS1_3repE0EEENS1_30default_config_static_selectorELNS0_4arch9wavefront6targetE1EEEvT1_,"axG",@progbits,_ZN7rocprim17ROCPRIM_400000_NS6detail17trampoline_kernelINS0_14default_configENS1_20scan_config_selectorIN3c107complexIdEEEEZZNS1_9scan_implILNS1_25lookback_scan_determinismE0ELb0ELb0ES3_PKS7_PS7_S7_ZZZN2at6native31launch_logcumsumexp_cuda_kernelERKNSE_10TensorBaseESI_lENKUlvE_clEvENKUlvE1_clEvEUlS7_S7_E_S7_EEDaPvRmT3_T4_T5_mT6_P12ihipStream_tbENKUlT_T0_E_clISt17integral_constantIbLb1EESY_IbLb0EEEEDaSU_SV_EUlSU_E_NS1_11comp_targetILNS1_3genE8ELNS1_11target_archE1030ELNS1_3gpuE2ELNS1_3repE0EEENS1_30default_config_static_selectorELNS0_4arch9wavefront6targetE1EEEvT1_,comdat
	.globl	_ZN7rocprim17ROCPRIM_400000_NS6detail17trampoline_kernelINS0_14default_configENS1_20scan_config_selectorIN3c107complexIdEEEEZZNS1_9scan_implILNS1_25lookback_scan_determinismE0ELb0ELb0ES3_PKS7_PS7_S7_ZZZN2at6native31launch_logcumsumexp_cuda_kernelERKNSE_10TensorBaseESI_lENKUlvE_clEvENKUlvE1_clEvEUlS7_S7_E_S7_EEDaPvRmT3_T4_T5_mT6_P12ihipStream_tbENKUlT_T0_E_clISt17integral_constantIbLb1EESY_IbLb0EEEEDaSU_SV_EUlSU_E_NS1_11comp_targetILNS1_3genE8ELNS1_11target_archE1030ELNS1_3gpuE2ELNS1_3repE0EEENS1_30default_config_static_selectorELNS0_4arch9wavefront6targetE1EEEvT1_ ; -- Begin function _ZN7rocprim17ROCPRIM_400000_NS6detail17trampoline_kernelINS0_14default_configENS1_20scan_config_selectorIN3c107complexIdEEEEZZNS1_9scan_implILNS1_25lookback_scan_determinismE0ELb0ELb0ES3_PKS7_PS7_S7_ZZZN2at6native31launch_logcumsumexp_cuda_kernelERKNSE_10TensorBaseESI_lENKUlvE_clEvENKUlvE1_clEvEUlS7_S7_E_S7_EEDaPvRmT3_T4_T5_mT6_P12ihipStream_tbENKUlT_T0_E_clISt17integral_constantIbLb1EESY_IbLb0EEEEDaSU_SV_EUlSU_E_NS1_11comp_targetILNS1_3genE8ELNS1_11target_archE1030ELNS1_3gpuE2ELNS1_3repE0EEENS1_30default_config_static_selectorELNS0_4arch9wavefront6targetE1EEEvT1_
	.p2align	8
	.type	_ZN7rocprim17ROCPRIM_400000_NS6detail17trampoline_kernelINS0_14default_configENS1_20scan_config_selectorIN3c107complexIdEEEEZZNS1_9scan_implILNS1_25lookback_scan_determinismE0ELb0ELb0ES3_PKS7_PS7_S7_ZZZN2at6native31launch_logcumsumexp_cuda_kernelERKNSE_10TensorBaseESI_lENKUlvE_clEvENKUlvE1_clEvEUlS7_S7_E_S7_EEDaPvRmT3_T4_T5_mT6_P12ihipStream_tbENKUlT_T0_E_clISt17integral_constantIbLb1EESY_IbLb0EEEEDaSU_SV_EUlSU_E_NS1_11comp_targetILNS1_3genE8ELNS1_11target_archE1030ELNS1_3gpuE2ELNS1_3repE0EEENS1_30default_config_static_selectorELNS0_4arch9wavefront6targetE1EEEvT1_,@function
_ZN7rocprim17ROCPRIM_400000_NS6detail17trampoline_kernelINS0_14default_configENS1_20scan_config_selectorIN3c107complexIdEEEEZZNS1_9scan_implILNS1_25lookback_scan_determinismE0ELb0ELb0ES3_PKS7_PS7_S7_ZZZN2at6native31launch_logcumsumexp_cuda_kernelERKNSE_10TensorBaseESI_lENKUlvE_clEvENKUlvE1_clEvEUlS7_S7_E_S7_EEDaPvRmT3_T4_T5_mT6_P12ihipStream_tbENKUlT_T0_E_clISt17integral_constantIbLb1EESY_IbLb0EEEEDaSU_SV_EUlSU_E_NS1_11comp_targetILNS1_3genE8ELNS1_11target_archE1030ELNS1_3gpuE2ELNS1_3repE0EEENS1_30default_config_static_selectorELNS0_4arch9wavefront6targetE1EEEvT1_: ; @_ZN7rocprim17ROCPRIM_400000_NS6detail17trampoline_kernelINS0_14default_configENS1_20scan_config_selectorIN3c107complexIdEEEEZZNS1_9scan_implILNS1_25lookback_scan_determinismE0ELb0ELb0ES3_PKS7_PS7_S7_ZZZN2at6native31launch_logcumsumexp_cuda_kernelERKNSE_10TensorBaseESI_lENKUlvE_clEvENKUlvE1_clEvEUlS7_S7_E_S7_EEDaPvRmT3_T4_T5_mT6_P12ihipStream_tbENKUlT_T0_E_clISt17integral_constantIbLb1EESY_IbLb0EEEEDaSU_SV_EUlSU_E_NS1_11comp_targetILNS1_3genE8ELNS1_11target_archE1030ELNS1_3gpuE2ELNS1_3repE0EEENS1_30default_config_static_selectorELNS0_4arch9wavefront6targetE1EEEvT1_
; %bb.0:
	.section	.rodata,"a",@progbits
	.p2align	6, 0x0
	.amdhsa_kernel _ZN7rocprim17ROCPRIM_400000_NS6detail17trampoline_kernelINS0_14default_configENS1_20scan_config_selectorIN3c107complexIdEEEEZZNS1_9scan_implILNS1_25lookback_scan_determinismE0ELb0ELb0ES3_PKS7_PS7_S7_ZZZN2at6native31launch_logcumsumexp_cuda_kernelERKNSE_10TensorBaseESI_lENKUlvE_clEvENKUlvE1_clEvEUlS7_S7_E_S7_EEDaPvRmT3_T4_T5_mT6_P12ihipStream_tbENKUlT_T0_E_clISt17integral_constantIbLb1EESY_IbLb0EEEEDaSU_SV_EUlSU_E_NS1_11comp_targetILNS1_3genE8ELNS1_11target_archE1030ELNS1_3gpuE2ELNS1_3repE0EEENS1_30default_config_static_selectorELNS0_4arch9wavefront6targetE1EEEvT1_
		.amdhsa_group_segment_fixed_size 0
		.amdhsa_private_segment_fixed_size 0
		.amdhsa_kernarg_size 128
		.amdhsa_user_sgpr_count 6
		.amdhsa_user_sgpr_private_segment_buffer 1
		.amdhsa_user_sgpr_dispatch_ptr 0
		.amdhsa_user_sgpr_queue_ptr 0
		.amdhsa_user_sgpr_kernarg_segment_ptr 1
		.amdhsa_user_sgpr_dispatch_id 0
		.amdhsa_user_sgpr_flat_scratch_init 0
		.amdhsa_user_sgpr_private_segment_size 0
		.amdhsa_uses_dynamic_stack 0
		.amdhsa_system_sgpr_private_segment_wavefront_offset 0
		.amdhsa_system_sgpr_workgroup_id_x 1
		.amdhsa_system_sgpr_workgroup_id_y 0
		.amdhsa_system_sgpr_workgroup_id_z 0
		.amdhsa_system_sgpr_workgroup_info 0
		.amdhsa_system_vgpr_workitem_id 0
		.amdhsa_next_free_vgpr 1
		.amdhsa_next_free_sgpr 0
		.amdhsa_reserve_vcc 0
		.amdhsa_reserve_flat_scratch 0
		.amdhsa_float_round_mode_32 0
		.amdhsa_float_round_mode_16_64 0
		.amdhsa_float_denorm_mode_32 3
		.amdhsa_float_denorm_mode_16_64 3
		.amdhsa_dx10_clamp 1
		.amdhsa_ieee_mode 1
		.amdhsa_fp16_overflow 0
		.amdhsa_exception_fp_ieee_invalid_op 0
		.amdhsa_exception_fp_denorm_src 0
		.amdhsa_exception_fp_ieee_div_zero 0
		.amdhsa_exception_fp_ieee_overflow 0
		.amdhsa_exception_fp_ieee_underflow 0
		.amdhsa_exception_fp_ieee_inexact 0
		.amdhsa_exception_int_div_zero 0
	.end_amdhsa_kernel
	.section	.text._ZN7rocprim17ROCPRIM_400000_NS6detail17trampoline_kernelINS0_14default_configENS1_20scan_config_selectorIN3c107complexIdEEEEZZNS1_9scan_implILNS1_25lookback_scan_determinismE0ELb0ELb0ES3_PKS7_PS7_S7_ZZZN2at6native31launch_logcumsumexp_cuda_kernelERKNSE_10TensorBaseESI_lENKUlvE_clEvENKUlvE1_clEvEUlS7_S7_E_S7_EEDaPvRmT3_T4_T5_mT6_P12ihipStream_tbENKUlT_T0_E_clISt17integral_constantIbLb1EESY_IbLb0EEEEDaSU_SV_EUlSU_E_NS1_11comp_targetILNS1_3genE8ELNS1_11target_archE1030ELNS1_3gpuE2ELNS1_3repE0EEENS1_30default_config_static_selectorELNS0_4arch9wavefront6targetE1EEEvT1_,"axG",@progbits,_ZN7rocprim17ROCPRIM_400000_NS6detail17trampoline_kernelINS0_14default_configENS1_20scan_config_selectorIN3c107complexIdEEEEZZNS1_9scan_implILNS1_25lookback_scan_determinismE0ELb0ELb0ES3_PKS7_PS7_S7_ZZZN2at6native31launch_logcumsumexp_cuda_kernelERKNSE_10TensorBaseESI_lENKUlvE_clEvENKUlvE1_clEvEUlS7_S7_E_S7_EEDaPvRmT3_T4_T5_mT6_P12ihipStream_tbENKUlT_T0_E_clISt17integral_constantIbLb1EESY_IbLb0EEEEDaSU_SV_EUlSU_E_NS1_11comp_targetILNS1_3genE8ELNS1_11target_archE1030ELNS1_3gpuE2ELNS1_3repE0EEENS1_30default_config_static_selectorELNS0_4arch9wavefront6targetE1EEEvT1_,comdat
.Lfunc_end230:
	.size	_ZN7rocprim17ROCPRIM_400000_NS6detail17trampoline_kernelINS0_14default_configENS1_20scan_config_selectorIN3c107complexIdEEEEZZNS1_9scan_implILNS1_25lookback_scan_determinismE0ELb0ELb0ES3_PKS7_PS7_S7_ZZZN2at6native31launch_logcumsumexp_cuda_kernelERKNSE_10TensorBaseESI_lENKUlvE_clEvENKUlvE1_clEvEUlS7_S7_E_S7_EEDaPvRmT3_T4_T5_mT6_P12ihipStream_tbENKUlT_T0_E_clISt17integral_constantIbLb1EESY_IbLb0EEEEDaSU_SV_EUlSU_E_NS1_11comp_targetILNS1_3genE8ELNS1_11target_archE1030ELNS1_3gpuE2ELNS1_3repE0EEENS1_30default_config_static_selectorELNS0_4arch9wavefront6targetE1EEEvT1_, .Lfunc_end230-_ZN7rocprim17ROCPRIM_400000_NS6detail17trampoline_kernelINS0_14default_configENS1_20scan_config_selectorIN3c107complexIdEEEEZZNS1_9scan_implILNS1_25lookback_scan_determinismE0ELb0ELb0ES3_PKS7_PS7_S7_ZZZN2at6native31launch_logcumsumexp_cuda_kernelERKNSE_10TensorBaseESI_lENKUlvE_clEvENKUlvE1_clEvEUlS7_S7_E_S7_EEDaPvRmT3_T4_T5_mT6_P12ihipStream_tbENKUlT_T0_E_clISt17integral_constantIbLb1EESY_IbLb0EEEEDaSU_SV_EUlSU_E_NS1_11comp_targetILNS1_3genE8ELNS1_11target_archE1030ELNS1_3gpuE2ELNS1_3repE0EEENS1_30default_config_static_selectorELNS0_4arch9wavefront6targetE1EEEvT1_
                                        ; -- End function
	.set _ZN7rocprim17ROCPRIM_400000_NS6detail17trampoline_kernelINS0_14default_configENS1_20scan_config_selectorIN3c107complexIdEEEEZZNS1_9scan_implILNS1_25lookback_scan_determinismE0ELb0ELb0ES3_PKS7_PS7_S7_ZZZN2at6native31launch_logcumsumexp_cuda_kernelERKNSE_10TensorBaseESI_lENKUlvE_clEvENKUlvE1_clEvEUlS7_S7_E_S7_EEDaPvRmT3_T4_T5_mT6_P12ihipStream_tbENKUlT_T0_E_clISt17integral_constantIbLb1EESY_IbLb0EEEEDaSU_SV_EUlSU_E_NS1_11comp_targetILNS1_3genE8ELNS1_11target_archE1030ELNS1_3gpuE2ELNS1_3repE0EEENS1_30default_config_static_selectorELNS0_4arch9wavefront6targetE1EEEvT1_.num_vgpr, 0
	.set _ZN7rocprim17ROCPRIM_400000_NS6detail17trampoline_kernelINS0_14default_configENS1_20scan_config_selectorIN3c107complexIdEEEEZZNS1_9scan_implILNS1_25lookback_scan_determinismE0ELb0ELb0ES3_PKS7_PS7_S7_ZZZN2at6native31launch_logcumsumexp_cuda_kernelERKNSE_10TensorBaseESI_lENKUlvE_clEvENKUlvE1_clEvEUlS7_S7_E_S7_EEDaPvRmT3_T4_T5_mT6_P12ihipStream_tbENKUlT_T0_E_clISt17integral_constantIbLb1EESY_IbLb0EEEEDaSU_SV_EUlSU_E_NS1_11comp_targetILNS1_3genE8ELNS1_11target_archE1030ELNS1_3gpuE2ELNS1_3repE0EEENS1_30default_config_static_selectorELNS0_4arch9wavefront6targetE1EEEvT1_.num_agpr, 0
	.set _ZN7rocprim17ROCPRIM_400000_NS6detail17trampoline_kernelINS0_14default_configENS1_20scan_config_selectorIN3c107complexIdEEEEZZNS1_9scan_implILNS1_25lookback_scan_determinismE0ELb0ELb0ES3_PKS7_PS7_S7_ZZZN2at6native31launch_logcumsumexp_cuda_kernelERKNSE_10TensorBaseESI_lENKUlvE_clEvENKUlvE1_clEvEUlS7_S7_E_S7_EEDaPvRmT3_T4_T5_mT6_P12ihipStream_tbENKUlT_T0_E_clISt17integral_constantIbLb1EESY_IbLb0EEEEDaSU_SV_EUlSU_E_NS1_11comp_targetILNS1_3genE8ELNS1_11target_archE1030ELNS1_3gpuE2ELNS1_3repE0EEENS1_30default_config_static_selectorELNS0_4arch9wavefront6targetE1EEEvT1_.numbered_sgpr, 0
	.set _ZN7rocprim17ROCPRIM_400000_NS6detail17trampoline_kernelINS0_14default_configENS1_20scan_config_selectorIN3c107complexIdEEEEZZNS1_9scan_implILNS1_25lookback_scan_determinismE0ELb0ELb0ES3_PKS7_PS7_S7_ZZZN2at6native31launch_logcumsumexp_cuda_kernelERKNSE_10TensorBaseESI_lENKUlvE_clEvENKUlvE1_clEvEUlS7_S7_E_S7_EEDaPvRmT3_T4_T5_mT6_P12ihipStream_tbENKUlT_T0_E_clISt17integral_constantIbLb1EESY_IbLb0EEEEDaSU_SV_EUlSU_E_NS1_11comp_targetILNS1_3genE8ELNS1_11target_archE1030ELNS1_3gpuE2ELNS1_3repE0EEENS1_30default_config_static_selectorELNS0_4arch9wavefront6targetE1EEEvT1_.num_named_barrier, 0
	.set _ZN7rocprim17ROCPRIM_400000_NS6detail17trampoline_kernelINS0_14default_configENS1_20scan_config_selectorIN3c107complexIdEEEEZZNS1_9scan_implILNS1_25lookback_scan_determinismE0ELb0ELb0ES3_PKS7_PS7_S7_ZZZN2at6native31launch_logcumsumexp_cuda_kernelERKNSE_10TensorBaseESI_lENKUlvE_clEvENKUlvE1_clEvEUlS7_S7_E_S7_EEDaPvRmT3_T4_T5_mT6_P12ihipStream_tbENKUlT_T0_E_clISt17integral_constantIbLb1EESY_IbLb0EEEEDaSU_SV_EUlSU_E_NS1_11comp_targetILNS1_3genE8ELNS1_11target_archE1030ELNS1_3gpuE2ELNS1_3repE0EEENS1_30default_config_static_selectorELNS0_4arch9wavefront6targetE1EEEvT1_.private_seg_size, 0
	.set _ZN7rocprim17ROCPRIM_400000_NS6detail17trampoline_kernelINS0_14default_configENS1_20scan_config_selectorIN3c107complexIdEEEEZZNS1_9scan_implILNS1_25lookback_scan_determinismE0ELb0ELb0ES3_PKS7_PS7_S7_ZZZN2at6native31launch_logcumsumexp_cuda_kernelERKNSE_10TensorBaseESI_lENKUlvE_clEvENKUlvE1_clEvEUlS7_S7_E_S7_EEDaPvRmT3_T4_T5_mT6_P12ihipStream_tbENKUlT_T0_E_clISt17integral_constantIbLb1EESY_IbLb0EEEEDaSU_SV_EUlSU_E_NS1_11comp_targetILNS1_3genE8ELNS1_11target_archE1030ELNS1_3gpuE2ELNS1_3repE0EEENS1_30default_config_static_selectorELNS0_4arch9wavefront6targetE1EEEvT1_.uses_vcc, 0
	.set _ZN7rocprim17ROCPRIM_400000_NS6detail17trampoline_kernelINS0_14default_configENS1_20scan_config_selectorIN3c107complexIdEEEEZZNS1_9scan_implILNS1_25lookback_scan_determinismE0ELb0ELb0ES3_PKS7_PS7_S7_ZZZN2at6native31launch_logcumsumexp_cuda_kernelERKNSE_10TensorBaseESI_lENKUlvE_clEvENKUlvE1_clEvEUlS7_S7_E_S7_EEDaPvRmT3_T4_T5_mT6_P12ihipStream_tbENKUlT_T0_E_clISt17integral_constantIbLb1EESY_IbLb0EEEEDaSU_SV_EUlSU_E_NS1_11comp_targetILNS1_3genE8ELNS1_11target_archE1030ELNS1_3gpuE2ELNS1_3repE0EEENS1_30default_config_static_selectorELNS0_4arch9wavefront6targetE1EEEvT1_.uses_flat_scratch, 0
	.set _ZN7rocprim17ROCPRIM_400000_NS6detail17trampoline_kernelINS0_14default_configENS1_20scan_config_selectorIN3c107complexIdEEEEZZNS1_9scan_implILNS1_25lookback_scan_determinismE0ELb0ELb0ES3_PKS7_PS7_S7_ZZZN2at6native31launch_logcumsumexp_cuda_kernelERKNSE_10TensorBaseESI_lENKUlvE_clEvENKUlvE1_clEvEUlS7_S7_E_S7_EEDaPvRmT3_T4_T5_mT6_P12ihipStream_tbENKUlT_T0_E_clISt17integral_constantIbLb1EESY_IbLb0EEEEDaSU_SV_EUlSU_E_NS1_11comp_targetILNS1_3genE8ELNS1_11target_archE1030ELNS1_3gpuE2ELNS1_3repE0EEENS1_30default_config_static_selectorELNS0_4arch9wavefront6targetE1EEEvT1_.has_dyn_sized_stack, 0
	.set _ZN7rocprim17ROCPRIM_400000_NS6detail17trampoline_kernelINS0_14default_configENS1_20scan_config_selectorIN3c107complexIdEEEEZZNS1_9scan_implILNS1_25lookback_scan_determinismE0ELb0ELb0ES3_PKS7_PS7_S7_ZZZN2at6native31launch_logcumsumexp_cuda_kernelERKNSE_10TensorBaseESI_lENKUlvE_clEvENKUlvE1_clEvEUlS7_S7_E_S7_EEDaPvRmT3_T4_T5_mT6_P12ihipStream_tbENKUlT_T0_E_clISt17integral_constantIbLb1EESY_IbLb0EEEEDaSU_SV_EUlSU_E_NS1_11comp_targetILNS1_3genE8ELNS1_11target_archE1030ELNS1_3gpuE2ELNS1_3repE0EEENS1_30default_config_static_selectorELNS0_4arch9wavefront6targetE1EEEvT1_.has_recursion, 0
	.set _ZN7rocprim17ROCPRIM_400000_NS6detail17trampoline_kernelINS0_14default_configENS1_20scan_config_selectorIN3c107complexIdEEEEZZNS1_9scan_implILNS1_25lookback_scan_determinismE0ELb0ELb0ES3_PKS7_PS7_S7_ZZZN2at6native31launch_logcumsumexp_cuda_kernelERKNSE_10TensorBaseESI_lENKUlvE_clEvENKUlvE1_clEvEUlS7_S7_E_S7_EEDaPvRmT3_T4_T5_mT6_P12ihipStream_tbENKUlT_T0_E_clISt17integral_constantIbLb1EESY_IbLb0EEEEDaSU_SV_EUlSU_E_NS1_11comp_targetILNS1_3genE8ELNS1_11target_archE1030ELNS1_3gpuE2ELNS1_3repE0EEENS1_30default_config_static_selectorELNS0_4arch9wavefront6targetE1EEEvT1_.has_indirect_call, 0
	.section	.AMDGPU.csdata,"",@progbits
; Kernel info:
; codeLenInByte = 0
; TotalNumSgprs: 4
; NumVgprs: 0
; ScratchSize: 0
; MemoryBound: 0
; FloatMode: 240
; IeeeMode: 1
; LDSByteSize: 0 bytes/workgroup (compile time only)
; SGPRBlocks: 0
; VGPRBlocks: 0
; NumSGPRsForWavesPerEU: 4
; NumVGPRsForWavesPerEU: 1
; Occupancy: 10
; WaveLimiterHint : 0
; COMPUTE_PGM_RSRC2:SCRATCH_EN: 0
; COMPUTE_PGM_RSRC2:USER_SGPR: 6
; COMPUTE_PGM_RSRC2:TRAP_HANDLER: 0
; COMPUTE_PGM_RSRC2:TGID_X_EN: 1
; COMPUTE_PGM_RSRC2:TGID_Y_EN: 0
; COMPUTE_PGM_RSRC2:TGID_Z_EN: 0
; COMPUTE_PGM_RSRC2:TIDIG_COMP_CNT: 0
	.section	.text._ZN7rocprim17ROCPRIM_400000_NS6detail17trampoline_kernelINS0_14default_configENS1_20scan_config_selectorIN3c107complexIdEEEEZZNS1_9scan_implILNS1_25lookback_scan_determinismE0ELb0ELb0ES3_PKS7_PS7_S7_ZZZN2at6native31launch_logcumsumexp_cuda_kernelERKNSE_10TensorBaseESI_lENKUlvE_clEvENKUlvE1_clEvEUlS7_S7_E_S7_EEDaPvRmT3_T4_T5_mT6_P12ihipStream_tbENKUlT_T0_E_clISt17integral_constantIbLb1EESY_IbLb0EEEEDaSU_SV_EUlSU_E0_NS1_11comp_targetILNS1_3genE0ELNS1_11target_archE4294967295ELNS1_3gpuE0ELNS1_3repE0EEENS1_30default_config_static_selectorELNS0_4arch9wavefront6targetE1EEEvT1_,"axG",@progbits,_ZN7rocprim17ROCPRIM_400000_NS6detail17trampoline_kernelINS0_14default_configENS1_20scan_config_selectorIN3c107complexIdEEEEZZNS1_9scan_implILNS1_25lookback_scan_determinismE0ELb0ELb0ES3_PKS7_PS7_S7_ZZZN2at6native31launch_logcumsumexp_cuda_kernelERKNSE_10TensorBaseESI_lENKUlvE_clEvENKUlvE1_clEvEUlS7_S7_E_S7_EEDaPvRmT3_T4_T5_mT6_P12ihipStream_tbENKUlT_T0_E_clISt17integral_constantIbLb1EESY_IbLb0EEEEDaSU_SV_EUlSU_E0_NS1_11comp_targetILNS1_3genE0ELNS1_11target_archE4294967295ELNS1_3gpuE0ELNS1_3repE0EEENS1_30default_config_static_selectorELNS0_4arch9wavefront6targetE1EEEvT1_,comdat
	.globl	_ZN7rocprim17ROCPRIM_400000_NS6detail17trampoline_kernelINS0_14default_configENS1_20scan_config_selectorIN3c107complexIdEEEEZZNS1_9scan_implILNS1_25lookback_scan_determinismE0ELb0ELb0ES3_PKS7_PS7_S7_ZZZN2at6native31launch_logcumsumexp_cuda_kernelERKNSE_10TensorBaseESI_lENKUlvE_clEvENKUlvE1_clEvEUlS7_S7_E_S7_EEDaPvRmT3_T4_T5_mT6_P12ihipStream_tbENKUlT_T0_E_clISt17integral_constantIbLb1EESY_IbLb0EEEEDaSU_SV_EUlSU_E0_NS1_11comp_targetILNS1_3genE0ELNS1_11target_archE4294967295ELNS1_3gpuE0ELNS1_3repE0EEENS1_30default_config_static_selectorELNS0_4arch9wavefront6targetE1EEEvT1_ ; -- Begin function _ZN7rocprim17ROCPRIM_400000_NS6detail17trampoline_kernelINS0_14default_configENS1_20scan_config_selectorIN3c107complexIdEEEEZZNS1_9scan_implILNS1_25lookback_scan_determinismE0ELb0ELb0ES3_PKS7_PS7_S7_ZZZN2at6native31launch_logcumsumexp_cuda_kernelERKNSE_10TensorBaseESI_lENKUlvE_clEvENKUlvE1_clEvEUlS7_S7_E_S7_EEDaPvRmT3_T4_T5_mT6_P12ihipStream_tbENKUlT_T0_E_clISt17integral_constantIbLb1EESY_IbLb0EEEEDaSU_SV_EUlSU_E0_NS1_11comp_targetILNS1_3genE0ELNS1_11target_archE4294967295ELNS1_3gpuE0ELNS1_3repE0EEENS1_30default_config_static_selectorELNS0_4arch9wavefront6targetE1EEEvT1_
	.p2align	8
	.type	_ZN7rocprim17ROCPRIM_400000_NS6detail17trampoline_kernelINS0_14default_configENS1_20scan_config_selectorIN3c107complexIdEEEEZZNS1_9scan_implILNS1_25lookback_scan_determinismE0ELb0ELb0ES3_PKS7_PS7_S7_ZZZN2at6native31launch_logcumsumexp_cuda_kernelERKNSE_10TensorBaseESI_lENKUlvE_clEvENKUlvE1_clEvEUlS7_S7_E_S7_EEDaPvRmT3_T4_T5_mT6_P12ihipStream_tbENKUlT_T0_E_clISt17integral_constantIbLb1EESY_IbLb0EEEEDaSU_SV_EUlSU_E0_NS1_11comp_targetILNS1_3genE0ELNS1_11target_archE4294967295ELNS1_3gpuE0ELNS1_3repE0EEENS1_30default_config_static_selectorELNS0_4arch9wavefront6targetE1EEEvT1_,@function
_ZN7rocprim17ROCPRIM_400000_NS6detail17trampoline_kernelINS0_14default_configENS1_20scan_config_selectorIN3c107complexIdEEEEZZNS1_9scan_implILNS1_25lookback_scan_determinismE0ELb0ELb0ES3_PKS7_PS7_S7_ZZZN2at6native31launch_logcumsumexp_cuda_kernelERKNSE_10TensorBaseESI_lENKUlvE_clEvENKUlvE1_clEvEUlS7_S7_E_S7_EEDaPvRmT3_T4_T5_mT6_P12ihipStream_tbENKUlT_T0_E_clISt17integral_constantIbLb1EESY_IbLb0EEEEDaSU_SV_EUlSU_E0_NS1_11comp_targetILNS1_3genE0ELNS1_11target_archE4294967295ELNS1_3gpuE0ELNS1_3repE0EEENS1_30default_config_static_selectorELNS0_4arch9wavefront6targetE1EEEvT1_: ; @_ZN7rocprim17ROCPRIM_400000_NS6detail17trampoline_kernelINS0_14default_configENS1_20scan_config_selectorIN3c107complexIdEEEEZZNS1_9scan_implILNS1_25lookback_scan_determinismE0ELb0ELb0ES3_PKS7_PS7_S7_ZZZN2at6native31launch_logcumsumexp_cuda_kernelERKNSE_10TensorBaseESI_lENKUlvE_clEvENKUlvE1_clEvEUlS7_S7_E_S7_EEDaPvRmT3_T4_T5_mT6_P12ihipStream_tbENKUlT_T0_E_clISt17integral_constantIbLb1EESY_IbLb0EEEEDaSU_SV_EUlSU_E0_NS1_11comp_targetILNS1_3genE0ELNS1_11target_archE4294967295ELNS1_3gpuE0ELNS1_3repE0EEENS1_30default_config_static_selectorELNS0_4arch9wavefront6targetE1EEEvT1_
; %bb.0:
	.section	.rodata,"a",@progbits
	.p2align	6, 0x0
	.amdhsa_kernel _ZN7rocprim17ROCPRIM_400000_NS6detail17trampoline_kernelINS0_14default_configENS1_20scan_config_selectorIN3c107complexIdEEEEZZNS1_9scan_implILNS1_25lookback_scan_determinismE0ELb0ELb0ES3_PKS7_PS7_S7_ZZZN2at6native31launch_logcumsumexp_cuda_kernelERKNSE_10TensorBaseESI_lENKUlvE_clEvENKUlvE1_clEvEUlS7_S7_E_S7_EEDaPvRmT3_T4_T5_mT6_P12ihipStream_tbENKUlT_T0_E_clISt17integral_constantIbLb1EESY_IbLb0EEEEDaSU_SV_EUlSU_E0_NS1_11comp_targetILNS1_3genE0ELNS1_11target_archE4294967295ELNS1_3gpuE0ELNS1_3repE0EEENS1_30default_config_static_selectorELNS0_4arch9wavefront6targetE1EEEvT1_
		.amdhsa_group_segment_fixed_size 0
		.amdhsa_private_segment_fixed_size 0
		.amdhsa_kernarg_size 48
		.amdhsa_user_sgpr_count 6
		.amdhsa_user_sgpr_private_segment_buffer 1
		.amdhsa_user_sgpr_dispatch_ptr 0
		.amdhsa_user_sgpr_queue_ptr 0
		.amdhsa_user_sgpr_kernarg_segment_ptr 1
		.amdhsa_user_sgpr_dispatch_id 0
		.amdhsa_user_sgpr_flat_scratch_init 0
		.amdhsa_user_sgpr_private_segment_size 0
		.amdhsa_uses_dynamic_stack 0
		.amdhsa_system_sgpr_private_segment_wavefront_offset 0
		.amdhsa_system_sgpr_workgroup_id_x 1
		.amdhsa_system_sgpr_workgroup_id_y 0
		.amdhsa_system_sgpr_workgroup_id_z 0
		.amdhsa_system_sgpr_workgroup_info 0
		.amdhsa_system_vgpr_workitem_id 0
		.amdhsa_next_free_vgpr 1
		.amdhsa_next_free_sgpr 0
		.amdhsa_reserve_vcc 0
		.amdhsa_reserve_flat_scratch 0
		.amdhsa_float_round_mode_32 0
		.amdhsa_float_round_mode_16_64 0
		.amdhsa_float_denorm_mode_32 3
		.amdhsa_float_denorm_mode_16_64 3
		.amdhsa_dx10_clamp 1
		.amdhsa_ieee_mode 1
		.amdhsa_fp16_overflow 0
		.amdhsa_exception_fp_ieee_invalid_op 0
		.amdhsa_exception_fp_denorm_src 0
		.amdhsa_exception_fp_ieee_div_zero 0
		.amdhsa_exception_fp_ieee_overflow 0
		.amdhsa_exception_fp_ieee_underflow 0
		.amdhsa_exception_fp_ieee_inexact 0
		.amdhsa_exception_int_div_zero 0
	.end_amdhsa_kernel
	.section	.text._ZN7rocprim17ROCPRIM_400000_NS6detail17trampoline_kernelINS0_14default_configENS1_20scan_config_selectorIN3c107complexIdEEEEZZNS1_9scan_implILNS1_25lookback_scan_determinismE0ELb0ELb0ES3_PKS7_PS7_S7_ZZZN2at6native31launch_logcumsumexp_cuda_kernelERKNSE_10TensorBaseESI_lENKUlvE_clEvENKUlvE1_clEvEUlS7_S7_E_S7_EEDaPvRmT3_T4_T5_mT6_P12ihipStream_tbENKUlT_T0_E_clISt17integral_constantIbLb1EESY_IbLb0EEEEDaSU_SV_EUlSU_E0_NS1_11comp_targetILNS1_3genE0ELNS1_11target_archE4294967295ELNS1_3gpuE0ELNS1_3repE0EEENS1_30default_config_static_selectorELNS0_4arch9wavefront6targetE1EEEvT1_,"axG",@progbits,_ZN7rocprim17ROCPRIM_400000_NS6detail17trampoline_kernelINS0_14default_configENS1_20scan_config_selectorIN3c107complexIdEEEEZZNS1_9scan_implILNS1_25lookback_scan_determinismE0ELb0ELb0ES3_PKS7_PS7_S7_ZZZN2at6native31launch_logcumsumexp_cuda_kernelERKNSE_10TensorBaseESI_lENKUlvE_clEvENKUlvE1_clEvEUlS7_S7_E_S7_EEDaPvRmT3_T4_T5_mT6_P12ihipStream_tbENKUlT_T0_E_clISt17integral_constantIbLb1EESY_IbLb0EEEEDaSU_SV_EUlSU_E0_NS1_11comp_targetILNS1_3genE0ELNS1_11target_archE4294967295ELNS1_3gpuE0ELNS1_3repE0EEENS1_30default_config_static_selectorELNS0_4arch9wavefront6targetE1EEEvT1_,comdat
.Lfunc_end231:
	.size	_ZN7rocprim17ROCPRIM_400000_NS6detail17trampoline_kernelINS0_14default_configENS1_20scan_config_selectorIN3c107complexIdEEEEZZNS1_9scan_implILNS1_25lookback_scan_determinismE0ELb0ELb0ES3_PKS7_PS7_S7_ZZZN2at6native31launch_logcumsumexp_cuda_kernelERKNSE_10TensorBaseESI_lENKUlvE_clEvENKUlvE1_clEvEUlS7_S7_E_S7_EEDaPvRmT3_T4_T5_mT6_P12ihipStream_tbENKUlT_T0_E_clISt17integral_constantIbLb1EESY_IbLb0EEEEDaSU_SV_EUlSU_E0_NS1_11comp_targetILNS1_3genE0ELNS1_11target_archE4294967295ELNS1_3gpuE0ELNS1_3repE0EEENS1_30default_config_static_selectorELNS0_4arch9wavefront6targetE1EEEvT1_, .Lfunc_end231-_ZN7rocprim17ROCPRIM_400000_NS6detail17trampoline_kernelINS0_14default_configENS1_20scan_config_selectorIN3c107complexIdEEEEZZNS1_9scan_implILNS1_25lookback_scan_determinismE0ELb0ELb0ES3_PKS7_PS7_S7_ZZZN2at6native31launch_logcumsumexp_cuda_kernelERKNSE_10TensorBaseESI_lENKUlvE_clEvENKUlvE1_clEvEUlS7_S7_E_S7_EEDaPvRmT3_T4_T5_mT6_P12ihipStream_tbENKUlT_T0_E_clISt17integral_constantIbLb1EESY_IbLb0EEEEDaSU_SV_EUlSU_E0_NS1_11comp_targetILNS1_3genE0ELNS1_11target_archE4294967295ELNS1_3gpuE0ELNS1_3repE0EEENS1_30default_config_static_selectorELNS0_4arch9wavefront6targetE1EEEvT1_
                                        ; -- End function
	.set _ZN7rocprim17ROCPRIM_400000_NS6detail17trampoline_kernelINS0_14default_configENS1_20scan_config_selectorIN3c107complexIdEEEEZZNS1_9scan_implILNS1_25lookback_scan_determinismE0ELb0ELb0ES3_PKS7_PS7_S7_ZZZN2at6native31launch_logcumsumexp_cuda_kernelERKNSE_10TensorBaseESI_lENKUlvE_clEvENKUlvE1_clEvEUlS7_S7_E_S7_EEDaPvRmT3_T4_T5_mT6_P12ihipStream_tbENKUlT_T0_E_clISt17integral_constantIbLb1EESY_IbLb0EEEEDaSU_SV_EUlSU_E0_NS1_11comp_targetILNS1_3genE0ELNS1_11target_archE4294967295ELNS1_3gpuE0ELNS1_3repE0EEENS1_30default_config_static_selectorELNS0_4arch9wavefront6targetE1EEEvT1_.num_vgpr, 0
	.set _ZN7rocprim17ROCPRIM_400000_NS6detail17trampoline_kernelINS0_14default_configENS1_20scan_config_selectorIN3c107complexIdEEEEZZNS1_9scan_implILNS1_25lookback_scan_determinismE0ELb0ELb0ES3_PKS7_PS7_S7_ZZZN2at6native31launch_logcumsumexp_cuda_kernelERKNSE_10TensorBaseESI_lENKUlvE_clEvENKUlvE1_clEvEUlS7_S7_E_S7_EEDaPvRmT3_T4_T5_mT6_P12ihipStream_tbENKUlT_T0_E_clISt17integral_constantIbLb1EESY_IbLb0EEEEDaSU_SV_EUlSU_E0_NS1_11comp_targetILNS1_3genE0ELNS1_11target_archE4294967295ELNS1_3gpuE0ELNS1_3repE0EEENS1_30default_config_static_selectorELNS0_4arch9wavefront6targetE1EEEvT1_.num_agpr, 0
	.set _ZN7rocprim17ROCPRIM_400000_NS6detail17trampoline_kernelINS0_14default_configENS1_20scan_config_selectorIN3c107complexIdEEEEZZNS1_9scan_implILNS1_25lookback_scan_determinismE0ELb0ELb0ES3_PKS7_PS7_S7_ZZZN2at6native31launch_logcumsumexp_cuda_kernelERKNSE_10TensorBaseESI_lENKUlvE_clEvENKUlvE1_clEvEUlS7_S7_E_S7_EEDaPvRmT3_T4_T5_mT6_P12ihipStream_tbENKUlT_T0_E_clISt17integral_constantIbLb1EESY_IbLb0EEEEDaSU_SV_EUlSU_E0_NS1_11comp_targetILNS1_3genE0ELNS1_11target_archE4294967295ELNS1_3gpuE0ELNS1_3repE0EEENS1_30default_config_static_selectorELNS0_4arch9wavefront6targetE1EEEvT1_.numbered_sgpr, 0
	.set _ZN7rocprim17ROCPRIM_400000_NS6detail17trampoline_kernelINS0_14default_configENS1_20scan_config_selectorIN3c107complexIdEEEEZZNS1_9scan_implILNS1_25lookback_scan_determinismE0ELb0ELb0ES3_PKS7_PS7_S7_ZZZN2at6native31launch_logcumsumexp_cuda_kernelERKNSE_10TensorBaseESI_lENKUlvE_clEvENKUlvE1_clEvEUlS7_S7_E_S7_EEDaPvRmT3_T4_T5_mT6_P12ihipStream_tbENKUlT_T0_E_clISt17integral_constantIbLb1EESY_IbLb0EEEEDaSU_SV_EUlSU_E0_NS1_11comp_targetILNS1_3genE0ELNS1_11target_archE4294967295ELNS1_3gpuE0ELNS1_3repE0EEENS1_30default_config_static_selectorELNS0_4arch9wavefront6targetE1EEEvT1_.num_named_barrier, 0
	.set _ZN7rocprim17ROCPRIM_400000_NS6detail17trampoline_kernelINS0_14default_configENS1_20scan_config_selectorIN3c107complexIdEEEEZZNS1_9scan_implILNS1_25lookback_scan_determinismE0ELb0ELb0ES3_PKS7_PS7_S7_ZZZN2at6native31launch_logcumsumexp_cuda_kernelERKNSE_10TensorBaseESI_lENKUlvE_clEvENKUlvE1_clEvEUlS7_S7_E_S7_EEDaPvRmT3_T4_T5_mT6_P12ihipStream_tbENKUlT_T0_E_clISt17integral_constantIbLb1EESY_IbLb0EEEEDaSU_SV_EUlSU_E0_NS1_11comp_targetILNS1_3genE0ELNS1_11target_archE4294967295ELNS1_3gpuE0ELNS1_3repE0EEENS1_30default_config_static_selectorELNS0_4arch9wavefront6targetE1EEEvT1_.private_seg_size, 0
	.set _ZN7rocprim17ROCPRIM_400000_NS6detail17trampoline_kernelINS0_14default_configENS1_20scan_config_selectorIN3c107complexIdEEEEZZNS1_9scan_implILNS1_25lookback_scan_determinismE0ELb0ELb0ES3_PKS7_PS7_S7_ZZZN2at6native31launch_logcumsumexp_cuda_kernelERKNSE_10TensorBaseESI_lENKUlvE_clEvENKUlvE1_clEvEUlS7_S7_E_S7_EEDaPvRmT3_T4_T5_mT6_P12ihipStream_tbENKUlT_T0_E_clISt17integral_constantIbLb1EESY_IbLb0EEEEDaSU_SV_EUlSU_E0_NS1_11comp_targetILNS1_3genE0ELNS1_11target_archE4294967295ELNS1_3gpuE0ELNS1_3repE0EEENS1_30default_config_static_selectorELNS0_4arch9wavefront6targetE1EEEvT1_.uses_vcc, 0
	.set _ZN7rocprim17ROCPRIM_400000_NS6detail17trampoline_kernelINS0_14default_configENS1_20scan_config_selectorIN3c107complexIdEEEEZZNS1_9scan_implILNS1_25lookback_scan_determinismE0ELb0ELb0ES3_PKS7_PS7_S7_ZZZN2at6native31launch_logcumsumexp_cuda_kernelERKNSE_10TensorBaseESI_lENKUlvE_clEvENKUlvE1_clEvEUlS7_S7_E_S7_EEDaPvRmT3_T4_T5_mT6_P12ihipStream_tbENKUlT_T0_E_clISt17integral_constantIbLb1EESY_IbLb0EEEEDaSU_SV_EUlSU_E0_NS1_11comp_targetILNS1_3genE0ELNS1_11target_archE4294967295ELNS1_3gpuE0ELNS1_3repE0EEENS1_30default_config_static_selectorELNS0_4arch9wavefront6targetE1EEEvT1_.uses_flat_scratch, 0
	.set _ZN7rocprim17ROCPRIM_400000_NS6detail17trampoline_kernelINS0_14default_configENS1_20scan_config_selectorIN3c107complexIdEEEEZZNS1_9scan_implILNS1_25lookback_scan_determinismE0ELb0ELb0ES3_PKS7_PS7_S7_ZZZN2at6native31launch_logcumsumexp_cuda_kernelERKNSE_10TensorBaseESI_lENKUlvE_clEvENKUlvE1_clEvEUlS7_S7_E_S7_EEDaPvRmT3_T4_T5_mT6_P12ihipStream_tbENKUlT_T0_E_clISt17integral_constantIbLb1EESY_IbLb0EEEEDaSU_SV_EUlSU_E0_NS1_11comp_targetILNS1_3genE0ELNS1_11target_archE4294967295ELNS1_3gpuE0ELNS1_3repE0EEENS1_30default_config_static_selectorELNS0_4arch9wavefront6targetE1EEEvT1_.has_dyn_sized_stack, 0
	.set _ZN7rocprim17ROCPRIM_400000_NS6detail17trampoline_kernelINS0_14default_configENS1_20scan_config_selectorIN3c107complexIdEEEEZZNS1_9scan_implILNS1_25lookback_scan_determinismE0ELb0ELb0ES3_PKS7_PS7_S7_ZZZN2at6native31launch_logcumsumexp_cuda_kernelERKNSE_10TensorBaseESI_lENKUlvE_clEvENKUlvE1_clEvEUlS7_S7_E_S7_EEDaPvRmT3_T4_T5_mT6_P12ihipStream_tbENKUlT_T0_E_clISt17integral_constantIbLb1EESY_IbLb0EEEEDaSU_SV_EUlSU_E0_NS1_11comp_targetILNS1_3genE0ELNS1_11target_archE4294967295ELNS1_3gpuE0ELNS1_3repE0EEENS1_30default_config_static_selectorELNS0_4arch9wavefront6targetE1EEEvT1_.has_recursion, 0
	.set _ZN7rocprim17ROCPRIM_400000_NS6detail17trampoline_kernelINS0_14default_configENS1_20scan_config_selectorIN3c107complexIdEEEEZZNS1_9scan_implILNS1_25lookback_scan_determinismE0ELb0ELb0ES3_PKS7_PS7_S7_ZZZN2at6native31launch_logcumsumexp_cuda_kernelERKNSE_10TensorBaseESI_lENKUlvE_clEvENKUlvE1_clEvEUlS7_S7_E_S7_EEDaPvRmT3_T4_T5_mT6_P12ihipStream_tbENKUlT_T0_E_clISt17integral_constantIbLb1EESY_IbLb0EEEEDaSU_SV_EUlSU_E0_NS1_11comp_targetILNS1_3genE0ELNS1_11target_archE4294967295ELNS1_3gpuE0ELNS1_3repE0EEENS1_30default_config_static_selectorELNS0_4arch9wavefront6targetE1EEEvT1_.has_indirect_call, 0
	.section	.AMDGPU.csdata,"",@progbits
; Kernel info:
; codeLenInByte = 0
; TotalNumSgprs: 4
; NumVgprs: 0
; ScratchSize: 0
; MemoryBound: 0
; FloatMode: 240
; IeeeMode: 1
; LDSByteSize: 0 bytes/workgroup (compile time only)
; SGPRBlocks: 0
; VGPRBlocks: 0
; NumSGPRsForWavesPerEU: 4
; NumVGPRsForWavesPerEU: 1
; Occupancy: 10
; WaveLimiterHint : 0
; COMPUTE_PGM_RSRC2:SCRATCH_EN: 0
; COMPUTE_PGM_RSRC2:USER_SGPR: 6
; COMPUTE_PGM_RSRC2:TRAP_HANDLER: 0
; COMPUTE_PGM_RSRC2:TGID_X_EN: 1
; COMPUTE_PGM_RSRC2:TGID_Y_EN: 0
; COMPUTE_PGM_RSRC2:TGID_Z_EN: 0
; COMPUTE_PGM_RSRC2:TIDIG_COMP_CNT: 0
	.section	.text._ZN7rocprim17ROCPRIM_400000_NS6detail17trampoline_kernelINS0_14default_configENS1_20scan_config_selectorIN3c107complexIdEEEEZZNS1_9scan_implILNS1_25lookback_scan_determinismE0ELb0ELb0ES3_PKS7_PS7_S7_ZZZN2at6native31launch_logcumsumexp_cuda_kernelERKNSE_10TensorBaseESI_lENKUlvE_clEvENKUlvE1_clEvEUlS7_S7_E_S7_EEDaPvRmT3_T4_T5_mT6_P12ihipStream_tbENKUlT_T0_E_clISt17integral_constantIbLb1EESY_IbLb0EEEEDaSU_SV_EUlSU_E0_NS1_11comp_targetILNS1_3genE5ELNS1_11target_archE942ELNS1_3gpuE9ELNS1_3repE0EEENS1_30default_config_static_selectorELNS0_4arch9wavefront6targetE1EEEvT1_,"axG",@progbits,_ZN7rocprim17ROCPRIM_400000_NS6detail17trampoline_kernelINS0_14default_configENS1_20scan_config_selectorIN3c107complexIdEEEEZZNS1_9scan_implILNS1_25lookback_scan_determinismE0ELb0ELb0ES3_PKS7_PS7_S7_ZZZN2at6native31launch_logcumsumexp_cuda_kernelERKNSE_10TensorBaseESI_lENKUlvE_clEvENKUlvE1_clEvEUlS7_S7_E_S7_EEDaPvRmT3_T4_T5_mT6_P12ihipStream_tbENKUlT_T0_E_clISt17integral_constantIbLb1EESY_IbLb0EEEEDaSU_SV_EUlSU_E0_NS1_11comp_targetILNS1_3genE5ELNS1_11target_archE942ELNS1_3gpuE9ELNS1_3repE0EEENS1_30default_config_static_selectorELNS0_4arch9wavefront6targetE1EEEvT1_,comdat
	.globl	_ZN7rocprim17ROCPRIM_400000_NS6detail17trampoline_kernelINS0_14default_configENS1_20scan_config_selectorIN3c107complexIdEEEEZZNS1_9scan_implILNS1_25lookback_scan_determinismE0ELb0ELb0ES3_PKS7_PS7_S7_ZZZN2at6native31launch_logcumsumexp_cuda_kernelERKNSE_10TensorBaseESI_lENKUlvE_clEvENKUlvE1_clEvEUlS7_S7_E_S7_EEDaPvRmT3_T4_T5_mT6_P12ihipStream_tbENKUlT_T0_E_clISt17integral_constantIbLb1EESY_IbLb0EEEEDaSU_SV_EUlSU_E0_NS1_11comp_targetILNS1_3genE5ELNS1_11target_archE942ELNS1_3gpuE9ELNS1_3repE0EEENS1_30default_config_static_selectorELNS0_4arch9wavefront6targetE1EEEvT1_ ; -- Begin function _ZN7rocprim17ROCPRIM_400000_NS6detail17trampoline_kernelINS0_14default_configENS1_20scan_config_selectorIN3c107complexIdEEEEZZNS1_9scan_implILNS1_25lookback_scan_determinismE0ELb0ELb0ES3_PKS7_PS7_S7_ZZZN2at6native31launch_logcumsumexp_cuda_kernelERKNSE_10TensorBaseESI_lENKUlvE_clEvENKUlvE1_clEvEUlS7_S7_E_S7_EEDaPvRmT3_T4_T5_mT6_P12ihipStream_tbENKUlT_T0_E_clISt17integral_constantIbLb1EESY_IbLb0EEEEDaSU_SV_EUlSU_E0_NS1_11comp_targetILNS1_3genE5ELNS1_11target_archE942ELNS1_3gpuE9ELNS1_3repE0EEENS1_30default_config_static_selectorELNS0_4arch9wavefront6targetE1EEEvT1_
	.p2align	8
	.type	_ZN7rocprim17ROCPRIM_400000_NS6detail17trampoline_kernelINS0_14default_configENS1_20scan_config_selectorIN3c107complexIdEEEEZZNS1_9scan_implILNS1_25lookback_scan_determinismE0ELb0ELb0ES3_PKS7_PS7_S7_ZZZN2at6native31launch_logcumsumexp_cuda_kernelERKNSE_10TensorBaseESI_lENKUlvE_clEvENKUlvE1_clEvEUlS7_S7_E_S7_EEDaPvRmT3_T4_T5_mT6_P12ihipStream_tbENKUlT_T0_E_clISt17integral_constantIbLb1EESY_IbLb0EEEEDaSU_SV_EUlSU_E0_NS1_11comp_targetILNS1_3genE5ELNS1_11target_archE942ELNS1_3gpuE9ELNS1_3repE0EEENS1_30default_config_static_selectorELNS0_4arch9wavefront6targetE1EEEvT1_,@function
_ZN7rocprim17ROCPRIM_400000_NS6detail17trampoline_kernelINS0_14default_configENS1_20scan_config_selectorIN3c107complexIdEEEEZZNS1_9scan_implILNS1_25lookback_scan_determinismE0ELb0ELb0ES3_PKS7_PS7_S7_ZZZN2at6native31launch_logcumsumexp_cuda_kernelERKNSE_10TensorBaseESI_lENKUlvE_clEvENKUlvE1_clEvEUlS7_S7_E_S7_EEDaPvRmT3_T4_T5_mT6_P12ihipStream_tbENKUlT_T0_E_clISt17integral_constantIbLb1EESY_IbLb0EEEEDaSU_SV_EUlSU_E0_NS1_11comp_targetILNS1_3genE5ELNS1_11target_archE942ELNS1_3gpuE9ELNS1_3repE0EEENS1_30default_config_static_selectorELNS0_4arch9wavefront6targetE1EEEvT1_: ; @_ZN7rocprim17ROCPRIM_400000_NS6detail17trampoline_kernelINS0_14default_configENS1_20scan_config_selectorIN3c107complexIdEEEEZZNS1_9scan_implILNS1_25lookback_scan_determinismE0ELb0ELb0ES3_PKS7_PS7_S7_ZZZN2at6native31launch_logcumsumexp_cuda_kernelERKNSE_10TensorBaseESI_lENKUlvE_clEvENKUlvE1_clEvEUlS7_S7_E_S7_EEDaPvRmT3_T4_T5_mT6_P12ihipStream_tbENKUlT_T0_E_clISt17integral_constantIbLb1EESY_IbLb0EEEEDaSU_SV_EUlSU_E0_NS1_11comp_targetILNS1_3genE5ELNS1_11target_archE942ELNS1_3gpuE9ELNS1_3repE0EEENS1_30default_config_static_selectorELNS0_4arch9wavefront6targetE1EEEvT1_
; %bb.0:
	.section	.rodata,"a",@progbits
	.p2align	6, 0x0
	.amdhsa_kernel _ZN7rocprim17ROCPRIM_400000_NS6detail17trampoline_kernelINS0_14default_configENS1_20scan_config_selectorIN3c107complexIdEEEEZZNS1_9scan_implILNS1_25lookback_scan_determinismE0ELb0ELb0ES3_PKS7_PS7_S7_ZZZN2at6native31launch_logcumsumexp_cuda_kernelERKNSE_10TensorBaseESI_lENKUlvE_clEvENKUlvE1_clEvEUlS7_S7_E_S7_EEDaPvRmT3_T4_T5_mT6_P12ihipStream_tbENKUlT_T0_E_clISt17integral_constantIbLb1EESY_IbLb0EEEEDaSU_SV_EUlSU_E0_NS1_11comp_targetILNS1_3genE5ELNS1_11target_archE942ELNS1_3gpuE9ELNS1_3repE0EEENS1_30default_config_static_selectorELNS0_4arch9wavefront6targetE1EEEvT1_
		.amdhsa_group_segment_fixed_size 0
		.amdhsa_private_segment_fixed_size 0
		.amdhsa_kernarg_size 48
		.amdhsa_user_sgpr_count 6
		.amdhsa_user_sgpr_private_segment_buffer 1
		.amdhsa_user_sgpr_dispatch_ptr 0
		.amdhsa_user_sgpr_queue_ptr 0
		.amdhsa_user_sgpr_kernarg_segment_ptr 1
		.amdhsa_user_sgpr_dispatch_id 0
		.amdhsa_user_sgpr_flat_scratch_init 0
		.amdhsa_user_sgpr_private_segment_size 0
		.amdhsa_uses_dynamic_stack 0
		.amdhsa_system_sgpr_private_segment_wavefront_offset 0
		.amdhsa_system_sgpr_workgroup_id_x 1
		.amdhsa_system_sgpr_workgroup_id_y 0
		.amdhsa_system_sgpr_workgroup_id_z 0
		.amdhsa_system_sgpr_workgroup_info 0
		.amdhsa_system_vgpr_workitem_id 0
		.amdhsa_next_free_vgpr 1
		.amdhsa_next_free_sgpr 0
		.amdhsa_reserve_vcc 0
		.amdhsa_reserve_flat_scratch 0
		.amdhsa_float_round_mode_32 0
		.amdhsa_float_round_mode_16_64 0
		.amdhsa_float_denorm_mode_32 3
		.amdhsa_float_denorm_mode_16_64 3
		.amdhsa_dx10_clamp 1
		.amdhsa_ieee_mode 1
		.amdhsa_fp16_overflow 0
		.amdhsa_exception_fp_ieee_invalid_op 0
		.amdhsa_exception_fp_denorm_src 0
		.amdhsa_exception_fp_ieee_div_zero 0
		.amdhsa_exception_fp_ieee_overflow 0
		.amdhsa_exception_fp_ieee_underflow 0
		.amdhsa_exception_fp_ieee_inexact 0
		.amdhsa_exception_int_div_zero 0
	.end_amdhsa_kernel
	.section	.text._ZN7rocprim17ROCPRIM_400000_NS6detail17trampoline_kernelINS0_14default_configENS1_20scan_config_selectorIN3c107complexIdEEEEZZNS1_9scan_implILNS1_25lookback_scan_determinismE0ELb0ELb0ES3_PKS7_PS7_S7_ZZZN2at6native31launch_logcumsumexp_cuda_kernelERKNSE_10TensorBaseESI_lENKUlvE_clEvENKUlvE1_clEvEUlS7_S7_E_S7_EEDaPvRmT3_T4_T5_mT6_P12ihipStream_tbENKUlT_T0_E_clISt17integral_constantIbLb1EESY_IbLb0EEEEDaSU_SV_EUlSU_E0_NS1_11comp_targetILNS1_3genE5ELNS1_11target_archE942ELNS1_3gpuE9ELNS1_3repE0EEENS1_30default_config_static_selectorELNS0_4arch9wavefront6targetE1EEEvT1_,"axG",@progbits,_ZN7rocprim17ROCPRIM_400000_NS6detail17trampoline_kernelINS0_14default_configENS1_20scan_config_selectorIN3c107complexIdEEEEZZNS1_9scan_implILNS1_25lookback_scan_determinismE0ELb0ELb0ES3_PKS7_PS7_S7_ZZZN2at6native31launch_logcumsumexp_cuda_kernelERKNSE_10TensorBaseESI_lENKUlvE_clEvENKUlvE1_clEvEUlS7_S7_E_S7_EEDaPvRmT3_T4_T5_mT6_P12ihipStream_tbENKUlT_T0_E_clISt17integral_constantIbLb1EESY_IbLb0EEEEDaSU_SV_EUlSU_E0_NS1_11comp_targetILNS1_3genE5ELNS1_11target_archE942ELNS1_3gpuE9ELNS1_3repE0EEENS1_30default_config_static_selectorELNS0_4arch9wavefront6targetE1EEEvT1_,comdat
.Lfunc_end232:
	.size	_ZN7rocprim17ROCPRIM_400000_NS6detail17trampoline_kernelINS0_14default_configENS1_20scan_config_selectorIN3c107complexIdEEEEZZNS1_9scan_implILNS1_25lookback_scan_determinismE0ELb0ELb0ES3_PKS7_PS7_S7_ZZZN2at6native31launch_logcumsumexp_cuda_kernelERKNSE_10TensorBaseESI_lENKUlvE_clEvENKUlvE1_clEvEUlS7_S7_E_S7_EEDaPvRmT3_T4_T5_mT6_P12ihipStream_tbENKUlT_T0_E_clISt17integral_constantIbLb1EESY_IbLb0EEEEDaSU_SV_EUlSU_E0_NS1_11comp_targetILNS1_3genE5ELNS1_11target_archE942ELNS1_3gpuE9ELNS1_3repE0EEENS1_30default_config_static_selectorELNS0_4arch9wavefront6targetE1EEEvT1_, .Lfunc_end232-_ZN7rocprim17ROCPRIM_400000_NS6detail17trampoline_kernelINS0_14default_configENS1_20scan_config_selectorIN3c107complexIdEEEEZZNS1_9scan_implILNS1_25lookback_scan_determinismE0ELb0ELb0ES3_PKS7_PS7_S7_ZZZN2at6native31launch_logcumsumexp_cuda_kernelERKNSE_10TensorBaseESI_lENKUlvE_clEvENKUlvE1_clEvEUlS7_S7_E_S7_EEDaPvRmT3_T4_T5_mT6_P12ihipStream_tbENKUlT_T0_E_clISt17integral_constantIbLb1EESY_IbLb0EEEEDaSU_SV_EUlSU_E0_NS1_11comp_targetILNS1_3genE5ELNS1_11target_archE942ELNS1_3gpuE9ELNS1_3repE0EEENS1_30default_config_static_selectorELNS0_4arch9wavefront6targetE1EEEvT1_
                                        ; -- End function
	.set _ZN7rocprim17ROCPRIM_400000_NS6detail17trampoline_kernelINS0_14default_configENS1_20scan_config_selectorIN3c107complexIdEEEEZZNS1_9scan_implILNS1_25lookback_scan_determinismE0ELb0ELb0ES3_PKS7_PS7_S7_ZZZN2at6native31launch_logcumsumexp_cuda_kernelERKNSE_10TensorBaseESI_lENKUlvE_clEvENKUlvE1_clEvEUlS7_S7_E_S7_EEDaPvRmT3_T4_T5_mT6_P12ihipStream_tbENKUlT_T0_E_clISt17integral_constantIbLb1EESY_IbLb0EEEEDaSU_SV_EUlSU_E0_NS1_11comp_targetILNS1_3genE5ELNS1_11target_archE942ELNS1_3gpuE9ELNS1_3repE0EEENS1_30default_config_static_selectorELNS0_4arch9wavefront6targetE1EEEvT1_.num_vgpr, 0
	.set _ZN7rocprim17ROCPRIM_400000_NS6detail17trampoline_kernelINS0_14default_configENS1_20scan_config_selectorIN3c107complexIdEEEEZZNS1_9scan_implILNS1_25lookback_scan_determinismE0ELb0ELb0ES3_PKS7_PS7_S7_ZZZN2at6native31launch_logcumsumexp_cuda_kernelERKNSE_10TensorBaseESI_lENKUlvE_clEvENKUlvE1_clEvEUlS7_S7_E_S7_EEDaPvRmT3_T4_T5_mT6_P12ihipStream_tbENKUlT_T0_E_clISt17integral_constantIbLb1EESY_IbLb0EEEEDaSU_SV_EUlSU_E0_NS1_11comp_targetILNS1_3genE5ELNS1_11target_archE942ELNS1_3gpuE9ELNS1_3repE0EEENS1_30default_config_static_selectorELNS0_4arch9wavefront6targetE1EEEvT1_.num_agpr, 0
	.set _ZN7rocprim17ROCPRIM_400000_NS6detail17trampoline_kernelINS0_14default_configENS1_20scan_config_selectorIN3c107complexIdEEEEZZNS1_9scan_implILNS1_25lookback_scan_determinismE0ELb0ELb0ES3_PKS7_PS7_S7_ZZZN2at6native31launch_logcumsumexp_cuda_kernelERKNSE_10TensorBaseESI_lENKUlvE_clEvENKUlvE1_clEvEUlS7_S7_E_S7_EEDaPvRmT3_T4_T5_mT6_P12ihipStream_tbENKUlT_T0_E_clISt17integral_constantIbLb1EESY_IbLb0EEEEDaSU_SV_EUlSU_E0_NS1_11comp_targetILNS1_3genE5ELNS1_11target_archE942ELNS1_3gpuE9ELNS1_3repE0EEENS1_30default_config_static_selectorELNS0_4arch9wavefront6targetE1EEEvT1_.numbered_sgpr, 0
	.set _ZN7rocprim17ROCPRIM_400000_NS6detail17trampoline_kernelINS0_14default_configENS1_20scan_config_selectorIN3c107complexIdEEEEZZNS1_9scan_implILNS1_25lookback_scan_determinismE0ELb0ELb0ES3_PKS7_PS7_S7_ZZZN2at6native31launch_logcumsumexp_cuda_kernelERKNSE_10TensorBaseESI_lENKUlvE_clEvENKUlvE1_clEvEUlS7_S7_E_S7_EEDaPvRmT3_T4_T5_mT6_P12ihipStream_tbENKUlT_T0_E_clISt17integral_constantIbLb1EESY_IbLb0EEEEDaSU_SV_EUlSU_E0_NS1_11comp_targetILNS1_3genE5ELNS1_11target_archE942ELNS1_3gpuE9ELNS1_3repE0EEENS1_30default_config_static_selectorELNS0_4arch9wavefront6targetE1EEEvT1_.num_named_barrier, 0
	.set _ZN7rocprim17ROCPRIM_400000_NS6detail17trampoline_kernelINS0_14default_configENS1_20scan_config_selectorIN3c107complexIdEEEEZZNS1_9scan_implILNS1_25lookback_scan_determinismE0ELb0ELb0ES3_PKS7_PS7_S7_ZZZN2at6native31launch_logcumsumexp_cuda_kernelERKNSE_10TensorBaseESI_lENKUlvE_clEvENKUlvE1_clEvEUlS7_S7_E_S7_EEDaPvRmT3_T4_T5_mT6_P12ihipStream_tbENKUlT_T0_E_clISt17integral_constantIbLb1EESY_IbLb0EEEEDaSU_SV_EUlSU_E0_NS1_11comp_targetILNS1_3genE5ELNS1_11target_archE942ELNS1_3gpuE9ELNS1_3repE0EEENS1_30default_config_static_selectorELNS0_4arch9wavefront6targetE1EEEvT1_.private_seg_size, 0
	.set _ZN7rocprim17ROCPRIM_400000_NS6detail17trampoline_kernelINS0_14default_configENS1_20scan_config_selectorIN3c107complexIdEEEEZZNS1_9scan_implILNS1_25lookback_scan_determinismE0ELb0ELb0ES3_PKS7_PS7_S7_ZZZN2at6native31launch_logcumsumexp_cuda_kernelERKNSE_10TensorBaseESI_lENKUlvE_clEvENKUlvE1_clEvEUlS7_S7_E_S7_EEDaPvRmT3_T4_T5_mT6_P12ihipStream_tbENKUlT_T0_E_clISt17integral_constantIbLb1EESY_IbLb0EEEEDaSU_SV_EUlSU_E0_NS1_11comp_targetILNS1_3genE5ELNS1_11target_archE942ELNS1_3gpuE9ELNS1_3repE0EEENS1_30default_config_static_selectorELNS0_4arch9wavefront6targetE1EEEvT1_.uses_vcc, 0
	.set _ZN7rocprim17ROCPRIM_400000_NS6detail17trampoline_kernelINS0_14default_configENS1_20scan_config_selectorIN3c107complexIdEEEEZZNS1_9scan_implILNS1_25lookback_scan_determinismE0ELb0ELb0ES3_PKS7_PS7_S7_ZZZN2at6native31launch_logcumsumexp_cuda_kernelERKNSE_10TensorBaseESI_lENKUlvE_clEvENKUlvE1_clEvEUlS7_S7_E_S7_EEDaPvRmT3_T4_T5_mT6_P12ihipStream_tbENKUlT_T0_E_clISt17integral_constantIbLb1EESY_IbLb0EEEEDaSU_SV_EUlSU_E0_NS1_11comp_targetILNS1_3genE5ELNS1_11target_archE942ELNS1_3gpuE9ELNS1_3repE0EEENS1_30default_config_static_selectorELNS0_4arch9wavefront6targetE1EEEvT1_.uses_flat_scratch, 0
	.set _ZN7rocprim17ROCPRIM_400000_NS6detail17trampoline_kernelINS0_14default_configENS1_20scan_config_selectorIN3c107complexIdEEEEZZNS1_9scan_implILNS1_25lookback_scan_determinismE0ELb0ELb0ES3_PKS7_PS7_S7_ZZZN2at6native31launch_logcumsumexp_cuda_kernelERKNSE_10TensorBaseESI_lENKUlvE_clEvENKUlvE1_clEvEUlS7_S7_E_S7_EEDaPvRmT3_T4_T5_mT6_P12ihipStream_tbENKUlT_T0_E_clISt17integral_constantIbLb1EESY_IbLb0EEEEDaSU_SV_EUlSU_E0_NS1_11comp_targetILNS1_3genE5ELNS1_11target_archE942ELNS1_3gpuE9ELNS1_3repE0EEENS1_30default_config_static_selectorELNS0_4arch9wavefront6targetE1EEEvT1_.has_dyn_sized_stack, 0
	.set _ZN7rocprim17ROCPRIM_400000_NS6detail17trampoline_kernelINS0_14default_configENS1_20scan_config_selectorIN3c107complexIdEEEEZZNS1_9scan_implILNS1_25lookback_scan_determinismE0ELb0ELb0ES3_PKS7_PS7_S7_ZZZN2at6native31launch_logcumsumexp_cuda_kernelERKNSE_10TensorBaseESI_lENKUlvE_clEvENKUlvE1_clEvEUlS7_S7_E_S7_EEDaPvRmT3_T4_T5_mT6_P12ihipStream_tbENKUlT_T0_E_clISt17integral_constantIbLb1EESY_IbLb0EEEEDaSU_SV_EUlSU_E0_NS1_11comp_targetILNS1_3genE5ELNS1_11target_archE942ELNS1_3gpuE9ELNS1_3repE0EEENS1_30default_config_static_selectorELNS0_4arch9wavefront6targetE1EEEvT1_.has_recursion, 0
	.set _ZN7rocprim17ROCPRIM_400000_NS6detail17trampoline_kernelINS0_14default_configENS1_20scan_config_selectorIN3c107complexIdEEEEZZNS1_9scan_implILNS1_25lookback_scan_determinismE0ELb0ELb0ES3_PKS7_PS7_S7_ZZZN2at6native31launch_logcumsumexp_cuda_kernelERKNSE_10TensorBaseESI_lENKUlvE_clEvENKUlvE1_clEvEUlS7_S7_E_S7_EEDaPvRmT3_T4_T5_mT6_P12ihipStream_tbENKUlT_T0_E_clISt17integral_constantIbLb1EESY_IbLb0EEEEDaSU_SV_EUlSU_E0_NS1_11comp_targetILNS1_3genE5ELNS1_11target_archE942ELNS1_3gpuE9ELNS1_3repE0EEENS1_30default_config_static_selectorELNS0_4arch9wavefront6targetE1EEEvT1_.has_indirect_call, 0
	.section	.AMDGPU.csdata,"",@progbits
; Kernel info:
; codeLenInByte = 0
; TotalNumSgprs: 4
; NumVgprs: 0
; ScratchSize: 0
; MemoryBound: 0
; FloatMode: 240
; IeeeMode: 1
; LDSByteSize: 0 bytes/workgroup (compile time only)
; SGPRBlocks: 0
; VGPRBlocks: 0
; NumSGPRsForWavesPerEU: 4
; NumVGPRsForWavesPerEU: 1
; Occupancy: 10
; WaveLimiterHint : 0
; COMPUTE_PGM_RSRC2:SCRATCH_EN: 0
; COMPUTE_PGM_RSRC2:USER_SGPR: 6
; COMPUTE_PGM_RSRC2:TRAP_HANDLER: 0
; COMPUTE_PGM_RSRC2:TGID_X_EN: 1
; COMPUTE_PGM_RSRC2:TGID_Y_EN: 0
; COMPUTE_PGM_RSRC2:TGID_Z_EN: 0
; COMPUTE_PGM_RSRC2:TIDIG_COMP_CNT: 0
	.section	.text._ZN7rocprim17ROCPRIM_400000_NS6detail17trampoline_kernelINS0_14default_configENS1_20scan_config_selectorIN3c107complexIdEEEEZZNS1_9scan_implILNS1_25lookback_scan_determinismE0ELb0ELb0ES3_PKS7_PS7_S7_ZZZN2at6native31launch_logcumsumexp_cuda_kernelERKNSE_10TensorBaseESI_lENKUlvE_clEvENKUlvE1_clEvEUlS7_S7_E_S7_EEDaPvRmT3_T4_T5_mT6_P12ihipStream_tbENKUlT_T0_E_clISt17integral_constantIbLb1EESY_IbLb0EEEEDaSU_SV_EUlSU_E0_NS1_11comp_targetILNS1_3genE4ELNS1_11target_archE910ELNS1_3gpuE8ELNS1_3repE0EEENS1_30default_config_static_selectorELNS0_4arch9wavefront6targetE1EEEvT1_,"axG",@progbits,_ZN7rocprim17ROCPRIM_400000_NS6detail17trampoline_kernelINS0_14default_configENS1_20scan_config_selectorIN3c107complexIdEEEEZZNS1_9scan_implILNS1_25lookback_scan_determinismE0ELb0ELb0ES3_PKS7_PS7_S7_ZZZN2at6native31launch_logcumsumexp_cuda_kernelERKNSE_10TensorBaseESI_lENKUlvE_clEvENKUlvE1_clEvEUlS7_S7_E_S7_EEDaPvRmT3_T4_T5_mT6_P12ihipStream_tbENKUlT_T0_E_clISt17integral_constantIbLb1EESY_IbLb0EEEEDaSU_SV_EUlSU_E0_NS1_11comp_targetILNS1_3genE4ELNS1_11target_archE910ELNS1_3gpuE8ELNS1_3repE0EEENS1_30default_config_static_selectorELNS0_4arch9wavefront6targetE1EEEvT1_,comdat
	.globl	_ZN7rocprim17ROCPRIM_400000_NS6detail17trampoline_kernelINS0_14default_configENS1_20scan_config_selectorIN3c107complexIdEEEEZZNS1_9scan_implILNS1_25lookback_scan_determinismE0ELb0ELb0ES3_PKS7_PS7_S7_ZZZN2at6native31launch_logcumsumexp_cuda_kernelERKNSE_10TensorBaseESI_lENKUlvE_clEvENKUlvE1_clEvEUlS7_S7_E_S7_EEDaPvRmT3_T4_T5_mT6_P12ihipStream_tbENKUlT_T0_E_clISt17integral_constantIbLb1EESY_IbLb0EEEEDaSU_SV_EUlSU_E0_NS1_11comp_targetILNS1_3genE4ELNS1_11target_archE910ELNS1_3gpuE8ELNS1_3repE0EEENS1_30default_config_static_selectorELNS0_4arch9wavefront6targetE1EEEvT1_ ; -- Begin function _ZN7rocprim17ROCPRIM_400000_NS6detail17trampoline_kernelINS0_14default_configENS1_20scan_config_selectorIN3c107complexIdEEEEZZNS1_9scan_implILNS1_25lookback_scan_determinismE0ELb0ELb0ES3_PKS7_PS7_S7_ZZZN2at6native31launch_logcumsumexp_cuda_kernelERKNSE_10TensorBaseESI_lENKUlvE_clEvENKUlvE1_clEvEUlS7_S7_E_S7_EEDaPvRmT3_T4_T5_mT6_P12ihipStream_tbENKUlT_T0_E_clISt17integral_constantIbLb1EESY_IbLb0EEEEDaSU_SV_EUlSU_E0_NS1_11comp_targetILNS1_3genE4ELNS1_11target_archE910ELNS1_3gpuE8ELNS1_3repE0EEENS1_30default_config_static_selectorELNS0_4arch9wavefront6targetE1EEEvT1_
	.p2align	8
	.type	_ZN7rocprim17ROCPRIM_400000_NS6detail17trampoline_kernelINS0_14default_configENS1_20scan_config_selectorIN3c107complexIdEEEEZZNS1_9scan_implILNS1_25lookback_scan_determinismE0ELb0ELb0ES3_PKS7_PS7_S7_ZZZN2at6native31launch_logcumsumexp_cuda_kernelERKNSE_10TensorBaseESI_lENKUlvE_clEvENKUlvE1_clEvEUlS7_S7_E_S7_EEDaPvRmT3_T4_T5_mT6_P12ihipStream_tbENKUlT_T0_E_clISt17integral_constantIbLb1EESY_IbLb0EEEEDaSU_SV_EUlSU_E0_NS1_11comp_targetILNS1_3genE4ELNS1_11target_archE910ELNS1_3gpuE8ELNS1_3repE0EEENS1_30default_config_static_selectorELNS0_4arch9wavefront6targetE1EEEvT1_,@function
_ZN7rocprim17ROCPRIM_400000_NS6detail17trampoline_kernelINS0_14default_configENS1_20scan_config_selectorIN3c107complexIdEEEEZZNS1_9scan_implILNS1_25lookback_scan_determinismE0ELb0ELb0ES3_PKS7_PS7_S7_ZZZN2at6native31launch_logcumsumexp_cuda_kernelERKNSE_10TensorBaseESI_lENKUlvE_clEvENKUlvE1_clEvEUlS7_S7_E_S7_EEDaPvRmT3_T4_T5_mT6_P12ihipStream_tbENKUlT_T0_E_clISt17integral_constantIbLb1EESY_IbLb0EEEEDaSU_SV_EUlSU_E0_NS1_11comp_targetILNS1_3genE4ELNS1_11target_archE910ELNS1_3gpuE8ELNS1_3repE0EEENS1_30default_config_static_selectorELNS0_4arch9wavefront6targetE1EEEvT1_: ; @_ZN7rocprim17ROCPRIM_400000_NS6detail17trampoline_kernelINS0_14default_configENS1_20scan_config_selectorIN3c107complexIdEEEEZZNS1_9scan_implILNS1_25lookback_scan_determinismE0ELb0ELb0ES3_PKS7_PS7_S7_ZZZN2at6native31launch_logcumsumexp_cuda_kernelERKNSE_10TensorBaseESI_lENKUlvE_clEvENKUlvE1_clEvEUlS7_S7_E_S7_EEDaPvRmT3_T4_T5_mT6_P12ihipStream_tbENKUlT_T0_E_clISt17integral_constantIbLb1EESY_IbLb0EEEEDaSU_SV_EUlSU_E0_NS1_11comp_targetILNS1_3genE4ELNS1_11target_archE910ELNS1_3gpuE8ELNS1_3repE0EEENS1_30default_config_static_selectorELNS0_4arch9wavefront6targetE1EEEvT1_
; %bb.0:
	.section	.rodata,"a",@progbits
	.p2align	6, 0x0
	.amdhsa_kernel _ZN7rocprim17ROCPRIM_400000_NS6detail17trampoline_kernelINS0_14default_configENS1_20scan_config_selectorIN3c107complexIdEEEEZZNS1_9scan_implILNS1_25lookback_scan_determinismE0ELb0ELb0ES3_PKS7_PS7_S7_ZZZN2at6native31launch_logcumsumexp_cuda_kernelERKNSE_10TensorBaseESI_lENKUlvE_clEvENKUlvE1_clEvEUlS7_S7_E_S7_EEDaPvRmT3_T4_T5_mT6_P12ihipStream_tbENKUlT_T0_E_clISt17integral_constantIbLb1EESY_IbLb0EEEEDaSU_SV_EUlSU_E0_NS1_11comp_targetILNS1_3genE4ELNS1_11target_archE910ELNS1_3gpuE8ELNS1_3repE0EEENS1_30default_config_static_selectorELNS0_4arch9wavefront6targetE1EEEvT1_
		.amdhsa_group_segment_fixed_size 0
		.amdhsa_private_segment_fixed_size 0
		.amdhsa_kernarg_size 48
		.amdhsa_user_sgpr_count 6
		.amdhsa_user_sgpr_private_segment_buffer 1
		.amdhsa_user_sgpr_dispatch_ptr 0
		.amdhsa_user_sgpr_queue_ptr 0
		.amdhsa_user_sgpr_kernarg_segment_ptr 1
		.amdhsa_user_sgpr_dispatch_id 0
		.amdhsa_user_sgpr_flat_scratch_init 0
		.amdhsa_user_sgpr_private_segment_size 0
		.amdhsa_uses_dynamic_stack 0
		.amdhsa_system_sgpr_private_segment_wavefront_offset 0
		.amdhsa_system_sgpr_workgroup_id_x 1
		.amdhsa_system_sgpr_workgroup_id_y 0
		.amdhsa_system_sgpr_workgroup_id_z 0
		.amdhsa_system_sgpr_workgroup_info 0
		.amdhsa_system_vgpr_workitem_id 0
		.amdhsa_next_free_vgpr 1
		.amdhsa_next_free_sgpr 0
		.amdhsa_reserve_vcc 0
		.amdhsa_reserve_flat_scratch 0
		.amdhsa_float_round_mode_32 0
		.amdhsa_float_round_mode_16_64 0
		.amdhsa_float_denorm_mode_32 3
		.amdhsa_float_denorm_mode_16_64 3
		.amdhsa_dx10_clamp 1
		.amdhsa_ieee_mode 1
		.amdhsa_fp16_overflow 0
		.amdhsa_exception_fp_ieee_invalid_op 0
		.amdhsa_exception_fp_denorm_src 0
		.amdhsa_exception_fp_ieee_div_zero 0
		.amdhsa_exception_fp_ieee_overflow 0
		.amdhsa_exception_fp_ieee_underflow 0
		.amdhsa_exception_fp_ieee_inexact 0
		.amdhsa_exception_int_div_zero 0
	.end_amdhsa_kernel
	.section	.text._ZN7rocprim17ROCPRIM_400000_NS6detail17trampoline_kernelINS0_14default_configENS1_20scan_config_selectorIN3c107complexIdEEEEZZNS1_9scan_implILNS1_25lookback_scan_determinismE0ELb0ELb0ES3_PKS7_PS7_S7_ZZZN2at6native31launch_logcumsumexp_cuda_kernelERKNSE_10TensorBaseESI_lENKUlvE_clEvENKUlvE1_clEvEUlS7_S7_E_S7_EEDaPvRmT3_T4_T5_mT6_P12ihipStream_tbENKUlT_T0_E_clISt17integral_constantIbLb1EESY_IbLb0EEEEDaSU_SV_EUlSU_E0_NS1_11comp_targetILNS1_3genE4ELNS1_11target_archE910ELNS1_3gpuE8ELNS1_3repE0EEENS1_30default_config_static_selectorELNS0_4arch9wavefront6targetE1EEEvT1_,"axG",@progbits,_ZN7rocprim17ROCPRIM_400000_NS6detail17trampoline_kernelINS0_14default_configENS1_20scan_config_selectorIN3c107complexIdEEEEZZNS1_9scan_implILNS1_25lookback_scan_determinismE0ELb0ELb0ES3_PKS7_PS7_S7_ZZZN2at6native31launch_logcumsumexp_cuda_kernelERKNSE_10TensorBaseESI_lENKUlvE_clEvENKUlvE1_clEvEUlS7_S7_E_S7_EEDaPvRmT3_T4_T5_mT6_P12ihipStream_tbENKUlT_T0_E_clISt17integral_constantIbLb1EESY_IbLb0EEEEDaSU_SV_EUlSU_E0_NS1_11comp_targetILNS1_3genE4ELNS1_11target_archE910ELNS1_3gpuE8ELNS1_3repE0EEENS1_30default_config_static_selectorELNS0_4arch9wavefront6targetE1EEEvT1_,comdat
.Lfunc_end233:
	.size	_ZN7rocprim17ROCPRIM_400000_NS6detail17trampoline_kernelINS0_14default_configENS1_20scan_config_selectorIN3c107complexIdEEEEZZNS1_9scan_implILNS1_25lookback_scan_determinismE0ELb0ELb0ES3_PKS7_PS7_S7_ZZZN2at6native31launch_logcumsumexp_cuda_kernelERKNSE_10TensorBaseESI_lENKUlvE_clEvENKUlvE1_clEvEUlS7_S7_E_S7_EEDaPvRmT3_T4_T5_mT6_P12ihipStream_tbENKUlT_T0_E_clISt17integral_constantIbLb1EESY_IbLb0EEEEDaSU_SV_EUlSU_E0_NS1_11comp_targetILNS1_3genE4ELNS1_11target_archE910ELNS1_3gpuE8ELNS1_3repE0EEENS1_30default_config_static_selectorELNS0_4arch9wavefront6targetE1EEEvT1_, .Lfunc_end233-_ZN7rocprim17ROCPRIM_400000_NS6detail17trampoline_kernelINS0_14default_configENS1_20scan_config_selectorIN3c107complexIdEEEEZZNS1_9scan_implILNS1_25lookback_scan_determinismE0ELb0ELb0ES3_PKS7_PS7_S7_ZZZN2at6native31launch_logcumsumexp_cuda_kernelERKNSE_10TensorBaseESI_lENKUlvE_clEvENKUlvE1_clEvEUlS7_S7_E_S7_EEDaPvRmT3_T4_T5_mT6_P12ihipStream_tbENKUlT_T0_E_clISt17integral_constantIbLb1EESY_IbLb0EEEEDaSU_SV_EUlSU_E0_NS1_11comp_targetILNS1_3genE4ELNS1_11target_archE910ELNS1_3gpuE8ELNS1_3repE0EEENS1_30default_config_static_selectorELNS0_4arch9wavefront6targetE1EEEvT1_
                                        ; -- End function
	.set _ZN7rocprim17ROCPRIM_400000_NS6detail17trampoline_kernelINS0_14default_configENS1_20scan_config_selectorIN3c107complexIdEEEEZZNS1_9scan_implILNS1_25lookback_scan_determinismE0ELb0ELb0ES3_PKS7_PS7_S7_ZZZN2at6native31launch_logcumsumexp_cuda_kernelERKNSE_10TensorBaseESI_lENKUlvE_clEvENKUlvE1_clEvEUlS7_S7_E_S7_EEDaPvRmT3_T4_T5_mT6_P12ihipStream_tbENKUlT_T0_E_clISt17integral_constantIbLb1EESY_IbLb0EEEEDaSU_SV_EUlSU_E0_NS1_11comp_targetILNS1_3genE4ELNS1_11target_archE910ELNS1_3gpuE8ELNS1_3repE0EEENS1_30default_config_static_selectorELNS0_4arch9wavefront6targetE1EEEvT1_.num_vgpr, 0
	.set _ZN7rocprim17ROCPRIM_400000_NS6detail17trampoline_kernelINS0_14default_configENS1_20scan_config_selectorIN3c107complexIdEEEEZZNS1_9scan_implILNS1_25lookback_scan_determinismE0ELb0ELb0ES3_PKS7_PS7_S7_ZZZN2at6native31launch_logcumsumexp_cuda_kernelERKNSE_10TensorBaseESI_lENKUlvE_clEvENKUlvE1_clEvEUlS7_S7_E_S7_EEDaPvRmT3_T4_T5_mT6_P12ihipStream_tbENKUlT_T0_E_clISt17integral_constantIbLb1EESY_IbLb0EEEEDaSU_SV_EUlSU_E0_NS1_11comp_targetILNS1_3genE4ELNS1_11target_archE910ELNS1_3gpuE8ELNS1_3repE0EEENS1_30default_config_static_selectorELNS0_4arch9wavefront6targetE1EEEvT1_.num_agpr, 0
	.set _ZN7rocprim17ROCPRIM_400000_NS6detail17trampoline_kernelINS0_14default_configENS1_20scan_config_selectorIN3c107complexIdEEEEZZNS1_9scan_implILNS1_25lookback_scan_determinismE0ELb0ELb0ES3_PKS7_PS7_S7_ZZZN2at6native31launch_logcumsumexp_cuda_kernelERKNSE_10TensorBaseESI_lENKUlvE_clEvENKUlvE1_clEvEUlS7_S7_E_S7_EEDaPvRmT3_T4_T5_mT6_P12ihipStream_tbENKUlT_T0_E_clISt17integral_constantIbLb1EESY_IbLb0EEEEDaSU_SV_EUlSU_E0_NS1_11comp_targetILNS1_3genE4ELNS1_11target_archE910ELNS1_3gpuE8ELNS1_3repE0EEENS1_30default_config_static_selectorELNS0_4arch9wavefront6targetE1EEEvT1_.numbered_sgpr, 0
	.set _ZN7rocprim17ROCPRIM_400000_NS6detail17trampoline_kernelINS0_14default_configENS1_20scan_config_selectorIN3c107complexIdEEEEZZNS1_9scan_implILNS1_25lookback_scan_determinismE0ELb0ELb0ES3_PKS7_PS7_S7_ZZZN2at6native31launch_logcumsumexp_cuda_kernelERKNSE_10TensorBaseESI_lENKUlvE_clEvENKUlvE1_clEvEUlS7_S7_E_S7_EEDaPvRmT3_T4_T5_mT6_P12ihipStream_tbENKUlT_T0_E_clISt17integral_constantIbLb1EESY_IbLb0EEEEDaSU_SV_EUlSU_E0_NS1_11comp_targetILNS1_3genE4ELNS1_11target_archE910ELNS1_3gpuE8ELNS1_3repE0EEENS1_30default_config_static_selectorELNS0_4arch9wavefront6targetE1EEEvT1_.num_named_barrier, 0
	.set _ZN7rocprim17ROCPRIM_400000_NS6detail17trampoline_kernelINS0_14default_configENS1_20scan_config_selectorIN3c107complexIdEEEEZZNS1_9scan_implILNS1_25lookback_scan_determinismE0ELb0ELb0ES3_PKS7_PS7_S7_ZZZN2at6native31launch_logcumsumexp_cuda_kernelERKNSE_10TensorBaseESI_lENKUlvE_clEvENKUlvE1_clEvEUlS7_S7_E_S7_EEDaPvRmT3_T4_T5_mT6_P12ihipStream_tbENKUlT_T0_E_clISt17integral_constantIbLb1EESY_IbLb0EEEEDaSU_SV_EUlSU_E0_NS1_11comp_targetILNS1_3genE4ELNS1_11target_archE910ELNS1_3gpuE8ELNS1_3repE0EEENS1_30default_config_static_selectorELNS0_4arch9wavefront6targetE1EEEvT1_.private_seg_size, 0
	.set _ZN7rocprim17ROCPRIM_400000_NS6detail17trampoline_kernelINS0_14default_configENS1_20scan_config_selectorIN3c107complexIdEEEEZZNS1_9scan_implILNS1_25lookback_scan_determinismE0ELb0ELb0ES3_PKS7_PS7_S7_ZZZN2at6native31launch_logcumsumexp_cuda_kernelERKNSE_10TensorBaseESI_lENKUlvE_clEvENKUlvE1_clEvEUlS7_S7_E_S7_EEDaPvRmT3_T4_T5_mT6_P12ihipStream_tbENKUlT_T0_E_clISt17integral_constantIbLb1EESY_IbLb0EEEEDaSU_SV_EUlSU_E0_NS1_11comp_targetILNS1_3genE4ELNS1_11target_archE910ELNS1_3gpuE8ELNS1_3repE0EEENS1_30default_config_static_selectorELNS0_4arch9wavefront6targetE1EEEvT1_.uses_vcc, 0
	.set _ZN7rocprim17ROCPRIM_400000_NS6detail17trampoline_kernelINS0_14default_configENS1_20scan_config_selectorIN3c107complexIdEEEEZZNS1_9scan_implILNS1_25lookback_scan_determinismE0ELb0ELb0ES3_PKS7_PS7_S7_ZZZN2at6native31launch_logcumsumexp_cuda_kernelERKNSE_10TensorBaseESI_lENKUlvE_clEvENKUlvE1_clEvEUlS7_S7_E_S7_EEDaPvRmT3_T4_T5_mT6_P12ihipStream_tbENKUlT_T0_E_clISt17integral_constantIbLb1EESY_IbLb0EEEEDaSU_SV_EUlSU_E0_NS1_11comp_targetILNS1_3genE4ELNS1_11target_archE910ELNS1_3gpuE8ELNS1_3repE0EEENS1_30default_config_static_selectorELNS0_4arch9wavefront6targetE1EEEvT1_.uses_flat_scratch, 0
	.set _ZN7rocprim17ROCPRIM_400000_NS6detail17trampoline_kernelINS0_14default_configENS1_20scan_config_selectorIN3c107complexIdEEEEZZNS1_9scan_implILNS1_25lookback_scan_determinismE0ELb0ELb0ES3_PKS7_PS7_S7_ZZZN2at6native31launch_logcumsumexp_cuda_kernelERKNSE_10TensorBaseESI_lENKUlvE_clEvENKUlvE1_clEvEUlS7_S7_E_S7_EEDaPvRmT3_T4_T5_mT6_P12ihipStream_tbENKUlT_T0_E_clISt17integral_constantIbLb1EESY_IbLb0EEEEDaSU_SV_EUlSU_E0_NS1_11comp_targetILNS1_3genE4ELNS1_11target_archE910ELNS1_3gpuE8ELNS1_3repE0EEENS1_30default_config_static_selectorELNS0_4arch9wavefront6targetE1EEEvT1_.has_dyn_sized_stack, 0
	.set _ZN7rocprim17ROCPRIM_400000_NS6detail17trampoline_kernelINS0_14default_configENS1_20scan_config_selectorIN3c107complexIdEEEEZZNS1_9scan_implILNS1_25lookback_scan_determinismE0ELb0ELb0ES3_PKS7_PS7_S7_ZZZN2at6native31launch_logcumsumexp_cuda_kernelERKNSE_10TensorBaseESI_lENKUlvE_clEvENKUlvE1_clEvEUlS7_S7_E_S7_EEDaPvRmT3_T4_T5_mT6_P12ihipStream_tbENKUlT_T0_E_clISt17integral_constantIbLb1EESY_IbLb0EEEEDaSU_SV_EUlSU_E0_NS1_11comp_targetILNS1_3genE4ELNS1_11target_archE910ELNS1_3gpuE8ELNS1_3repE0EEENS1_30default_config_static_selectorELNS0_4arch9wavefront6targetE1EEEvT1_.has_recursion, 0
	.set _ZN7rocprim17ROCPRIM_400000_NS6detail17trampoline_kernelINS0_14default_configENS1_20scan_config_selectorIN3c107complexIdEEEEZZNS1_9scan_implILNS1_25lookback_scan_determinismE0ELb0ELb0ES3_PKS7_PS7_S7_ZZZN2at6native31launch_logcumsumexp_cuda_kernelERKNSE_10TensorBaseESI_lENKUlvE_clEvENKUlvE1_clEvEUlS7_S7_E_S7_EEDaPvRmT3_T4_T5_mT6_P12ihipStream_tbENKUlT_T0_E_clISt17integral_constantIbLb1EESY_IbLb0EEEEDaSU_SV_EUlSU_E0_NS1_11comp_targetILNS1_3genE4ELNS1_11target_archE910ELNS1_3gpuE8ELNS1_3repE0EEENS1_30default_config_static_selectorELNS0_4arch9wavefront6targetE1EEEvT1_.has_indirect_call, 0
	.section	.AMDGPU.csdata,"",@progbits
; Kernel info:
; codeLenInByte = 0
; TotalNumSgprs: 4
; NumVgprs: 0
; ScratchSize: 0
; MemoryBound: 0
; FloatMode: 240
; IeeeMode: 1
; LDSByteSize: 0 bytes/workgroup (compile time only)
; SGPRBlocks: 0
; VGPRBlocks: 0
; NumSGPRsForWavesPerEU: 4
; NumVGPRsForWavesPerEU: 1
; Occupancy: 10
; WaveLimiterHint : 0
; COMPUTE_PGM_RSRC2:SCRATCH_EN: 0
; COMPUTE_PGM_RSRC2:USER_SGPR: 6
; COMPUTE_PGM_RSRC2:TRAP_HANDLER: 0
; COMPUTE_PGM_RSRC2:TGID_X_EN: 1
; COMPUTE_PGM_RSRC2:TGID_Y_EN: 0
; COMPUTE_PGM_RSRC2:TGID_Z_EN: 0
; COMPUTE_PGM_RSRC2:TIDIG_COMP_CNT: 0
	.section	.text._ZN7rocprim17ROCPRIM_400000_NS6detail17trampoline_kernelINS0_14default_configENS1_20scan_config_selectorIN3c107complexIdEEEEZZNS1_9scan_implILNS1_25lookback_scan_determinismE0ELb0ELb0ES3_PKS7_PS7_S7_ZZZN2at6native31launch_logcumsumexp_cuda_kernelERKNSE_10TensorBaseESI_lENKUlvE_clEvENKUlvE1_clEvEUlS7_S7_E_S7_EEDaPvRmT3_T4_T5_mT6_P12ihipStream_tbENKUlT_T0_E_clISt17integral_constantIbLb1EESY_IbLb0EEEEDaSU_SV_EUlSU_E0_NS1_11comp_targetILNS1_3genE3ELNS1_11target_archE908ELNS1_3gpuE7ELNS1_3repE0EEENS1_30default_config_static_selectorELNS0_4arch9wavefront6targetE1EEEvT1_,"axG",@progbits,_ZN7rocprim17ROCPRIM_400000_NS6detail17trampoline_kernelINS0_14default_configENS1_20scan_config_selectorIN3c107complexIdEEEEZZNS1_9scan_implILNS1_25lookback_scan_determinismE0ELb0ELb0ES3_PKS7_PS7_S7_ZZZN2at6native31launch_logcumsumexp_cuda_kernelERKNSE_10TensorBaseESI_lENKUlvE_clEvENKUlvE1_clEvEUlS7_S7_E_S7_EEDaPvRmT3_T4_T5_mT6_P12ihipStream_tbENKUlT_T0_E_clISt17integral_constantIbLb1EESY_IbLb0EEEEDaSU_SV_EUlSU_E0_NS1_11comp_targetILNS1_3genE3ELNS1_11target_archE908ELNS1_3gpuE7ELNS1_3repE0EEENS1_30default_config_static_selectorELNS0_4arch9wavefront6targetE1EEEvT1_,comdat
	.globl	_ZN7rocprim17ROCPRIM_400000_NS6detail17trampoline_kernelINS0_14default_configENS1_20scan_config_selectorIN3c107complexIdEEEEZZNS1_9scan_implILNS1_25lookback_scan_determinismE0ELb0ELb0ES3_PKS7_PS7_S7_ZZZN2at6native31launch_logcumsumexp_cuda_kernelERKNSE_10TensorBaseESI_lENKUlvE_clEvENKUlvE1_clEvEUlS7_S7_E_S7_EEDaPvRmT3_T4_T5_mT6_P12ihipStream_tbENKUlT_T0_E_clISt17integral_constantIbLb1EESY_IbLb0EEEEDaSU_SV_EUlSU_E0_NS1_11comp_targetILNS1_3genE3ELNS1_11target_archE908ELNS1_3gpuE7ELNS1_3repE0EEENS1_30default_config_static_selectorELNS0_4arch9wavefront6targetE1EEEvT1_ ; -- Begin function _ZN7rocprim17ROCPRIM_400000_NS6detail17trampoline_kernelINS0_14default_configENS1_20scan_config_selectorIN3c107complexIdEEEEZZNS1_9scan_implILNS1_25lookback_scan_determinismE0ELb0ELb0ES3_PKS7_PS7_S7_ZZZN2at6native31launch_logcumsumexp_cuda_kernelERKNSE_10TensorBaseESI_lENKUlvE_clEvENKUlvE1_clEvEUlS7_S7_E_S7_EEDaPvRmT3_T4_T5_mT6_P12ihipStream_tbENKUlT_T0_E_clISt17integral_constantIbLb1EESY_IbLb0EEEEDaSU_SV_EUlSU_E0_NS1_11comp_targetILNS1_3genE3ELNS1_11target_archE908ELNS1_3gpuE7ELNS1_3repE0EEENS1_30default_config_static_selectorELNS0_4arch9wavefront6targetE1EEEvT1_
	.p2align	8
	.type	_ZN7rocprim17ROCPRIM_400000_NS6detail17trampoline_kernelINS0_14default_configENS1_20scan_config_selectorIN3c107complexIdEEEEZZNS1_9scan_implILNS1_25lookback_scan_determinismE0ELb0ELb0ES3_PKS7_PS7_S7_ZZZN2at6native31launch_logcumsumexp_cuda_kernelERKNSE_10TensorBaseESI_lENKUlvE_clEvENKUlvE1_clEvEUlS7_S7_E_S7_EEDaPvRmT3_T4_T5_mT6_P12ihipStream_tbENKUlT_T0_E_clISt17integral_constantIbLb1EESY_IbLb0EEEEDaSU_SV_EUlSU_E0_NS1_11comp_targetILNS1_3genE3ELNS1_11target_archE908ELNS1_3gpuE7ELNS1_3repE0EEENS1_30default_config_static_selectorELNS0_4arch9wavefront6targetE1EEEvT1_,@function
_ZN7rocprim17ROCPRIM_400000_NS6detail17trampoline_kernelINS0_14default_configENS1_20scan_config_selectorIN3c107complexIdEEEEZZNS1_9scan_implILNS1_25lookback_scan_determinismE0ELb0ELb0ES3_PKS7_PS7_S7_ZZZN2at6native31launch_logcumsumexp_cuda_kernelERKNSE_10TensorBaseESI_lENKUlvE_clEvENKUlvE1_clEvEUlS7_S7_E_S7_EEDaPvRmT3_T4_T5_mT6_P12ihipStream_tbENKUlT_T0_E_clISt17integral_constantIbLb1EESY_IbLb0EEEEDaSU_SV_EUlSU_E0_NS1_11comp_targetILNS1_3genE3ELNS1_11target_archE908ELNS1_3gpuE7ELNS1_3repE0EEENS1_30default_config_static_selectorELNS0_4arch9wavefront6targetE1EEEvT1_: ; @_ZN7rocprim17ROCPRIM_400000_NS6detail17trampoline_kernelINS0_14default_configENS1_20scan_config_selectorIN3c107complexIdEEEEZZNS1_9scan_implILNS1_25lookback_scan_determinismE0ELb0ELb0ES3_PKS7_PS7_S7_ZZZN2at6native31launch_logcumsumexp_cuda_kernelERKNSE_10TensorBaseESI_lENKUlvE_clEvENKUlvE1_clEvEUlS7_S7_E_S7_EEDaPvRmT3_T4_T5_mT6_P12ihipStream_tbENKUlT_T0_E_clISt17integral_constantIbLb1EESY_IbLb0EEEEDaSU_SV_EUlSU_E0_NS1_11comp_targetILNS1_3genE3ELNS1_11target_archE908ELNS1_3gpuE7ELNS1_3repE0EEENS1_30default_config_static_selectorELNS0_4arch9wavefront6targetE1EEEvT1_
; %bb.0:
	.section	.rodata,"a",@progbits
	.p2align	6, 0x0
	.amdhsa_kernel _ZN7rocprim17ROCPRIM_400000_NS6detail17trampoline_kernelINS0_14default_configENS1_20scan_config_selectorIN3c107complexIdEEEEZZNS1_9scan_implILNS1_25lookback_scan_determinismE0ELb0ELb0ES3_PKS7_PS7_S7_ZZZN2at6native31launch_logcumsumexp_cuda_kernelERKNSE_10TensorBaseESI_lENKUlvE_clEvENKUlvE1_clEvEUlS7_S7_E_S7_EEDaPvRmT3_T4_T5_mT6_P12ihipStream_tbENKUlT_T0_E_clISt17integral_constantIbLb1EESY_IbLb0EEEEDaSU_SV_EUlSU_E0_NS1_11comp_targetILNS1_3genE3ELNS1_11target_archE908ELNS1_3gpuE7ELNS1_3repE0EEENS1_30default_config_static_selectorELNS0_4arch9wavefront6targetE1EEEvT1_
		.amdhsa_group_segment_fixed_size 0
		.amdhsa_private_segment_fixed_size 0
		.amdhsa_kernarg_size 48
		.amdhsa_user_sgpr_count 6
		.amdhsa_user_sgpr_private_segment_buffer 1
		.amdhsa_user_sgpr_dispatch_ptr 0
		.amdhsa_user_sgpr_queue_ptr 0
		.amdhsa_user_sgpr_kernarg_segment_ptr 1
		.amdhsa_user_sgpr_dispatch_id 0
		.amdhsa_user_sgpr_flat_scratch_init 0
		.amdhsa_user_sgpr_private_segment_size 0
		.amdhsa_uses_dynamic_stack 0
		.amdhsa_system_sgpr_private_segment_wavefront_offset 0
		.amdhsa_system_sgpr_workgroup_id_x 1
		.amdhsa_system_sgpr_workgroup_id_y 0
		.amdhsa_system_sgpr_workgroup_id_z 0
		.amdhsa_system_sgpr_workgroup_info 0
		.amdhsa_system_vgpr_workitem_id 0
		.amdhsa_next_free_vgpr 1
		.amdhsa_next_free_sgpr 0
		.amdhsa_reserve_vcc 0
		.amdhsa_reserve_flat_scratch 0
		.amdhsa_float_round_mode_32 0
		.amdhsa_float_round_mode_16_64 0
		.amdhsa_float_denorm_mode_32 3
		.amdhsa_float_denorm_mode_16_64 3
		.amdhsa_dx10_clamp 1
		.amdhsa_ieee_mode 1
		.amdhsa_fp16_overflow 0
		.amdhsa_exception_fp_ieee_invalid_op 0
		.amdhsa_exception_fp_denorm_src 0
		.amdhsa_exception_fp_ieee_div_zero 0
		.amdhsa_exception_fp_ieee_overflow 0
		.amdhsa_exception_fp_ieee_underflow 0
		.amdhsa_exception_fp_ieee_inexact 0
		.amdhsa_exception_int_div_zero 0
	.end_amdhsa_kernel
	.section	.text._ZN7rocprim17ROCPRIM_400000_NS6detail17trampoline_kernelINS0_14default_configENS1_20scan_config_selectorIN3c107complexIdEEEEZZNS1_9scan_implILNS1_25lookback_scan_determinismE0ELb0ELb0ES3_PKS7_PS7_S7_ZZZN2at6native31launch_logcumsumexp_cuda_kernelERKNSE_10TensorBaseESI_lENKUlvE_clEvENKUlvE1_clEvEUlS7_S7_E_S7_EEDaPvRmT3_T4_T5_mT6_P12ihipStream_tbENKUlT_T0_E_clISt17integral_constantIbLb1EESY_IbLb0EEEEDaSU_SV_EUlSU_E0_NS1_11comp_targetILNS1_3genE3ELNS1_11target_archE908ELNS1_3gpuE7ELNS1_3repE0EEENS1_30default_config_static_selectorELNS0_4arch9wavefront6targetE1EEEvT1_,"axG",@progbits,_ZN7rocprim17ROCPRIM_400000_NS6detail17trampoline_kernelINS0_14default_configENS1_20scan_config_selectorIN3c107complexIdEEEEZZNS1_9scan_implILNS1_25lookback_scan_determinismE0ELb0ELb0ES3_PKS7_PS7_S7_ZZZN2at6native31launch_logcumsumexp_cuda_kernelERKNSE_10TensorBaseESI_lENKUlvE_clEvENKUlvE1_clEvEUlS7_S7_E_S7_EEDaPvRmT3_T4_T5_mT6_P12ihipStream_tbENKUlT_T0_E_clISt17integral_constantIbLb1EESY_IbLb0EEEEDaSU_SV_EUlSU_E0_NS1_11comp_targetILNS1_3genE3ELNS1_11target_archE908ELNS1_3gpuE7ELNS1_3repE0EEENS1_30default_config_static_selectorELNS0_4arch9wavefront6targetE1EEEvT1_,comdat
.Lfunc_end234:
	.size	_ZN7rocprim17ROCPRIM_400000_NS6detail17trampoline_kernelINS0_14default_configENS1_20scan_config_selectorIN3c107complexIdEEEEZZNS1_9scan_implILNS1_25lookback_scan_determinismE0ELb0ELb0ES3_PKS7_PS7_S7_ZZZN2at6native31launch_logcumsumexp_cuda_kernelERKNSE_10TensorBaseESI_lENKUlvE_clEvENKUlvE1_clEvEUlS7_S7_E_S7_EEDaPvRmT3_T4_T5_mT6_P12ihipStream_tbENKUlT_T0_E_clISt17integral_constantIbLb1EESY_IbLb0EEEEDaSU_SV_EUlSU_E0_NS1_11comp_targetILNS1_3genE3ELNS1_11target_archE908ELNS1_3gpuE7ELNS1_3repE0EEENS1_30default_config_static_selectorELNS0_4arch9wavefront6targetE1EEEvT1_, .Lfunc_end234-_ZN7rocprim17ROCPRIM_400000_NS6detail17trampoline_kernelINS0_14default_configENS1_20scan_config_selectorIN3c107complexIdEEEEZZNS1_9scan_implILNS1_25lookback_scan_determinismE0ELb0ELb0ES3_PKS7_PS7_S7_ZZZN2at6native31launch_logcumsumexp_cuda_kernelERKNSE_10TensorBaseESI_lENKUlvE_clEvENKUlvE1_clEvEUlS7_S7_E_S7_EEDaPvRmT3_T4_T5_mT6_P12ihipStream_tbENKUlT_T0_E_clISt17integral_constantIbLb1EESY_IbLb0EEEEDaSU_SV_EUlSU_E0_NS1_11comp_targetILNS1_3genE3ELNS1_11target_archE908ELNS1_3gpuE7ELNS1_3repE0EEENS1_30default_config_static_selectorELNS0_4arch9wavefront6targetE1EEEvT1_
                                        ; -- End function
	.set _ZN7rocprim17ROCPRIM_400000_NS6detail17trampoline_kernelINS0_14default_configENS1_20scan_config_selectorIN3c107complexIdEEEEZZNS1_9scan_implILNS1_25lookback_scan_determinismE0ELb0ELb0ES3_PKS7_PS7_S7_ZZZN2at6native31launch_logcumsumexp_cuda_kernelERKNSE_10TensorBaseESI_lENKUlvE_clEvENKUlvE1_clEvEUlS7_S7_E_S7_EEDaPvRmT3_T4_T5_mT6_P12ihipStream_tbENKUlT_T0_E_clISt17integral_constantIbLb1EESY_IbLb0EEEEDaSU_SV_EUlSU_E0_NS1_11comp_targetILNS1_3genE3ELNS1_11target_archE908ELNS1_3gpuE7ELNS1_3repE0EEENS1_30default_config_static_selectorELNS0_4arch9wavefront6targetE1EEEvT1_.num_vgpr, 0
	.set _ZN7rocprim17ROCPRIM_400000_NS6detail17trampoline_kernelINS0_14default_configENS1_20scan_config_selectorIN3c107complexIdEEEEZZNS1_9scan_implILNS1_25lookback_scan_determinismE0ELb0ELb0ES3_PKS7_PS7_S7_ZZZN2at6native31launch_logcumsumexp_cuda_kernelERKNSE_10TensorBaseESI_lENKUlvE_clEvENKUlvE1_clEvEUlS7_S7_E_S7_EEDaPvRmT3_T4_T5_mT6_P12ihipStream_tbENKUlT_T0_E_clISt17integral_constantIbLb1EESY_IbLb0EEEEDaSU_SV_EUlSU_E0_NS1_11comp_targetILNS1_3genE3ELNS1_11target_archE908ELNS1_3gpuE7ELNS1_3repE0EEENS1_30default_config_static_selectorELNS0_4arch9wavefront6targetE1EEEvT1_.num_agpr, 0
	.set _ZN7rocprim17ROCPRIM_400000_NS6detail17trampoline_kernelINS0_14default_configENS1_20scan_config_selectorIN3c107complexIdEEEEZZNS1_9scan_implILNS1_25lookback_scan_determinismE0ELb0ELb0ES3_PKS7_PS7_S7_ZZZN2at6native31launch_logcumsumexp_cuda_kernelERKNSE_10TensorBaseESI_lENKUlvE_clEvENKUlvE1_clEvEUlS7_S7_E_S7_EEDaPvRmT3_T4_T5_mT6_P12ihipStream_tbENKUlT_T0_E_clISt17integral_constantIbLb1EESY_IbLb0EEEEDaSU_SV_EUlSU_E0_NS1_11comp_targetILNS1_3genE3ELNS1_11target_archE908ELNS1_3gpuE7ELNS1_3repE0EEENS1_30default_config_static_selectorELNS0_4arch9wavefront6targetE1EEEvT1_.numbered_sgpr, 0
	.set _ZN7rocprim17ROCPRIM_400000_NS6detail17trampoline_kernelINS0_14default_configENS1_20scan_config_selectorIN3c107complexIdEEEEZZNS1_9scan_implILNS1_25lookback_scan_determinismE0ELb0ELb0ES3_PKS7_PS7_S7_ZZZN2at6native31launch_logcumsumexp_cuda_kernelERKNSE_10TensorBaseESI_lENKUlvE_clEvENKUlvE1_clEvEUlS7_S7_E_S7_EEDaPvRmT3_T4_T5_mT6_P12ihipStream_tbENKUlT_T0_E_clISt17integral_constantIbLb1EESY_IbLb0EEEEDaSU_SV_EUlSU_E0_NS1_11comp_targetILNS1_3genE3ELNS1_11target_archE908ELNS1_3gpuE7ELNS1_3repE0EEENS1_30default_config_static_selectorELNS0_4arch9wavefront6targetE1EEEvT1_.num_named_barrier, 0
	.set _ZN7rocprim17ROCPRIM_400000_NS6detail17trampoline_kernelINS0_14default_configENS1_20scan_config_selectorIN3c107complexIdEEEEZZNS1_9scan_implILNS1_25lookback_scan_determinismE0ELb0ELb0ES3_PKS7_PS7_S7_ZZZN2at6native31launch_logcumsumexp_cuda_kernelERKNSE_10TensorBaseESI_lENKUlvE_clEvENKUlvE1_clEvEUlS7_S7_E_S7_EEDaPvRmT3_T4_T5_mT6_P12ihipStream_tbENKUlT_T0_E_clISt17integral_constantIbLb1EESY_IbLb0EEEEDaSU_SV_EUlSU_E0_NS1_11comp_targetILNS1_3genE3ELNS1_11target_archE908ELNS1_3gpuE7ELNS1_3repE0EEENS1_30default_config_static_selectorELNS0_4arch9wavefront6targetE1EEEvT1_.private_seg_size, 0
	.set _ZN7rocprim17ROCPRIM_400000_NS6detail17trampoline_kernelINS0_14default_configENS1_20scan_config_selectorIN3c107complexIdEEEEZZNS1_9scan_implILNS1_25lookback_scan_determinismE0ELb0ELb0ES3_PKS7_PS7_S7_ZZZN2at6native31launch_logcumsumexp_cuda_kernelERKNSE_10TensorBaseESI_lENKUlvE_clEvENKUlvE1_clEvEUlS7_S7_E_S7_EEDaPvRmT3_T4_T5_mT6_P12ihipStream_tbENKUlT_T0_E_clISt17integral_constantIbLb1EESY_IbLb0EEEEDaSU_SV_EUlSU_E0_NS1_11comp_targetILNS1_3genE3ELNS1_11target_archE908ELNS1_3gpuE7ELNS1_3repE0EEENS1_30default_config_static_selectorELNS0_4arch9wavefront6targetE1EEEvT1_.uses_vcc, 0
	.set _ZN7rocprim17ROCPRIM_400000_NS6detail17trampoline_kernelINS0_14default_configENS1_20scan_config_selectorIN3c107complexIdEEEEZZNS1_9scan_implILNS1_25lookback_scan_determinismE0ELb0ELb0ES3_PKS7_PS7_S7_ZZZN2at6native31launch_logcumsumexp_cuda_kernelERKNSE_10TensorBaseESI_lENKUlvE_clEvENKUlvE1_clEvEUlS7_S7_E_S7_EEDaPvRmT3_T4_T5_mT6_P12ihipStream_tbENKUlT_T0_E_clISt17integral_constantIbLb1EESY_IbLb0EEEEDaSU_SV_EUlSU_E0_NS1_11comp_targetILNS1_3genE3ELNS1_11target_archE908ELNS1_3gpuE7ELNS1_3repE0EEENS1_30default_config_static_selectorELNS0_4arch9wavefront6targetE1EEEvT1_.uses_flat_scratch, 0
	.set _ZN7rocprim17ROCPRIM_400000_NS6detail17trampoline_kernelINS0_14default_configENS1_20scan_config_selectorIN3c107complexIdEEEEZZNS1_9scan_implILNS1_25lookback_scan_determinismE0ELb0ELb0ES3_PKS7_PS7_S7_ZZZN2at6native31launch_logcumsumexp_cuda_kernelERKNSE_10TensorBaseESI_lENKUlvE_clEvENKUlvE1_clEvEUlS7_S7_E_S7_EEDaPvRmT3_T4_T5_mT6_P12ihipStream_tbENKUlT_T0_E_clISt17integral_constantIbLb1EESY_IbLb0EEEEDaSU_SV_EUlSU_E0_NS1_11comp_targetILNS1_3genE3ELNS1_11target_archE908ELNS1_3gpuE7ELNS1_3repE0EEENS1_30default_config_static_selectorELNS0_4arch9wavefront6targetE1EEEvT1_.has_dyn_sized_stack, 0
	.set _ZN7rocprim17ROCPRIM_400000_NS6detail17trampoline_kernelINS0_14default_configENS1_20scan_config_selectorIN3c107complexIdEEEEZZNS1_9scan_implILNS1_25lookback_scan_determinismE0ELb0ELb0ES3_PKS7_PS7_S7_ZZZN2at6native31launch_logcumsumexp_cuda_kernelERKNSE_10TensorBaseESI_lENKUlvE_clEvENKUlvE1_clEvEUlS7_S7_E_S7_EEDaPvRmT3_T4_T5_mT6_P12ihipStream_tbENKUlT_T0_E_clISt17integral_constantIbLb1EESY_IbLb0EEEEDaSU_SV_EUlSU_E0_NS1_11comp_targetILNS1_3genE3ELNS1_11target_archE908ELNS1_3gpuE7ELNS1_3repE0EEENS1_30default_config_static_selectorELNS0_4arch9wavefront6targetE1EEEvT1_.has_recursion, 0
	.set _ZN7rocprim17ROCPRIM_400000_NS6detail17trampoline_kernelINS0_14default_configENS1_20scan_config_selectorIN3c107complexIdEEEEZZNS1_9scan_implILNS1_25lookback_scan_determinismE0ELb0ELb0ES3_PKS7_PS7_S7_ZZZN2at6native31launch_logcumsumexp_cuda_kernelERKNSE_10TensorBaseESI_lENKUlvE_clEvENKUlvE1_clEvEUlS7_S7_E_S7_EEDaPvRmT3_T4_T5_mT6_P12ihipStream_tbENKUlT_T0_E_clISt17integral_constantIbLb1EESY_IbLb0EEEEDaSU_SV_EUlSU_E0_NS1_11comp_targetILNS1_3genE3ELNS1_11target_archE908ELNS1_3gpuE7ELNS1_3repE0EEENS1_30default_config_static_selectorELNS0_4arch9wavefront6targetE1EEEvT1_.has_indirect_call, 0
	.section	.AMDGPU.csdata,"",@progbits
; Kernel info:
; codeLenInByte = 0
; TotalNumSgprs: 4
; NumVgprs: 0
; ScratchSize: 0
; MemoryBound: 0
; FloatMode: 240
; IeeeMode: 1
; LDSByteSize: 0 bytes/workgroup (compile time only)
; SGPRBlocks: 0
; VGPRBlocks: 0
; NumSGPRsForWavesPerEU: 4
; NumVGPRsForWavesPerEU: 1
; Occupancy: 10
; WaveLimiterHint : 0
; COMPUTE_PGM_RSRC2:SCRATCH_EN: 0
; COMPUTE_PGM_RSRC2:USER_SGPR: 6
; COMPUTE_PGM_RSRC2:TRAP_HANDLER: 0
; COMPUTE_PGM_RSRC2:TGID_X_EN: 1
; COMPUTE_PGM_RSRC2:TGID_Y_EN: 0
; COMPUTE_PGM_RSRC2:TGID_Z_EN: 0
; COMPUTE_PGM_RSRC2:TIDIG_COMP_CNT: 0
	.section	.text._ZN7rocprim17ROCPRIM_400000_NS6detail17trampoline_kernelINS0_14default_configENS1_20scan_config_selectorIN3c107complexIdEEEEZZNS1_9scan_implILNS1_25lookback_scan_determinismE0ELb0ELb0ES3_PKS7_PS7_S7_ZZZN2at6native31launch_logcumsumexp_cuda_kernelERKNSE_10TensorBaseESI_lENKUlvE_clEvENKUlvE1_clEvEUlS7_S7_E_S7_EEDaPvRmT3_T4_T5_mT6_P12ihipStream_tbENKUlT_T0_E_clISt17integral_constantIbLb1EESY_IbLb0EEEEDaSU_SV_EUlSU_E0_NS1_11comp_targetILNS1_3genE2ELNS1_11target_archE906ELNS1_3gpuE6ELNS1_3repE0EEENS1_30default_config_static_selectorELNS0_4arch9wavefront6targetE1EEEvT1_,"axG",@progbits,_ZN7rocprim17ROCPRIM_400000_NS6detail17trampoline_kernelINS0_14default_configENS1_20scan_config_selectorIN3c107complexIdEEEEZZNS1_9scan_implILNS1_25lookback_scan_determinismE0ELb0ELb0ES3_PKS7_PS7_S7_ZZZN2at6native31launch_logcumsumexp_cuda_kernelERKNSE_10TensorBaseESI_lENKUlvE_clEvENKUlvE1_clEvEUlS7_S7_E_S7_EEDaPvRmT3_T4_T5_mT6_P12ihipStream_tbENKUlT_T0_E_clISt17integral_constantIbLb1EESY_IbLb0EEEEDaSU_SV_EUlSU_E0_NS1_11comp_targetILNS1_3genE2ELNS1_11target_archE906ELNS1_3gpuE6ELNS1_3repE0EEENS1_30default_config_static_selectorELNS0_4arch9wavefront6targetE1EEEvT1_,comdat
	.globl	_ZN7rocprim17ROCPRIM_400000_NS6detail17trampoline_kernelINS0_14default_configENS1_20scan_config_selectorIN3c107complexIdEEEEZZNS1_9scan_implILNS1_25lookback_scan_determinismE0ELb0ELb0ES3_PKS7_PS7_S7_ZZZN2at6native31launch_logcumsumexp_cuda_kernelERKNSE_10TensorBaseESI_lENKUlvE_clEvENKUlvE1_clEvEUlS7_S7_E_S7_EEDaPvRmT3_T4_T5_mT6_P12ihipStream_tbENKUlT_T0_E_clISt17integral_constantIbLb1EESY_IbLb0EEEEDaSU_SV_EUlSU_E0_NS1_11comp_targetILNS1_3genE2ELNS1_11target_archE906ELNS1_3gpuE6ELNS1_3repE0EEENS1_30default_config_static_selectorELNS0_4arch9wavefront6targetE1EEEvT1_ ; -- Begin function _ZN7rocprim17ROCPRIM_400000_NS6detail17trampoline_kernelINS0_14default_configENS1_20scan_config_selectorIN3c107complexIdEEEEZZNS1_9scan_implILNS1_25lookback_scan_determinismE0ELb0ELb0ES3_PKS7_PS7_S7_ZZZN2at6native31launch_logcumsumexp_cuda_kernelERKNSE_10TensorBaseESI_lENKUlvE_clEvENKUlvE1_clEvEUlS7_S7_E_S7_EEDaPvRmT3_T4_T5_mT6_P12ihipStream_tbENKUlT_T0_E_clISt17integral_constantIbLb1EESY_IbLb0EEEEDaSU_SV_EUlSU_E0_NS1_11comp_targetILNS1_3genE2ELNS1_11target_archE906ELNS1_3gpuE6ELNS1_3repE0EEENS1_30default_config_static_selectorELNS0_4arch9wavefront6targetE1EEEvT1_
	.p2align	8
	.type	_ZN7rocprim17ROCPRIM_400000_NS6detail17trampoline_kernelINS0_14default_configENS1_20scan_config_selectorIN3c107complexIdEEEEZZNS1_9scan_implILNS1_25lookback_scan_determinismE0ELb0ELb0ES3_PKS7_PS7_S7_ZZZN2at6native31launch_logcumsumexp_cuda_kernelERKNSE_10TensorBaseESI_lENKUlvE_clEvENKUlvE1_clEvEUlS7_S7_E_S7_EEDaPvRmT3_T4_T5_mT6_P12ihipStream_tbENKUlT_T0_E_clISt17integral_constantIbLb1EESY_IbLb0EEEEDaSU_SV_EUlSU_E0_NS1_11comp_targetILNS1_3genE2ELNS1_11target_archE906ELNS1_3gpuE6ELNS1_3repE0EEENS1_30default_config_static_selectorELNS0_4arch9wavefront6targetE1EEEvT1_,@function
_ZN7rocprim17ROCPRIM_400000_NS6detail17trampoline_kernelINS0_14default_configENS1_20scan_config_selectorIN3c107complexIdEEEEZZNS1_9scan_implILNS1_25lookback_scan_determinismE0ELb0ELb0ES3_PKS7_PS7_S7_ZZZN2at6native31launch_logcumsumexp_cuda_kernelERKNSE_10TensorBaseESI_lENKUlvE_clEvENKUlvE1_clEvEUlS7_S7_E_S7_EEDaPvRmT3_T4_T5_mT6_P12ihipStream_tbENKUlT_T0_E_clISt17integral_constantIbLb1EESY_IbLb0EEEEDaSU_SV_EUlSU_E0_NS1_11comp_targetILNS1_3genE2ELNS1_11target_archE906ELNS1_3gpuE6ELNS1_3repE0EEENS1_30default_config_static_selectorELNS0_4arch9wavefront6targetE1EEEvT1_: ; @_ZN7rocprim17ROCPRIM_400000_NS6detail17trampoline_kernelINS0_14default_configENS1_20scan_config_selectorIN3c107complexIdEEEEZZNS1_9scan_implILNS1_25lookback_scan_determinismE0ELb0ELb0ES3_PKS7_PS7_S7_ZZZN2at6native31launch_logcumsumexp_cuda_kernelERKNSE_10TensorBaseESI_lENKUlvE_clEvENKUlvE1_clEvEUlS7_S7_E_S7_EEDaPvRmT3_T4_T5_mT6_P12ihipStream_tbENKUlT_T0_E_clISt17integral_constantIbLb1EESY_IbLb0EEEEDaSU_SV_EUlSU_E0_NS1_11comp_targetILNS1_3genE2ELNS1_11target_archE906ELNS1_3gpuE6ELNS1_3repE0EEENS1_30default_config_static_selectorELNS0_4arch9wavefront6targetE1EEEvT1_
; %bb.0:
	s_add_u32 s0, s0, s7
	s_mov_b64 s[66:67], s[4:5]
	s_load_dwordx4 s[4:7], s[4:5], 0x0
	v_mov_b32_e32 v163, v0
	s_addc_u32 s1, s1, 0
	v_lshlrev_b32_e32 v164, 4, v163
	s_mov_b32 s32, 0
	s_waitcnt lgkmcnt(0)
	s_load_dwordx4 s[8:11], s[4:5], 0x0
	v_cmp_gt_u32_e64 s[34:35], s6, v163
	s_waitcnt lgkmcnt(0)
	v_mov_b32_e32 v2, s10
	v_mov_b32_e32 v0, s8
	v_mov_b32_e32 v3, s11
	v_mov_b32_e32 v1, s9
	s_and_saveexec_b64 s[12:13], s[34:35]
	s_cbranch_execz .LBB235_2
; %bb.1:
	global_load_dwordx4 v[0:3], v164, s[4:5]
.LBB235_2:
	s_or_b64 exec, exec, s[12:13]
	v_or_b32_e32 v4, 64, v163
	v_cmp_gt_u32_e64 s[36:37], s6, v4
	v_mov_b32_e32 v6, s10
	v_mov_b32_e32 v4, s8
	v_mov_b32_e32 v7, s11
	v_mov_b32_e32 v5, s9
	s_and_saveexec_b64 s[12:13], s[36:37]
	s_cbranch_execz .LBB235_4
; %bb.3:
	global_load_dwordx4 v[4:7], v164, s[4:5] offset:1024
.LBB235_4:
	s_or_b64 exec, exec, s[12:13]
	v_or_b32_e32 v8, 0x80, v163
	v_cmp_gt_u32_e64 s[38:39], s6, v8
	v_mov_b32_e32 v10, s10
	v_mov_b32_e32 v8, s8
	v_mov_b32_e32 v11, s11
	v_mov_b32_e32 v9, s9
	s_and_saveexec_b64 s[12:13], s[38:39]
	s_cbranch_execz .LBB235_6
; %bb.5:
	global_load_dwordx4 v[8:11], v164, s[4:5] offset:2048
.LBB235_6:
	;; [unrolled: 12-line block ×3, first 2 shown]
	s_or_b64 exec, exec, s[12:13]
	v_or_b32_e32 v20, 0x100, v163
	v_mov_b32_e32 v19, s11
	v_mov_b32_e32 v17, s9
	v_cmp_gt_u32_e64 s[44:45], s6, v20
	v_mov_b32_e32 v18, s10
	v_mov_b32_e32 v16, s8
	s_and_saveexec_b64 s[12:13], s[44:45]
	s_cbranch_execz .LBB235_10
; %bb.9:
	v_lshlrev_b32_e32 v16, 4, v20
	global_load_dwordx4 v[16:19], v16, s[4:5]
.LBB235_10:
	s_or_b64 exec, exec, s[12:13]
	v_or_b32_e32 v24, 0x140, v163
	v_mov_b32_e32 v23, s11
	v_mov_b32_e32 v21, s9
	v_cmp_gt_u32_e64 s[46:47], s6, v24
	v_mov_b32_e32 v22, s10
	v_mov_b32_e32 v20, s8
	s_and_saveexec_b64 s[12:13], s[46:47]
	s_cbranch_execz .LBB235_12
; %bb.11:
	v_lshlrev_b32_e32 v20, 4, v24
	global_load_dwordx4 v[20:23], v20, s[4:5]
.LBB235_12:
	;; [unrolled: 13-line block ×11, first 2 shown]
	s_or_b64 exec, exec, s[6:7]
	s_movk_i32 s4, 0xe0
	s_waitcnt vmcnt(0)
	ds_write_b128 v164, v[0:3]
	ds_write_b128 v164, v[4:7] offset:1024
	ds_write_b128 v164, v[8:11] offset:2048
	;; [unrolled: 1-line block ×14, first 2 shown]
	v_mad_u32_u24 v0, v163, s4, v164
	s_waitcnt lgkmcnt(0)
	; wave barrier
	ds_read_b128 v[40:43], v0
	ds_read_b128 v[131:134], v0 offset:16
	ds_read_b128 v[127:130], v0 offset:32
	;; [unrolled: 1-line block ×14, first 2 shown]
	s_getpc_b64 s[68:69]
	s_add_u32 s68, s68, _ZZZZN2at6native31launch_logcumsumexp_cuda_kernelERKNS_10TensorBaseES3_lENKUlvE_clEvENKUlvE1_clEvENKUlN3c107complexIdEES8_E_clES8_S8_@rel32@lo+4
	s_addc_u32 s69, s69, _ZZZZN2at6native31launch_logcumsumexp_cuda_kernelERKNS_10TensorBaseES3_lENKUlvE_clEvENKUlvE1_clEvENKUlN3c107complexIdEES8_E_clES8_S8_@rel32@hi+12
	s_waitcnt lgkmcnt(14)
	v_mov_b32_e32 v0, v40
	v_mov_b32_e32 v1, v41
	;; [unrolled: 1-line block ×4, first 2 shown]
	s_waitcnt lgkmcnt(13)
	v_mov_b32_e32 v4, v131
	v_mov_b32_e32 v5, v132
	;; [unrolled: 1-line block ×4, first 2 shown]
	s_waitcnt lgkmcnt(0)
	; wave barrier
	s_swappc_b64 s[30:31], s[68:69]
	v_mov_b32_e32 v4, v127
	v_mov_b32_e32 v5, v128
	v_mov_b32_e32 v6, v129
	v_mov_b32_e32 v7, v130
	v_mov_b32_e32 v44, v0
	v_mov_b32_e32 v45, v1
	v_mov_b32_e32 v46, v2
	v_mov_b32_e32 v47, v3
	s_swappc_b64 s[30:31], s[68:69]
	v_mov_b32_e32 v4, v119
	v_mov_b32_e32 v5, v120
	v_mov_b32_e32 v6, v121
	v_mov_b32_e32 v7, v122
	v_mov_b32_e32 v63, v0
	v_mov_b32_e32 v64, v1
	v_mov_b32_e32 v65, v2
	v_mov_b32_e32 v66, v3
	;; [unrolled: 9-line block ×13, first 2 shown]
	s_swappc_b64 s[30:31], s[68:69]
	v_mov_b32_e32 v159, v0
	v_mbcnt_lo_u32_b32 v0, -1, 0
	v_mov_b32_e32 v161, v2
	v_mbcnt_hi_u32_b32 v165, -1, v0
	v_mov_b32_e32 v160, v1
	v_mov_b32_e32 v162, v3
	v_and_b32_e32 v166, 15, v165
	v_mov_b32_e32 v4, v159
	v_mov_b32_e32 v6, v161
	v_mov_b32_dpp v8, v159 row_shr:1 row_mask:0xf bank_mask:0xf
	v_mov_b32_dpp v9, v160 row_shr:1 row_mask:0xf bank_mask:0xf
	;; [unrolled: 1-line block ×4, first 2 shown]
	v_cmp_ne_u32_e32 vcc, 0, v166
	v_mov_b32_e32 v5, v160
	v_mov_b32_e32 v7, v162
	;; [unrolled: 1-line block ×3, first 2 shown]
	s_and_saveexec_b64 s[70:71], vcc
	s_cbranch_execz .LBB235_32
; %bb.31:
	v_mov_b32_e32 v0, v8
	v_mov_b32_e32 v1, v9
	;; [unrolled: 1-line block ×8, first 2 shown]
	s_swappc_b64 s[30:31], s[68:69]
	v_mov_b32_e32 v4, v0
	v_mov_b32_e32 v5, v1
	;; [unrolled: 1-line block ×4, first 2 shown]
.LBB235_32:
	s_or_b64 exec, exec, s[70:71]
	v_mov_b32_dpp v8, v0 row_shr:2 row_mask:0xf bank_mask:0xf
	v_mov_b32_dpp v9, v1 row_shr:2 row_mask:0xf bank_mask:0xf
	v_mov_b32_dpp v10, v2 row_shr:2 row_mask:0xf bank_mask:0xf
	v_mov_b32_dpp v11, v3 row_shr:2 row_mask:0xf bank_mask:0xf
	v_cmp_lt_u32_e32 vcc, 1, v166
	s_and_saveexec_b64 s[68:69], vcc
	s_cbranch_execz .LBB235_34
; %bb.33:
	s_getpc_b64 s[4:5]
	s_add_u32 s4, s4, _ZZZZN2at6native31launch_logcumsumexp_cuda_kernelERKNS_10TensorBaseES3_lENKUlvE_clEvENKUlvE1_clEvENKUlN3c107complexIdEES8_E_clES8_S8_@rel32@lo+4
	s_addc_u32 s5, s5, _ZZZZN2at6native31launch_logcumsumexp_cuda_kernelERKNS_10TensorBaseES3_lENKUlvE_clEvENKUlvE1_clEvENKUlN3c107complexIdEES8_E_clES8_S8_@rel32@hi+12
	v_mov_b32_e32 v0, v8
	v_mov_b32_e32 v1, v9
	v_mov_b32_e32 v2, v10
	v_mov_b32_e32 v3, v11
	s_swappc_b64 s[30:31], s[4:5]
	v_mov_b32_e32 v7, v3
	v_mov_b32_e32 v5, v1
	v_mov_b32_e32 v6, v2
	v_mov_b32_e32 v4, v0
.LBB235_34:
	s_or_b64 exec, exec, s[68:69]
	v_mov_b32_dpp v8, v0 row_shr:4 row_mask:0xf bank_mask:0xf
	v_mov_b32_dpp v9, v1 row_shr:4 row_mask:0xf bank_mask:0xf
	v_mov_b32_dpp v10, v2 row_shr:4 row_mask:0xf bank_mask:0xf
	v_mov_b32_dpp v11, v3 row_shr:4 row_mask:0xf bank_mask:0xf
	v_cmp_lt_u32_e32 vcc, 3, v166
	s_and_saveexec_b64 s[68:69], vcc
	s_cbranch_execz .LBB235_36
; %bb.35:
	s_getpc_b64 s[4:5]
	s_add_u32 s4, s4, _ZZZZN2at6native31launch_logcumsumexp_cuda_kernelERKNS_10TensorBaseES3_lENKUlvE_clEvENKUlvE1_clEvENKUlN3c107complexIdEES8_E_clES8_S8_@rel32@lo+4
	s_addc_u32 s5, s5, _ZZZZN2at6native31launch_logcumsumexp_cuda_kernelERKNS_10TensorBaseES3_lENKUlvE_clEvENKUlvE1_clEvENKUlN3c107complexIdEES8_E_clES8_S8_@rel32@hi+12
	v_mov_b32_e32 v0, v8
	v_mov_b32_e32 v1, v9
	v_mov_b32_e32 v2, v10
	v_mov_b32_e32 v3, v11
	s_swappc_b64 s[30:31], s[4:5]
	v_mov_b32_e32 v7, v3
	v_mov_b32_e32 v5, v1
	v_mov_b32_e32 v6, v2
	v_mov_b32_e32 v4, v0
.LBB235_36:
	;; [unrolled: 22-line block ×3, first 2 shown]
	s_or_b64 exec, exec, s[68:69]
	v_and_b32_e32 v12, 16, v165
	v_mov_b32_dpp v8, v0 row_bcast:15 row_mask:0xf bank_mask:0xf
	v_mov_b32_dpp v9, v1 row_bcast:15 row_mask:0xf bank_mask:0xf
	v_mov_b32_dpp v10, v2 row_bcast:15 row_mask:0xf bank_mask:0xf
	v_mov_b32_dpp v11, v3 row_bcast:15 row_mask:0xf bank_mask:0xf
	v_cmp_ne_u32_e32 vcc, 0, v12
	s_and_saveexec_b64 s[68:69], vcc
	s_cbranch_execz .LBB235_40
; %bb.39:
	s_getpc_b64 s[4:5]
	s_add_u32 s4, s4, _ZZZZN2at6native31launch_logcumsumexp_cuda_kernelERKNS_10TensorBaseES3_lENKUlvE_clEvENKUlvE1_clEvENKUlN3c107complexIdEES8_E_clES8_S8_@rel32@lo+4
	s_addc_u32 s5, s5, _ZZZZN2at6native31launch_logcumsumexp_cuda_kernelERKNS_10TensorBaseES3_lENKUlvE_clEvENKUlvE1_clEvENKUlN3c107complexIdEES8_E_clES8_S8_@rel32@hi+12
	v_mov_b32_e32 v0, v8
	v_mov_b32_e32 v1, v9
	;; [unrolled: 1-line block ×4, first 2 shown]
	s_swappc_b64 s[30:31], s[4:5]
	v_mov_b32_e32 v4, v0
	v_mov_b32_e32 v5, v1
	;; [unrolled: 1-line block ×4, first 2 shown]
.LBB235_40:
	s_or_b64 exec, exec, s[68:69]
	v_mov_b32_dpp v0, v0 row_bcast:31 row_mask:0xf bank_mask:0xf
	v_mov_b32_dpp v1, v1 row_bcast:31 row_mask:0xf bank_mask:0xf
	;; [unrolled: 1-line block ×4, first 2 shown]
	v_cmp_lt_u32_e32 vcc, 31, v165
	s_and_saveexec_b64 s[68:69], vcc
	s_cbranch_execz .LBB235_42
; %bb.41:
	s_getpc_b64 s[4:5]
	s_add_u32 s4, s4, _ZZZZN2at6native31launch_logcumsumexp_cuda_kernelERKNS_10TensorBaseES3_lENKUlvE_clEvENKUlvE1_clEvENKUlN3c107complexIdEES8_E_clES8_S8_@rel32@lo+4
	s_addc_u32 s5, s5, _ZZZZN2at6native31launch_logcumsumexp_cuda_kernelERKNS_10TensorBaseES3_lENKUlvE_clEvENKUlvE1_clEvENKUlN3c107complexIdEES8_E_clES8_S8_@rel32@hi+12
	s_swappc_b64 s[30:31], s[4:5]
	v_mov_b32_e32 v4, v0
	v_mov_b32_e32 v5, v1
	;; [unrolled: 1-line block ×4, first 2 shown]
.LBB235_42:
	s_or_b64 exec, exec, s[68:69]
	s_load_dwordx2 s[66:67], s[66:67], 0x28
	v_cmp_eq_u32_e32 vcc, 63, v163
	s_and_saveexec_b64 s[4:5], vcc
; %bb.43:
	v_mov_b32_e32 v0, 0
	ds_write_b128 v0, v[4:7]
; %bb.44:
	s_or_b64 exec, exec, s[4:5]
	v_add_u32_e32 v0, -1, v165
	v_and_b32_e32 v1, 64, v165
	v_cmp_lt_i32_e32 vcc, v0, v1
	v_cndmask_b32_e32 v0, v0, v165, vcc
	v_lshlrev_b32_e32 v3, 2, v0
	ds_bpermute_b32 v0, v3, v4
	ds_bpermute_b32 v1, v3, v5
	;; [unrolled: 1-line block ×4, first 2 shown]
	v_mul_u32_u24_e32 v165, 0xe0, v163
	v_cmp_ne_u32_e32 vcc, 0, v163
	s_waitcnt lgkmcnt(0)
	; wave barrier
	s_and_saveexec_b64 s[68:69], vcc
	s_cbranch_execz .LBB235_46
; %bb.45:
	s_getpc_b64 s[70:71]
	s_add_u32 s70, s70, _ZZZZN2at6native31launch_logcumsumexp_cuda_kernelERKNS_10TensorBaseES3_lENKUlvE_clEvENKUlvE1_clEvENKUlN3c107complexIdEES8_E_clES8_S8_@rel32@lo+4
	s_addc_u32 s71, s71, _ZZZZN2at6native31launch_logcumsumexp_cuda_kernelERKNS_10TensorBaseES3_lENKUlvE_clEvENKUlvE1_clEvENKUlN3c107complexIdEES8_E_clES8_S8_@rel32@hi+12
	v_mov_b32_e32 v4, v40
	v_mov_b32_e32 v5, v41
	;; [unrolled: 1-line block ×4, first 2 shown]
	s_swappc_b64 s[30:31], s[70:71]
	v_mov_b32_e32 v4, v131
	v_mov_b32_e32 v5, v132
	;; [unrolled: 1-line block ×8, first 2 shown]
	;;#ASMSTART
	;;#ASMEND
	s_swappc_b64 s[30:31], s[70:71]
	v_mov_b32_e32 v4, v127
	v_mov_b32_e32 v5, v128
	v_mov_b32_e32 v6, v129
	v_mov_b32_e32 v7, v130
	v_mov_b32_e32 v44, v0
	v_mov_b32_e32 v45, v1
	v_mov_b32_e32 v46, v2
	v_mov_b32_e32 v47, v3
	s_swappc_b64 s[30:31], s[70:71]
	v_mov_b32_e32 v4, v119
	v_mov_b32_e32 v5, v120
	v_mov_b32_e32 v6, v121
	v_mov_b32_e32 v7, v122
	v_mov_b32_e32 v63, v0
	v_mov_b32_e32 v64, v1
	v_mov_b32_e32 v65, v2
	v_mov_b32_e32 v66, v3
	;; [unrolled: 9-line block ×13, first 2 shown]
	s_swappc_b64 s[30:31], s[70:71]
	v_mov_b32_e32 v159, v0
	v_mov_b32_e32 v160, v1
	;; [unrolled: 1-line block ×4, first 2 shown]
.LBB235_46:
	s_or_b64 exec, exec, s[68:69]
	v_add_u32_e32 v0, v164, v165
	; wave barrier
	ds_write_b128 v0, v[40:43]
	ds_write_b128 v0, v[44:47] offset:16
	ds_write_b128 v0, v[63:66] offset:32
	ds_write_b128 v0, v[75:78] offset:48
	ds_write_b128 v0, v[87:90] offset:64
	ds_write_b128 v0, v[99:102] offset:80
	ds_write_b128 v0, v[111:114] offset:96
	ds_write_b128 v0, v[123:126] offset:112
	ds_write_b128 v0, v[135:138] offset:128
	ds_write_b128 v0, v[139:142] offset:144
	ds_write_b128 v0, v[143:146] offset:160
	ds_write_b128 v0, v[147:150] offset:176
	ds_write_b128 v0, v[151:154] offset:192
	ds_write_b128 v0, v[155:158] offset:208
	ds_write_b128 v0, v[159:162] offset:224
	s_waitcnt lgkmcnt(0)
	; wave barrier
	ds_read_b128 v[52:55], v164 offset:1024
	ds_read_b128 v[48:51], v164 offset:2048
	ds_read_b128 v[44:47], v164 offset:3072
	ds_read_b128 v[40:43], v164 offset:4096
	ds_read_b128 v[36:39], v164 offset:5120
	ds_read_b128 v[32:35], v164 offset:6144
	ds_read_b128 v[28:31], v164 offset:7168
	ds_read_b128 v[24:27], v164 offset:8192
	ds_read_b128 v[20:23], v164 offset:9216
	ds_read_b128 v[16:19], v164 offset:10240
	ds_read_b128 v[12:15], v164 offset:11264
	ds_read_b128 v[8:11], v164 offset:12288
	ds_read_b128 v[4:7], v164 offset:13312
	ds_read_b128 v[0:3], v164 offset:14336
	v_mov_b32_e32 v57, s67
	v_add_co_u32_e32 v56, vcc, s66, v164
	v_addc_co_u32_e32 v57, vcc, 0, v57, vcc
	s_and_saveexec_b64 s[4:5], s[34:35]
	s_cbranch_execnz .LBB235_62
; %bb.47:
	s_or_b64 exec, exec, s[4:5]
	s_and_saveexec_b64 s[4:5], s[36:37]
	s_cbranch_execnz .LBB235_63
.LBB235_48:
	s_or_b64 exec, exec, s[4:5]
	s_and_saveexec_b64 s[4:5], s[38:39]
	s_cbranch_execnz .LBB235_64
.LBB235_49:
	s_or_b64 exec, exec, s[4:5]
	s_and_saveexec_b64 s[4:5], s[42:43]
	s_cbranch_execnz .LBB235_65
.LBB235_50:
	s_or_b64 exec, exec, s[4:5]
	s_and_saveexec_b64 s[4:5], s[44:45]
	s_cbranch_execnz .LBB235_66
.LBB235_51:
	s_or_b64 exec, exec, s[4:5]
	s_and_saveexec_b64 s[4:5], s[46:47]
	s_cbranch_execnz .LBB235_67
.LBB235_52:
	s_or_b64 exec, exec, s[4:5]
	s_and_saveexec_b64 s[4:5], s[48:49]
	s_cbranch_execnz .LBB235_68
.LBB235_53:
	s_or_b64 exec, exec, s[4:5]
	s_and_saveexec_b64 s[4:5], s[50:51]
	s_cbranch_execnz .LBB235_69
.LBB235_54:
	s_or_b64 exec, exec, s[4:5]
	s_and_saveexec_b64 s[4:5], s[52:53]
	s_cbranch_execnz .LBB235_70
.LBB235_55:
	s_or_b64 exec, exec, s[4:5]
	s_and_saveexec_b64 s[4:5], s[54:55]
	s_cbranch_execnz .LBB235_71
.LBB235_56:
	s_or_b64 exec, exec, s[4:5]
	s_and_saveexec_b64 s[4:5], s[56:57]
	s_cbranch_execnz .LBB235_72
.LBB235_57:
	s_or_b64 exec, exec, s[4:5]
	s_and_saveexec_b64 s[4:5], s[58:59]
	s_cbranch_execnz .LBB235_73
.LBB235_58:
	s_or_b64 exec, exec, s[4:5]
	s_and_saveexec_b64 s[4:5], s[60:61]
	s_cbranch_execnz .LBB235_74
.LBB235_59:
	s_or_b64 exec, exec, s[4:5]
	s_and_saveexec_b64 s[4:5], s[62:63]
	s_cbranch_execnz .LBB235_75
.LBB235_60:
	s_or_b64 exec, exec, s[4:5]
	s_and_saveexec_b64 s[4:5], s[64:65]
	s_cbranch_execnz .LBB235_76
.LBB235_61:
	s_endpgm
.LBB235_62:
	ds_read_b128 v[58:61], v164
	s_waitcnt lgkmcnt(0)
	global_store_dwordx4 v[56:57], v[58:61], off
	s_or_b64 exec, exec, s[4:5]
	s_and_saveexec_b64 s[4:5], s[36:37]
	s_cbranch_execz .LBB235_48
.LBB235_63:
	s_waitcnt lgkmcnt(13)
	global_store_dwordx4 v[56:57], v[52:55], off offset:1024
	s_or_b64 exec, exec, s[4:5]
	s_and_saveexec_b64 s[4:5], s[38:39]
	s_cbranch_execz .LBB235_49
.LBB235_64:
	s_waitcnt lgkmcnt(12)
	global_store_dwordx4 v[56:57], v[48:51], off offset:2048
	s_or_b64 exec, exec, s[4:5]
	s_and_saveexec_b64 s[4:5], s[42:43]
	s_cbranch_execz .LBB235_50
.LBB235_65:
	s_waitcnt lgkmcnt(11)
	global_store_dwordx4 v[56:57], v[44:47], off offset:3072
	s_or_b64 exec, exec, s[4:5]
	s_and_saveexec_b64 s[4:5], s[44:45]
	s_cbranch_execz .LBB235_51
.LBB235_66:
	s_waitcnt lgkmcnt(11)
	v_add_co_u32_e32 v44, vcc, 0x1000, v56
	v_addc_co_u32_e32 v45, vcc, 0, v57, vcc
	s_waitcnt lgkmcnt(10)
	global_store_dwordx4 v[44:45], v[40:43], off
	s_or_b64 exec, exec, s[4:5]
	s_and_saveexec_b64 s[4:5], s[46:47]
	s_cbranch_execz .LBB235_52
.LBB235_67:
	s_waitcnt lgkmcnt(10)
	v_add_co_u32_e32 v40, vcc, 0x1000, v56
	v_addc_co_u32_e32 v41, vcc, 0, v57, vcc
	s_waitcnt lgkmcnt(9)
	global_store_dwordx4 v[40:41], v[36:39], off offset:1024
	s_or_b64 exec, exec, s[4:5]
	s_and_saveexec_b64 s[4:5], s[48:49]
	s_cbranch_execz .LBB235_53
.LBB235_68:
	s_waitcnt lgkmcnt(9)
	v_add_co_u32_e32 v36, vcc, 0x1000, v56
	v_addc_co_u32_e32 v37, vcc, 0, v57, vcc
	s_waitcnt lgkmcnt(8)
	global_store_dwordx4 v[36:37], v[32:35], off offset:2048
	s_or_b64 exec, exec, s[4:5]
	s_and_saveexec_b64 s[4:5], s[50:51]
	s_cbranch_execz .LBB235_54
.LBB235_69:
	s_waitcnt lgkmcnt(8)
	v_add_co_u32_e32 v32, vcc, 0x1000, v56
	v_addc_co_u32_e32 v33, vcc, 0, v57, vcc
	s_waitcnt lgkmcnt(7)
	global_store_dwordx4 v[32:33], v[28:31], off offset:3072
	s_or_b64 exec, exec, s[4:5]
	s_and_saveexec_b64 s[4:5], s[52:53]
	s_cbranch_execz .LBB235_55
.LBB235_70:
	s_waitcnt lgkmcnt(7)
	v_add_co_u32_e32 v28, vcc, 0x2000, v56
	v_addc_co_u32_e32 v29, vcc, 0, v57, vcc
	s_waitcnt lgkmcnt(6)
	global_store_dwordx4 v[28:29], v[24:27], off
	s_or_b64 exec, exec, s[4:5]
	s_and_saveexec_b64 s[4:5], s[54:55]
	s_cbranch_execz .LBB235_56
.LBB235_71:
	s_waitcnt lgkmcnt(6)
	v_add_co_u32_e32 v24, vcc, 0x2000, v56
	v_addc_co_u32_e32 v25, vcc, 0, v57, vcc
	s_waitcnt lgkmcnt(5)
	global_store_dwordx4 v[24:25], v[20:23], off offset:1024
	s_or_b64 exec, exec, s[4:5]
	s_and_saveexec_b64 s[4:5], s[56:57]
	s_cbranch_execz .LBB235_57
.LBB235_72:
	s_waitcnt lgkmcnt(5)
	v_add_co_u32_e32 v20, vcc, 0x2000, v56
	v_addc_co_u32_e32 v21, vcc, 0, v57, vcc
	s_waitcnt lgkmcnt(4)
	global_store_dwordx4 v[20:21], v[16:19], off offset:2048
	s_or_b64 exec, exec, s[4:5]
	s_and_saveexec_b64 s[4:5], s[58:59]
	s_cbranch_execz .LBB235_58
.LBB235_73:
	s_waitcnt lgkmcnt(4)
	v_add_co_u32_e32 v16, vcc, 0x2000, v56
	v_addc_co_u32_e32 v17, vcc, 0, v57, vcc
	s_waitcnt lgkmcnt(3)
	global_store_dwordx4 v[16:17], v[12:15], off offset:3072
	s_or_b64 exec, exec, s[4:5]
	s_and_saveexec_b64 s[4:5], s[60:61]
	s_cbranch_execz .LBB235_59
.LBB235_74:
	s_waitcnt lgkmcnt(3)
	v_add_co_u32_e32 v12, vcc, 0x3000, v56
	v_addc_co_u32_e32 v13, vcc, 0, v57, vcc
	s_waitcnt lgkmcnt(2)
	global_store_dwordx4 v[12:13], v[8:11], off
	s_or_b64 exec, exec, s[4:5]
	s_and_saveexec_b64 s[4:5], s[62:63]
	s_cbranch_execz .LBB235_60
.LBB235_75:
	s_waitcnt lgkmcnt(2)
	v_add_co_u32_e32 v8, vcc, 0x3000, v56
	v_addc_co_u32_e32 v9, vcc, 0, v57, vcc
	s_waitcnt lgkmcnt(1)
	global_store_dwordx4 v[8:9], v[4:7], off offset:1024
	s_or_b64 exec, exec, s[4:5]
	s_and_saveexec_b64 s[4:5], s[64:65]
	s_cbranch_execz .LBB235_61
.LBB235_76:
	s_waitcnt lgkmcnt(1)
	v_add_co_u32_e32 v4, vcc, 0x3000, v56
	v_addc_co_u32_e32 v5, vcc, 0, v57, vcc
	s_waitcnt lgkmcnt(0)
	global_store_dwordx4 v[4:5], v[0:3], off offset:2048
	s_endpgm
	.section	.rodata,"a",@progbits
	.p2align	6, 0x0
	.amdhsa_kernel _ZN7rocprim17ROCPRIM_400000_NS6detail17trampoline_kernelINS0_14default_configENS1_20scan_config_selectorIN3c107complexIdEEEEZZNS1_9scan_implILNS1_25lookback_scan_determinismE0ELb0ELb0ES3_PKS7_PS7_S7_ZZZN2at6native31launch_logcumsumexp_cuda_kernelERKNSE_10TensorBaseESI_lENKUlvE_clEvENKUlvE1_clEvEUlS7_S7_E_S7_EEDaPvRmT3_T4_T5_mT6_P12ihipStream_tbENKUlT_T0_E_clISt17integral_constantIbLb1EESY_IbLb0EEEEDaSU_SV_EUlSU_E0_NS1_11comp_targetILNS1_3genE2ELNS1_11target_archE906ELNS1_3gpuE6ELNS1_3repE0EEENS1_30default_config_static_selectorELNS0_4arch9wavefront6targetE1EEEvT1_
		.amdhsa_group_segment_fixed_size 15360
		.amdhsa_private_segment_fixed_size 0
		.amdhsa_kernarg_size 48
		.amdhsa_user_sgpr_count 6
		.amdhsa_user_sgpr_private_segment_buffer 1
		.amdhsa_user_sgpr_dispatch_ptr 0
		.amdhsa_user_sgpr_queue_ptr 0
		.amdhsa_user_sgpr_kernarg_segment_ptr 1
		.amdhsa_user_sgpr_dispatch_id 0
		.amdhsa_user_sgpr_flat_scratch_init 0
		.amdhsa_user_sgpr_private_segment_size 0
		.amdhsa_uses_dynamic_stack 0
		.amdhsa_system_sgpr_private_segment_wavefront_offset 0
		.amdhsa_system_sgpr_workgroup_id_x 1
		.amdhsa_system_sgpr_workgroup_id_y 0
		.amdhsa_system_sgpr_workgroup_id_z 0
		.amdhsa_system_sgpr_workgroup_info 0
		.amdhsa_system_vgpr_workitem_id 0
		.amdhsa_next_free_vgpr 167
		.amdhsa_next_free_sgpr 98
		.amdhsa_reserve_vcc 1
		.amdhsa_reserve_flat_scratch 0
		.amdhsa_float_round_mode_32 0
		.amdhsa_float_round_mode_16_64 0
		.amdhsa_float_denorm_mode_32 3
		.amdhsa_float_denorm_mode_16_64 3
		.amdhsa_dx10_clamp 1
		.amdhsa_ieee_mode 1
		.amdhsa_fp16_overflow 0
		.amdhsa_exception_fp_ieee_invalid_op 0
		.amdhsa_exception_fp_denorm_src 0
		.amdhsa_exception_fp_ieee_div_zero 0
		.amdhsa_exception_fp_ieee_overflow 0
		.amdhsa_exception_fp_ieee_underflow 0
		.amdhsa_exception_fp_ieee_inexact 0
		.amdhsa_exception_int_div_zero 0
	.end_amdhsa_kernel
	.section	.text._ZN7rocprim17ROCPRIM_400000_NS6detail17trampoline_kernelINS0_14default_configENS1_20scan_config_selectorIN3c107complexIdEEEEZZNS1_9scan_implILNS1_25lookback_scan_determinismE0ELb0ELb0ES3_PKS7_PS7_S7_ZZZN2at6native31launch_logcumsumexp_cuda_kernelERKNSE_10TensorBaseESI_lENKUlvE_clEvENKUlvE1_clEvEUlS7_S7_E_S7_EEDaPvRmT3_T4_T5_mT6_P12ihipStream_tbENKUlT_T0_E_clISt17integral_constantIbLb1EESY_IbLb0EEEEDaSU_SV_EUlSU_E0_NS1_11comp_targetILNS1_3genE2ELNS1_11target_archE906ELNS1_3gpuE6ELNS1_3repE0EEENS1_30default_config_static_selectorELNS0_4arch9wavefront6targetE1EEEvT1_,"axG",@progbits,_ZN7rocprim17ROCPRIM_400000_NS6detail17trampoline_kernelINS0_14default_configENS1_20scan_config_selectorIN3c107complexIdEEEEZZNS1_9scan_implILNS1_25lookback_scan_determinismE0ELb0ELb0ES3_PKS7_PS7_S7_ZZZN2at6native31launch_logcumsumexp_cuda_kernelERKNSE_10TensorBaseESI_lENKUlvE_clEvENKUlvE1_clEvEUlS7_S7_E_S7_EEDaPvRmT3_T4_T5_mT6_P12ihipStream_tbENKUlT_T0_E_clISt17integral_constantIbLb1EESY_IbLb0EEEEDaSU_SV_EUlSU_E0_NS1_11comp_targetILNS1_3genE2ELNS1_11target_archE906ELNS1_3gpuE6ELNS1_3repE0EEENS1_30default_config_static_selectorELNS0_4arch9wavefront6targetE1EEEvT1_,comdat
.Lfunc_end235:
	.size	_ZN7rocprim17ROCPRIM_400000_NS6detail17trampoline_kernelINS0_14default_configENS1_20scan_config_selectorIN3c107complexIdEEEEZZNS1_9scan_implILNS1_25lookback_scan_determinismE0ELb0ELb0ES3_PKS7_PS7_S7_ZZZN2at6native31launch_logcumsumexp_cuda_kernelERKNSE_10TensorBaseESI_lENKUlvE_clEvENKUlvE1_clEvEUlS7_S7_E_S7_EEDaPvRmT3_T4_T5_mT6_P12ihipStream_tbENKUlT_T0_E_clISt17integral_constantIbLb1EESY_IbLb0EEEEDaSU_SV_EUlSU_E0_NS1_11comp_targetILNS1_3genE2ELNS1_11target_archE906ELNS1_3gpuE6ELNS1_3repE0EEENS1_30default_config_static_selectorELNS0_4arch9wavefront6targetE1EEEvT1_, .Lfunc_end235-_ZN7rocprim17ROCPRIM_400000_NS6detail17trampoline_kernelINS0_14default_configENS1_20scan_config_selectorIN3c107complexIdEEEEZZNS1_9scan_implILNS1_25lookback_scan_determinismE0ELb0ELb0ES3_PKS7_PS7_S7_ZZZN2at6native31launch_logcumsumexp_cuda_kernelERKNSE_10TensorBaseESI_lENKUlvE_clEvENKUlvE1_clEvEUlS7_S7_E_S7_EEDaPvRmT3_T4_T5_mT6_P12ihipStream_tbENKUlT_T0_E_clISt17integral_constantIbLb1EESY_IbLb0EEEEDaSU_SV_EUlSU_E0_NS1_11comp_targetILNS1_3genE2ELNS1_11target_archE906ELNS1_3gpuE6ELNS1_3repE0EEENS1_30default_config_static_selectorELNS0_4arch9wavefront6targetE1EEEvT1_
                                        ; -- End function
	.set _ZN7rocprim17ROCPRIM_400000_NS6detail17trampoline_kernelINS0_14default_configENS1_20scan_config_selectorIN3c107complexIdEEEEZZNS1_9scan_implILNS1_25lookback_scan_determinismE0ELb0ELb0ES3_PKS7_PS7_S7_ZZZN2at6native31launch_logcumsumexp_cuda_kernelERKNSE_10TensorBaseESI_lENKUlvE_clEvENKUlvE1_clEvEUlS7_S7_E_S7_EEDaPvRmT3_T4_T5_mT6_P12ihipStream_tbENKUlT_T0_E_clISt17integral_constantIbLb1EESY_IbLb0EEEEDaSU_SV_EUlSU_E0_NS1_11comp_targetILNS1_3genE2ELNS1_11target_archE906ELNS1_3gpuE6ELNS1_3repE0EEENS1_30default_config_static_selectorELNS0_4arch9wavefront6targetE1EEEvT1_.num_vgpr, max(167, .L_ZZZZN2at6native31launch_logcumsumexp_cuda_kernelERKNS_10TensorBaseES3_lENKUlvE_clEvENKUlvE1_clEvENKUlN3c107complexIdEES8_E_clES8_S8_.num_vgpr)
	.set _ZN7rocprim17ROCPRIM_400000_NS6detail17trampoline_kernelINS0_14default_configENS1_20scan_config_selectorIN3c107complexIdEEEEZZNS1_9scan_implILNS1_25lookback_scan_determinismE0ELb0ELb0ES3_PKS7_PS7_S7_ZZZN2at6native31launch_logcumsumexp_cuda_kernelERKNSE_10TensorBaseESI_lENKUlvE_clEvENKUlvE1_clEvEUlS7_S7_E_S7_EEDaPvRmT3_T4_T5_mT6_P12ihipStream_tbENKUlT_T0_E_clISt17integral_constantIbLb1EESY_IbLb0EEEEDaSU_SV_EUlSU_E0_NS1_11comp_targetILNS1_3genE2ELNS1_11target_archE906ELNS1_3gpuE6ELNS1_3repE0EEENS1_30default_config_static_selectorELNS0_4arch9wavefront6targetE1EEEvT1_.num_agpr, max(0, .L_ZZZZN2at6native31launch_logcumsumexp_cuda_kernelERKNS_10TensorBaseES3_lENKUlvE_clEvENKUlvE1_clEvENKUlN3c107complexIdEES8_E_clES8_S8_.num_agpr)
	.set _ZN7rocprim17ROCPRIM_400000_NS6detail17trampoline_kernelINS0_14default_configENS1_20scan_config_selectorIN3c107complexIdEEEEZZNS1_9scan_implILNS1_25lookback_scan_determinismE0ELb0ELb0ES3_PKS7_PS7_S7_ZZZN2at6native31launch_logcumsumexp_cuda_kernelERKNSE_10TensorBaseESI_lENKUlvE_clEvENKUlvE1_clEvEUlS7_S7_E_S7_EEDaPvRmT3_T4_T5_mT6_P12ihipStream_tbENKUlT_T0_E_clISt17integral_constantIbLb1EESY_IbLb0EEEEDaSU_SV_EUlSU_E0_NS1_11comp_targetILNS1_3genE2ELNS1_11target_archE906ELNS1_3gpuE6ELNS1_3repE0EEENS1_30default_config_static_selectorELNS0_4arch9wavefront6targetE1EEEvT1_.numbered_sgpr, max(72, .L_ZZZZN2at6native31launch_logcumsumexp_cuda_kernelERKNS_10TensorBaseES3_lENKUlvE_clEvENKUlvE1_clEvENKUlN3c107complexIdEES8_E_clES8_S8_.numbered_sgpr)
	.set _ZN7rocprim17ROCPRIM_400000_NS6detail17trampoline_kernelINS0_14default_configENS1_20scan_config_selectorIN3c107complexIdEEEEZZNS1_9scan_implILNS1_25lookback_scan_determinismE0ELb0ELb0ES3_PKS7_PS7_S7_ZZZN2at6native31launch_logcumsumexp_cuda_kernelERKNSE_10TensorBaseESI_lENKUlvE_clEvENKUlvE1_clEvEUlS7_S7_E_S7_EEDaPvRmT3_T4_T5_mT6_P12ihipStream_tbENKUlT_T0_E_clISt17integral_constantIbLb1EESY_IbLb0EEEEDaSU_SV_EUlSU_E0_NS1_11comp_targetILNS1_3genE2ELNS1_11target_archE906ELNS1_3gpuE6ELNS1_3repE0EEENS1_30default_config_static_selectorELNS0_4arch9wavefront6targetE1EEEvT1_.num_named_barrier, max(0, .L_ZZZZN2at6native31launch_logcumsumexp_cuda_kernelERKNS_10TensorBaseES3_lENKUlvE_clEvENKUlvE1_clEvENKUlN3c107complexIdEES8_E_clES8_S8_.num_named_barrier)
	.set _ZN7rocprim17ROCPRIM_400000_NS6detail17trampoline_kernelINS0_14default_configENS1_20scan_config_selectorIN3c107complexIdEEEEZZNS1_9scan_implILNS1_25lookback_scan_determinismE0ELb0ELb0ES3_PKS7_PS7_S7_ZZZN2at6native31launch_logcumsumexp_cuda_kernelERKNSE_10TensorBaseESI_lENKUlvE_clEvENKUlvE1_clEvEUlS7_S7_E_S7_EEDaPvRmT3_T4_T5_mT6_P12ihipStream_tbENKUlT_T0_E_clISt17integral_constantIbLb1EESY_IbLb0EEEEDaSU_SV_EUlSU_E0_NS1_11comp_targetILNS1_3genE2ELNS1_11target_archE906ELNS1_3gpuE6ELNS1_3repE0EEENS1_30default_config_static_selectorELNS0_4arch9wavefront6targetE1EEEvT1_.private_seg_size, 0+max(.L_ZZZZN2at6native31launch_logcumsumexp_cuda_kernelERKNS_10TensorBaseES3_lENKUlvE_clEvENKUlvE1_clEvENKUlN3c107complexIdEES8_E_clES8_S8_.private_seg_size)
	.set _ZN7rocprim17ROCPRIM_400000_NS6detail17trampoline_kernelINS0_14default_configENS1_20scan_config_selectorIN3c107complexIdEEEEZZNS1_9scan_implILNS1_25lookback_scan_determinismE0ELb0ELb0ES3_PKS7_PS7_S7_ZZZN2at6native31launch_logcumsumexp_cuda_kernelERKNSE_10TensorBaseESI_lENKUlvE_clEvENKUlvE1_clEvEUlS7_S7_E_S7_EEDaPvRmT3_T4_T5_mT6_P12ihipStream_tbENKUlT_T0_E_clISt17integral_constantIbLb1EESY_IbLb0EEEEDaSU_SV_EUlSU_E0_NS1_11comp_targetILNS1_3genE2ELNS1_11target_archE906ELNS1_3gpuE6ELNS1_3repE0EEENS1_30default_config_static_selectorELNS0_4arch9wavefront6targetE1EEEvT1_.uses_vcc, or(1, .L_ZZZZN2at6native31launch_logcumsumexp_cuda_kernelERKNS_10TensorBaseES3_lENKUlvE_clEvENKUlvE1_clEvENKUlN3c107complexIdEES8_E_clES8_S8_.uses_vcc)
	.set _ZN7rocprim17ROCPRIM_400000_NS6detail17trampoline_kernelINS0_14default_configENS1_20scan_config_selectorIN3c107complexIdEEEEZZNS1_9scan_implILNS1_25lookback_scan_determinismE0ELb0ELb0ES3_PKS7_PS7_S7_ZZZN2at6native31launch_logcumsumexp_cuda_kernelERKNSE_10TensorBaseESI_lENKUlvE_clEvENKUlvE1_clEvEUlS7_S7_E_S7_EEDaPvRmT3_T4_T5_mT6_P12ihipStream_tbENKUlT_T0_E_clISt17integral_constantIbLb1EESY_IbLb0EEEEDaSU_SV_EUlSU_E0_NS1_11comp_targetILNS1_3genE2ELNS1_11target_archE906ELNS1_3gpuE6ELNS1_3repE0EEENS1_30default_config_static_selectorELNS0_4arch9wavefront6targetE1EEEvT1_.uses_flat_scratch, or(0, .L_ZZZZN2at6native31launch_logcumsumexp_cuda_kernelERKNS_10TensorBaseES3_lENKUlvE_clEvENKUlvE1_clEvENKUlN3c107complexIdEES8_E_clES8_S8_.uses_flat_scratch)
	.set _ZN7rocprim17ROCPRIM_400000_NS6detail17trampoline_kernelINS0_14default_configENS1_20scan_config_selectorIN3c107complexIdEEEEZZNS1_9scan_implILNS1_25lookback_scan_determinismE0ELb0ELb0ES3_PKS7_PS7_S7_ZZZN2at6native31launch_logcumsumexp_cuda_kernelERKNSE_10TensorBaseESI_lENKUlvE_clEvENKUlvE1_clEvEUlS7_S7_E_S7_EEDaPvRmT3_T4_T5_mT6_P12ihipStream_tbENKUlT_T0_E_clISt17integral_constantIbLb1EESY_IbLb0EEEEDaSU_SV_EUlSU_E0_NS1_11comp_targetILNS1_3genE2ELNS1_11target_archE906ELNS1_3gpuE6ELNS1_3repE0EEENS1_30default_config_static_selectorELNS0_4arch9wavefront6targetE1EEEvT1_.has_dyn_sized_stack, or(0, .L_ZZZZN2at6native31launch_logcumsumexp_cuda_kernelERKNS_10TensorBaseES3_lENKUlvE_clEvENKUlvE1_clEvENKUlN3c107complexIdEES8_E_clES8_S8_.has_dyn_sized_stack)
	.set _ZN7rocprim17ROCPRIM_400000_NS6detail17trampoline_kernelINS0_14default_configENS1_20scan_config_selectorIN3c107complexIdEEEEZZNS1_9scan_implILNS1_25lookback_scan_determinismE0ELb0ELb0ES3_PKS7_PS7_S7_ZZZN2at6native31launch_logcumsumexp_cuda_kernelERKNSE_10TensorBaseESI_lENKUlvE_clEvENKUlvE1_clEvEUlS7_S7_E_S7_EEDaPvRmT3_T4_T5_mT6_P12ihipStream_tbENKUlT_T0_E_clISt17integral_constantIbLb1EESY_IbLb0EEEEDaSU_SV_EUlSU_E0_NS1_11comp_targetILNS1_3genE2ELNS1_11target_archE906ELNS1_3gpuE6ELNS1_3repE0EEENS1_30default_config_static_selectorELNS0_4arch9wavefront6targetE1EEEvT1_.has_recursion, or(0, .L_ZZZZN2at6native31launch_logcumsumexp_cuda_kernelERKNS_10TensorBaseES3_lENKUlvE_clEvENKUlvE1_clEvENKUlN3c107complexIdEES8_E_clES8_S8_.has_recursion)
	.set _ZN7rocprim17ROCPRIM_400000_NS6detail17trampoline_kernelINS0_14default_configENS1_20scan_config_selectorIN3c107complexIdEEEEZZNS1_9scan_implILNS1_25lookback_scan_determinismE0ELb0ELb0ES3_PKS7_PS7_S7_ZZZN2at6native31launch_logcumsumexp_cuda_kernelERKNSE_10TensorBaseESI_lENKUlvE_clEvENKUlvE1_clEvEUlS7_S7_E_S7_EEDaPvRmT3_T4_T5_mT6_P12ihipStream_tbENKUlT_T0_E_clISt17integral_constantIbLb1EESY_IbLb0EEEEDaSU_SV_EUlSU_E0_NS1_11comp_targetILNS1_3genE2ELNS1_11target_archE906ELNS1_3gpuE6ELNS1_3repE0EEENS1_30default_config_static_selectorELNS0_4arch9wavefront6targetE1EEEvT1_.has_indirect_call, or(0, .L_ZZZZN2at6native31launch_logcumsumexp_cuda_kernelERKNS_10TensorBaseES3_lENKUlvE_clEvENKUlvE1_clEvENKUlN3c107complexIdEES8_E_clES8_S8_.has_indirect_call)
	.section	.AMDGPU.csdata,"",@progbits
; Kernel info:
; codeLenInByte = 3960
; TotalNumSgprs: 76
; NumVgprs: 167
; ScratchSize: 0
; MemoryBound: 1
; FloatMode: 240
; IeeeMode: 1
; LDSByteSize: 15360 bytes/workgroup (compile time only)
; SGPRBlocks: 12
; VGPRBlocks: 41
; NumSGPRsForWavesPerEU: 102
; NumVGPRsForWavesPerEU: 167
; Occupancy: 1
; WaveLimiterHint : 0
; COMPUTE_PGM_RSRC2:SCRATCH_EN: 0
; COMPUTE_PGM_RSRC2:USER_SGPR: 6
; COMPUTE_PGM_RSRC2:TRAP_HANDLER: 0
; COMPUTE_PGM_RSRC2:TGID_X_EN: 1
; COMPUTE_PGM_RSRC2:TGID_Y_EN: 0
; COMPUTE_PGM_RSRC2:TGID_Z_EN: 0
; COMPUTE_PGM_RSRC2:TIDIG_COMP_CNT: 0
	.section	.text._ZN7rocprim17ROCPRIM_400000_NS6detail17trampoline_kernelINS0_14default_configENS1_20scan_config_selectorIN3c107complexIdEEEEZZNS1_9scan_implILNS1_25lookback_scan_determinismE0ELb0ELb0ES3_PKS7_PS7_S7_ZZZN2at6native31launch_logcumsumexp_cuda_kernelERKNSE_10TensorBaseESI_lENKUlvE_clEvENKUlvE1_clEvEUlS7_S7_E_S7_EEDaPvRmT3_T4_T5_mT6_P12ihipStream_tbENKUlT_T0_E_clISt17integral_constantIbLb1EESY_IbLb0EEEEDaSU_SV_EUlSU_E0_NS1_11comp_targetILNS1_3genE10ELNS1_11target_archE1201ELNS1_3gpuE5ELNS1_3repE0EEENS1_30default_config_static_selectorELNS0_4arch9wavefront6targetE1EEEvT1_,"axG",@progbits,_ZN7rocprim17ROCPRIM_400000_NS6detail17trampoline_kernelINS0_14default_configENS1_20scan_config_selectorIN3c107complexIdEEEEZZNS1_9scan_implILNS1_25lookback_scan_determinismE0ELb0ELb0ES3_PKS7_PS7_S7_ZZZN2at6native31launch_logcumsumexp_cuda_kernelERKNSE_10TensorBaseESI_lENKUlvE_clEvENKUlvE1_clEvEUlS7_S7_E_S7_EEDaPvRmT3_T4_T5_mT6_P12ihipStream_tbENKUlT_T0_E_clISt17integral_constantIbLb1EESY_IbLb0EEEEDaSU_SV_EUlSU_E0_NS1_11comp_targetILNS1_3genE10ELNS1_11target_archE1201ELNS1_3gpuE5ELNS1_3repE0EEENS1_30default_config_static_selectorELNS0_4arch9wavefront6targetE1EEEvT1_,comdat
	.globl	_ZN7rocprim17ROCPRIM_400000_NS6detail17trampoline_kernelINS0_14default_configENS1_20scan_config_selectorIN3c107complexIdEEEEZZNS1_9scan_implILNS1_25lookback_scan_determinismE0ELb0ELb0ES3_PKS7_PS7_S7_ZZZN2at6native31launch_logcumsumexp_cuda_kernelERKNSE_10TensorBaseESI_lENKUlvE_clEvENKUlvE1_clEvEUlS7_S7_E_S7_EEDaPvRmT3_T4_T5_mT6_P12ihipStream_tbENKUlT_T0_E_clISt17integral_constantIbLb1EESY_IbLb0EEEEDaSU_SV_EUlSU_E0_NS1_11comp_targetILNS1_3genE10ELNS1_11target_archE1201ELNS1_3gpuE5ELNS1_3repE0EEENS1_30default_config_static_selectorELNS0_4arch9wavefront6targetE1EEEvT1_ ; -- Begin function _ZN7rocprim17ROCPRIM_400000_NS6detail17trampoline_kernelINS0_14default_configENS1_20scan_config_selectorIN3c107complexIdEEEEZZNS1_9scan_implILNS1_25lookback_scan_determinismE0ELb0ELb0ES3_PKS7_PS7_S7_ZZZN2at6native31launch_logcumsumexp_cuda_kernelERKNSE_10TensorBaseESI_lENKUlvE_clEvENKUlvE1_clEvEUlS7_S7_E_S7_EEDaPvRmT3_T4_T5_mT6_P12ihipStream_tbENKUlT_T0_E_clISt17integral_constantIbLb1EESY_IbLb0EEEEDaSU_SV_EUlSU_E0_NS1_11comp_targetILNS1_3genE10ELNS1_11target_archE1201ELNS1_3gpuE5ELNS1_3repE0EEENS1_30default_config_static_selectorELNS0_4arch9wavefront6targetE1EEEvT1_
	.p2align	8
	.type	_ZN7rocprim17ROCPRIM_400000_NS6detail17trampoline_kernelINS0_14default_configENS1_20scan_config_selectorIN3c107complexIdEEEEZZNS1_9scan_implILNS1_25lookback_scan_determinismE0ELb0ELb0ES3_PKS7_PS7_S7_ZZZN2at6native31launch_logcumsumexp_cuda_kernelERKNSE_10TensorBaseESI_lENKUlvE_clEvENKUlvE1_clEvEUlS7_S7_E_S7_EEDaPvRmT3_T4_T5_mT6_P12ihipStream_tbENKUlT_T0_E_clISt17integral_constantIbLb1EESY_IbLb0EEEEDaSU_SV_EUlSU_E0_NS1_11comp_targetILNS1_3genE10ELNS1_11target_archE1201ELNS1_3gpuE5ELNS1_3repE0EEENS1_30default_config_static_selectorELNS0_4arch9wavefront6targetE1EEEvT1_,@function
_ZN7rocprim17ROCPRIM_400000_NS6detail17trampoline_kernelINS0_14default_configENS1_20scan_config_selectorIN3c107complexIdEEEEZZNS1_9scan_implILNS1_25lookback_scan_determinismE0ELb0ELb0ES3_PKS7_PS7_S7_ZZZN2at6native31launch_logcumsumexp_cuda_kernelERKNSE_10TensorBaseESI_lENKUlvE_clEvENKUlvE1_clEvEUlS7_S7_E_S7_EEDaPvRmT3_T4_T5_mT6_P12ihipStream_tbENKUlT_T0_E_clISt17integral_constantIbLb1EESY_IbLb0EEEEDaSU_SV_EUlSU_E0_NS1_11comp_targetILNS1_3genE10ELNS1_11target_archE1201ELNS1_3gpuE5ELNS1_3repE0EEENS1_30default_config_static_selectorELNS0_4arch9wavefront6targetE1EEEvT1_: ; @_ZN7rocprim17ROCPRIM_400000_NS6detail17trampoline_kernelINS0_14default_configENS1_20scan_config_selectorIN3c107complexIdEEEEZZNS1_9scan_implILNS1_25lookback_scan_determinismE0ELb0ELb0ES3_PKS7_PS7_S7_ZZZN2at6native31launch_logcumsumexp_cuda_kernelERKNSE_10TensorBaseESI_lENKUlvE_clEvENKUlvE1_clEvEUlS7_S7_E_S7_EEDaPvRmT3_T4_T5_mT6_P12ihipStream_tbENKUlT_T0_E_clISt17integral_constantIbLb1EESY_IbLb0EEEEDaSU_SV_EUlSU_E0_NS1_11comp_targetILNS1_3genE10ELNS1_11target_archE1201ELNS1_3gpuE5ELNS1_3repE0EEENS1_30default_config_static_selectorELNS0_4arch9wavefront6targetE1EEEvT1_
; %bb.0:
	.section	.rodata,"a",@progbits
	.p2align	6, 0x0
	.amdhsa_kernel _ZN7rocprim17ROCPRIM_400000_NS6detail17trampoline_kernelINS0_14default_configENS1_20scan_config_selectorIN3c107complexIdEEEEZZNS1_9scan_implILNS1_25lookback_scan_determinismE0ELb0ELb0ES3_PKS7_PS7_S7_ZZZN2at6native31launch_logcumsumexp_cuda_kernelERKNSE_10TensorBaseESI_lENKUlvE_clEvENKUlvE1_clEvEUlS7_S7_E_S7_EEDaPvRmT3_T4_T5_mT6_P12ihipStream_tbENKUlT_T0_E_clISt17integral_constantIbLb1EESY_IbLb0EEEEDaSU_SV_EUlSU_E0_NS1_11comp_targetILNS1_3genE10ELNS1_11target_archE1201ELNS1_3gpuE5ELNS1_3repE0EEENS1_30default_config_static_selectorELNS0_4arch9wavefront6targetE1EEEvT1_
		.amdhsa_group_segment_fixed_size 0
		.amdhsa_private_segment_fixed_size 0
		.amdhsa_kernarg_size 48
		.amdhsa_user_sgpr_count 6
		.amdhsa_user_sgpr_private_segment_buffer 1
		.amdhsa_user_sgpr_dispatch_ptr 0
		.amdhsa_user_sgpr_queue_ptr 0
		.amdhsa_user_sgpr_kernarg_segment_ptr 1
		.amdhsa_user_sgpr_dispatch_id 0
		.amdhsa_user_sgpr_flat_scratch_init 0
		.amdhsa_user_sgpr_private_segment_size 0
		.amdhsa_uses_dynamic_stack 0
		.amdhsa_system_sgpr_private_segment_wavefront_offset 0
		.amdhsa_system_sgpr_workgroup_id_x 1
		.amdhsa_system_sgpr_workgroup_id_y 0
		.amdhsa_system_sgpr_workgroup_id_z 0
		.amdhsa_system_sgpr_workgroup_info 0
		.amdhsa_system_vgpr_workitem_id 0
		.amdhsa_next_free_vgpr 1
		.amdhsa_next_free_sgpr 0
		.amdhsa_reserve_vcc 0
		.amdhsa_reserve_flat_scratch 0
		.amdhsa_float_round_mode_32 0
		.amdhsa_float_round_mode_16_64 0
		.amdhsa_float_denorm_mode_32 3
		.amdhsa_float_denorm_mode_16_64 3
		.amdhsa_dx10_clamp 1
		.amdhsa_ieee_mode 1
		.amdhsa_fp16_overflow 0
		.amdhsa_exception_fp_ieee_invalid_op 0
		.amdhsa_exception_fp_denorm_src 0
		.amdhsa_exception_fp_ieee_div_zero 0
		.amdhsa_exception_fp_ieee_overflow 0
		.amdhsa_exception_fp_ieee_underflow 0
		.amdhsa_exception_fp_ieee_inexact 0
		.amdhsa_exception_int_div_zero 0
	.end_amdhsa_kernel
	.section	.text._ZN7rocprim17ROCPRIM_400000_NS6detail17trampoline_kernelINS0_14default_configENS1_20scan_config_selectorIN3c107complexIdEEEEZZNS1_9scan_implILNS1_25lookback_scan_determinismE0ELb0ELb0ES3_PKS7_PS7_S7_ZZZN2at6native31launch_logcumsumexp_cuda_kernelERKNSE_10TensorBaseESI_lENKUlvE_clEvENKUlvE1_clEvEUlS7_S7_E_S7_EEDaPvRmT3_T4_T5_mT6_P12ihipStream_tbENKUlT_T0_E_clISt17integral_constantIbLb1EESY_IbLb0EEEEDaSU_SV_EUlSU_E0_NS1_11comp_targetILNS1_3genE10ELNS1_11target_archE1201ELNS1_3gpuE5ELNS1_3repE0EEENS1_30default_config_static_selectorELNS0_4arch9wavefront6targetE1EEEvT1_,"axG",@progbits,_ZN7rocprim17ROCPRIM_400000_NS6detail17trampoline_kernelINS0_14default_configENS1_20scan_config_selectorIN3c107complexIdEEEEZZNS1_9scan_implILNS1_25lookback_scan_determinismE0ELb0ELb0ES3_PKS7_PS7_S7_ZZZN2at6native31launch_logcumsumexp_cuda_kernelERKNSE_10TensorBaseESI_lENKUlvE_clEvENKUlvE1_clEvEUlS7_S7_E_S7_EEDaPvRmT3_T4_T5_mT6_P12ihipStream_tbENKUlT_T0_E_clISt17integral_constantIbLb1EESY_IbLb0EEEEDaSU_SV_EUlSU_E0_NS1_11comp_targetILNS1_3genE10ELNS1_11target_archE1201ELNS1_3gpuE5ELNS1_3repE0EEENS1_30default_config_static_selectorELNS0_4arch9wavefront6targetE1EEEvT1_,comdat
.Lfunc_end236:
	.size	_ZN7rocprim17ROCPRIM_400000_NS6detail17trampoline_kernelINS0_14default_configENS1_20scan_config_selectorIN3c107complexIdEEEEZZNS1_9scan_implILNS1_25lookback_scan_determinismE0ELb0ELb0ES3_PKS7_PS7_S7_ZZZN2at6native31launch_logcumsumexp_cuda_kernelERKNSE_10TensorBaseESI_lENKUlvE_clEvENKUlvE1_clEvEUlS7_S7_E_S7_EEDaPvRmT3_T4_T5_mT6_P12ihipStream_tbENKUlT_T0_E_clISt17integral_constantIbLb1EESY_IbLb0EEEEDaSU_SV_EUlSU_E0_NS1_11comp_targetILNS1_3genE10ELNS1_11target_archE1201ELNS1_3gpuE5ELNS1_3repE0EEENS1_30default_config_static_selectorELNS0_4arch9wavefront6targetE1EEEvT1_, .Lfunc_end236-_ZN7rocprim17ROCPRIM_400000_NS6detail17trampoline_kernelINS0_14default_configENS1_20scan_config_selectorIN3c107complexIdEEEEZZNS1_9scan_implILNS1_25lookback_scan_determinismE0ELb0ELb0ES3_PKS7_PS7_S7_ZZZN2at6native31launch_logcumsumexp_cuda_kernelERKNSE_10TensorBaseESI_lENKUlvE_clEvENKUlvE1_clEvEUlS7_S7_E_S7_EEDaPvRmT3_T4_T5_mT6_P12ihipStream_tbENKUlT_T0_E_clISt17integral_constantIbLb1EESY_IbLb0EEEEDaSU_SV_EUlSU_E0_NS1_11comp_targetILNS1_3genE10ELNS1_11target_archE1201ELNS1_3gpuE5ELNS1_3repE0EEENS1_30default_config_static_selectorELNS0_4arch9wavefront6targetE1EEEvT1_
                                        ; -- End function
	.set _ZN7rocprim17ROCPRIM_400000_NS6detail17trampoline_kernelINS0_14default_configENS1_20scan_config_selectorIN3c107complexIdEEEEZZNS1_9scan_implILNS1_25lookback_scan_determinismE0ELb0ELb0ES3_PKS7_PS7_S7_ZZZN2at6native31launch_logcumsumexp_cuda_kernelERKNSE_10TensorBaseESI_lENKUlvE_clEvENKUlvE1_clEvEUlS7_S7_E_S7_EEDaPvRmT3_T4_T5_mT6_P12ihipStream_tbENKUlT_T0_E_clISt17integral_constantIbLb1EESY_IbLb0EEEEDaSU_SV_EUlSU_E0_NS1_11comp_targetILNS1_3genE10ELNS1_11target_archE1201ELNS1_3gpuE5ELNS1_3repE0EEENS1_30default_config_static_selectorELNS0_4arch9wavefront6targetE1EEEvT1_.num_vgpr, 0
	.set _ZN7rocprim17ROCPRIM_400000_NS6detail17trampoline_kernelINS0_14default_configENS1_20scan_config_selectorIN3c107complexIdEEEEZZNS1_9scan_implILNS1_25lookback_scan_determinismE0ELb0ELb0ES3_PKS7_PS7_S7_ZZZN2at6native31launch_logcumsumexp_cuda_kernelERKNSE_10TensorBaseESI_lENKUlvE_clEvENKUlvE1_clEvEUlS7_S7_E_S7_EEDaPvRmT3_T4_T5_mT6_P12ihipStream_tbENKUlT_T0_E_clISt17integral_constantIbLb1EESY_IbLb0EEEEDaSU_SV_EUlSU_E0_NS1_11comp_targetILNS1_3genE10ELNS1_11target_archE1201ELNS1_3gpuE5ELNS1_3repE0EEENS1_30default_config_static_selectorELNS0_4arch9wavefront6targetE1EEEvT1_.num_agpr, 0
	.set _ZN7rocprim17ROCPRIM_400000_NS6detail17trampoline_kernelINS0_14default_configENS1_20scan_config_selectorIN3c107complexIdEEEEZZNS1_9scan_implILNS1_25lookback_scan_determinismE0ELb0ELb0ES3_PKS7_PS7_S7_ZZZN2at6native31launch_logcumsumexp_cuda_kernelERKNSE_10TensorBaseESI_lENKUlvE_clEvENKUlvE1_clEvEUlS7_S7_E_S7_EEDaPvRmT3_T4_T5_mT6_P12ihipStream_tbENKUlT_T0_E_clISt17integral_constantIbLb1EESY_IbLb0EEEEDaSU_SV_EUlSU_E0_NS1_11comp_targetILNS1_3genE10ELNS1_11target_archE1201ELNS1_3gpuE5ELNS1_3repE0EEENS1_30default_config_static_selectorELNS0_4arch9wavefront6targetE1EEEvT1_.numbered_sgpr, 0
	.set _ZN7rocprim17ROCPRIM_400000_NS6detail17trampoline_kernelINS0_14default_configENS1_20scan_config_selectorIN3c107complexIdEEEEZZNS1_9scan_implILNS1_25lookback_scan_determinismE0ELb0ELb0ES3_PKS7_PS7_S7_ZZZN2at6native31launch_logcumsumexp_cuda_kernelERKNSE_10TensorBaseESI_lENKUlvE_clEvENKUlvE1_clEvEUlS7_S7_E_S7_EEDaPvRmT3_T4_T5_mT6_P12ihipStream_tbENKUlT_T0_E_clISt17integral_constantIbLb1EESY_IbLb0EEEEDaSU_SV_EUlSU_E0_NS1_11comp_targetILNS1_3genE10ELNS1_11target_archE1201ELNS1_3gpuE5ELNS1_3repE0EEENS1_30default_config_static_selectorELNS0_4arch9wavefront6targetE1EEEvT1_.num_named_barrier, 0
	.set _ZN7rocprim17ROCPRIM_400000_NS6detail17trampoline_kernelINS0_14default_configENS1_20scan_config_selectorIN3c107complexIdEEEEZZNS1_9scan_implILNS1_25lookback_scan_determinismE0ELb0ELb0ES3_PKS7_PS7_S7_ZZZN2at6native31launch_logcumsumexp_cuda_kernelERKNSE_10TensorBaseESI_lENKUlvE_clEvENKUlvE1_clEvEUlS7_S7_E_S7_EEDaPvRmT3_T4_T5_mT6_P12ihipStream_tbENKUlT_T0_E_clISt17integral_constantIbLb1EESY_IbLb0EEEEDaSU_SV_EUlSU_E0_NS1_11comp_targetILNS1_3genE10ELNS1_11target_archE1201ELNS1_3gpuE5ELNS1_3repE0EEENS1_30default_config_static_selectorELNS0_4arch9wavefront6targetE1EEEvT1_.private_seg_size, 0
	.set _ZN7rocprim17ROCPRIM_400000_NS6detail17trampoline_kernelINS0_14default_configENS1_20scan_config_selectorIN3c107complexIdEEEEZZNS1_9scan_implILNS1_25lookback_scan_determinismE0ELb0ELb0ES3_PKS7_PS7_S7_ZZZN2at6native31launch_logcumsumexp_cuda_kernelERKNSE_10TensorBaseESI_lENKUlvE_clEvENKUlvE1_clEvEUlS7_S7_E_S7_EEDaPvRmT3_T4_T5_mT6_P12ihipStream_tbENKUlT_T0_E_clISt17integral_constantIbLb1EESY_IbLb0EEEEDaSU_SV_EUlSU_E0_NS1_11comp_targetILNS1_3genE10ELNS1_11target_archE1201ELNS1_3gpuE5ELNS1_3repE0EEENS1_30default_config_static_selectorELNS0_4arch9wavefront6targetE1EEEvT1_.uses_vcc, 0
	.set _ZN7rocprim17ROCPRIM_400000_NS6detail17trampoline_kernelINS0_14default_configENS1_20scan_config_selectorIN3c107complexIdEEEEZZNS1_9scan_implILNS1_25lookback_scan_determinismE0ELb0ELb0ES3_PKS7_PS7_S7_ZZZN2at6native31launch_logcumsumexp_cuda_kernelERKNSE_10TensorBaseESI_lENKUlvE_clEvENKUlvE1_clEvEUlS7_S7_E_S7_EEDaPvRmT3_T4_T5_mT6_P12ihipStream_tbENKUlT_T0_E_clISt17integral_constantIbLb1EESY_IbLb0EEEEDaSU_SV_EUlSU_E0_NS1_11comp_targetILNS1_3genE10ELNS1_11target_archE1201ELNS1_3gpuE5ELNS1_3repE0EEENS1_30default_config_static_selectorELNS0_4arch9wavefront6targetE1EEEvT1_.uses_flat_scratch, 0
	.set _ZN7rocprim17ROCPRIM_400000_NS6detail17trampoline_kernelINS0_14default_configENS1_20scan_config_selectorIN3c107complexIdEEEEZZNS1_9scan_implILNS1_25lookback_scan_determinismE0ELb0ELb0ES3_PKS7_PS7_S7_ZZZN2at6native31launch_logcumsumexp_cuda_kernelERKNSE_10TensorBaseESI_lENKUlvE_clEvENKUlvE1_clEvEUlS7_S7_E_S7_EEDaPvRmT3_T4_T5_mT6_P12ihipStream_tbENKUlT_T0_E_clISt17integral_constantIbLb1EESY_IbLb0EEEEDaSU_SV_EUlSU_E0_NS1_11comp_targetILNS1_3genE10ELNS1_11target_archE1201ELNS1_3gpuE5ELNS1_3repE0EEENS1_30default_config_static_selectorELNS0_4arch9wavefront6targetE1EEEvT1_.has_dyn_sized_stack, 0
	.set _ZN7rocprim17ROCPRIM_400000_NS6detail17trampoline_kernelINS0_14default_configENS1_20scan_config_selectorIN3c107complexIdEEEEZZNS1_9scan_implILNS1_25lookback_scan_determinismE0ELb0ELb0ES3_PKS7_PS7_S7_ZZZN2at6native31launch_logcumsumexp_cuda_kernelERKNSE_10TensorBaseESI_lENKUlvE_clEvENKUlvE1_clEvEUlS7_S7_E_S7_EEDaPvRmT3_T4_T5_mT6_P12ihipStream_tbENKUlT_T0_E_clISt17integral_constantIbLb1EESY_IbLb0EEEEDaSU_SV_EUlSU_E0_NS1_11comp_targetILNS1_3genE10ELNS1_11target_archE1201ELNS1_3gpuE5ELNS1_3repE0EEENS1_30default_config_static_selectorELNS0_4arch9wavefront6targetE1EEEvT1_.has_recursion, 0
	.set _ZN7rocprim17ROCPRIM_400000_NS6detail17trampoline_kernelINS0_14default_configENS1_20scan_config_selectorIN3c107complexIdEEEEZZNS1_9scan_implILNS1_25lookback_scan_determinismE0ELb0ELb0ES3_PKS7_PS7_S7_ZZZN2at6native31launch_logcumsumexp_cuda_kernelERKNSE_10TensorBaseESI_lENKUlvE_clEvENKUlvE1_clEvEUlS7_S7_E_S7_EEDaPvRmT3_T4_T5_mT6_P12ihipStream_tbENKUlT_T0_E_clISt17integral_constantIbLb1EESY_IbLb0EEEEDaSU_SV_EUlSU_E0_NS1_11comp_targetILNS1_3genE10ELNS1_11target_archE1201ELNS1_3gpuE5ELNS1_3repE0EEENS1_30default_config_static_selectorELNS0_4arch9wavefront6targetE1EEEvT1_.has_indirect_call, 0
	.section	.AMDGPU.csdata,"",@progbits
; Kernel info:
; codeLenInByte = 0
; TotalNumSgprs: 4
; NumVgprs: 0
; ScratchSize: 0
; MemoryBound: 0
; FloatMode: 240
; IeeeMode: 1
; LDSByteSize: 0 bytes/workgroup (compile time only)
; SGPRBlocks: 0
; VGPRBlocks: 0
; NumSGPRsForWavesPerEU: 4
; NumVGPRsForWavesPerEU: 1
; Occupancy: 10
; WaveLimiterHint : 0
; COMPUTE_PGM_RSRC2:SCRATCH_EN: 0
; COMPUTE_PGM_RSRC2:USER_SGPR: 6
; COMPUTE_PGM_RSRC2:TRAP_HANDLER: 0
; COMPUTE_PGM_RSRC2:TGID_X_EN: 1
; COMPUTE_PGM_RSRC2:TGID_Y_EN: 0
; COMPUTE_PGM_RSRC2:TGID_Z_EN: 0
; COMPUTE_PGM_RSRC2:TIDIG_COMP_CNT: 0
	.section	.text._ZN7rocprim17ROCPRIM_400000_NS6detail17trampoline_kernelINS0_14default_configENS1_20scan_config_selectorIN3c107complexIdEEEEZZNS1_9scan_implILNS1_25lookback_scan_determinismE0ELb0ELb0ES3_PKS7_PS7_S7_ZZZN2at6native31launch_logcumsumexp_cuda_kernelERKNSE_10TensorBaseESI_lENKUlvE_clEvENKUlvE1_clEvEUlS7_S7_E_S7_EEDaPvRmT3_T4_T5_mT6_P12ihipStream_tbENKUlT_T0_E_clISt17integral_constantIbLb1EESY_IbLb0EEEEDaSU_SV_EUlSU_E0_NS1_11comp_targetILNS1_3genE10ELNS1_11target_archE1200ELNS1_3gpuE4ELNS1_3repE0EEENS1_30default_config_static_selectorELNS0_4arch9wavefront6targetE1EEEvT1_,"axG",@progbits,_ZN7rocprim17ROCPRIM_400000_NS6detail17trampoline_kernelINS0_14default_configENS1_20scan_config_selectorIN3c107complexIdEEEEZZNS1_9scan_implILNS1_25lookback_scan_determinismE0ELb0ELb0ES3_PKS7_PS7_S7_ZZZN2at6native31launch_logcumsumexp_cuda_kernelERKNSE_10TensorBaseESI_lENKUlvE_clEvENKUlvE1_clEvEUlS7_S7_E_S7_EEDaPvRmT3_T4_T5_mT6_P12ihipStream_tbENKUlT_T0_E_clISt17integral_constantIbLb1EESY_IbLb0EEEEDaSU_SV_EUlSU_E0_NS1_11comp_targetILNS1_3genE10ELNS1_11target_archE1200ELNS1_3gpuE4ELNS1_3repE0EEENS1_30default_config_static_selectorELNS0_4arch9wavefront6targetE1EEEvT1_,comdat
	.globl	_ZN7rocprim17ROCPRIM_400000_NS6detail17trampoline_kernelINS0_14default_configENS1_20scan_config_selectorIN3c107complexIdEEEEZZNS1_9scan_implILNS1_25lookback_scan_determinismE0ELb0ELb0ES3_PKS7_PS7_S7_ZZZN2at6native31launch_logcumsumexp_cuda_kernelERKNSE_10TensorBaseESI_lENKUlvE_clEvENKUlvE1_clEvEUlS7_S7_E_S7_EEDaPvRmT3_T4_T5_mT6_P12ihipStream_tbENKUlT_T0_E_clISt17integral_constantIbLb1EESY_IbLb0EEEEDaSU_SV_EUlSU_E0_NS1_11comp_targetILNS1_3genE10ELNS1_11target_archE1200ELNS1_3gpuE4ELNS1_3repE0EEENS1_30default_config_static_selectorELNS0_4arch9wavefront6targetE1EEEvT1_ ; -- Begin function _ZN7rocprim17ROCPRIM_400000_NS6detail17trampoline_kernelINS0_14default_configENS1_20scan_config_selectorIN3c107complexIdEEEEZZNS1_9scan_implILNS1_25lookback_scan_determinismE0ELb0ELb0ES3_PKS7_PS7_S7_ZZZN2at6native31launch_logcumsumexp_cuda_kernelERKNSE_10TensorBaseESI_lENKUlvE_clEvENKUlvE1_clEvEUlS7_S7_E_S7_EEDaPvRmT3_T4_T5_mT6_P12ihipStream_tbENKUlT_T0_E_clISt17integral_constantIbLb1EESY_IbLb0EEEEDaSU_SV_EUlSU_E0_NS1_11comp_targetILNS1_3genE10ELNS1_11target_archE1200ELNS1_3gpuE4ELNS1_3repE0EEENS1_30default_config_static_selectorELNS0_4arch9wavefront6targetE1EEEvT1_
	.p2align	8
	.type	_ZN7rocprim17ROCPRIM_400000_NS6detail17trampoline_kernelINS0_14default_configENS1_20scan_config_selectorIN3c107complexIdEEEEZZNS1_9scan_implILNS1_25lookback_scan_determinismE0ELb0ELb0ES3_PKS7_PS7_S7_ZZZN2at6native31launch_logcumsumexp_cuda_kernelERKNSE_10TensorBaseESI_lENKUlvE_clEvENKUlvE1_clEvEUlS7_S7_E_S7_EEDaPvRmT3_T4_T5_mT6_P12ihipStream_tbENKUlT_T0_E_clISt17integral_constantIbLb1EESY_IbLb0EEEEDaSU_SV_EUlSU_E0_NS1_11comp_targetILNS1_3genE10ELNS1_11target_archE1200ELNS1_3gpuE4ELNS1_3repE0EEENS1_30default_config_static_selectorELNS0_4arch9wavefront6targetE1EEEvT1_,@function
_ZN7rocprim17ROCPRIM_400000_NS6detail17trampoline_kernelINS0_14default_configENS1_20scan_config_selectorIN3c107complexIdEEEEZZNS1_9scan_implILNS1_25lookback_scan_determinismE0ELb0ELb0ES3_PKS7_PS7_S7_ZZZN2at6native31launch_logcumsumexp_cuda_kernelERKNSE_10TensorBaseESI_lENKUlvE_clEvENKUlvE1_clEvEUlS7_S7_E_S7_EEDaPvRmT3_T4_T5_mT6_P12ihipStream_tbENKUlT_T0_E_clISt17integral_constantIbLb1EESY_IbLb0EEEEDaSU_SV_EUlSU_E0_NS1_11comp_targetILNS1_3genE10ELNS1_11target_archE1200ELNS1_3gpuE4ELNS1_3repE0EEENS1_30default_config_static_selectorELNS0_4arch9wavefront6targetE1EEEvT1_: ; @_ZN7rocprim17ROCPRIM_400000_NS6detail17trampoline_kernelINS0_14default_configENS1_20scan_config_selectorIN3c107complexIdEEEEZZNS1_9scan_implILNS1_25lookback_scan_determinismE0ELb0ELb0ES3_PKS7_PS7_S7_ZZZN2at6native31launch_logcumsumexp_cuda_kernelERKNSE_10TensorBaseESI_lENKUlvE_clEvENKUlvE1_clEvEUlS7_S7_E_S7_EEDaPvRmT3_T4_T5_mT6_P12ihipStream_tbENKUlT_T0_E_clISt17integral_constantIbLb1EESY_IbLb0EEEEDaSU_SV_EUlSU_E0_NS1_11comp_targetILNS1_3genE10ELNS1_11target_archE1200ELNS1_3gpuE4ELNS1_3repE0EEENS1_30default_config_static_selectorELNS0_4arch9wavefront6targetE1EEEvT1_
; %bb.0:
	.section	.rodata,"a",@progbits
	.p2align	6, 0x0
	.amdhsa_kernel _ZN7rocprim17ROCPRIM_400000_NS6detail17trampoline_kernelINS0_14default_configENS1_20scan_config_selectorIN3c107complexIdEEEEZZNS1_9scan_implILNS1_25lookback_scan_determinismE0ELb0ELb0ES3_PKS7_PS7_S7_ZZZN2at6native31launch_logcumsumexp_cuda_kernelERKNSE_10TensorBaseESI_lENKUlvE_clEvENKUlvE1_clEvEUlS7_S7_E_S7_EEDaPvRmT3_T4_T5_mT6_P12ihipStream_tbENKUlT_T0_E_clISt17integral_constantIbLb1EESY_IbLb0EEEEDaSU_SV_EUlSU_E0_NS1_11comp_targetILNS1_3genE10ELNS1_11target_archE1200ELNS1_3gpuE4ELNS1_3repE0EEENS1_30default_config_static_selectorELNS0_4arch9wavefront6targetE1EEEvT1_
		.amdhsa_group_segment_fixed_size 0
		.amdhsa_private_segment_fixed_size 0
		.amdhsa_kernarg_size 48
		.amdhsa_user_sgpr_count 6
		.amdhsa_user_sgpr_private_segment_buffer 1
		.amdhsa_user_sgpr_dispatch_ptr 0
		.amdhsa_user_sgpr_queue_ptr 0
		.amdhsa_user_sgpr_kernarg_segment_ptr 1
		.amdhsa_user_sgpr_dispatch_id 0
		.amdhsa_user_sgpr_flat_scratch_init 0
		.amdhsa_user_sgpr_private_segment_size 0
		.amdhsa_uses_dynamic_stack 0
		.amdhsa_system_sgpr_private_segment_wavefront_offset 0
		.amdhsa_system_sgpr_workgroup_id_x 1
		.amdhsa_system_sgpr_workgroup_id_y 0
		.amdhsa_system_sgpr_workgroup_id_z 0
		.amdhsa_system_sgpr_workgroup_info 0
		.amdhsa_system_vgpr_workitem_id 0
		.amdhsa_next_free_vgpr 1
		.amdhsa_next_free_sgpr 0
		.amdhsa_reserve_vcc 0
		.amdhsa_reserve_flat_scratch 0
		.amdhsa_float_round_mode_32 0
		.amdhsa_float_round_mode_16_64 0
		.amdhsa_float_denorm_mode_32 3
		.amdhsa_float_denorm_mode_16_64 3
		.amdhsa_dx10_clamp 1
		.amdhsa_ieee_mode 1
		.amdhsa_fp16_overflow 0
		.amdhsa_exception_fp_ieee_invalid_op 0
		.amdhsa_exception_fp_denorm_src 0
		.amdhsa_exception_fp_ieee_div_zero 0
		.amdhsa_exception_fp_ieee_overflow 0
		.amdhsa_exception_fp_ieee_underflow 0
		.amdhsa_exception_fp_ieee_inexact 0
		.amdhsa_exception_int_div_zero 0
	.end_amdhsa_kernel
	.section	.text._ZN7rocprim17ROCPRIM_400000_NS6detail17trampoline_kernelINS0_14default_configENS1_20scan_config_selectorIN3c107complexIdEEEEZZNS1_9scan_implILNS1_25lookback_scan_determinismE0ELb0ELb0ES3_PKS7_PS7_S7_ZZZN2at6native31launch_logcumsumexp_cuda_kernelERKNSE_10TensorBaseESI_lENKUlvE_clEvENKUlvE1_clEvEUlS7_S7_E_S7_EEDaPvRmT3_T4_T5_mT6_P12ihipStream_tbENKUlT_T0_E_clISt17integral_constantIbLb1EESY_IbLb0EEEEDaSU_SV_EUlSU_E0_NS1_11comp_targetILNS1_3genE10ELNS1_11target_archE1200ELNS1_3gpuE4ELNS1_3repE0EEENS1_30default_config_static_selectorELNS0_4arch9wavefront6targetE1EEEvT1_,"axG",@progbits,_ZN7rocprim17ROCPRIM_400000_NS6detail17trampoline_kernelINS0_14default_configENS1_20scan_config_selectorIN3c107complexIdEEEEZZNS1_9scan_implILNS1_25lookback_scan_determinismE0ELb0ELb0ES3_PKS7_PS7_S7_ZZZN2at6native31launch_logcumsumexp_cuda_kernelERKNSE_10TensorBaseESI_lENKUlvE_clEvENKUlvE1_clEvEUlS7_S7_E_S7_EEDaPvRmT3_T4_T5_mT6_P12ihipStream_tbENKUlT_T0_E_clISt17integral_constantIbLb1EESY_IbLb0EEEEDaSU_SV_EUlSU_E0_NS1_11comp_targetILNS1_3genE10ELNS1_11target_archE1200ELNS1_3gpuE4ELNS1_3repE0EEENS1_30default_config_static_selectorELNS0_4arch9wavefront6targetE1EEEvT1_,comdat
.Lfunc_end237:
	.size	_ZN7rocprim17ROCPRIM_400000_NS6detail17trampoline_kernelINS0_14default_configENS1_20scan_config_selectorIN3c107complexIdEEEEZZNS1_9scan_implILNS1_25lookback_scan_determinismE0ELb0ELb0ES3_PKS7_PS7_S7_ZZZN2at6native31launch_logcumsumexp_cuda_kernelERKNSE_10TensorBaseESI_lENKUlvE_clEvENKUlvE1_clEvEUlS7_S7_E_S7_EEDaPvRmT3_T4_T5_mT6_P12ihipStream_tbENKUlT_T0_E_clISt17integral_constantIbLb1EESY_IbLb0EEEEDaSU_SV_EUlSU_E0_NS1_11comp_targetILNS1_3genE10ELNS1_11target_archE1200ELNS1_3gpuE4ELNS1_3repE0EEENS1_30default_config_static_selectorELNS0_4arch9wavefront6targetE1EEEvT1_, .Lfunc_end237-_ZN7rocprim17ROCPRIM_400000_NS6detail17trampoline_kernelINS0_14default_configENS1_20scan_config_selectorIN3c107complexIdEEEEZZNS1_9scan_implILNS1_25lookback_scan_determinismE0ELb0ELb0ES3_PKS7_PS7_S7_ZZZN2at6native31launch_logcumsumexp_cuda_kernelERKNSE_10TensorBaseESI_lENKUlvE_clEvENKUlvE1_clEvEUlS7_S7_E_S7_EEDaPvRmT3_T4_T5_mT6_P12ihipStream_tbENKUlT_T0_E_clISt17integral_constantIbLb1EESY_IbLb0EEEEDaSU_SV_EUlSU_E0_NS1_11comp_targetILNS1_3genE10ELNS1_11target_archE1200ELNS1_3gpuE4ELNS1_3repE0EEENS1_30default_config_static_selectorELNS0_4arch9wavefront6targetE1EEEvT1_
                                        ; -- End function
	.set _ZN7rocprim17ROCPRIM_400000_NS6detail17trampoline_kernelINS0_14default_configENS1_20scan_config_selectorIN3c107complexIdEEEEZZNS1_9scan_implILNS1_25lookback_scan_determinismE0ELb0ELb0ES3_PKS7_PS7_S7_ZZZN2at6native31launch_logcumsumexp_cuda_kernelERKNSE_10TensorBaseESI_lENKUlvE_clEvENKUlvE1_clEvEUlS7_S7_E_S7_EEDaPvRmT3_T4_T5_mT6_P12ihipStream_tbENKUlT_T0_E_clISt17integral_constantIbLb1EESY_IbLb0EEEEDaSU_SV_EUlSU_E0_NS1_11comp_targetILNS1_3genE10ELNS1_11target_archE1200ELNS1_3gpuE4ELNS1_3repE0EEENS1_30default_config_static_selectorELNS0_4arch9wavefront6targetE1EEEvT1_.num_vgpr, 0
	.set _ZN7rocprim17ROCPRIM_400000_NS6detail17trampoline_kernelINS0_14default_configENS1_20scan_config_selectorIN3c107complexIdEEEEZZNS1_9scan_implILNS1_25lookback_scan_determinismE0ELb0ELb0ES3_PKS7_PS7_S7_ZZZN2at6native31launch_logcumsumexp_cuda_kernelERKNSE_10TensorBaseESI_lENKUlvE_clEvENKUlvE1_clEvEUlS7_S7_E_S7_EEDaPvRmT3_T4_T5_mT6_P12ihipStream_tbENKUlT_T0_E_clISt17integral_constantIbLb1EESY_IbLb0EEEEDaSU_SV_EUlSU_E0_NS1_11comp_targetILNS1_3genE10ELNS1_11target_archE1200ELNS1_3gpuE4ELNS1_3repE0EEENS1_30default_config_static_selectorELNS0_4arch9wavefront6targetE1EEEvT1_.num_agpr, 0
	.set _ZN7rocprim17ROCPRIM_400000_NS6detail17trampoline_kernelINS0_14default_configENS1_20scan_config_selectorIN3c107complexIdEEEEZZNS1_9scan_implILNS1_25lookback_scan_determinismE0ELb0ELb0ES3_PKS7_PS7_S7_ZZZN2at6native31launch_logcumsumexp_cuda_kernelERKNSE_10TensorBaseESI_lENKUlvE_clEvENKUlvE1_clEvEUlS7_S7_E_S7_EEDaPvRmT3_T4_T5_mT6_P12ihipStream_tbENKUlT_T0_E_clISt17integral_constantIbLb1EESY_IbLb0EEEEDaSU_SV_EUlSU_E0_NS1_11comp_targetILNS1_3genE10ELNS1_11target_archE1200ELNS1_3gpuE4ELNS1_3repE0EEENS1_30default_config_static_selectorELNS0_4arch9wavefront6targetE1EEEvT1_.numbered_sgpr, 0
	.set _ZN7rocprim17ROCPRIM_400000_NS6detail17trampoline_kernelINS0_14default_configENS1_20scan_config_selectorIN3c107complexIdEEEEZZNS1_9scan_implILNS1_25lookback_scan_determinismE0ELb0ELb0ES3_PKS7_PS7_S7_ZZZN2at6native31launch_logcumsumexp_cuda_kernelERKNSE_10TensorBaseESI_lENKUlvE_clEvENKUlvE1_clEvEUlS7_S7_E_S7_EEDaPvRmT3_T4_T5_mT6_P12ihipStream_tbENKUlT_T0_E_clISt17integral_constantIbLb1EESY_IbLb0EEEEDaSU_SV_EUlSU_E0_NS1_11comp_targetILNS1_3genE10ELNS1_11target_archE1200ELNS1_3gpuE4ELNS1_3repE0EEENS1_30default_config_static_selectorELNS0_4arch9wavefront6targetE1EEEvT1_.num_named_barrier, 0
	.set _ZN7rocprim17ROCPRIM_400000_NS6detail17trampoline_kernelINS0_14default_configENS1_20scan_config_selectorIN3c107complexIdEEEEZZNS1_9scan_implILNS1_25lookback_scan_determinismE0ELb0ELb0ES3_PKS7_PS7_S7_ZZZN2at6native31launch_logcumsumexp_cuda_kernelERKNSE_10TensorBaseESI_lENKUlvE_clEvENKUlvE1_clEvEUlS7_S7_E_S7_EEDaPvRmT3_T4_T5_mT6_P12ihipStream_tbENKUlT_T0_E_clISt17integral_constantIbLb1EESY_IbLb0EEEEDaSU_SV_EUlSU_E0_NS1_11comp_targetILNS1_3genE10ELNS1_11target_archE1200ELNS1_3gpuE4ELNS1_3repE0EEENS1_30default_config_static_selectorELNS0_4arch9wavefront6targetE1EEEvT1_.private_seg_size, 0
	.set _ZN7rocprim17ROCPRIM_400000_NS6detail17trampoline_kernelINS0_14default_configENS1_20scan_config_selectorIN3c107complexIdEEEEZZNS1_9scan_implILNS1_25lookback_scan_determinismE0ELb0ELb0ES3_PKS7_PS7_S7_ZZZN2at6native31launch_logcumsumexp_cuda_kernelERKNSE_10TensorBaseESI_lENKUlvE_clEvENKUlvE1_clEvEUlS7_S7_E_S7_EEDaPvRmT3_T4_T5_mT6_P12ihipStream_tbENKUlT_T0_E_clISt17integral_constantIbLb1EESY_IbLb0EEEEDaSU_SV_EUlSU_E0_NS1_11comp_targetILNS1_3genE10ELNS1_11target_archE1200ELNS1_3gpuE4ELNS1_3repE0EEENS1_30default_config_static_selectorELNS0_4arch9wavefront6targetE1EEEvT1_.uses_vcc, 0
	.set _ZN7rocprim17ROCPRIM_400000_NS6detail17trampoline_kernelINS0_14default_configENS1_20scan_config_selectorIN3c107complexIdEEEEZZNS1_9scan_implILNS1_25lookback_scan_determinismE0ELb0ELb0ES3_PKS7_PS7_S7_ZZZN2at6native31launch_logcumsumexp_cuda_kernelERKNSE_10TensorBaseESI_lENKUlvE_clEvENKUlvE1_clEvEUlS7_S7_E_S7_EEDaPvRmT3_T4_T5_mT6_P12ihipStream_tbENKUlT_T0_E_clISt17integral_constantIbLb1EESY_IbLb0EEEEDaSU_SV_EUlSU_E0_NS1_11comp_targetILNS1_3genE10ELNS1_11target_archE1200ELNS1_3gpuE4ELNS1_3repE0EEENS1_30default_config_static_selectorELNS0_4arch9wavefront6targetE1EEEvT1_.uses_flat_scratch, 0
	.set _ZN7rocprim17ROCPRIM_400000_NS6detail17trampoline_kernelINS0_14default_configENS1_20scan_config_selectorIN3c107complexIdEEEEZZNS1_9scan_implILNS1_25lookback_scan_determinismE0ELb0ELb0ES3_PKS7_PS7_S7_ZZZN2at6native31launch_logcumsumexp_cuda_kernelERKNSE_10TensorBaseESI_lENKUlvE_clEvENKUlvE1_clEvEUlS7_S7_E_S7_EEDaPvRmT3_T4_T5_mT6_P12ihipStream_tbENKUlT_T0_E_clISt17integral_constantIbLb1EESY_IbLb0EEEEDaSU_SV_EUlSU_E0_NS1_11comp_targetILNS1_3genE10ELNS1_11target_archE1200ELNS1_3gpuE4ELNS1_3repE0EEENS1_30default_config_static_selectorELNS0_4arch9wavefront6targetE1EEEvT1_.has_dyn_sized_stack, 0
	.set _ZN7rocprim17ROCPRIM_400000_NS6detail17trampoline_kernelINS0_14default_configENS1_20scan_config_selectorIN3c107complexIdEEEEZZNS1_9scan_implILNS1_25lookback_scan_determinismE0ELb0ELb0ES3_PKS7_PS7_S7_ZZZN2at6native31launch_logcumsumexp_cuda_kernelERKNSE_10TensorBaseESI_lENKUlvE_clEvENKUlvE1_clEvEUlS7_S7_E_S7_EEDaPvRmT3_T4_T5_mT6_P12ihipStream_tbENKUlT_T0_E_clISt17integral_constantIbLb1EESY_IbLb0EEEEDaSU_SV_EUlSU_E0_NS1_11comp_targetILNS1_3genE10ELNS1_11target_archE1200ELNS1_3gpuE4ELNS1_3repE0EEENS1_30default_config_static_selectorELNS0_4arch9wavefront6targetE1EEEvT1_.has_recursion, 0
	.set _ZN7rocprim17ROCPRIM_400000_NS6detail17trampoline_kernelINS0_14default_configENS1_20scan_config_selectorIN3c107complexIdEEEEZZNS1_9scan_implILNS1_25lookback_scan_determinismE0ELb0ELb0ES3_PKS7_PS7_S7_ZZZN2at6native31launch_logcumsumexp_cuda_kernelERKNSE_10TensorBaseESI_lENKUlvE_clEvENKUlvE1_clEvEUlS7_S7_E_S7_EEDaPvRmT3_T4_T5_mT6_P12ihipStream_tbENKUlT_T0_E_clISt17integral_constantIbLb1EESY_IbLb0EEEEDaSU_SV_EUlSU_E0_NS1_11comp_targetILNS1_3genE10ELNS1_11target_archE1200ELNS1_3gpuE4ELNS1_3repE0EEENS1_30default_config_static_selectorELNS0_4arch9wavefront6targetE1EEEvT1_.has_indirect_call, 0
	.section	.AMDGPU.csdata,"",@progbits
; Kernel info:
; codeLenInByte = 0
; TotalNumSgprs: 4
; NumVgprs: 0
; ScratchSize: 0
; MemoryBound: 0
; FloatMode: 240
; IeeeMode: 1
; LDSByteSize: 0 bytes/workgroup (compile time only)
; SGPRBlocks: 0
; VGPRBlocks: 0
; NumSGPRsForWavesPerEU: 4
; NumVGPRsForWavesPerEU: 1
; Occupancy: 10
; WaveLimiterHint : 0
; COMPUTE_PGM_RSRC2:SCRATCH_EN: 0
; COMPUTE_PGM_RSRC2:USER_SGPR: 6
; COMPUTE_PGM_RSRC2:TRAP_HANDLER: 0
; COMPUTE_PGM_RSRC2:TGID_X_EN: 1
; COMPUTE_PGM_RSRC2:TGID_Y_EN: 0
; COMPUTE_PGM_RSRC2:TGID_Z_EN: 0
; COMPUTE_PGM_RSRC2:TIDIG_COMP_CNT: 0
	.section	.text._ZN7rocprim17ROCPRIM_400000_NS6detail17trampoline_kernelINS0_14default_configENS1_20scan_config_selectorIN3c107complexIdEEEEZZNS1_9scan_implILNS1_25lookback_scan_determinismE0ELb0ELb0ES3_PKS7_PS7_S7_ZZZN2at6native31launch_logcumsumexp_cuda_kernelERKNSE_10TensorBaseESI_lENKUlvE_clEvENKUlvE1_clEvEUlS7_S7_E_S7_EEDaPvRmT3_T4_T5_mT6_P12ihipStream_tbENKUlT_T0_E_clISt17integral_constantIbLb1EESY_IbLb0EEEEDaSU_SV_EUlSU_E0_NS1_11comp_targetILNS1_3genE9ELNS1_11target_archE1100ELNS1_3gpuE3ELNS1_3repE0EEENS1_30default_config_static_selectorELNS0_4arch9wavefront6targetE1EEEvT1_,"axG",@progbits,_ZN7rocprim17ROCPRIM_400000_NS6detail17trampoline_kernelINS0_14default_configENS1_20scan_config_selectorIN3c107complexIdEEEEZZNS1_9scan_implILNS1_25lookback_scan_determinismE0ELb0ELb0ES3_PKS7_PS7_S7_ZZZN2at6native31launch_logcumsumexp_cuda_kernelERKNSE_10TensorBaseESI_lENKUlvE_clEvENKUlvE1_clEvEUlS7_S7_E_S7_EEDaPvRmT3_T4_T5_mT6_P12ihipStream_tbENKUlT_T0_E_clISt17integral_constantIbLb1EESY_IbLb0EEEEDaSU_SV_EUlSU_E0_NS1_11comp_targetILNS1_3genE9ELNS1_11target_archE1100ELNS1_3gpuE3ELNS1_3repE0EEENS1_30default_config_static_selectorELNS0_4arch9wavefront6targetE1EEEvT1_,comdat
	.globl	_ZN7rocprim17ROCPRIM_400000_NS6detail17trampoline_kernelINS0_14default_configENS1_20scan_config_selectorIN3c107complexIdEEEEZZNS1_9scan_implILNS1_25lookback_scan_determinismE0ELb0ELb0ES3_PKS7_PS7_S7_ZZZN2at6native31launch_logcumsumexp_cuda_kernelERKNSE_10TensorBaseESI_lENKUlvE_clEvENKUlvE1_clEvEUlS7_S7_E_S7_EEDaPvRmT3_T4_T5_mT6_P12ihipStream_tbENKUlT_T0_E_clISt17integral_constantIbLb1EESY_IbLb0EEEEDaSU_SV_EUlSU_E0_NS1_11comp_targetILNS1_3genE9ELNS1_11target_archE1100ELNS1_3gpuE3ELNS1_3repE0EEENS1_30default_config_static_selectorELNS0_4arch9wavefront6targetE1EEEvT1_ ; -- Begin function _ZN7rocprim17ROCPRIM_400000_NS6detail17trampoline_kernelINS0_14default_configENS1_20scan_config_selectorIN3c107complexIdEEEEZZNS1_9scan_implILNS1_25lookback_scan_determinismE0ELb0ELb0ES3_PKS7_PS7_S7_ZZZN2at6native31launch_logcumsumexp_cuda_kernelERKNSE_10TensorBaseESI_lENKUlvE_clEvENKUlvE1_clEvEUlS7_S7_E_S7_EEDaPvRmT3_T4_T5_mT6_P12ihipStream_tbENKUlT_T0_E_clISt17integral_constantIbLb1EESY_IbLb0EEEEDaSU_SV_EUlSU_E0_NS1_11comp_targetILNS1_3genE9ELNS1_11target_archE1100ELNS1_3gpuE3ELNS1_3repE0EEENS1_30default_config_static_selectorELNS0_4arch9wavefront6targetE1EEEvT1_
	.p2align	8
	.type	_ZN7rocprim17ROCPRIM_400000_NS6detail17trampoline_kernelINS0_14default_configENS1_20scan_config_selectorIN3c107complexIdEEEEZZNS1_9scan_implILNS1_25lookback_scan_determinismE0ELb0ELb0ES3_PKS7_PS7_S7_ZZZN2at6native31launch_logcumsumexp_cuda_kernelERKNSE_10TensorBaseESI_lENKUlvE_clEvENKUlvE1_clEvEUlS7_S7_E_S7_EEDaPvRmT3_T4_T5_mT6_P12ihipStream_tbENKUlT_T0_E_clISt17integral_constantIbLb1EESY_IbLb0EEEEDaSU_SV_EUlSU_E0_NS1_11comp_targetILNS1_3genE9ELNS1_11target_archE1100ELNS1_3gpuE3ELNS1_3repE0EEENS1_30default_config_static_selectorELNS0_4arch9wavefront6targetE1EEEvT1_,@function
_ZN7rocprim17ROCPRIM_400000_NS6detail17trampoline_kernelINS0_14default_configENS1_20scan_config_selectorIN3c107complexIdEEEEZZNS1_9scan_implILNS1_25lookback_scan_determinismE0ELb0ELb0ES3_PKS7_PS7_S7_ZZZN2at6native31launch_logcumsumexp_cuda_kernelERKNSE_10TensorBaseESI_lENKUlvE_clEvENKUlvE1_clEvEUlS7_S7_E_S7_EEDaPvRmT3_T4_T5_mT6_P12ihipStream_tbENKUlT_T0_E_clISt17integral_constantIbLb1EESY_IbLb0EEEEDaSU_SV_EUlSU_E0_NS1_11comp_targetILNS1_3genE9ELNS1_11target_archE1100ELNS1_3gpuE3ELNS1_3repE0EEENS1_30default_config_static_selectorELNS0_4arch9wavefront6targetE1EEEvT1_: ; @_ZN7rocprim17ROCPRIM_400000_NS6detail17trampoline_kernelINS0_14default_configENS1_20scan_config_selectorIN3c107complexIdEEEEZZNS1_9scan_implILNS1_25lookback_scan_determinismE0ELb0ELb0ES3_PKS7_PS7_S7_ZZZN2at6native31launch_logcumsumexp_cuda_kernelERKNSE_10TensorBaseESI_lENKUlvE_clEvENKUlvE1_clEvEUlS7_S7_E_S7_EEDaPvRmT3_T4_T5_mT6_P12ihipStream_tbENKUlT_T0_E_clISt17integral_constantIbLb1EESY_IbLb0EEEEDaSU_SV_EUlSU_E0_NS1_11comp_targetILNS1_3genE9ELNS1_11target_archE1100ELNS1_3gpuE3ELNS1_3repE0EEENS1_30default_config_static_selectorELNS0_4arch9wavefront6targetE1EEEvT1_
; %bb.0:
	.section	.rodata,"a",@progbits
	.p2align	6, 0x0
	.amdhsa_kernel _ZN7rocprim17ROCPRIM_400000_NS6detail17trampoline_kernelINS0_14default_configENS1_20scan_config_selectorIN3c107complexIdEEEEZZNS1_9scan_implILNS1_25lookback_scan_determinismE0ELb0ELb0ES3_PKS7_PS7_S7_ZZZN2at6native31launch_logcumsumexp_cuda_kernelERKNSE_10TensorBaseESI_lENKUlvE_clEvENKUlvE1_clEvEUlS7_S7_E_S7_EEDaPvRmT3_T4_T5_mT6_P12ihipStream_tbENKUlT_T0_E_clISt17integral_constantIbLb1EESY_IbLb0EEEEDaSU_SV_EUlSU_E0_NS1_11comp_targetILNS1_3genE9ELNS1_11target_archE1100ELNS1_3gpuE3ELNS1_3repE0EEENS1_30default_config_static_selectorELNS0_4arch9wavefront6targetE1EEEvT1_
		.amdhsa_group_segment_fixed_size 0
		.amdhsa_private_segment_fixed_size 0
		.amdhsa_kernarg_size 48
		.amdhsa_user_sgpr_count 6
		.amdhsa_user_sgpr_private_segment_buffer 1
		.amdhsa_user_sgpr_dispatch_ptr 0
		.amdhsa_user_sgpr_queue_ptr 0
		.amdhsa_user_sgpr_kernarg_segment_ptr 1
		.amdhsa_user_sgpr_dispatch_id 0
		.amdhsa_user_sgpr_flat_scratch_init 0
		.amdhsa_user_sgpr_private_segment_size 0
		.amdhsa_uses_dynamic_stack 0
		.amdhsa_system_sgpr_private_segment_wavefront_offset 0
		.amdhsa_system_sgpr_workgroup_id_x 1
		.amdhsa_system_sgpr_workgroup_id_y 0
		.amdhsa_system_sgpr_workgroup_id_z 0
		.amdhsa_system_sgpr_workgroup_info 0
		.amdhsa_system_vgpr_workitem_id 0
		.amdhsa_next_free_vgpr 1
		.amdhsa_next_free_sgpr 0
		.amdhsa_reserve_vcc 0
		.amdhsa_reserve_flat_scratch 0
		.amdhsa_float_round_mode_32 0
		.amdhsa_float_round_mode_16_64 0
		.amdhsa_float_denorm_mode_32 3
		.amdhsa_float_denorm_mode_16_64 3
		.amdhsa_dx10_clamp 1
		.amdhsa_ieee_mode 1
		.amdhsa_fp16_overflow 0
		.amdhsa_exception_fp_ieee_invalid_op 0
		.amdhsa_exception_fp_denorm_src 0
		.amdhsa_exception_fp_ieee_div_zero 0
		.amdhsa_exception_fp_ieee_overflow 0
		.amdhsa_exception_fp_ieee_underflow 0
		.amdhsa_exception_fp_ieee_inexact 0
		.amdhsa_exception_int_div_zero 0
	.end_amdhsa_kernel
	.section	.text._ZN7rocprim17ROCPRIM_400000_NS6detail17trampoline_kernelINS0_14default_configENS1_20scan_config_selectorIN3c107complexIdEEEEZZNS1_9scan_implILNS1_25lookback_scan_determinismE0ELb0ELb0ES3_PKS7_PS7_S7_ZZZN2at6native31launch_logcumsumexp_cuda_kernelERKNSE_10TensorBaseESI_lENKUlvE_clEvENKUlvE1_clEvEUlS7_S7_E_S7_EEDaPvRmT3_T4_T5_mT6_P12ihipStream_tbENKUlT_T0_E_clISt17integral_constantIbLb1EESY_IbLb0EEEEDaSU_SV_EUlSU_E0_NS1_11comp_targetILNS1_3genE9ELNS1_11target_archE1100ELNS1_3gpuE3ELNS1_3repE0EEENS1_30default_config_static_selectorELNS0_4arch9wavefront6targetE1EEEvT1_,"axG",@progbits,_ZN7rocprim17ROCPRIM_400000_NS6detail17trampoline_kernelINS0_14default_configENS1_20scan_config_selectorIN3c107complexIdEEEEZZNS1_9scan_implILNS1_25lookback_scan_determinismE0ELb0ELb0ES3_PKS7_PS7_S7_ZZZN2at6native31launch_logcumsumexp_cuda_kernelERKNSE_10TensorBaseESI_lENKUlvE_clEvENKUlvE1_clEvEUlS7_S7_E_S7_EEDaPvRmT3_T4_T5_mT6_P12ihipStream_tbENKUlT_T0_E_clISt17integral_constantIbLb1EESY_IbLb0EEEEDaSU_SV_EUlSU_E0_NS1_11comp_targetILNS1_3genE9ELNS1_11target_archE1100ELNS1_3gpuE3ELNS1_3repE0EEENS1_30default_config_static_selectorELNS0_4arch9wavefront6targetE1EEEvT1_,comdat
.Lfunc_end238:
	.size	_ZN7rocprim17ROCPRIM_400000_NS6detail17trampoline_kernelINS0_14default_configENS1_20scan_config_selectorIN3c107complexIdEEEEZZNS1_9scan_implILNS1_25lookback_scan_determinismE0ELb0ELb0ES3_PKS7_PS7_S7_ZZZN2at6native31launch_logcumsumexp_cuda_kernelERKNSE_10TensorBaseESI_lENKUlvE_clEvENKUlvE1_clEvEUlS7_S7_E_S7_EEDaPvRmT3_T4_T5_mT6_P12ihipStream_tbENKUlT_T0_E_clISt17integral_constantIbLb1EESY_IbLb0EEEEDaSU_SV_EUlSU_E0_NS1_11comp_targetILNS1_3genE9ELNS1_11target_archE1100ELNS1_3gpuE3ELNS1_3repE0EEENS1_30default_config_static_selectorELNS0_4arch9wavefront6targetE1EEEvT1_, .Lfunc_end238-_ZN7rocprim17ROCPRIM_400000_NS6detail17trampoline_kernelINS0_14default_configENS1_20scan_config_selectorIN3c107complexIdEEEEZZNS1_9scan_implILNS1_25lookback_scan_determinismE0ELb0ELb0ES3_PKS7_PS7_S7_ZZZN2at6native31launch_logcumsumexp_cuda_kernelERKNSE_10TensorBaseESI_lENKUlvE_clEvENKUlvE1_clEvEUlS7_S7_E_S7_EEDaPvRmT3_T4_T5_mT6_P12ihipStream_tbENKUlT_T0_E_clISt17integral_constantIbLb1EESY_IbLb0EEEEDaSU_SV_EUlSU_E0_NS1_11comp_targetILNS1_3genE9ELNS1_11target_archE1100ELNS1_3gpuE3ELNS1_3repE0EEENS1_30default_config_static_selectorELNS0_4arch9wavefront6targetE1EEEvT1_
                                        ; -- End function
	.set _ZN7rocprim17ROCPRIM_400000_NS6detail17trampoline_kernelINS0_14default_configENS1_20scan_config_selectorIN3c107complexIdEEEEZZNS1_9scan_implILNS1_25lookback_scan_determinismE0ELb0ELb0ES3_PKS7_PS7_S7_ZZZN2at6native31launch_logcumsumexp_cuda_kernelERKNSE_10TensorBaseESI_lENKUlvE_clEvENKUlvE1_clEvEUlS7_S7_E_S7_EEDaPvRmT3_T4_T5_mT6_P12ihipStream_tbENKUlT_T0_E_clISt17integral_constantIbLb1EESY_IbLb0EEEEDaSU_SV_EUlSU_E0_NS1_11comp_targetILNS1_3genE9ELNS1_11target_archE1100ELNS1_3gpuE3ELNS1_3repE0EEENS1_30default_config_static_selectorELNS0_4arch9wavefront6targetE1EEEvT1_.num_vgpr, 0
	.set _ZN7rocprim17ROCPRIM_400000_NS6detail17trampoline_kernelINS0_14default_configENS1_20scan_config_selectorIN3c107complexIdEEEEZZNS1_9scan_implILNS1_25lookback_scan_determinismE0ELb0ELb0ES3_PKS7_PS7_S7_ZZZN2at6native31launch_logcumsumexp_cuda_kernelERKNSE_10TensorBaseESI_lENKUlvE_clEvENKUlvE1_clEvEUlS7_S7_E_S7_EEDaPvRmT3_T4_T5_mT6_P12ihipStream_tbENKUlT_T0_E_clISt17integral_constantIbLb1EESY_IbLb0EEEEDaSU_SV_EUlSU_E0_NS1_11comp_targetILNS1_3genE9ELNS1_11target_archE1100ELNS1_3gpuE3ELNS1_3repE0EEENS1_30default_config_static_selectorELNS0_4arch9wavefront6targetE1EEEvT1_.num_agpr, 0
	.set _ZN7rocprim17ROCPRIM_400000_NS6detail17trampoline_kernelINS0_14default_configENS1_20scan_config_selectorIN3c107complexIdEEEEZZNS1_9scan_implILNS1_25lookback_scan_determinismE0ELb0ELb0ES3_PKS7_PS7_S7_ZZZN2at6native31launch_logcumsumexp_cuda_kernelERKNSE_10TensorBaseESI_lENKUlvE_clEvENKUlvE1_clEvEUlS7_S7_E_S7_EEDaPvRmT3_T4_T5_mT6_P12ihipStream_tbENKUlT_T0_E_clISt17integral_constantIbLb1EESY_IbLb0EEEEDaSU_SV_EUlSU_E0_NS1_11comp_targetILNS1_3genE9ELNS1_11target_archE1100ELNS1_3gpuE3ELNS1_3repE0EEENS1_30default_config_static_selectorELNS0_4arch9wavefront6targetE1EEEvT1_.numbered_sgpr, 0
	.set _ZN7rocprim17ROCPRIM_400000_NS6detail17trampoline_kernelINS0_14default_configENS1_20scan_config_selectorIN3c107complexIdEEEEZZNS1_9scan_implILNS1_25lookback_scan_determinismE0ELb0ELb0ES3_PKS7_PS7_S7_ZZZN2at6native31launch_logcumsumexp_cuda_kernelERKNSE_10TensorBaseESI_lENKUlvE_clEvENKUlvE1_clEvEUlS7_S7_E_S7_EEDaPvRmT3_T4_T5_mT6_P12ihipStream_tbENKUlT_T0_E_clISt17integral_constantIbLb1EESY_IbLb0EEEEDaSU_SV_EUlSU_E0_NS1_11comp_targetILNS1_3genE9ELNS1_11target_archE1100ELNS1_3gpuE3ELNS1_3repE0EEENS1_30default_config_static_selectorELNS0_4arch9wavefront6targetE1EEEvT1_.num_named_barrier, 0
	.set _ZN7rocprim17ROCPRIM_400000_NS6detail17trampoline_kernelINS0_14default_configENS1_20scan_config_selectorIN3c107complexIdEEEEZZNS1_9scan_implILNS1_25lookback_scan_determinismE0ELb0ELb0ES3_PKS7_PS7_S7_ZZZN2at6native31launch_logcumsumexp_cuda_kernelERKNSE_10TensorBaseESI_lENKUlvE_clEvENKUlvE1_clEvEUlS7_S7_E_S7_EEDaPvRmT3_T4_T5_mT6_P12ihipStream_tbENKUlT_T0_E_clISt17integral_constantIbLb1EESY_IbLb0EEEEDaSU_SV_EUlSU_E0_NS1_11comp_targetILNS1_3genE9ELNS1_11target_archE1100ELNS1_3gpuE3ELNS1_3repE0EEENS1_30default_config_static_selectorELNS0_4arch9wavefront6targetE1EEEvT1_.private_seg_size, 0
	.set _ZN7rocprim17ROCPRIM_400000_NS6detail17trampoline_kernelINS0_14default_configENS1_20scan_config_selectorIN3c107complexIdEEEEZZNS1_9scan_implILNS1_25lookback_scan_determinismE0ELb0ELb0ES3_PKS7_PS7_S7_ZZZN2at6native31launch_logcumsumexp_cuda_kernelERKNSE_10TensorBaseESI_lENKUlvE_clEvENKUlvE1_clEvEUlS7_S7_E_S7_EEDaPvRmT3_T4_T5_mT6_P12ihipStream_tbENKUlT_T0_E_clISt17integral_constantIbLb1EESY_IbLb0EEEEDaSU_SV_EUlSU_E0_NS1_11comp_targetILNS1_3genE9ELNS1_11target_archE1100ELNS1_3gpuE3ELNS1_3repE0EEENS1_30default_config_static_selectorELNS0_4arch9wavefront6targetE1EEEvT1_.uses_vcc, 0
	.set _ZN7rocprim17ROCPRIM_400000_NS6detail17trampoline_kernelINS0_14default_configENS1_20scan_config_selectorIN3c107complexIdEEEEZZNS1_9scan_implILNS1_25lookback_scan_determinismE0ELb0ELb0ES3_PKS7_PS7_S7_ZZZN2at6native31launch_logcumsumexp_cuda_kernelERKNSE_10TensorBaseESI_lENKUlvE_clEvENKUlvE1_clEvEUlS7_S7_E_S7_EEDaPvRmT3_T4_T5_mT6_P12ihipStream_tbENKUlT_T0_E_clISt17integral_constantIbLb1EESY_IbLb0EEEEDaSU_SV_EUlSU_E0_NS1_11comp_targetILNS1_3genE9ELNS1_11target_archE1100ELNS1_3gpuE3ELNS1_3repE0EEENS1_30default_config_static_selectorELNS0_4arch9wavefront6targetE1EEEvT1_.uses_flat_scratch, 0
	.set _ZN7rocprim17ROCPRIM_400000_NS6detail17trampoline_kernelINS0_14default_configENS1_20scan_config_selectorIN3c107complexIdEEEEZZNS1_9scan_implILNS1_25lookback_scan_determinismE0ELb0ELb0ES3_PKS7_PS7_S7_ZZZN2at6native31launch_logcumsumexp_cuda_kernelERKNSE_10TensorBaseESI_lENKUlvE_clEvENKUlvE1_clEvEUlS7_S7_E_S7_EEDaPvRmT3_T4_T5_mT6_P12ihipStream_tbENKUlT_T0_E_clISt17integral_constantIbLb1EESY_IbLb0EEEEDaSU_SV_EUlSU_E0_NS1_11comp_targetILNS1_3genE9ELNS1_11target_archE1100ELNS1_3gpuE3ELNS1_3repE0EEENS1_30default_config_static_selectorELNS0_4arch9wavefront6targetE1EEEvT1_.has_dyn_sized_stack, 0
	.set _ZN7rocprim17ROCPRIM_400000_NS6detail17trampoline_kernelINS0_14default_configENS1_20scan_config_selectorIN3c107complexIdEEEEZZNS1_9scan_implILNS1_25lookback_scan_determinismE0ELb0ELb0ES3_PKS7_PS7_S7_ZZZN2at6native31launch_logcumsumexp_cuda_kernelERKNSE_10TensorBaseESI_lENKUlvE_clEvENKUlvE1_clEvEUlS7_S7_E_S7_EEDaPvRmT3_T4_T5_mT6_P12ihipStream_tbENKUlT_T0_E_clISt17integral_constantIbLb1EESY_IbLb0EEEEDaSU_SV_EUlSU_E0_NS1_11comp_targetILNS1_3genE9ELNS1_11target_archE1100ELNS1_3gpuE3ELNS1_3repE0EEENS1_30default_config_static_selectorELNS0_4arch9wavefront6targetE1EEEvT1_.has_recursion, 0
	.set _ZN7rocprim17ROCPRIM_400000_NS6detail17trampoline_kernelINS0_14default_configENS1_20scan_config_selectorIN3c107complexIdEEEEZZNS1_9scan_implILNS1_25lookback_scan_determinismE0ELb0ELb0ES3_PKS7_PS7_S7_ZZZN2at6native31launch_logcumsumexp_cuda_kernelERKNSE_10TensorBaseESI_lENKUlvE_clEvENKUlvE1_clEvEUlS7_S7_E_S7_EEDaPvRmT3_T4_T5_mT6_P12ihipStream_tbENKUlT_T0_E_clISt17integral_constantIbLb1EESY_IbLb0EEEEDaSU_SV_EUlSU_E0_NS1_11comp_targetILNS1_3genE9ELNS1_11target_archE1100ELNS1_3gpuE3ELNS1_3repE0EEENS1_30default_config_static_selectorELNS0_4arch9wavefront6targetE1EEEvT1_.has_indirect_call, 0
	.section	.AMDGPU.csdata,"",@progbits
; Kernel info:
; codeLenInByte = 0
; TotalNumSgprs: 4
; NumVgprs: 0
; ScratchSize: 0
; MemoryBound: 0
; FloatMode: 240
; IeeeMode: 1
; LDSByteSize: 0 bytes/workgroup (compile time only)
; SGPRBlocks: 0
; VGPRBlocks: 0
; NumSGPRsForWavesPerEU: 4
; NumVGPRsForWavesPerEU: 1
; Occupancy: 10
; WaveLimiterHint : 0
; COMPUTE_PGM_RSRC2:SCRATCH_EN: 0
; COMPUTE_PGM_RSRC2:USER_SGPR: 6
; COMPUTE_PGM_RSRC2:TRAP_HANDLER: 0
; COMPUTE_PGM_RSRC2:TGID_X_EN: 1
; COMPUTE_PGM_RSRC2:TGID_Y_EN: 0
; COMPUTE_PGM_RSRC2:TGID_Z_EN: 0
; COMPUTE_PGM_RSRC2:TIDIG_COMP_CNT: 0
	.section	.text._ZN7rocprim17ROCPRIM_400000_NS6detail17trampoline_kernelINS0_14default_configENS1_20scan_config_selectorIN3c107complexIdEEEEZZNS1_9scan_implILNS1_25lookback_scan_determinismE0ELb0ELb0ES3_PKS7_PS7_S7_ZZZN2at6native31launch_logcumsumexp_cuda_kernelERKNSE_10TensorBaseESI_lENKUlvE_clEvENKUlvE1_clEvEUlS7_S7_E_S7_EEDaPvRmT3_T4_T5_mT6_P12ihipStream_tbENKUlT_T0_E_clISt17integral_constantIbLb1EESY_IbLb0EEEEDaSU_SV_EUlSU_E0_NS1_11comp_targetILNS1_3genE8ELNS1_11target_archE1030ELNS1_3gpuE2ELNS1_3repE0EEENS1_30default_config_static_selectorELNS0_4arch9wavefront6targetE1EEEvT1_,"axG",@progbits,_ZN7rocprim17ROCPRIM_400000_NS6detail17trampoline_kernelINS0_14default_configENS1_20scan_config_selectorIN3c107complexIdEEEEZZNS1_9scan_implILNS1_25lookback_scan_determinismE0ELb0ELb0ES3_PKS7_PS7_S7_ZZZN2at6native31launch_logcumsumexp_cuda_kernelERKNSE_10TensorBaseESI_lENKUlvE_clEvENKUlvE1_clEvEUlS7_S7_E_S7_EEDaPvRmT3_T4_T5_mT6_P12ihipStream_tbENKUlT_T0_E_clISt17integral_constantIbLb1EESY_IbLb0EEEEDaSU_SV_EUlSU_E0_NS1_11comp_targetILNS1_3genE8ELNS1_11target_archE1030ELNS1_3gpuE2ELNS1_3repE0EEENS1_30default_config_static_selectorELNS0_4arch9wavefront6targetE1EEEvT1_,comdat
	.globl	_ZN7rocprim17ROCPRIM_400000_NS6detail17trampoline_kernelINS0_14default_configENS1_20scan_config_selectorIN3c107complexIdEEEEZZNS1_9scan_implILNS1_25lookback_scan_determinismE0ELb0ELb0ES3_PKS7_PS7_S7_ZZZN2at6native31launch_logcumsumexp_cuda_kernelERKNSE_10TensorBaseESI_lENKUlvE_clEvENKUlvE1_clEvEUlS7_S7_E_S7_EEDaPvRmT3_T4_T5_mT6_P12ihipStream_tbENKUlT_T0_E_clISt17integral_constantIbLb1EESY_IbLb0EEEEDaSU_SV_EUlSU_E0_NS1_11comp_targetILNS1_3genE8ELNS1_11target_archE1030ELNS1_3gpuE2ELNS1_3repE0EEENS1_30default_config_static_selectorELNS0_4arch9wavefront6targetE1EEEvT1_ ; -- Begin function _ZN7rocprim17ROCPRIM_400000_NS6detail17trampoline_kernelINS0_14default_configENS1_20scan_config_selectorIN3c107complexIdEEEEZZNS1_9scan_implILNS1_25lookback_scan_determinismE0ELb0ELb0ES3_PKS7_PS7_S7_ZZZN2at6native31launch_logcumsumexp_cuda_kernelERKNSE_10TensorBaseESI_lENKUlvE_clEvENKUlvE1_clEvEUlS7_S7_E_S7_EEDaPvRmT3_T4_T5_mT6_P12ihipStream_tbENKUlT_T0_E_clISt17integral_constantIbLb1EESY_IbLb0EEEEDaSU_SV_EUlSU_E0_NS1_11comp_targetILNS1_3genE8ELNS1_11target_archE1030ELNS1_3gpuE2ELNS1_3repE0EEENS1_30default_config_static_selectorELNS0_4arch9wavefront6targetE1EEEvT1_
	.p2align	8
	.type	_ZN7rocprim17ROCPRIM_400000_NS6detail17trampoline_kernelINS0_14default_configENS1_20scan_config_selectorIN3c107complexIdEEEEZZNS1_9scan_implILNS1_25lookback_scan_determinismE0ELb0ELb0ES3_PKS7_PS7_S7_ZZZN2at6native31launch_logcumsumexp_cuda_kernelERKNSE_10TensorBaseESI_lENKUlvE_clEvENKUlvE1_clEvEUlS7_S7_E_S7_EEDaPvRmT3_T4_T5_mT6_P12ihipStream_tbENKUlT_T0_E_clISt17integral_constantIbLb1EESY_IbLb0EEEEDaSU_SV_EUlSU_E0_NS1_11comp_targetILNS1_3genE8ELNS1_11target_archE1030ELNS1_3gpuE2ELNS1_3repE0EEENS1_30default_config_static_selectorELNS0_4arch9wavefront6targetE1EEEvT1_,@function
_ZN7rocprim17ROCPRIM_400000_NS6detail17trampoline_kernelINS0_14default_configENS1_20scan_config_selectorIN3c107complexIdEEEEZZNS1_9scan_implILNS1_25lookback_scan_determinismE0ELb0ELb0ES3_PKS7_PS7_S7_ZZZN2at6native31launch_logcumsumexp_cuda_kernelERKNSE_10TensorBaseESI_lENKUlvE_clEvENKUlvE1_clEvEUlS7_S7_E_S7_EEDaPvRmT3_T4_T5_mT6_P12ihipStream_tbENKUlT_T0_E_clISt17integral_constantIbLb1EESY_IbLb0EEEEDaSU_SV_EUlSU_E0_NS1_11comp_targetILNS1_3genE8ELNS1_11target_archE1030ELNS1_3gpuE2ELNS1_3repE0EEENS1_30default_config_static_selectorELNS0_4arch9wavefront6targetE1EEEvT1_: ; @_ZN7rocprim17ROCPRIM_400000_NS6detail17trampoline_kernelINS0_14default_configENS1_20scan_config_selectorIN3c107complexIdEEEEZZNS1_9scan_implILNS1_25lookback_scan_determinismE0ELb0ELb0ES3_PKS7_PS7_S7_ZZZN2at6native31launch_logcumsumexp_cuda_kernelERKNSE_10TensorBaseESI_lENKUlvE_clEvENKUlvE1_clEvEUlS7_S7_E_S7_EEDaPvRmT3_T4_T5_mT6_P12ihipStream_tbENKUlT_T0_E_clISt17integral_constantIbLb1EESY_IbLb0EEEEDaSU_SV_EUlSU_E0_NS1_11comp_targetILNS1_3genE8ELNS1_11target_archE1030ELNS1_3gpuE2ELNS1_3repE0EEENS1_30default_config_static_selectorELNS0_4arch9wavefront6targetE1EEEvT1_
; %bb.0:
	.section	.rodata,"a",@progbits
	.p2align	6, 0x0
	.amdhsa_kernel _ZN7rocprim17ROCPRIM_400000_NS6detail17trampoline_kernelINS0_14default_configENS1_20scan_config_selectorIN3c107complexIdEEEEZZNS1_9scan_implILNS1_25lookback_scan_determinismE0ELb0ELb0ES3_PKS7_PS7_S7_ZZZN2at6native31launch_logcumsumexp_cuda_kernelERKNSE_10TensorBaseESI_lENKUlvE_clEvENKUlvE1_clEvEUlS7_S7_E_S7_EEDaPvRmT3_T4_T5_mT6_P12ihipStream_tbENKUlT_T0_E_clISt17integral_constantIbLb1EESY_IbLb0EEEEDaSU_SV_EUlSU_E0_NS1_11comp_targetILNS1_3genE8ELNS1_11target_archE1030ELNS1_3gpuE2ELNS1_3repE0EEENS1_30default_config_static_selectorELNS0_4arch9wavefront6targetE1EEEvT1_
		.amdhsa_group_segment_fixed_size 0
		.amdhsa_private_segment_fixed_size 0
		.amdhsa_kernarg_size 48
		.amdhsa_user_sgpr_count 6
		.amdhsa_user_sgpr_private_segment_buffer 1
		.amdhsa_user_sgpr_dispatch_ptr 0
		.amdhsa_user_sgpr_queue_ptr 0
		.amdhsa_user_sgpr_kernarg_segment_ptr 1
		.amdhsa_user_sgpr_dispatch_id 0
		.amdhsa_user_sgpr_flat_scratch_init 0
		.amdhsa_user_sgpr_private_segment_size 0
		.amdhsa_uses_dynamic_stack 0
		.amdhsa_system_sgpr_private_segment_wavefront_offset 0
		.amdhsa_system_sgpr_workgroup_id_x 1
		.amdhsa_system_sgpr_workgroup_id_y 0
		.amdhsa_system_sgpr_workgroup_id_z 0
		.amdhsa_system_sgpr_workgroup_info 0
		.amdhsa_system_vgpr_workitem_id 0
		.amdhsa_next_free_vgpr 1
		.amdhsa_next_free_sgpr 0
		.amdhsa_reserve_vcc 0
		.amdhsa_reserve_flat_scratch 0
		.amdhsa_float_round_mode_32 0
		.amdhsa_float_round_mode_16_64 0
		.amdhsa_float_denorm_mode_32 3
		.amdhsa_float_denorm_mode_16_64 3
		.amdhsa_dx10_clamp 1
		.amdhsa_ieee_mode 1
		.amdhsa_fp16_overflow 0
		.amdhsa_exception_fp_ieee_invalid_op 0
		.amdhsa_exception_fp_denorm_src 0
		.amdhsa_exception_fp_ieee_div_zero 0
		.amdhsa_exception_fp_ieee_overflow 0
		.amdhsa_exception_fp_ieee_underflow 0
		.amdhsa_exception_fp_ieee_inexact 0
		.amdhsa_exception_int_div_zero 0
	.end_amdhsa_kernel
	.section	.text._ZN7rocprim17ROCPRIM_400000_NS6detail17trampoline_kernelINS0_14default_configENS1_20scan_config_selectorIN3c107complexIdEEEEZZNS1_9scan_implILNS1_25lookback_scan_determinismE0ELb0ELb0ES3_PKS7_PS7_S7_ZZZN2at6native31launch_logcumsumexp_cuda_kernelERKNSE_10TensorBaseESI_lENKUlvE_clEvENKUlvE1_clEvEUlS7_S7_E_S7_EEDaPvRmT3_T4_T5_mT6_P12ihipStream_tbENKUlT_T0_E_clISt17integral_constantIbLb1EESY_IbLb0EEEEDaSU_SV_EUlSU_E0_NS1_11comp_targetILNS1_3genE8ELNS1_11target_archE1030ELNS1_3gpuE2ELNS1_3repE0EEENS1_30default_config_static_selectorELNS0_4arch9wavefront6targetE1EEEvT1_,"axG",@progbits,_ZN7rocprim17ROCPRIM_400000_NS6detail17trampoline_kernelINS0_14default_configENS1_20scan_config_selectorIN3c107complexIdEEEEZZNS1_9scan_implILNS1_25lookback_scan_determinismE0ELb0ELb0ES3_PKS7_PS7_S7_ZZZN2at6native31launch_logcumsumexp_cuda_kernelERKNSE_10TensorBaseESI_lENKUlvE_clEvENKUlvE1_clEvEUlS7_S7_E_S7_EEDaPvRmT3_T4_T5_mT6_P12ihipStream_tbENKUlT_T0_E_clISt17integral_constantIbLb1EESY_IbLb0EEEEDaSU_SV_EUlSU_E0_NS1_11comp_targetILNS1_3genE8ELNS1_11target_archE1030ELNS1_3gpuE2ELNS1_3repE0EEENS1_30default_config_static_selectorELNS0_4arch9wavefront6targetE1EEEvT1_,comdat
.Lfunc_end239:
	.size	_ZN7rocprim17ROCPRIM_400000_NS6detail17trampoline_kernelINS0_14default_configENS1_20scan_config_selectorIN3c107complexIdEEEEZZNS1_9scan_implILNS1_25lookback_scan_determinismE0ELb0ELb0ES3_PKS7_PS7_S7_ZZZN2at6native31launch_logcumsumexp_cuda_kernelERKNSE_10TensorBaseESI_lENKUlvE_clEvENKUlvE1_clEvEUlS7_S7_E_S7_EEDaPvRmT3_T4_T5_mT6_P12ihipStream_tbENKUlT_T0_E_clISt17integral_constantIbLb1EESY_IbLb0EEEEDaSU_SV_EUlSU_E0_NS1_11comp_targetILNS1_3genE8ELNS1_11target_archE1030ELNS1_3gpuE2ELNS1_3repE0EEENS1_30default_config_static_selectorELNS0_4arch9wavefront6targetE1EEEvT1_, .Lfunc_end239-_ZN7rocprim17ROCPRIM_400000_NS6detail17trampoline_kernelINS0_14default_configENS1_20scan_config_selectorIN3c107complexIdEEEEZZNS1_9scan_implILNS1_25lookback_scan_determinismE0ELb0ELb0ES3_PKS7_PS7_S7_ZZZN2at6native31launch_logcumsumexp_cuda_kernelERKNSE_10TensorBaseESI_lENKUlvE_clEvENKUlvE1_clEvEUlS7_S7_E_S7_EEDaPvRmT3_T4_T5_mT6_P12ihipStream_tbENKUlT_T0_E_clISt17integral_constantIbLb1EESY_IbLb0EEEEDaSU_SV_EUlSU_E0_NS1_11comp_targetILNS1_3genE8ELNS1_11target_archE1030ELNS1_3gpuE2ELNS1_3repE0EEENS1_30default_config_static_selectorELNS0_4arch9wavefront6targetE1EEEvT1_
                                        ; -- End function
	.set _ZN7rocprim17ROCPRIM_400000_NS6detail17trampoline_kernelINS0_14default_configENS1_20scan_config_selectorIN3c107complexIdEEEEZZNS1_9scan_implILNS1_25lookback_scan_determinismE0ELb0ELb0ES3_PKS7_PS7_S7_ZZZN2at6native31launch_logcumsumexp_cuda_kernelERKNSE_10TensorBaseESI_lENKUlvE_clEvENKUlvE1_clEvEUlS7_S7_E_S7_EEDaPvRmT3_T4_T5_mT6_P12ihipStream_tbENKUlT_T0_E_clISt17integral_constantIbLb1EESY_IbLb0EEEEDaSU_SV_EUlSU_E0_NS1_11comp_targetILNS1_3genE8ELNS1_11target_archE1030ELNS1_3gpuE2ELNS1_3repE0EEENS1_30default_config_static_selectorELNS0_4arch9wavefront6targetE1EEEvT1_.num_vgpr, 0
	.set _ZN7rocprim17ROCPRIM_400000_NS6detail17trampoline_kernelINS0_14default_configENS1_20scan_config_selectorIN3c107complexIdEEEEZZNS1_9scan_implILNS1_25lookback_scan_determinismE0ELb0ELb0ES3_PKS7_PS7_S7_ZZZN2at6native31launch_logcumsumexp_cuda_kernelERKNSE_10TensorBaseESI_lENKUlvE_clEvENKUlvE1_clEvEUlS7_S7_E_S7_EEDaPvRmT3_T4_T5_mT6_P12ihipStream_tbENKUlT_T0_E_clISt17integral_constantIbLb1EESY_IbLb0EEEEDaSU_SV_EUlSU_E0_NS1_11comp_targetILNS1_3genE8ELNS1_11target_archE1030ELNS1_3gpuE2ELNS1_3repE0EEENS1_30default_config_static_selectorELNS0_4arch9wavefront6targetE1EEEvT1_.num_agpr, 0
	.set _ZN7rocprim17ROCPRIM_400000_NS6detail17trampoline_kernelINS0_14default_configENS1_20scan_config_selectorIN3c107complexIdEEEEZZNS1_9scan_implILNS1_25lookback_scan_determinismE0ELb0ELb0ES3_PKS7_PS7_S7_ZZZN2at6native31launch_logcumsumexp_cuda_kernelERKNSE_10TensorBaseESI_lENKUlvE_clEvENKUlvE1_clEvEUlS7_S7_E_S7_EEDaPvRmT3_T4_T5_mT6_P12ihipStream_tbENKUlT_T0_E_clISt17integral_constantIbLb1EESY_IbLb0EEEEDaSU_SV_EUlSU_E0_NS1_11comp_targetILNS1_3genE8ELNS1_11target_archE1030ELNS1_3gpuE2ELNS1_3repE0EEENS1_30default_config_static_selectorELNS0_4arch9wavefront6targetE1EEEvT1_.numbered_sgpr, 0
	.set _ZN7rocprim17ROCPRIM_400000_NS6detail17trampoline_kernelINS0_14default_configENS1_20scan_config_selectorIN3c107complexIdEEEEZZNS1_9scan_implILNS1_25lookback_scan_determinismE0ELb0ELb0ES3_PKS7_PS7_S7_ZZZN2at6native31launch_logcumsumexp_cuda_kernelERKNSE_10TensorBaseESI_lENKUlvE_clEvENKUlvE1_clEvEUlS7_S7_E_S7_EEDaPvRmT3_T4_T5_mT6_P12ihipStream_tbENKUlT_T0_E_clISt17integral_constantIbLb1EESY_IbLb0EEEEDaSU_SV_EUlSU_E0_NS1_11comp_targetILNS1_3genE8ELNS1_11target_archE1030ELNS1_3gpuE2ELNS1_3repE0EEENS1_30default_config_static_selectorELNS0_4arch9wavefront6targetE1EEEvT1_.num_named_barrier, 0
	.set _ZN7rocprim17ROCPRIM_400000_NS6detail17trampoline_kernelINS0_14default_configENS1_20scan_config_selectorIN3c107complexIdEEEEZZNS1_9scan_implILNS1_25lookback_scan_determinismE0ELb0ELb0ES3_PKS7_PS7_S7_ZZZN2at6native31launch_logcumsumexp_cuda_kernelERKNSE_10TensorBaseESI_lENKUlvE_clEvENKUlvE1_clEvEUlS7_S7_E_S7_EEDaPvRmT3_T4_T5_mT6_P12ihipStream_tbENKUlT_T0_E_clISt17integral_constantIbLb1EESY_IbLb0EEEEDaSU_SV_EUlSU_E0_NS1_11comp_targetILNS1_3genE8ELNS1_11target_archE1030ELNS1_3gpuE2ELNS1_3repE0EEENS1_30default_config_static_selectorELNS0_4arch9wavefront6targetE1EEEvT1_.private_seg_size, 0
	.set _ZN7rocprim17ROCPRIM_400000_NS6detail17trampoline_kernelINS0_14default_configENS1_20scan_config_selectorIN3c107complexIdEEEEZZNS1_9scan_implILNS1_25lookback_scan_determinismE0ELb0ELb0ES3_PKS7_PS7_S7_ZZZN2at6native31launch_logcumsumexp_cuda_kernelERKNSE_10TensorBaseESI_lENKUlvE_clEvENKUlvE1_clEvEUlS7_S7_E_S7_EEDaPvRmT3_T4_T5_mT6_P12ihipStream_tbENKUlT_T0_E_clISt17integral_constantIbLb1EESY_IbLb0EEEEDaSU_SV_EUlSU_E0_NS1_11comp_targetILNS1_3genE8ELNS1_11target_archE1030ELNS1_3gpuE2ELNS1_3repE0EEENS1_30default_config_static_selectorELNS0_4arch9wavefront6targetE1EEEvT1_.uses_vcc, 0
	.set _ZN7rocprim17ROCPRIM_400000_NS6detail17trampoline_kernelINS0_14default_configENS1_20scan_config_selectorIN3c107complexIdEEEEZZNS1_9scan_implILNS1_25lookback_scan_determinismE0ELb0ELb0ES3_PKS7_PS7_S7_ZZZN2at6native31launch_logcumsumexp_cuda_kernelERKNSE_10TensorBaseESI_lENKUlvE_clEvENKUlvE1_clEvEUlS7_S7_E_S7_EEDaPvRmT3_T4_T5_mT6_P12ihipStream_tbENKUlT_T0_E_clISt17integral_constantIbLb1EESY_IbLb0EEEEDaSU_SV_EUlSU_E0_NS1_11comp_targetILNS1_3genE8ELNS1_11target_archE1030ELNS1_3gpuE2ELNS1_3repE0EEENS1_30default_config_static_selectorELNS0_4arch9wavefront6targetE1EEEvT1_.uses_flat_scratch, 0
	.set _ZN7rocprim17ROCPRIM_400000_NS6detail17trampoline_kernelINS0_14default_configENS1_20scan_config_selectorIN3c107complexIdEEEEZZNS1_9scan_implILNS1_25lookback_scan_determinismE0ELb0ELb0ES3_PKS7_PS7_S7_ZZZN2at6native31launch_logcumsumexp_cuda_kernelERKNSE_10TensorBaseESI_lENKUlvE_clEvENKUlvE1_clEvEUlS7_S7_E_S7_EEDaPvRmT3_T4_T5_mT6_P12ihipStream_tbENKUlT_T0_E_clISt17integral_constantIbLb1EESY_IbLb0EEEEDaSU_SV_EUlSU_E0_NS1_11comp_targetILNS1_3genE8ELNS1_11target_archE1030ELNS1_3gpuE2ELNS1_3repE0EEENS1_30default_config_static_selectorELNS0_4arch9wavefront6targetE1EEEvT1_.has_dyn_sized_stack, 0
	.set _ZN7rocprim17ROCPRIM_400000_NS6detail17trampoline_kernelINS0_14default_configENS1_20scan_config_selectorIN3c107complexIdEEEEZZNS1_9scan_implILNS1_25lookback_scan_determinismE0ELb0ELb0ES3_PKS7_PS7_S7_ZZZN2at6native31launch_logcumsumexp_cuda_kernelERKNSE_10TensorBaseESI_lENKUlvE_clEvENKUlvE1_clEvEUlS7_S7_E_S7_EEDaPvRmT3_T4_T5_mT6_P12ihipStream_tbENKUlT_T0_E_clISt17integral_constantIbLb1EESY_IbLb0EEEEDaSU_SV_EUlSU_E0_NS1_11comp_targetILNS1_3genE8ELNS1_11target_archE1030ELNS1_3gpuE2ELNS1_3repE0EEENS1_30default_config_static_selectorELNS0_4arch9wavefront6targetE1EEEvT1_.has_recursion, 0
	.set _ZN7rocprim17ROCPRIM_400000_NS6detail17trampoline_kernelINS0_14default_configENS1_20scan_config_selectorIN3c107complexIdEEEEZZNS1_9scan_implILNS1_25lookback_scan_determinismE0ELb0ELb0ES3_PKS7_PS7_S7_ZZZN2at6native31launch_logcumsumexp_cuda_kernelERKNSE_10TensorBaseESI_lENKUlvE_clEvENKUlvE1_clEvEUlS7_S7_E_S7_EEDaPvRmT3_T4_T5_mT6_P12ihipStream_tbENKUlT_T0_E_clISt17integral_constantIbLb1EESY_IbLb0EEEEDaSU_SV_EUlSU_E0_NS1_11comp_targetILNS1_3genE8ELNS1_11target_archE1030ELNS1_3gpuE2ELNS1_3repE0EEENS1_30default_config_static_selectorELNS0_4arch9wavefront6targetE1EEEvT1_.has_indirect_call, 0
	.section	.AMDGPU.csdata,"",@progbits
; Kernel info:
; codeLenInByte = 0
; TotalNumSgprs: 4
; NumVgprs: 0
; ScratchSize: 0
; MemoryBound: 0
; FloatMode: 240
; IeeeMode: 1
; LDSByteSize: 0 bytes/workgroup (compile time only)
; SGPRBlocks: 0
; VGPRBlocks: 0
; NumSGPRsForWavesPerEU: 4
; NumVGPRsForWavesPerEU: 1
; Occupancy: 10
; WaveLimiterHint : 0
; COMPUTE_PGM_RSRC2:SCRATCH_EN: 0
; COMPUTE_PGM_RSRC2:USER_SGPR: 6
; COMPUTE_PGM_RSRC2:TRAP_HANDLER: 0
; COMPUTE_PGM_RSRC2:TGID_X_EN: 1
; COMPUTE_PGM_RSRC2:TGID_Y_EN: 0
; COMPUTE_PGM_RSRC2:TGID_Z_EN: 0
; COMPUTE_PGM_RSRC2:TIDIG_COMP_CNT: 0
	.section	.text._ZN7rocprim17ROCPRIM_400000_NS6detail31init_lookback_scan_state_kernelINS1_19lookback_scan_stateIN3c107complexIdEELb0ELb0EEENS1_16block_id_wrapperIjLb1EEEEEvT_jT0_jPNSA_10value_typeE,"axG",@progbits,_ZN7rocprim17ROCPRIM_400000_NS6detail31init_lookback_scan_state_kernelINS1_19lookback_scan_stateIN3c107complexIdEELb0ELb0EEENS1_16block_id_wrapperIjLb1EEEEEvT_jT0_jPNSA_10value_typeE,comdat
	.protected	_ZN7rocprim17ROCPRIM_400000_NS6detail31init_lookback_scan_state_kernelINS1_19lookback_scan_stateIN3c107complexIdEELb0ELb0EEENS1_16block_id_wrapperIjLb1EEEEEvT_jT0_jPNSA_10value_typeE ; -- Begin function _ZN7rocprim17ROCPRIM_400000_NS6detail31init_lookback_scan_state_kernelINS1_19lookback_scan_stateIN3c107complexIdEELb0ELb0EEENS1_16block_id_wrapperIjLb1EEEEEvT_jT0_jPNSA_10value_typeE
	.globl	_ZN7rocprim17ROCPRIM_400000_NS6detail31init_lookback_scan_state_kernelINS1_19lookback_scan_stateIN3c107complexIdEELb0ELb0EEENS1_16block_id_wrapperIjLb1EEEEEvT_jT0_jPNSA_10value_typeE
	.p2align	8
	.type	_ZN7rocprim17ROCPRIM_400000_NS6detail31init_lookback_scan_state_kernelINS1_19lookback_scan_stateIN3c107complexIdEELb0ELb0EEENS1_16block_id_wrapperIjLb1EEEEEvT_jT0_jPNSA_10value_typeE,@function
_ZN7rocprim17ROCPRIM_400000_NS6detail31init_lookback_scan_state_kernelINS1_19lookback_scan_stateIN3c107complexIdEELb0ELb0EEENS1_16block_id_wrapperIjLb1EEEEEvT_jT0_jPNSA_10value_typeE: ; @_ZN7rocprim17ROCPRIM_400000_NS6detail31init_lookback_scan_state_kernelINS1_19lookback_scan_stateIN3c107complexIdEELb0ELb0EEENS1_16block_id_wrapperIjLb1EEEEEvT_jT0_jPNSA_10value_typeE
; %bb.0:
	s_load_dword s0, s[4:5], 0x44
	s_load_dwordx2 s[10:11], s[4:5], 0x30
	s_load_dwordx2 s[8:9], s[4:5], 0x10
	s_load_dword s16, s[4:5], 0x18
	s_waitcnt lgkmcnt(0)
	s_and_b32 s0, s0, 0xffff
	s_mul_i32 s6, s6, s0
	s_cmp_eq_u64 s[10:11], 0
	v_add_u32_e32 v0, s6, v0
	s_cbranch_scc1 .LBB240_6
; %bb.1:
	s_load_dword s0, s[4:5], 0x28
	s_mov_b32 s13, 0
	s_waitcnt lgkmcnt(0)
	s_cmp_lt_u32 s0, s16
	s_cselect_b32 s1, s0, 0
	v_cmp_eq_u32_e32 vcc, s1, v0
	s_and_saveexec_b64 s[6:7], vcc
	s_cbranch_execz .LBB240_5
; %bb.2:
	s_add_i32 s12, s0, 64
	v_mov_b32_e32 v1, s12
	global_load_ubyte v2, v1, s[8:9] glc
	s_load_dwordx4 s[0:3], s[4:5], 0x0
	v_mov_b32_e32 v1, 0
	s_add_u32 s14, s8, s12
	s_addc_u32 s15, s9, 0
	s_waitcnt vmcnt(0)
	v_cmp_ne_u32_sdwa s[18:19], v2, v1 src0_sel:WORD_0 src1_sel:DWORD
	s_and_b64 vcc, exec, s[18:19]
	v_readfirstlane_b32 s17, v2
	s_cbranch_vccnz .LBB240_4
.LBB240_3:                              ; =>This Inner Loop Header: Depth=1
	global_load_ubyte v2, v1, s[14:15] glc
	s_waitcnt vmcnt(0)
	v_cmp_eq_u32_sdwa s[18:19], v2, v1 src0_sel:WORD_0 src1_sel:DWORD
	s_and_b64 vcc, exec, s[18:19]
	v_readfirstlane_b32 s17, v2
	s_cbranch_vccnz .LBB240_3
.LBB240_4:
	s_and_b32 s14, 0xffff, s17
	s_cmp_eq_u32 s14, 1
	s_waitcnt lgkmcnt(0)
	s_cselect_b32 s3, s1, s3
	s_cselect_b32 s2, s0, s2
	s_lshl_b64 s[0:1], s[12:13], 4
	s_add_u32 s0, s2, s0
	s_addc_u32 s1, s3, s1
	v_mov_b32_e32 v5, 0
	buffer_wbinvl1_vol
	global_load_dwordx4 v[1:4], v5, s[0:1]
	s_waitcnt vmcnt(0)
	global_store_dwordx4 v5, v[1:4], s[10:11]
.LBB240_5:
	s_or_b64 exec, exec, s[6:7]
.LBB240_6:
	v_cmp_eq_u32_e32 vcc, 0, v0
	s_and_saveexec_b64 s[0:1], vcc
	s_cbranch_execnz .LBB240_10
; %bb.7:
	s_or_b64 exec, exec, s[0:1]
	v_cmp_gt_u32_e32 vcc, s16, v0
	s_and_saveexec_b64 s[0:1], vcc
	s_cbranch_execnz .LBB240_11
.LBB240_8:
	s_or_b64 exec, exec, s[0:1]
	v_cmp_gt_u32_e32 vcc, 64, v0
	s_and_saveexec_b64 s[0:1], vcc
	s_cbranch_execnz .LBB240_12
.LBB240_9:
	s_endpgm
.LBB240_10:
	s_load_dwordx2 s[2:3], s[4:5], 0x20
	v_mov_b32_e32 v1, 0
	s_waitcnt lgkmcnt(0)
	global_store_dword v1, v1, s[2:3]
	s_or_b64 exec, exec, s[0:1]
	v_cmp_gt_u32_e32 vcc, s16, v0
	s_and_saveexec_b64 s[0:1], vcc
	s_cbranch_execz .LBB240_8
.LBB240_11:
	v_add_u32_e32 v1, 64, v0
	v_mov_b32_e32 v2, 0
	global_store_byte v1, v2, s[8:9]
	s_or_b64 exec, exec, s[0:1]
	v_cmp_gt_u32_e32 vcc, 64, v0
	s_and_saveexec_b64 s[0:1], vcc
	s_cbranch_execz .LBB240_9
.LBB240_12:
	v_mov_b32_e32 v1, 0xff
	global_store_byte v0, v1, s[8:9]
	s_endpgm
	.section	.rodata,"a",@progbits
	.p2align	6, 0x0
	.amdhsa_kernel _ZN7rocprim17ROCPRIM_400000_NS6detail31init_lookback_scan_state_kernelINS1_19lookback_scan_stateIN3c107complexIdEELb0ELb0EEENS1_16block_id_wrapperIjLb1EEEEEvT_jT0_jPNSA_10value_typeE
		.amdhsa_group_segment_fixed_size 0
		.amdhsa_private_segment_fixed_size 0
		.amdhsa_kernarg_size 312
		.amdhsa_user_sgpr_count 6
		.amdhsa_user_sgpr_private_segment_buffer 1
		.amdhsa_user_sgpr_dispatch_ptr 0
		.amdhsa_user_sgpr_queue_ptr 0
		.amdhsa_user_sgpr_kernarg_segment_ptr 1
		.amdhsa_user_sgpr_dispatch_id 0
		.amdhsa_user_sgpr_flat_scratch_init 0
		.amdhsa_user_sgpr_private_segment_size 0
		.amdhsa_uses_dynamic_stack 0
		.amdhsa_system_sgpr_private_segment_wavefront_offset 0
		.amdhsa_system_sgpr_workgroup_id_x 1
		.amdhsa_system_sgpr_workgroup_id_y 0
		.amdhsa_system_sgpr_workgroup_id_z 0
		.amdhsa_system_sgpr_workgroup_info 0
		.amdhsa_system_vgpr_workitem_id 0
		.amdhsa_next_free_vgpr 6
		.amdhsa_next_free_sgpr 20
		.amdhsa_reserve_vcc 1
		.amdhsa_reserve_flat_scratch 0
		.amdhsa_float_round_mode_32 0
		.amdhsa_float_round_mode_16_64 0
		.amdhsa_float_denorm_mode_32 3
		.amdhsa_float_denorm_mode_16_64 3
		.amdhsa_dx10_clamp 1
		.amdhsa_ieee_mode 1
		.amdhsa_fp16_overflow 0
		.amdhsa_exception_fp_ieee_invalid_op 0
		.amdhsa_exception_fp_denorm_src 0
		.amdhsa_exception_fp_ieee_div_zero 0
		.amdhsa_exception_fp_ieee_overflow 0
		.amdhsa_exception_fp_ieee_underflow 0
		.amdhsa_exception_fp_ieee_inexact 0
		.amdhsa_exception_int_div_zero 0
	.end_amdhsa_kernel
	.section	.text._ZN7rocprim17ROCPRIM_400000_NS6detail31init_lookback_scan_state_kernelINS1_19lookback_scan_stateIN3c107complexIdEELb0ELb0EEENS1_16block_id_wrapperIjLb1EEEEEvT_jT0_jPNSA_10value_typeE,"axG",@progbits,_ZN7rocprim17ROCPRIM_400000_NS6detail31init_lookback_scan_state_kernelINS1_19lookback_scan_stateIN3c107complexIdEELb0ELb0EEENS1_16block_id_wrapperIjLb1EEEEEvT_jT0_jPNSA_10value_typeE,comdat
.Lfunc_end240:
	.size	_ZN7rocprim17ROCPRIM_400000_NS6detail31init_lookback_scan_state_kernelINS1_19lookback_scan_stateIN3c107complexIdEELb0ELb0EEENS1_16block_id_wrapperIjLb1EEEEEvT_jT0_jPNSA_10value_typeE, .Lfunc_end240-_ZN7rocprim17ROCPRIM_400000_NS6detail31init_lookback_scan_state_kernelINS1_19lookback_scan_stateIN3c107complexIdEELb0ELb0EEENS1_16block_id_wrapperIjLb1EEEEEvT_jT0_jPNSA_10value_typeE
                                        ; -- End function
	.set _ZN7rocprim17ROCPRIM_400000_NS6detail31init_lookback_scan_state_kernelINS1_19lookback_scan_stateIN3c107complexIdEELb0ELb0EEENS1_16block_id_wrapperIjLb1EEEEEvT_jT0_jPNSA_10value_typeE.num_vgpr, 6
	.set _ZN7rocprim17ROCPRIM_400000_NS6detail31init_lookback_scan_state_kernelINS1_19lookback_scan_stateIN3c107complexIdEELb0ELb0EEENS1_16block_id_wrapperIjLb1EEEEEvT_jT0_jPNSA_10value_typeE.num_agpr, 0
	.set _ZN7rocprim17ROCPRIM_400000_NS6detail31init_lookback_scan_state_kernelINS1_19lookback_scan_stateIN3c107complexIdEELb0ELb0EEENS1_16block_id_wrapperIjLb1EEEEEvT_jT0_jPNSA_10value_typeE.numbered_sgpr, 20
	.set _ZN7rocprim17ROCPRIM_400000_NS6detail31init_lookback_scan_state_kernelINS1_19lookback_scan_stateIN3c107complexIdEELb0ELb0EEENS1_16block_id_wrapperIjLb1EEEEEvT_jT0_jPNSA_10value_typeE.num_named_barrier, 0
	.set _ZN7rocprim17ROCPRIM_400000_NS6detail31init_lookback_scan_state_kernelINS1_19lookback_scan_stateIN3c107complexIdEELb0ELb0EEENS1_16block_id_wrapperIjLb1EEEEEvT_jT0_jPNSA_10value_typeE.private_seg_size, 0
	.set _ZN7rocprim17ROCPRIM_400000_NS6detail31init_lookback_scan_state_kernelINS1_19lookback_scan_stateIN3c107complexIdEELb0ELb0EEENS1_16block_id_wrapperIjLb1EEEEEvT_jT0_jPNSA_10value_typeE.uses_vcc, 1
	.set _ZN7rocprim17ROCPRIM_400000_NS6detail31init_lookback_scan_state_kernelINS1_19lookback_scan_stateIN3c107complexIdEELb0ELb0EEENS1_16block_id_wrapperIjLb1EEEEEvT_jT0_jPNSA_10value_typeE.uses_flat_scratch, 0
	.set _ZN7rocprim17ROCPRIM_400000_NS6detail31init_lookback_scan_state_kernelINS1_19lookback_scan_stateIN3c107complexIdEELb0ELb0EEENS1_16block_id_wrapperIjLb1EEEEEvT_jT0_jPNSA_10value_typeE.has_dyn_sized_stack, 0
	.set _ZN7rocprim17ROCPRIM_400000_NS6detail31init_lookback_scan_state_kernelINS1_19lookback_scan_stateIN3c107complexIdEELb0ELb0EEENS1_16block_id_wrapperIjLb1EEEEEvT_jT0_jPNSA_10value_typeE.has_recursion, 0
	.set _ZN7rocprim17ROCPRIM_400000_NS6detail31init_lookback_scan_state_kernelINS1_19lookback_scan_stateIN3c107complexIdEELb0ELb0EEENS1_16block_id_wrapperIjLb1EEEEEvT_jT0_jPNSA_10value_typeE.has_indirect_call, 0
	.section	.AMDGPU.csdata,"",@progbits
; Kernel info:
; codeLenInByte = 400
; TotalNumSgprs: 24
; NumVgprs: 6
; ScratchSize: 0
; MemoryBound: 0
; FloatMode: 240
; IeeeMode: 1
; LDSByteSize: 0 bytes/workgroup (compile time only)
; SGPRBlocks: 2
; VGPRBlocks: 1
; NumSGPRsForWavesPerEU: 24
; NumVGPRsForWavesPerEU: 6
; Occupancy: 10
; WaveLimiterHint : 0
; COMPUTE_PGM_RSRC2:SCRATCH_EN: 0
; COMPUTE_PGM_RSRC2:USER_SGPR: 6
; COMPUTE_PGM_RSRC2:TRAP_HANDLER: 0
; COMPUTE_PGM_RSRC2:TGID_X_EN: 1
; COMPUTE_PGM_RSRC2:TGID_Y_EN: 0
; COMPUTE_PGM_RSRC2:TGID_Z_EN: 0
; COMPUTE_PGM_RSRC2:TIDIG_COMP_CNT: 0
	.section	.text._ZN7rocprim17ROCPRIM_400000_NS6detail17trampoline_kernelINS0_14default_configENS1_20scan_config_selectorIN3c107complexIdEEEEZZNS1_9scan_implILNS1_25lookback_scan_determinismE0ELb0ELb0ES3_PKS7_PS7_S7_ZZZN2at6native31launch_logcumsumexp_cuda_kernelERKNSE_10TensorBaseESI_lENKUlvE_clEvENKUlvE1_clEvEUlS7_S7_E_S7_EEDaPvRmT3_T4_T5_mT6_P12ihipStream_tbENKUlT_T0_E_clISt17integral_constantIbLb0EESY_IbLb1EEEEDaSU_SV_EUlSU_E_NS1_11comp_targetILNS1_3genE0ELNS1_11target_archE4294967295ELNS1_3gpuE0ELNS1_3repE0EEENS1_30default_config_static_selectorELNS0_4arch9wavefront6targetE1EEEvT1_,"axG",@progbits,_ZN7rocprim17ROCPRIM_400000_NS6detail17trampoline_kernelINS0_14default_configENS1_20scan_config_selectorIN3c107complexIdEEEEZZNS1_9scan_implILNS1_25lookback_scan_determinismE0ELb0ELb0ES3_PKS7_PS7_S7_ZZZN2at6native31launch_logcumsumexp_cuda_kernelERKNSE_10TensorBaseESI_lENKUlvE_clEvENKUlvE1_clEvEUlS7_S7_E_S7_EEDaPvRmT3_T4_T5_mT6_P12ihipStream_tbENKUlT_T0_E_clISt17integral_constantIbLb0EESY_IbLb1EEEEDaSU_SV_EUlSU_E_NS1_11comp_targetILNS1_3genE0ELNS1_11target_archE4294967295ELNS1_3gpuE0ELNS1_3repE0EEENS1_30default_config_static_selectorELNS0_4arch9wavefront6targetE1EEEvT1_,comdat
	.globl	_ZN7rocprim17ROCPRIM_400000_NS6detail17trampoline_kernelINS0_14default_configENS1_20scan_config_selectorIN3c107complexIdEEEEZZNS1_9scan_implILNS1_25lookback_scan_determinismE0ELb0ELb0ES3_PKS7_PS7_S7_ZZZN2at6native31launch_logcumsumexp_cuda_kernelERKNSE_10TensorBaseESI_lENKUlvE_clEvENKUlvE1_clEvEUlS7_S7_E_S7_EEDaPvRmT3_T4_T5_mT6_P12ihipStream_tbENKUlT_T0_E_clISt17integral_constantIbLb0EESY_IbLb1EEEEDaSU_SV_EUlSU_E_NS1_11comp_targetILNS1_3genE0ELNS1_11target_archE4294967295ELNS1_3gpuE0ELNS1_3repE0EEENS1_30default_config_static_selectorELNS0_4arch9wavefront6targetE1EEEvT1_ ; -- Begin function _ZN7rocprim17ROCPRIM_400000_NS6detail17trampoline_kernelINS0_14default_configENS1_20scan_config_selectorIN3c107complexIdEEEEZZNS1_9scan_implILNS1_25lookback_scan_determinismE0ELb0ELb0ES3_PKS7_PS7_S7_ZZZN2at6native31launch_logcumsumexp_cuda_kernelERKNSE_10TensorBaseESI_lENKUlvE_clEvENKUlvE1_clEvEUlS7_S7_E_S7_EEDaPvRmT3_T4_T5_mT6_P12ihipStream_tbENKUlT_T0_E_clISt17integral_constantIbLb0EESY_IbLb1EEEEDaSU_SV_EUlSU_E_NS1_11comp_targetILNS1_3genE0ELNS1_11target_archE4294967295ELNS1_3gpuE0ELNS1_3repE0EEENS1_30default_config_static_selectorELNS0_4arch9wavefront6targetE1EEEvT1_
	.p2align	8
	.type	_ZN7rocprim17ROCPRIM_400000_NS6detail17trampoline_kernelINS0_14default_configENS1_20scan_config_selectorIN3c107complexIdEEEEZZNS1_9scan_implILNS1_25lookback_scan_determinismE0ELb0ELb0ES3_PKS7_PS7_S7_ZZZN2at6native31launch_logcumsumexp_cuda_kernelERKNSE_10TensorBaseESI_lENKUlvE_clEvENKUlvE1_clEvEUlS7_S7_E_S7_EEDaPvRmT3_T4_T5_mT6_P12ihipStream_tbENKUlT_T0_E_clISt17integral_constantIbLb0EESY_IbLb1EEEEDaSU_SV_EUlSU_E_NS1_11comp_targetILNS1_3genE0ELNS1_11target_archE4294967295ELNS1_3gpuE0ELNS1_3repE0EEENS1_30default_config_static_selectorELNS0_4arch9wavefront6targetE1EEEvT1_,@function
_ZN7rocprim17ROCPRIM_400000_NS6detail17trampoline_kernelINS0_14default_configENS1_20scan_config_selectorIN3c107complexIdEEEEZZNS1_9scan_implILNS1_25lookback_scan_determinismE0ELb0ELb0ES3_PKS7_PS7_S7_ZZZN2at6native31launch_logcumsumexp_cuda_kernelERKNSE_10TensorBaseESI_lENKUlvE_clEvENKUlvE1_clEvEUlS7_S7_E_S7_EEDaPvRmT3_T4_T5_mT6_P12ihipStream_tbENKUlT_T0_E_clISt17integral_constantIbLb0EESY_IbLb1EEEEDaSU_SV_EUlSU_E_NS1_11comp_targetILNS1_3genE0ELNS1_11target_archE4294967295ELNS1_3gpuE0ELNS1_3repE0EEENS1_30default_config_static_selectorELNS0_4arch9wavefront6targetE1EEEvT1_: ; @_ZN7rocprim17ROCPRIM_400000_NS6detail17trampoline_kernelINS0_14default_configENS1_20scan_config_selectorIN3c107complexIdEEEEZZNS1_9scan_implILNS1_25lookback_scan_determinismE0ELb0ELb0ES3_PKS7_PS7_S7_ZZZN2at6native31launch_logcumsumexp_cuda_kernelERKNSE_10TensorBaseESI_lENKUlvE_clEvENKUlvE1_clEvEUlS7_S7_E_S7_EEDaPvRmT3_T4_T5_mT6_P12ihipStream_tbENKUlT_T0_E_clISt17integral_constantIbLb0EESY_IbLb1EEEEDaSU_SV_EUlSU_E_NS1_11comp_targetILNS1_3genE0ELNS1_11target_archE4294967295ELNS1_3gpuE0ELNS1_3repE0EEENS1_30default_config_static_selectorELNS0_4arch9wavefront6targetE1EEEvT1_
; %bb.0:
	.section	.rodata,"a",@progbits
	.p2align	6, 0x0
	.amdhsa_kernel _ZN7rocprim17ROCPRIM_400000_NS6detail17trampoline_kernelINS0_14default_configENS1_20scan_config_selectorIN3c107complexIdEEEEZZNS1_9scan_implILNS1_25lookback_scan_determinismE0ELb0ELb0ES3_PKS7_PS7_S7_ZZZN2at6native31launch_logcumsumexp_cuda_kernelERKNSE_10TensorBaseESI_lENKUlvE_clEvENKUlvE1_clEvEUlS7_S7_E_S7_EEDaPvRmT3_T4_T5_mT6_P12ihipStream_tbENKUlT_T0_E_clISt17integral_constantIbLb0EESY_IbLb1EEEEDaSU_SV_EUlSU_E_NS1_11comp_targetILNS1_3genE0ELNS1_11target_archE4294967295ELNS1_3gpuE0ELNS1_3repE0EEENS1_30default_config_static_selectorELNS0_4arch9wavefront6targetE1EEEvT1_
		.amdhsa_group_segment_fixed_size 0
		.amdhsa_private_segment_fixed_size 0
		.amdhsa_kernarg_size 128
		.amdhsa_user_sgpr_count 6
		.amdhsa_user_sgpr_private_segment_buffer 1
		.amdhsa_user_sgpr_dispatch_ptr 0
		.amdhsa_user_sgpr_queue_ptr 0
		.amdhsa_user_sgpr_kernarg_segment_ptr 1
		.amdhsa_user_sgpr_dispatch_id 0
		.amdhsa_user_sgpr_flat_scratch_init 0
		.amdhsa_user_sgpr_private_segment_size 0
		.amdhsa_uses_dynamic_stack 0
		.amdhsa_system_sgpr_private_segment_wavefront_offset 0
		.amdhsa_system_sgpr_workgroup_id_x 1
		.amdhsa_system_sgpr_workgroup_id_y 0
		.amdhsa_system_sgpr_workgroup_id_z 0
		.amdhsa_system_sgpr_workgroup_info 0
		.amdhsa_system_vgpr_workitem_id 0
		.amdhsa_next_free_vgpr 1
		.amdhsa_next_free_sgpr 0
		.amdhsa_reserve_vcc 0
		.amdhsa_reserve_flat_scratch 0
		.amdhsa_float_round_mode_32 0
		.amdhsa_float_round_mode_16_64 0
		.amdhsa_float_denorm_mode_32 3
		.amdhsa_float_denorm_mode_16_64 3
		.amdhsa_dx10_clamp 1
		.amdhsa_ieee_mode 1
		.amdhsa_fp16_overflow 0
		.amdhsa_exception_fp_ieee_invalid_op 0
		.amdhsa_exception_fp_denorm_src 0
		.amdhsa_exception_fp_ieee_div_zero 0
		.amdhsa_exception_fp_ieee_overflow 0
		.amdhsa_exception_fp_ieee_underflow 0
		.amdhsa_exception_fp_ieee_inexact 0
		.amdhsa_exception_int_div_zero 0
	.end_amdhsa_kernel
	.section	.text._ZN7rocprim17ROCPRIM_400000_NS6detail17trampoline_kernelINS0_14default_configENS1_20scan_config_selectorIN3c107complexIdEEEEZZNS1_9scan_implILNS1_25lookback_scan_determinismE0ELb0ELb0ES3_PKS7_PS7_S7_ZZZN2at6native31launch_logcumsumexp_cuda_kernelERKNSE_10TensorBaseESI_lENKUlvE_clEvENKUlvE1_clEvEUlS7_S7_E_S7_EEDaPvRmT3_T4_T5_mT6_P12ihipStream_tbENKUlT_T0_E_clISt17integral_constantIbLb0EESY_IbLb1EEEEDaSU_SV_EUlSU_E_NS1_11comp_targetILNS1_3genE0ELNS1_11target_archE4294967295ELNS1_3gpuE0ELNS1_3repE0EEENS1_30default_config_static_selectorELNS0_4arch9wavefront6targetE1EEEvT1_,"axG",@progbits,_ZN7rocprim17ROCPRIM_400000_NS6detail17trampoline_kernelINS0_14default_configENS1_20scan_config_selectorIN3c107complexIdEEEEZZNS1_9scan_implILNS1_25lookback_scan_determinismE0ELb0ELb0ES3_PKS7_PS7_S7_ZZZN2at6native31launch_logcumsumexp_cuda_kernelERKNSE_10TensorBaseESI_lENKUlvE_clEvENKUlvE1_clEvEUlS7_S7_E_S7_EEDaPvRmT3_T4_T5_mT6_P12ihipStream_tbENKUlT_T0_E_clISt17integral_constantIbLb0EESY_IbLb1EEEEDaSU_SV_EUlSU_E_NS1_11comp_targetILNS1_3genE0ELNS1_11target_archE4294967295ELNS1_3gpuE0ELNS1_3repE0EEENS1_30default_config_static_selectorELNS0_4arch9wavefront6targetE1EEEvT1_,comdat
.Lfunc_end241:
	.size	_ZN7rocprim17ROCPRIM_400000_NS6detail17trampoline_kernelINS0_14default_configENS1_20scan_config_selectorIN3c107complexIdEEEEZZNS1_9scan_implILNS1_25lookback_scan_determinismE0ELb0ELb0ES3_PKS7_PS7_S7_ZZZN2at6native31launch_logcumsumexp_cuda_kernelERKNSE_10TensorBaseESI_lENKUlvE_clEvENKUlvE1_clEvEUlS7_S7_E_S7_EEDaPvRmT3_T4_T5_mT6_P12ihipStream_tbENKUlT_T0_E_clISt17integral_constantIbLb0EESY_IbLb1EEEEDaSU_SV_EUlSU_E_NS1_11comp_targetILNS1_3genE0ELNS1_11target_archE4294967295ELNS1_3gpuE0ELNS1_3repE0EEENS1_30default_config_static_selectorELNS0_4arch9wavefront6targetE1EEEvT1_, .Lfunc_end241-_ZN7rocprim17ROCPRIM_400000_NS6detail17trampoline_kernelINS0_14default_configENS1_20scan_config_selectorIN3c107complexIdEEEEZZNS1_9scan_implILNS1_25lookback_scan_determinismE0ELb0ELb0ES3_PKS7_PS7_S7_ZZZN2at6native31launch_logcumsumexp_cuda_kernelERKNSE_10TensorBaseESI_lENKUlvE_clEvENKUlvE1_clEvEUlS7_S7_E_S7_EEDaPvRmT3_T4_T5_mT6_P12ihipStream_tbENKUlT_T0_E_clISt17integral_constantIbLb0EESY_IbLb1EEEEDaSU_SV_EUlSU_E_NS1_11comp_targetILNS1_3genE0ELNS1_11target_archE4294967295ELNS1_3gpuE0ELNS1_3repE0EEENS1_30default_config_static_selectorELNS0_4arch9wavefront6targetE1EEEvT1_
                                        ; -- End function
	.set _ZN7rocprim17ROCPRIM_400000_NS6detail17trampoline_kernelINS0_14default_configENS1_20scan_config_selectorIN3c107complexIdEEEEZZNS1_9scan_implILNS1_25lookback_scan_determinismE0ELb0ELb0ES3_PKS7_PS7_S7_ZZZN2at6native31launch_logcumsumexp_cuda_kernelERKNSE_10TensorBaseESI_lENKUlvE_clEvENKUlvE1_clEvEUlS7_S7_E_S7_EEDaPvRmT3_T4_T5_mT6_P12ihipStream_tbENKUlT_T0_E_clISt17integral_constantIbLb0EESY_IbLb1EEEEDaSU_SV_EUlSU_E_NS1_11comp_targetILNS1_3genE0ELNS1_11target_archE4294967295ELNS1_3gpuE0ELNS1_3repE0EEENS1_30default_config_static_selectorELNS0_4arch9wavefront6targetE1EEEvT1_.num_vgpr, 0
	.set _ZN7rocprim17ROCPRIM_400000_NS6detail17trampoline_kernelINS0_14default_configENS1_20scan_config_selectorIN3c107complexIdEEEEZZNS1_9scan_implILNS1_25lookback_scan_determinismE0ELb0ELb0ES3_PKS7_PS7_S7_ZZZN2at6native31launch_logcumsumexp_cuda_kernelERKNSE_10TensorBaseESI_lENKUlvE_clEvENKUlvE1_clEvEUlS7_S7_E_S7_EEDaPvRmT3_T4_T5_mT6_P12ihipStream_tbENKUlT_T0_E_clISt17integral_constantIbLb0EESY_IbLb1EEEEDaSU_SV_EUlSU_E_NS1_11comp_targetILNS1_3genE0ELNS1_11target_archE4294967295ELNS1_3gpuE0ELNS1_3repE0EEENS1_30default_config_static_selectorELNS0_4arch9wavefront6targetE1EEEvT1_.num_agpr, 0
	.set _ZN7rocprim17ROCPRIM_400000_NS6detail17trampoline_kernelINS0_14default_configENS1_20scan_config_selectorIN3c107complexIdEEEEZZNS1_9scan_implILNS1_25lookback_scan_determinismE0ELb0ELb0ES3_PKS7_PS7_S7_ZZZN2at6native31launch_logcumsumexp_cuda_kernelERKNSE_10TensorBaseESI_lENKUlvE_clEvENKUlvE1_clEvEUlS7_S7_E_S7_EEDaPvRmT3_T4_T5_mT6_P12ihipStream_tbENKUlT_T0_E_clISt17integral_constantIbLb0EESY_IbLb1EEEEDaSU_SV_EUlSU_E_NS1_11comp_targetILNS1_3genE0ELNS1_11target_archE4294967295ELNS1_3gpuE0ELNS1_3repE0EEENS1_30default_config_static_selectorELNS0_4arch9wavefront6targetE1EEEvT1_.numbered_sgpr, 0
	.set _ZN7rocprim17ROCPRIM_400000_NS6detail17trampoline_kernelINS0_14default_configENS1_20scan_config_selectorIN3c107complexIdEEEEZZNS1_9scan_implILNS1_25lookback_scan_determinismE0ELb0ELb0ES3_PKS7_PS7_S7_ZZZN2at6native31launch_logcumsumexp_cuda_kernelERKNSE_10TensorBaseESI_lENKUlvE_clEvENKUlvE1_clEvEUlS7_S7_E_S7_EEDaPvRmT3_T4_T5_mT6_P12ihipStream_tbENKUlT_T0_E_clISt17integral_constantIbLb0EESY_IbLb1EEEEDaSU_SV_EUlSU_E_NS1_11comp_targetILNS1_3genE0ELNS1_11target_archE4294967295ELNS1_3gpuE0ELNS1_3repE0EEENS1_30default_config_static_selectorELNS0_4arch9wavefront6targetE1EEEvT1_.num_named_barrier, 0
	.set _ZN7rocprim17ROCPRIM_400000_NS6detail17trampoline_kernelINS0_14default_configENS1_20scan_config_selectorIN3c107complexIdEEEEZZNS1_9scan_implILNS1_25lookback_scan_determinismE0ELb0ELb0ES3_PKS7_PS7_S7_ZZZN2at6native31launch_logcumsumexp_cuda_kernelERKNSE_10TensorBaseESI_lENKUlvE_clEvENKUlvE1_clEvEUlS7_S7_E_S7_EEDaPvRmT3_T4_T5_mT6_P12ihipStream_tbENKUlT_T0_E_clISt17integral_constantIbLb0EESY_IbLb1EEEEDaSU_SV_EUlSU_E_NS1_11comp_targetILNS1_3genE0ELNS1_11target_archE4294967295ELNS1_3gpuE0ELNS1_3repE0EEENS1_30default_config_static_selectorELNS0_4arch9wavefront6targetE1EEEvT1_.private_seg_size, 0
	.set _ZN7rocprim17ROCPRIM_400000_NS6detail17trampoline_kernelINS0_14default_configENS1_20scan_config_selectorIN3c107complexIdEEEEZZNS1_9scan_implILNS1_25lookback_scan_determinismE0ELb0ELb0ES3_PKS7_PS7_S7_ZZZN2at6native31launch_logcumsumexp_cuda_kernelERKNSE_10TensorBaseESI_lENKUlvE_clEvENKUlvE1_clEvEUlS7_S7_E_S7_EEDaPvRmT3_T4_T5_mT6_P12ihipStream_tbENKUlT_T0_E_clISt17integral_constantIbLb0EESY_IbLb1EEEEDaSU_SV_EUlSU_E_NS1_11comp_targetILNS1_3genE0ELNS1_11target_archE4294967295ELNS1_3gpuE0ELNS1_3repE0EEENS1_30default_config_static_selectorELNS0_4arch9wavefront6targetE1EEEvT1_.uses_vcc, 0
	.set _ZN7rocprim17ROCPRIM_400000_NS6detail17trampoline_kernelINS0_14default_configENS1_20scan_config_selectorIN3c107complexIdEEEEZZNS1_9scan_implILNS1_25lookback_scan_determinismE0ELb0ELb0ES3_PKS7_PS7_S7_ZZZN2at6native31launch_logcumsumexp_cuda_kernelERKNSE_10TensorBaseESI_lENKUlvE_clEvENKUlvE1_clEvEUlS7_S7_E_S7_EEDaPvRmT3_T4_T5_mT6_P12ihipStream_tbENKUlT_T0_E_clISt17integral_constantIbLb0EESY_IbLb1EEEEDaSU_SV_EUlSU_E_NS1_11comp_targetILNS1_3genE0ELNS1_11target_archE4294967295ELNS1_3gpuE0ELNS1_3repE0EEENS1_30default_config_static_selectorELNS0_4arch9wavefront6targetE1EEEvT1_.uses_flat_scratch, 0
	.set _ZN7rocprim17ROCPRIM_400000_NS6detail17trampoline_kernelINS0_14default_configENS1_20scan_config_selectorIN3c107complexIdEEEEZZNS1_9scan_implILNS1_25lookback_scan_determinismE0ELb0ELb0ES3_PKS7_PS7_S7_ZZZN2at6native31launch_logcumsumexp_cuda_kernelERKNSE_10TensorBaseESI_lENKUlvE_clEvENKUlvE1_clEvEUlS7_S7_E_S7_EEDaPvRmT3_T4_T5_mT6_P12ihipStream_tbENKUlT_T0_E_clISt17integral_constantIbLb0EESY_IbLb1EEEEDaSU_SV_EUlSU_E_NS1_11comp_targetILNS1_3genE0ELNS1_11target_archE4294967295ELNS1_3gpuE0ELNS1_3repE0EEENS1_30default_config_static_selectorELNS0_4arch9wavefront6targetE1EEEvT1_.has_dyn_sized_stack, 0
	.set _ZN7rocprim17ROCPRIM_400000_NS6detail17trampoline_kernelINS0_14default_configENS1_20scan_config_selectorIN3c107complexIdEEEEZZNS1_9scan_implILNS1_25lookback_scan_determinismE0ELb0ELb0ES3_PKS7_PS7_S7_ZZZN2at6native31launch_logcumsumexp_cuda_kernelERKNSE_10TensorBaseESI_lENKUlvE_clEvENKUlvE1_clEvEUlS7_S7_E_S7_EEDaPvRmT3_T4_T5_mT6_P12ihipStream_tbENKUlT_T0_E_clISt17integral_constantIbLb0EESY_IbLb1EEEEDaSU_SV_EUlSU_E_NS1_11comp_targetILNS1_3genE0ELNS1_11target_archE4294967295ELNS1_3gpuE0ELNS1_3repE0EEENS1_30default_config_static_selectorELNS0_4arch9wavefront6targetE1EEEvT1_.has_recursion, 0
	.set _ZN7rocprim17ROCPRIM_400000_NS6detail17trampoline_kernelINS0_14default_configENS1_20scan_config_selectorIN3c107complexIdEEEEZZNS1_9scan_implILNS1_25lookback_scan_determinismE0ELb0ELb0ES3_PKS7_PS7_S7_ZZZN2at6native31launch_logcumsumexp_cuda_kernelERKNSE_10TensorBaseESI_lENKUlvE_clEvENKUlvE1_clEvEUlS7_S7_E_S7_EEDaPvRmT3_T4_T5_mT6_P12ihipStream_tbENKUlT_T0_E_clISt17integral_constantIbLb0EESY_IbLb1EEEEDaSU_SV_EUlSU_E_NS1_11comp_targetILNS1_3genE0ELNS1_11target_archE4294967295ELNS1_3gpuE0ELNS1_3repE0EEENS1_30default_config_static_selectorELNS0_4arch9wavefront6targetE1EEEvT1_.has_indirect_call, 0
	.section	.AMDGPU.csdata,"",@progbits
; Kernel info:
; codeLenInByte = 0
; TotalNumSgprs: 4
; NumVgprs: 0
; ScratchSize: 0
; MemoryBound: 0
; FloatMode: 240
; IeeeMode: 1
; LDSByteSize: 0 bytes/workgroup (compile time only)
; SGPRBlocks: 0
; VGPRBlocks: 0
; NumSGPRsForWavesPerEU: 4
; NumVGPRsForWavesPerEU: 1
; Occupancy: 10
; WaveLimiterHint : 0
; COMPUTE_PGM_RSRC2:SCRATCH_EN: 0
; COMPUTE_PGM_RSRC2:USER_SGPR: 6
; COMPUTE_PGM_RSRC2:TRAP_HANDLER: 0
; COMPUTE_PGM_RSRC2:TGID_X_EN: 1
; COMPUTE_PGM_RSRC2:TGID_Y_EN: 0
; COMPUTE_PGM_RSRC2:TGID_Z_EN: 0
; COMPUTE_PGM_RSRC2:TIDIG_COMP_CNT: 0
	.section	.text._ZN7rocprim17ROCPRIM_400000_NS6detail17trampoline_kernelINS0_14default_configENS1_20scan_config_selectorIN3c107complexIdEEEEZZNS1_9scan_implILNS1_25lookback_scan_determinismE0ELb0ELb0ES3_PKS7_PS7_S7_ZZZN2at6native31launch_logcumsumexp_cuda_kernelERKNSE_10TensorBaseESI_lENKUlvE_clEvENKUlvE1_clEvEUlS7_S7_E_S7_EEDaPvRmT3_T4_T5_mT6_P12ihipStream_tbENKUlT_T0_E_clISt17integral_constantIbLb0EESY_IbLb1EEEEDaSU_SV_EUlSU_E_NS1_11comp_targetILNS1_3genE5ELNS1_11target_archE942ELNS1_3gpuE9ELNS1_3repE0EEENS1_30default_config_static_selectorELNS0_4arch9wavefront6targetE1EEEvT1_,"axG",@progbits,_ZN7rocprim17ROCPRIM_400000_NS6detail17trampoline_kernelINS0_14default_configENS1_20scan_config_selectorIN3c107complexIdEEEEZZNS1_9scan_implILNS1_25lookback_scan_determinismE0ELb0ELb0ES3_PKS7_PS7_S7_ZZZN2at6native31launch_logcumsumexp_cuda_kernelERKNSE_10TensorBaseESI_lENKUlvE_clEvENKUlvE1_clEvEUlS7_S7_E_S7_EEDaPvRmT3_T4_T5_mT6_P12ihipStream_tbENKUlT_T0_E_clISt17integral_constantIbLb0EESY_IbLb1EEEEDaSU_SV_EUlSU_E_NS1_11comp_targetILNS1_3genE5ELNS1_11target_archE942ELNS1_3gpuE9ELNS1_3repE0EEENS1_30default_config_static_selectorELNS0_4arch9wavefront6targetE1EEEvT1_,comdat
	.globl	_ZN7rocprim17ROCPRIM_400000_NS6detail17trampoline_kernelINS0_14default_configENS1_20scan_config_selectorIN3c107complexIdEEEEZZNS1_9scan_implILNS1_25lookback_scan_determinismE0ELb0ELb0ES3_PKS7_PS7_S7_ZZZN2at6native31launch_logcumsumexp_cuda_kernelERKNSE_10TensorBaseESI_lENKUlvE_clEvENKUlvE1_clEvEUlS7_S7_E_S7_EEDaPvRmT3_T4_T5_mT6_P12ihipStream_tbENKUlT_T0_E_clISt17integral_constantIbLb0EESY_IbLb1EEEEDaSU_SV_EUlSU_E_NS1_11comp_targetILNS1_3genE5ELNS1_11target_archE942ELNS1_3gpuE9ELNS1_3repE0EEENS1_30default_config_static_selectorELNS0_4arch9wavefront6targetE1EEEvT1_ ; -- Begin function _ZN7rocprim17ROCPRIM_400000_NS6detail17trampoline_kernelINS0_14default_configENS1_20scan_config_selectorIN3c107complexIdEEEEZZNS1_9scan_implILNS1_25lookback_scan_determinismE0ELb0ELb0ES3_PKS7_PS7_S7_ZZZN2at6native31launch_logcumsumexp_cuda_kernelERKNSE_10TensorBaseESI_lENKUlvE_clEvENKUlvE1_clEvEUlS7_S7_E_S7_EEDaPvRmT3_T4_T5_mT6_P12ihipStream_tbENKUlT_T0_E_clISt17integral_constantIbLb0EESY_IbLb1EEEEDaSU_SV_EUlSU_E_NS1_11comp_targetILNS1_3genE5ELNS1_11target_archE942ELNS1_3gpuE9ELNS1_3repE0EEENS1_30default_config_static_selectorELNS0_4arch9wavefront6targetE1EEEvT1_
	.p2align	8
	.type	_ZN7rocprim17ROCPRIM_400000_NS6detail17trampoline_kernelINS0_14default_configENS1_20scan_config_selectorIN3c107complexIdEEEEZZNS1_9scan_implILNS1_25lookback_scan_determinismE0ELb0ELb0ES3_PKS7_PS7_S7_ZZZN2at6native31launch_logcumsumexp_cuda_kernelERKNSE_10TensorBaseESI_lENKUlvE_clEvENKUlvE1_clEvEUlS7_S7_E_S7_EEDaPvRmT3_T4_T5_mT6_P12ihipStream_tbENKUlT_T0_E_clISt17integral_constantIbLb0EESY_IbLb1EEEEDaSU_SV_EUlSU_E_NS1_11comp_targetILNS1_3genE5ELNS1_11target_archE942ELNS1_3gpuE9ELNS1_3repE0EEENS1_30default_config_static_selectorELNS0_4arch9wavefront6targetE1EEEvT1_,@function
_ZN7rocprim17ROCPRIM_400000_NS6detail17trampoline_kernelINS0_14default_configENS1_20scan_config_selectorIN3c107complexIdEEEEZZNS1_9scan_implILNS1_25lookback_scan_determinismE0ELb0ELb0ES3_PKS7_PS7_S7_ZZZN2at6native31launch_logcumsumexp_cuda_kernelERKNSE_10TensorBaseESI_lENKUlvE_clEvENKUlvE1_clEvEUlS7_S7_E_S7_EEDaPvRmT3_T4_T5_mT6_P12ihipStream_tbENKUlT_T0_E_clISt17integral_constantIbLb0EESY_IbLb1EEEEDaSU_SV_EUlSU_E_NS1_11comp_targetILNS1_3genE5ELNS1_11target_archE942ELNS1_3gpuE9ELNS1_3repE0EEENS1_30default_config_static_selectorELNS0_4arch9wavefront6targetE1EEEvT1_: ; @_ZN7rocprim17ROCPRIM_400000_NS6detail17trampoline_kernelINS0_14default_configENS1_20scan_config_selectorIN3c107complexIdEEEEZZNS1_9scan_implILNS1_25lookback_scan_determinismE0ELb0ELb0ES3_PKS7_PS7_S7_ZZZN2at6native31launch_logcumsumexp_cuda_kernelERKNSE_10TensorBaseESI_lENKUlvE_clEvENKUlvE1_clEvEUlS7_S7_E_S7_EEDaPvRmT3_T4_T5_mT6_P12ihipStream_tbENKUlT_T0_E_clISt17integral_constantIbLb0EESY_IbLb1EEEEDaSU_SV_EUlSU_E_NS1_11comp_targetILNS1_3genE5ELNS1_11target_archE942ELNS1_3gpuE9ELNS1_3repE0EEENS1_30default_config_static_selectorELNS0_4arch9wavefront6targetE1EEEvT1_
; %bb.0:
	.section	.rodata,"a",@progbits
	.p2align	6, 0x0
	.amdhsa_kernel _ZN7rocprim17ROCPRIM_400000_NS6detail17trampoline_kernelINS0_14default_configENS1_20scan_config_selectorIN3c107complexIdEEEEZZNS1_9scan_implILNS1_25lookback_scan_determinismE0ELb0ELb0ES3_PKS7_PS7_S7_ZZZN2at6native31launch_logcumsumexp_cuda_kernelERKNSE_10TensorBaseESI_lENKUlvE_clEvENKUlvE1_clEvEUlS7_S7_E_S7_EEDaPvRmT3_T4_T5_mT6_P12ihipStream_tbENKUlT_T0_E_clISt17integral_constantIbLb0EESY_IbLb1EEEEDaSU_SV_EUlSU_E_NS1_11comp_targetILNS1_3genE5ELNS1_11target_archE942ELNS1_3gpuE9ELNS1_3repE0EEENS1_30default_config_static_selectorELNS0_4arch9wavefront6targetE1EEEvT1_
		.amdhsa_group_segment_fixed_size 0
		.amdhsa_private_segment_fixed_size 0
		.amdhsa_kernarg_size 128
		.amdhsa_user_sgpr_count 6
		.amdhsa_user_sgpr_private_segment_buffer 1
		.amdhsa_user_sgpr_dispatch_ptr 0
		.amdhsa_user_sgpr_queue_ptr 0
		.amdhsa_user_sgpr_kernarg_segment_ptr 1
		.amdhsa_user_sgpr_dispatch_id 0
		.amdhsa_user_sgpr_flat_scratch_init 0
		.amdhsa_user_sgpr_private_segment_size 0
		.amdhsa_uses_dynamic_stack 0
		.amdhsa_system_sgpr_private_segment_wavefront_offset 0
		.amdhsa_system_sgpr_workgroup_id_x 1
		.amdhsa_system_sgpr_workgroup_id_y 0
		.amdhsa_system_sgpr_workgroup_id_z 0
		.amdhsa_system_sgpr_workgroup_info 0
		.amdhsa_system_vgpr_workitem_id 0
		.amdhsa_next_free_vgpr 1
		.amdhsa_next_free_sgpr 0
		.amdhsa_reserve_vcc 0
		.amdhsa_reserve_flat_scratch 0
		.amdhsa_float_round_mode_32 0
		.amdhsa_float_round_mode_16_64 0
		.amdhsa_float_denorm_mode_32 3
		.amdhsa_float_denorm_mode_16_64 3
		.amdhsa_dx10_clamp 1
		.amdhsa_ieee_mode 1
		.amdhsa_fp16_overflow 0
		.amdhsa_exception_fp_ieee_invalid_op 0
		.amdhsa_exception_fp_denorm_src 0
		.amdhsa_exception_fp_ieee_div_zero 0
		.amdhsa_exception_fp_ieee_overflow 0
		.amdhsa_exception_fp_ieee_underflow 0
		.amdhsa_exception_fp_ieee_inexact 0
		.amdhsa_exception_int_div_zero 0
	.end_amdhsa_kernel
	.section	.text._ZN7rocprim17ROCPRIM_400000_NS6detail17trampoline_kernelINS0_14default_configENS1_20scan_config_selectorIN3c107complexIdEEEEZZNS1_9scan_implILNS1_25lookback_scan_determinismE0ELb0ELb0ES3_PKS7_PS7_S7_ZZZN2at6native31launch_logcumsumexp_cuda_kernelERKNSE_10TensorBaseESI_lENKUlvE_clEvENKUlvE1_clEvEUlS7_S7_E_S7_EEDaPvRmT3_T4_T5_mT6_P12ihipStream_tbENKUlT_T0_E_clISt17integral_constantIbLb0EESY_IbLb1EEEEDaSU_SV_EUlSU_E_NS1_11comp_targetILNS1_3genE5ELNS1_11target_archE942ELNS1_3gpuE9ELNS1_3repE0EEENS1_30default_config_static_selectorELNS0_4arch9wavefront6targetE1EEEvT1_,"axG",@progbits,_ZN7rocprim17ROCPRIM_400000_NS6detail17trampoline_kernelINS0_14default_configENS1_20scan_config_selectorIN3c107complexIdEEEEZZNS1_9scan_implILNS1_25lookback_scan_determinismE0ELb0ELb0ES3_PKS7_PS7_S7_ZZZN2at6native31launch_logcumsumexp_cuda_kernelERKNSE_10TensorBaseESI_lENKUlvE_clEvENKUlvE1_clEvEUlS7_S7_E_S7_EEDaPvRmT3_T4_T5_mT6_P12ihipStream_tbENKUlT_T0_E_clISt17integral_constantIbLb0EESY_IbLb1EEEEDaSU_SV_EUlSU_E_NS1_11comp_targetILNS1_3genE5ELNS1_11target_archE942ELNS1_3gpuE9ELNS1_3repE0EEENS1_30default_config_static_selectorELNS0_4arch9wavefront6targetE1EEEvT1_,comdat
.Lfunc_end242:
	.size	_ZN7rocprim17ROCPRIM_400000_NS6detail17trampoline_kernelINS0_14default_configENS1_20scan_config_selectorIN3c107complexIdEEEEZZNS1_9scan_implILNS1_25lookback_scan_determinismE0ELb0ELb0ES3_PKS7_PS7_S7_ZZZN2at6native31launch_logcumsumexp_cuda_kernelERKNSE_10TensorBaseESI_lENKUlvE_clEvENKUlvE1_clEvEUlS7_S7_E_S7_EEDaPvRmT3_T4_T5_mT6_P12ihipStream_tbENKUlT_T0_E_clISt17integral_constantIbLb0EESY_IbLb1EEEEDaSU_SV_EUlSU_E_NS1_11comp_targetILNS1_3genE5ELNS1_11target_archE942ELNS1_3gpuE9ELNS1_3repE0EEENS1_30default_config_static_selectorELNS0_4arch9wavefront6targetE1EEEvT1_, .Lfunc_end242-_ZN7rocprim17ROCPRIM_400000_NS6detail17trampoline_kernelINS0_14default_configENS1_20scan_config_selectorIN3c107complexIdEEEEZZNS1_9scan_implILNS1_25lookback_scan_determinismE0ELb0ELb0ES3_PKS7_PS7_S7_ZZZN2at6native31launch_logcumsumexp_cuda_kernelERKNSE_10TensorBaseESI_lENKUlvE_clEvENKUlvE1_clEvEUlS7_S7_E_S7_EEDaPvRmT3_T4_T5_mT6_P12ihipStream_tbENKUlT_T0_E_clISt17integral_constantIbLb0EESY_IbLb1EEEEDaSU_SV_EUlSU_E_NS1_11comp_targetILNS1_3genE5ELNS1_11target_archE942ELNS1_3gpuE9ELNS1_3repE0EEENS1_30default_config_static_selectorELNS0_4arch9wavefront6targetE1EEEvT1_
                                        ; -- End function
	.set _ZN7rocprim17ROCPRIM_400000_NS6detail17trampoline_kernelINS0_14default_configENS1_20scan_config_selectorIN3c107complexIdEEEEZZNS1_9scan_implILNS1_25lookback_scan_determinismE0ELb0ELb0ES3_PKS7_PS7_S7_ZZZN2at6native31launch_logcumsumexp_cuda_kernelERKNSE_10TensorBaseESI_lENKUlvE_clEvENKUlvE1_clEvEUlS7_S7_E_S7_EEDaPvRmT3_T4_T5_mT6_P12ihipStream_tbENKUlT_T0_E_clISt17integral_constantIbLb0EESY_IbLb1EEEEDaSU_SV_EUlSU_E_NS1_11comp_targetILNS1_3genE5ELNS1_11target_archE942ELNS1_3gpuE9ELNS1_3repE0EEENS1_30default_config_static_selectorELNS0_4arch9wavefront6targetE1EEEvT1_.num_vgpr, 0
	.set _ZN7rocprim17ROCPRIM_400000_NS6detail17trampoline_kernelINS0_14default_configENS1_20scan_config_selectorIN3c107complexIdEEEEZZNS1_9scan_implILNS1_25lookback_scan_determinismE0ELb0ELb0ES3_PKS7_PS7_S7_ZZZN2at6native31launch_logcumsumexp_cuda_kernelERKNSE_10TensorBaseESI_lENKUlvE_clEvENKUlvE1_clEvEUlS7_S7_E_S7_EEDaPvRmT3_T4_T5_mT6_P12ihipStream_tbENKUlT_T0_E_clISt17integral_constantIbLb0EESY_IbLb1EEEEDaSU_SV_EUlSU_E_NS1_11comp_targetILNS1_3genE5ELNS1_11target_archE942ELNS1_3gpuE9ELNS1_3repE0EEENS1_30default_config_static_selectorELNS0_4arch9wavefront6targetE1EEEvT1_.num_agpr, 0
	.set _ZN7rocprim17ROCPRIM_400000_NS6detail17trampoline_kernelINS0_14default_configENS1_20scan_config_selectorIN3c107complexIdEEEEZZNS1_9scan_implILNS1_25lookback_scan_determinismE0ELb0ELb0ES3_PKS7_PS7_S7_ZZZN2at6native31launch_logcumsumexp_cuda_kernelERKNSE_10TensorBaseESI_lENKUlvE_clEvENKUlvE1_clEvEUlS7_S7_E_S7_EEDaPvRmT3_T4_T5_mT6_P12ihipStream_tbENKUlT_T0_E_clISt17integral_constantIbLb0EESY_IbLb1EEEEDaSU_SV_EUlSU_E_NS1_11comp_targetILNS1_3genE5ELNS1_11target_archE942ELNS1_3gpuE9ELNS1_3repE0EEENS1_30default_config_static_selectorELNS0_4arch9wavefront6targetE1EEEvT1_.numbered_sgpr, 0
	.set _ZN7rocprim17ROCPRIM_400000_NS6detail17trampoline_kernelINS0_14default_configENS1_20scan_config_selectorIN3c107complexIdEEEEZZNS1_9scan_implILNS1_25lookback_scan_determinismE0ELb0ELb0ES3_PKS7_PS7_S7_ZZZN2at6native31launch_logcumsumexp_cuda_kernelERKNSE_10TensorBaseESI_lENKUlvE_clEvENKUlvE1_clEvEUlS7_S7_E_S7_EEDaPvRmT3_T4_T5_mT6_P12ihipStream_tbENKUlT_T0_E_clISt17integral_constantIbLb0EESY_IbLb1EEEEDaSU_SV_EUlSU_E_NS1_11comp_targetILNS1_3genE5ELNS1_11target_archE942ELNS1_3gpuE9ELNS1_3repE0EEENS1_30default_config_static_selectorELNS0_4arch9wavefront6targetE1EEEvT1_.num_named_barrier, 0
	.set _ZN7rocprim17ROCPRIM_400000_NS6detail17trampoline_kernelINS0_14default_configENS1_20scan_config_selectorIN3c107complexIdEEEEZZNS1_9scan_implILNS1_25lookback_scan_determinismE0ELb0ELb0ES3_PKS7_PS7_S7_ZZZN2at6native31launch_logcumsumexp_cuda_kernelERKNSE_10TensorBaseESI_lENKUlvE_clEvENKUlvE1_clEvEUlS7_S7_E_S7_EEDaPvRmT3_T4_T5_mT6_P12ihipStream_tbENKUlT_T0_E_clISt17integral_constantIbLb0EESY_IbLb1EEEEDaSU_SV_EUlSU_E_NS1_11comp_targetILNS1_3genE5ELNS1_11target_archE942ELNS1_3gpuE9ELNS1_3repE0EEENS1_30default_config_static_selectorELNS0_4arch9wavefront6targetE1EEEvT1_.private_seg_size, 0
	.set _ZN7rocprim17ROCPRIM_400000_NS6detail17trampoline_kernelINS0_14default_configENS1_20scan_config_selectorIN3c107complexIdEEEEZZNS1_9scan_implILNS1_25lookback_scan_determinismE0ELb0ELb0ES3_PKS7_PS7_S7_ZZZN2at6native31launch_logcumsumexp_cuda_kernelERKNSE_10TensorBaseESI_lENKUlvE_clEvENKUlvE1_clEvEUlS7_S7_E_S7_EEDaPvRmT3_T4_T5_mT6_P12ihipStream_tbENKUlT_T0_E_clISt17integral_constantIbLb0EESY_IbLb1EEEEDaSU_SV_EUlSU_E_NS1_11comp_targetILNS1_3genE5ELNS1_11target_archE942ELNS1_3gpuE9ELNS1_3repE0EEENS1_30default_config_static_selectorELNS0_4arch9wavefront6targetE1EEEvT1_.uses_vcc, 0
	.set _ZN7rocprim17ROCPRIM_400000_NS6detail17trampoline_kernelINS0_14default_configENS1_20scan_config_selectorIN3c107complexIdEEEEZZNS1_9scan_implILNS1_25lookback_scan_determinismE0ELb0ELb0ES3_PKS7_PS7_S7_ZZZN2at6native31launch_logcumsumexp_cuda_kernelERKNSE_10TensorBaseESI_lENKUlvE_clEvENKUlvE1_clEvEUlS7_S7_E_S7_EEDaPvRmT3_T4_T5_mT6_P12ihipStream_tbENKUlT_T0_E_clISt17integral_constantIbLb0EESY_IbLb1EEEEDaSU_SV_EUlSU_E_NS1_11comp_targetILNS1_3genE5ELNS1_11target_archE942ELNS1_3gpuE9ELNS1_3repE0EEENS1_30default_config_static_selectorELNS0_4arch9wavefront6targetE1EEEvT1_.uses_flat_scratch, 0
	.set _ZN7rocprim17ROCPRIM_400000_NS6detail17trampoline_kernelINS0_14default_configENS1_20scan_config_selectorIN3c107complexIdEEEEZZNS1_9scan_implILNS1_25lookback_scan_determinismE0ELb0ELb0ES3_PKS7_PS7_S7_ZZZN2at6native31launch_logcumsumexp_cuda_kernelERKNSE_10TensorBaseESI_lENKUlvE_clEvENKUlvE1_clEvEUlS7_S7_E_S7_EEDaPvRmT3_T4_T5_mT6_P12ihipStream_tbENKUlT_T0_E_clISt17integral_constantIbLb0EESY_IbLb1EEEEDaSU_SV_EUlSU_E_NS1_11comp_targetILNS1_3genE5ELNS1_11target_archE942ELNS1_3gpuE9ELNS1_3repE0EEENS1_30default_config_static_selectorELNS0_4arch9wavefront6targetE1EEEvT1_.has_dyn_sized_stack, 0
	.set _ZN7rocprim17ROCPRIM_400000_NS6detail17trampoline_kernelINS0_14default_configENS1_20scan_config_selectorIN3c107complexIdEEEEZZNS1_9scan_implILNS1_25lookback_scan_determinismE0ELb0ELb0ES3_PKS7_PS7_S7_ZZZN2at6native31launch_logcumsumexp_cuda_kernelERKNSE_10TensorBaseESI_lENKUlvE_clEvENKUlvE1_clEvEUlS7_S7_E_S7_EEDaPvRmT3_T4_T5_mT6_P12ihipStream_tbENKUlT_T0_E_clISt17integral_constantIbLb0EESY_IbLb1EEEEDaSU_SV_EUlSU_E_NS1_11comp_targetILNS1_3genE5ELNS1_11target_archE942ELNS1_3gpuE9ELNS1_3repE0EEENS1_30default_config_static_selectorELNS0_4arch9wavefront6targetE1EEEvT1_.has_recursion, 0
	.set _ZN7rocprim17ROCPRIM_400000_NS6detail17trampoline_kernelINS0_14default_configENS1_20scan_config_selectorIN3c107complexIdEEEEZZNS1_9scan_implILNS1_25lookback_scan_determinismE0ELb0ELb0ES3_PKS7_PS7_S7_ZZZN2at6native31launch_logcumsumexp_cuda_kernelERKNSE_10TensorBaseESI_lENKUlvE_clEvENKUlvE1_clEvEUlS7_S7_E_S7_EEDaPvRmT3_T4_T5_mT6_P12ihipStream_tbENKUlT_T0_E_clISt17integral_constantIbLb0EESY_IbLb1EEEEDaSU_SV_EUlSU_E_NS1_11comp_targetILNS1_3genE5ELNS1_11target_archE942ELNS1_3gpuE9ELNS1_3repE0EEENS1_30default_config_static_selectorELNS0_4arch9wavefront6targetE1EEEvT1_.has_indirect_call, 0
	.section	.AMDGPU.csdata,"",@progbits
; Kernel info:
; codeLenInByte = 0
; TotalNumSgprs: 4
; NumVgprs: 0
; ScratchSize: 0
; MemoryBound: 0
; FloatMode: 240
; IeeeMode: 1
; LDSByteSize: 0 bytes/workgroup (compile time only)
; SGPRBlocks: 0
; VGPRBlocks: 0
; NumSGPRsForWavesPerEU: 4
; NumVGPRsForWavesPerEU: 1
; Occupancy: 10
; WaveLimiterHint : 0
; COMPUTE_PGM_RSRC2:SCRATCH_EN: 0
; COMPUTE_PGM_RSRC2:USER_SGPR: 6
; COMPUTE_PGM_RSRC2:TRAP_HANDLER: 0
; COMPUTE_PGM_RSRC2:TGID_X_EN: 1
; COMPUTE_PGM_RSRC2:TGID_Y_EN: 0
; COMPUTE_PGM_RSRC2:TGID_Z_EN: 0
; COMPUTE_PGM_RSRC2:TIDIG_COMP_CNT: 0
	.section	.text._ZN7rocprim17ROCPRIM_400000_NS6detail17trampoline_kernelINS0_14default_configENS1_20scan_config_selectorIN3c107complexIdEEEEZZNS1_9scan_implILNS1_25lookback_scan_determinismE0ELb0ELb0ES3_PKS7_PS7_S7_ZZZN2at6native31launch_logcumsumexp_cuda_kernelERKNSE_10TensorBaseESI_lENKUlvE_clEvENKUlvE1_clEvEUlS7_S7_E_S7_EEDaPvRmT3_T4_T5_mT6_P12ihipStream_tbENKUlT_T0_E_clISt17integral_constantIbLb0EESY_IbLb1EEEEDaSU_SV_EUlSU_E_NS1_11comp_targetILNS1_3genE4ELNS1_11target_archE910ELNS1_3gpuE8ELNS1_3repE0EEENS1_30default_config_static_selectorELNS0_4arch9wavefront6targetE1EEEvT1_,"axG",@progbits,_ZN7rocprim17ROCPRIM_400000_NS6detail17trampoline_kernelINS0_14default_configENS1_20scan_config_selectorIN3c107complexIdEEEEZZNS1_9scan_implILNS1_25lookback_scan_determinismE0ELb0ELb0ES3_PKS7_PS7_S7_ZZZN2at6native31launch_logcumsumexp_cuda_kernelERKNSE_10TensorBaseESI_lENKUlvE_clEvENKUlvE1_clEvEUlS7_S7_E_S7_EEDaPvRmT3_T4_T5_mT6_P12ihipStream_tbENKUlT_T0_E_clISt17integral_constantIbLb0EESY_IbLb1EEEEDaSU_SV_EUlSU_E_NS1_11comp_targetILNS1_3genE4ELNS1_11target_archE910ELNS1_3gpuE8ELNS1_3repE0EEENS1_30default_config_static_selectorELNS0_4arch9wavefront6targetE1EEEvT1_,comdat
	.globl	_ZN7rocprim17ROCPRIM_400000_NS6detail17trampoline_kernelINS0_14default_configENS1_20scan_config_selectorIN3c107complexIdEEEEZZNS1_9scan_implILNS1_25lookback_scan_determinismE0ELb0ELb0ES3_PKS7_PS7_S7_ZZZN2at6native31launch_logcumsumexp_cuda_kernelERKNSE_10TensorBaseESI_lENKUlvE_clEvENKUlvE1_clEvEUlS7_S7_E_S7_EEDaPvRmT3_T4_T5_mT6_P12ihipStream_tbENKUlT_T0_E_clISt17integral_constantIbLb0EESY_IbLb1EEEEDaSU_SV_EUlSU_E_NS1_11comp_targetILNS1_3genE4ELNS1_11target_archE910ELNS1_3gpuE8ELNS1_3repE0EEENS1_30default_config_static_selectorELNS0_4arch9wavefront6targetE1EEEvT1_ ; -- Begin function _ZN7rocprim17ROCPRIM_400000_NS6detail17trampoline_kernelINS0_14default_configENS1_20scan_config_selectorIN3c107complexIdEEEEZZNS1_9scan_implILNS1_25lookback_scan_determinismE0ELb0ELb0ES3_PKS7_PS7_S7_ZZZN2at6native31launch_logcumsumexp_cuda_kernelERKNSE_10TensorBaseESI_lENKUlvE_clEvENKUlvE1_clEvEUlS7_S7_E_S7_EEDaPvRmT3_T4_T5_mT6_P12ihipStream_tbENKUlT_T0_E_clISt17integral_constantIbLb0EESY_IbLb1EEEEDaSU_SV_EUlSU_E_NS1_11comp_targetILNS1_3genE4ELNS1_11target_archE910ELNS1_3gpuE8ELNS1_3repE0EEENS1_30default_config_static_selectorELNS0_4arch9wavefront6targetE1EEEvT1_
	.p2align	8
	.type	_ZN7rocprim17ROCPRIM_400000_NS6detail17trampoline_kernelINS0_14default_configENS1_20scan_config_selectorIN3c107complexIdEEEEZZNS1_9scan_implILNS1_25lookback_scan_determinismE0ELb0ELb0ES3_PKS7_PS7_S7_ZZZN2at6native31launch_logcumsumexp_cuda_kernelERKNSE_10TensorBaseESI_lENKUlvE_clEvENKUlvE1_clEvEUlS7_S7_E_S7_EEDaPvRmT3_T4_T5_mT6_P12ihipStream_tbENKUlT_T0_E_clISt17integral_constantIbLb0EESY_IbLb1EEEEDaSU_SV_EUlSU_E_NS1_11comp_targetILNS1_3genE4ELNS1_11target_archE910ELNS1_3gpuE8ELNS1_3repE0EEENS1_30default_config_static_selectorELNS0_4arch9wavefront6targetE1EEEvT1_,@function
_ZN7rocprim17ROCPRIM_400000_NS6detail17trampoline_kernelINS0_14default_configENS1_20scan_config_selectorIN3c107complexIdEEEEZZNS1_9scan_implILNS1_25lookback_scan_determinismE0ELb0ELb0ES3_PKS7_PS7_S7_ZZZN2at6native31launch_logcumsumexp_cuda_kernelERKNSE_10TensorBaseESI_lENKUlvE_clEvENKUlvE1_clEvEUlS7_S7_E_S7_EEDaPvRmT3_T4_T5_mT6_P12ihipStream_tbENKUlT_T0_E_clISt17integral_constantIbLb0EESY_IbLb1EEEEDaSU_SV_EUlSU_E_NS1_11comp_targetILNS1_3genE4ELNS1_11target_archE910ELNS1_3gpuE8ELNS1_3repE0EEENS1_30default_config_static_selectorELNS0_4arch9wavefront6targetE1EEEvT1_: ; @_ZN7rocprim17ROCPRIM_400000_NS6detail17trampoline_kernelINS0_14default_configENS1_20scan_config_selectorIN3c107complexIdEEEEZZNS1_9scan_implILNS1_25lookback_scan_determinismE0ELb0ELb0ES3_PKS7_PS7_S7_ZZZN2at6native31launch_logcumsumexp_cuda_kernelERKNSE_10TensorBaseESI_lENKUlvE_clEvENKUlvE1_clEvEUlS7_S7_E_S7_EEDaPvRmT3_T4_T5_mT6_P12ihipStream_tbENKUlT_T0_E_clISt17integral_constantIbLb0EESY_IbLb1EEEEDaSU_SV_EUlSU_E_NS1_11comp_targetILNS1_3genE4ELNS1_11target_archE910ELNS1_3gpuE8ELNS1_3repE0EEENS1_30default_config_static_selectorELNS0_4arch9wavefront6targetE1EEEvT1_
; %bb.0:
	.section	.rodata,"a",@progbits
	.p2align	6, 0x0
	.amdhsa_kernel _ZN7rocprim17ROCPRIM_400000_NS6detail17trampoline_kernelINS0_14default_configENS1_20scan_config_selectorIN3c107complexIdEEEEZZNS1_9scan_implILNS1_25lookback_scan_determinismE0ELb0ELb0ES3_PKS7_PS7_S7_ZZZN2at6native31launch_logcumsumexp_cuda_kernelERKNSE_10TensorBaseESI_lENKUlvE_clEvENKUlvE1_clEvEUlS7_S7_E_S7_EEDaPvRmT3_T4_T5_mT6_P12ihipStream_tbENKUlT_T0_E_clISt17integral_constantIbLb0EESY_IbLb1EEEEDaSU_SV_EUlSU_E_NS1_11comp_targetILNS1_3genE4ELNS1_11target_archE910ELNS1_3gpuE8ELNS1_3repE0EEENS1_30default_config_static_selectorELNS0_4arch9wavefront6targetE1EEEvT1_
		.amdhsa_group_segment_fixed_size 0
		.amdhsa_private_segment_fixed_size 0
		.amdhsa_kernarg_size 128
		.amdhsa_user_sgpr_count 6
		.amdhsa_user_sgpr_private_segment_buffer 1
		.amdhsa_user_sgpr_dispatch_ptr 0
		.amdhsa_user_sgpr_queue_ptr 0
		.amdhsa_user_sgpr_kernarg_segment_ptr 1
		.amdhsa_user_sgpr_dispatch_id 0
		.amdhsa_user_sgpr_flat_scratch_init 0
		.amdhsa_user_sgpr_private_segment_size 0
		.amdhsa_uses_dynamic_stack 0
		.amdhsa_system_sgpr_private_segment_wavefront_offset 0
		.amdhsa_system_sgpr_workgroup_id_x 1
		.amdhsa_system_sgpr_workgroup_id_y 0
		.amdhsa_system_sgpr_workgroup_id_z 0
		.amdhsa_system_sgpr_workgroup_info 0
		.amdhsa_system_vgpr_workitem_id 0
		.amdhsa_next_free_vgpr 1
		.amdhsa_next_free_sgpr 0
		.amdhsa_reserve_vcc 0
		.amdhsa_reserve_flat_scratch 0
		.amdhsa_float_round_mode_32 0
		.amdhsa_float_round_mode_16_64 0
		.amdhsa_float_denorm_mode_32 3
		.amdhsa_float_denorm_mode_16_64 3
		.amdhsa_dx10_clamp 1
		.amdhsa_ieee_mode 1
		.amdhsa_fp16_overflow 0
		.amdhsa_exception_fp_ieee_invalid_op 0
		.amdhsa_exception_fp_denorm_src 0
		.amdhsa_exception_fp_ieee_div_zero 0
		.amdhsa_exception_fp_ieee_overflow 0
		.amdhsa_exception_fp_ieee_underflow 0
		.amdhsa_exception_fp_ieee_inexact 0
		.amdhsa_exception_int_div_zero 0
	.end_amdhsa_kernel
	.section	.text._ZN7rocprim17ROCPRIM_400000_NS6detail17trampoline_kernelINS0_14default_configENS1_20scan_config_selectorIN3c107complexIdEEEEZZNS1_9scan_implILNS1_25lookback_scan_determinismE0ELb0ELb0ES3_PKS7_PS7_S7_ZZZN2at6native31launch_logcumsumexp_cuda_kernelERKNSE_10TensorBaseESI_lENKUlvE_clEvENKUlvE1_clEvEUlS7_S7_E_S7_EEDaPvRmT3_T4_T5_mT6_P12ihipStream_tbENKUlT_T0_E_clISt17integral_constantIbLb0EESY_IbLb1EEEEDaSU_SV_EUlSU_E_NS1_11comp_targetILNS1_3genE4ELNS1_11target_archE910ELNS1_3gpuE8ELNS1_3repE0EEENS1_30default_config_static_selectorELNS0_4arch9wavefront6targetE1EEEvT1_,"axG",@progbits,_ZN7rocprim17ROCPRIM_400000_NS6detail17trampoline_kernelINS0_14default_configENS1_20scan_config_selectorIN3c107complexIdEEEEZZNS1_9scan_implILNS1_25lookback_scan_determinismE0ELb0ELb0ES3_PKS7_PS7_S7_ZZZN2at6native31launch_logcumsumexp_cuda_kernelERKNSE_10TensorBaseESI_lENKUlvE_clEvENKUlvE1_clEvEUlS7_S7_E_S7_EEDaPvRmT3_T4_T5_mT6_P12ihipStream_tbENKUlT_T0_E_clISt17integral_constantIbLb0EESY_IbLb1EEEEDaSU_SV_EUlSU_E_NS1_11comp_targetILNS1_3genE4ELNS1_11target_archE910ELNS1_3gpuE8ELNS1_3repE0EEENS1_30default_config_static_selectorELNS0_4arch9wavefront6targetE1EEEvT1_,comdat
.Lfunc_end243:
	.size	_ZN7rocprim17ROCPRIM_400000_NS6detail17trampoline_kernelINS0_14default_configENS1_20scan_config_selectorIN3c107complexIdEEEEZZNS1_9scan_implILNS1_25lookback_scan_determinismE0ELb0ELb0ES3_PKS7_PS7_S7_ZZZN2at6native31launch_logcumsumexp_cuda_kernelERKNSE_10TensorBaseESI_lENKUlvE_clEvENKUlvE1_clEvEUlS7_S7_E_S7_EEDaPvRmT3_T4_T5_mT6_P12ihipStream_tbENKUlT_T0_E_clISt17integral_constantIbLb0EESY_IbLb1EEEEDaSU_SV_EUlSU_E_NS1_11comp_targetILNS1_3genE4ELNS1_11target_archE910ELNS1_3gpuE8ELNS1_3repE0EEENS1_30default_config_static_selectorELNS0_4arch9wavefront6targetE1EEEvT1_, .Lfunc_end243-_ZN7rocprim17ROCPRIM_400000_NS6detail17trampoline_kernelINS0_14default_configENS1_20scan_config_selectorIN3c107complexIdEEEEZZNS1_9scan_implILNS1_25lookback_scan_determinismE0ELb0ELb0ES3_PKS7_PS7_S7_ZZZN2at6native31launch_logcumsumexp_cuda_kernelERKNSE_10TensorBaseESI_lENKUlvE_clEvENKUlvE1_clEvEUlS7_S7_E_S7_EEDaPvRmT3_T4_T5_mT6_P12ihipStream_tbENKUlT_T0_E_clISt17integral_constantIbLb0EESY_IbLb1EEEEDaSU_SV_EUlSU_E_NS1_11comp_targetILNS1_3genE4ELNS1_11target_archE910ELNS1_3gpuE8ELNS1_3repE0EEENS1_30default_config_static_selectorELNS0_4arch9wavefront6targetE1EEEvT1_
                                        ; -- End function
	.set _ZN7rocprim17ROCPRIM_400000_NS6detail17trampoline_kernelINS0_14default_configENS1_20scan_config_selectorIN3c107complexIdEEEEZZNS1_9scan_implILNS1_25lookback_scan_determinismE0ELb0ELb0ES3_PKS7_PS7_S7_ZZZN2at6native31launch_logcumsumexp_cuda_kernelERKNSE_10TensorBaseESI_lENKUlvE_clEvENKUlvE1_clEvEUlS7_S7_E_S7_EEDaPvRmT3_T4_T5_mT6_P12ihipStream_tbENKUlT_T0_E_clISt17integral_constantIbLb0EESY_IbLb1EEEEDaSU_SV_EUlSU_E_NS1_11comp_targetILNS1_3genE4ELNS1_11target_archE910ELNS1_3gpuE8ELNS1_3repE0EEENS1_30default_config_static_selectorELNS0_4arch9wavefront6targetE1EEEvT1_.num_vgpr, 0
	.set _ZN7rocprim17ROCPRIM_400000_NS6detail17trampoline_kernelINS0_14default_configENS1_20scan_config_selectorIN3c107complexIdEEEEZZNS1_9scan_implILNS1_25lookback_scan_determinismE0ELb0ELb0ES3_PKS7_PS7_S7_ZZZN2at6native31launch_logcumsumexp_cuda_kernelERKNSE_10TensorBaseESI_lENKUlvE_clEvENKUlvE1_clEvEUlS7_S7_E_S7_EEDaPvRmT3_T4_T5_mT6_P12ihipStream_tbENKUlT_T0_E_clISt17integral_constantIbLb0EESY_IbLb1EEEEDaSU_SV_EUlSU_E_NS1_11comp_targetILNS1_3genE4ELNS1_11target_archE910ELNS1_3gpuE8ELNS1_3repE0EEENS1_30default_config_static_selectorELNS0_4arch9wavefront6targetE1EEEvT1_.num_agpr, 0
	.set _ZN7rocprim17ROCPRIM_400000_NS6detail17trampoline_kernelINS0_14default_configENS1_20scan_config_selectorIN3c107complexIdEEEEZZNS1_9scan_implILNS1_25lookback_scan_determinismE0ELb0ELb0ES3_PKS7_PS7_S7_ZZZN2at6native31launch_logcumsumexp_cuda_kernelERKNSE_10TensorBaseESI_lENKUlvE_clEvENKUlvE1_clEvEUlS7_S7_E_S7_EEDaPvRmT3_T4_T5_mT6_P12ihipStream_tbENKUlT_T0_E_clISt17integral_constantIbLb0EESY_IbLb1EEEEDaSU_SV_EUlSU_E_NS1_11comp_targetILNS1_3genE4ELNS1_11target_archE910ELNS1_3gpuE8ELNS1_3repE0EEENS1_30default_config_static_selectorELNS0_4arch9wavefront6targetE1EEEvT1_.numbered_sgpr, 0
	.set _ZN7rocprim17ROCPRIM_400000_NS6detail17trampoline_kernelINS0_14default_configENS1_20scan_config_selectorIN3c107complexIdEEEEZZNS1_9scan_implILNS1_25lookback_scan_determinismE0ELb0ELb0ES3_PKS7_PS7_S7_ZZZN2at6native31launch_logcumsumexp_cuda_kernelERKNSE_10TensorBaseESI_lENKUlvE_clEvENKUlvE1_clEvEUlS7_S7_E_S7_EEDaPvRmT3_T4_T5_mT6_P12ihipStream_tbENKUlT_T0_E_clISt17integral_constantIbLb0EESY_IbLb1EEEEDaSU_SV_EUlSU_E_NS1_11comp_targetILNS1_3genE4ELNS1_11target_archE910ELNS1_3gpuE8ELNS1_3repE0EEENS1_30default_config_static_selectorELNS0_4arch9wavefront6targetE1EEEvT1_.num_named_barrier, 0
	.set _ZN7rocprim17ROCPRIM_400000_NS6detail17trampoline_kernelINS0_14default_configENS1_20scan_config_selectorIN3c107complexIdEEEEZZNS1_9scan_implILNS1_25lookback_scan_determinismE0ELb0ELb0ES3_PKS7_PS7_S7_ZZZN2at6native31launch_logcumsumexp_cuda_kernelERKNSE_10TensorBaseESI_lENKUlvE_clEvENKUlvE1_clEvEUlS7_S7_E_S7_EEDaPvRmT3_T4_T5_mT6_P12ihipStream_tbENKUlT_T0_E_clISt17integral_constantIbLb0EESY_IbLb1EEEEDaSU_SV_EUlSU_E_NS1_11comp_targetILNS1_3genE4ELNS1_11target_archE910ELNS1_3gpuE8ELNS1_3repE0EEENS1_30default_config_static_selectorELNS0_4arch9wavefront6targetE1EEEvT1_.private_seg_size, 0
	.set _ZN7rocprim17ROCPRIM_400000_NS6detail17trampoline_kernelINS0_14default_configENS1_20scan_config_selectorIN3c107complexIdEEEEZZNS1_9scan_implILNS1_25lookback_scan_determinismE0ELb0ELb0ES3_PKS7_PS7_S7_ZZZN2at6native31launch_logcumsumexp_cuda_kernelERKNSE_10TensorBaseESI_lENKUlvE_clEvENKUlvE1_clEvEUlS7_S7_E_S7_EEDaPvRmT3_T4_T5_mT6_P12ihipStream_tbENKUlT_T0_E_clISt17integral_constantIbLb0EESY_IbLb1EEEEDaSU_SV_EUlSU_E_NS1_11comp_targetILNS1_3genE4ELNS1_11target_archE910ELNS1_3gpuE8ELNS1_3repE0EEENS1_30default_config_static_selectorELNS0_4arch9wavefront6targetE1EEEvT1_.uses_vcc, 0
	.set _ZN7rocprim17ROCPRIM_400000_NS6detail17trampoline_kernelINS0_14default_configENS1_20scan_config_selectorIN3c107complexIdEEEEZZNS1_9scan_implILNS1_25lookback_scan_determinismE0ELb0ELb0ES3_PKS7_PS7_S7_ZZZN2at6native31launch_logcumsumexp_cuda_kernelERKNSE_10TensorBaseESI_lENKUlvE_clEvENKUlvE1_clEvEUlS7_S7_E_S7_EEDaPvRmT3_T4_T5_mT6_P12ihipStream_tbENKUlT_T0_E_clISt17integral_constantIbLb0EESY_IbLb1EEEEDaSU_SV_EUlSU_E_NS1_11comp_targetILNS1_3genE4ELNS1_11target_archE910ELNS1_3gpuE8ELNS1_3repE0EEENS1_30default_config_static_selectorELNS0_4arch9wavefront6targetE1EEEvT1_.uses_flat_scratch, 0
	.set _ZN7rocprim17ROCPRIM_400000_NS6detail17trampoline_kernelINS0_14default_configENS1_20scan_config_selectorIN3c107complexIdEEEEZZNS1_9scan_implILNS1_25lookback_scan_determinismE0ELb0ELb0ES3_PKS7_PS7_S7_ZZZN2at6native31launch_logcumsumexp_cuda_kernelERKNSE_10TensorBaseESI_lENKUlvE_clEvENKUlvE1_clEvEUlS7_S7_E_S7_EEDaPvRmT3_T4_T5_mT6_P12ihipStream_tbENKUlT_T0_E_clISt17integral_constantIbLb0EESY_IbLb1EEEEDaSU_SV_EUlSU_E_NS1_11comp_targetILNS1_3genE4ELNS1_11target_archE910ELNS1_3gpuE8ELNS1_3repE0EEENS1_30default_config_static_selectorELNS0_4arch9wavefront6targetE1EEEvT1_.has_dyn_sized_stack, 0
	.set _ZN7rocprim17ROCPRIM_400000_NS6detail17trampoline_kernelINS0_14default_configENS1_20scan_config_selectorIN3c107complexIdEEEEZZNS1_9scan_implILNS1_25lookback_scan_determinismE0ELb0ELb0ES3_PKS7_PS7_S7_ZZZN2at6native31launch_logcumsumexp_cuda_kernelERKNSE_10TensorBaseESI_lENKUlvE_clEvENKUlvE1_clEvEUlS7_S7_E_S7_EEDaPvRmT3_T4_T5_mT6_P12ihipStream_tbENKUlT_T0_E_clISt17integral_constantIbLb0EESY_IbLb1EEEEDaSU_SV_EUlSU_E_NS1_11comp_targetILNS1_3genE4ELNS1_11target_archE910ELNS1_3gpuE8ELNS1_3repE0EEENS1_30default_config_static_selectorELNS0_4arch9wavefront6targetE1EEEvT1_.has_recursion, 0
	.set _ZN7rocprim17ROCPRIM_400000_NS6detail17trampoline_kernelINS0_14default_configENS1_20scan_config_selectorIN3c107complexIdEEEEZZNS1_9scan_implILNS1_25lookback_scan_determinismE0ELb0ELb0ES3_PKS7_PS7_S7_ZZZN2at6native31launch_logcumsumexp_cuda_kernelERKNSE_10TensorBaseESI_lENKUlvE_clEvENKUlvE1_clEvEUlS7_S7_E_S7_EEDaPvRmT3_T4_T5_mT6_P12ihipStream_tbENKUlT_T0_E_clISt17integral_constantIbLb0EESY_IbLb1EEEEDaSU_SV_EUlSU_E_NS1_11comp_targetILNS1_3genE4ELNS1_11target_archE910ELNS1_3gpuE8ELNS1_3repE0EEENS1_30default_config_static_selectorELNS0_4arch9wavefront6targetE1EEEvT1_.has_indirect_call, 0
	.section	.AMDGPU.csdata,"",@progbits
; Kernel info:
; codeLenInByte = 0
; TotalNumSgprs: 4
; NumVgprs: 0
; ScratchSize: 0
; MemoryBound: 0
; FloatMode: 240
; IeeeMode: 1
; LDSByteSize: 0 bytes/workgroup (compile time only)
; SGPRBlocks: 0
; VGPRBlocks: 0
; NumSGPRsForWavesPerEU: 4
; NumVGPRsForWavesPerEU: 1
; Occupancy: 10
; WaveLimiterHint : 0
; COMPUTE_PGM_RSRC2:SCRATCH_EN: 0
; COMPUTE_PGM_RSRC2:USER_SGPR: 6
; COMPUTE_PGM_RSRC2:TRAP_HANDLER: 0
; COMPUTE_PGM_RSRC2:TGID_X_EN: 1
; COMPUTE_PGM_RSRC2:TGID_Y_EN: 0
; COMPUTE_PGM_RSRC2:TGID_Z_EN: 0
; COMPUTE_PGM_RSRC2:TIDIG_COMP_CNT: 0
	.section	.text._ZN7rocprim17ROCPRIM_400000_NS6detail17trampoline_kernelINS0_14default_configENS1_20scan_config_selectorIN3c107complexIdEEEEZZNS1_9scan_implILNS1_25lookback_scan_determinismE0ELb0ELb0ES3_PKS7_PS7_S7_ZZZN2at6native31launch_logcumsumexp_cuda_kernelERKNSE_10TensorBaseESI_lENKUlvE_clEvENKUlvE1_clEvEUlS7_S7_E_S7_EEDaPvRmT3_T4_T5_mT6_P12ihipStream_tbENKUlT_T0_E_clISt17integral_constantIbLb0EESY_IbLb1EEEEDaSU_SV_EUlSU_E_NS1_11comp_targetILNS1_3genE3ELNS1_11target_archE908ELNS1_3gpuE7ELNS1_3repE0EEENS1_30default_config_static_selectorELNS0_4arch9wavefront6targetE1EEEvT1_,"axG",@progbits,_ZN7rocprim17ROCPRIM_400000_NS6detail17trampoline_kernelINS0_14default_configENS1_20scan_config_selectorIN3c107complexIdEEEEZZNS1_9scan_implILNS1_25lookback_scan_determinismE0ELb0ELb0ES3_PKS7_PS7_S7_ZZZN2at6native31launch_logcumsumexp_cuda_kernelERKNSE_10TensorBaseESI_lENKUlvE_clEvENKUlvE1_clEvEUlS7_S7_E_S7_EEDaPvRmT3_T4_T5_mT6_P12ihipStream_tbENKUlT_T0_E_clISt17integral_constantIbLb0EESY_IbLb1EEEEDaSU_SV_EUlSU_E_NS1_11comp_targetILNS1_3genE3ELNS1_11target_archE908ELNS1_3gpuE7ELNS1_3repE0EEENS1_30default_config_static_selectorELNS0_4arch9wavefront6targetE1EEEvT1_,comdat
	.globl	_ZN7rocprim17ROCPRIM_400000_NS6detail17trampoline_kernelINS0_14default_configENS1_20scan_config_selectorIN3c107complexIdEEEEZZNS1_9scan_implILNS1_25lookback_scan_determinismE0ELb0ELb0ES3_PKS7_PS7_S7_ZZZN2at6native31launch_logcumsumexp_cuda_kernelERKNSE_10TensorBaseESI_lENKUlvE_clEvENKUlvE1_clEvEUlS7_S7_E_S7_EEDaPvRmT3_T4_T5_mT6_P12ihipStream_tbENKUlT_T0_E_clISt17integral_constantIbLb0EESY_IbLb1EEEEDaSU_SV_EUlSU_E_NS1_11comp_targetILNS1_3genE3ELNS1_11target_archE908ELNS1_3gpuE7ELNS1_3repE0EEENS1_30default_config_static_selectorELNS0_4arch9wavefront6targetE1EEEvT1_ ; -- Begin function _ZN7rocprim17ROCPRIM_400000_NS6detail17trampoline_kernelINS0_14default_configENS1_20scan_config_selectorIN3c107complexIdEEEEZZNS1_9scan_implILNS1_25lookback_scan_determinismE0ELb0ELb0ES3_PKS7_PS7_S7_ZZZN2at6native31launch_logcumsumexp_cuda_kernelERKNSE_10TensorBaseESI_lENKUlvE_clEvENKUlvE1_clEvEUlS7_S7_E_S7_EEDaPvRmT3_T4_T5_mT6_P12ihipStream_tbENKUlT_T0_E_clISt17integral_constantIbLb0EESY_IbLb1EEEEDaSU_SV_EUlSU_E_NS1_11comp_targetILNS1_3genE3ELNS1_11target_archE908ELNS1_3gpuE7ELNS1_3repE0EEENS1_30default_config_static_selectorELNS0_4arch9wavefront6targetE1EEEvT1_
	.p2align	8
	.type	_ZN7rocprim17ROCPRIM_400000_NS6detail17trampoline_kernelINS0_14default_configENS1_20scan_config_selectorIN3c107complexIdEEEEZZNS1_9scan_implILNS1_25lookback_scan_determinismE0ELb0ELb0ES3_PKS7_PS7_S7_ZZZN2at6native31launch_logcumsumexp_cuda_kernelERKNSE_10TensorBaseESI_lENKUlvE_clEvENKUlvE1_clEvEUlS7_S7_E_S7_EEDaPvRmT3_T4_T5_mT6_P12ihipStream_tbENKUlT_T0_E_clISt17integral_constantIbLb0EESY_IbLb1EEEEDaSU_SV_EUlSU_E_NS1_11comp_targetILNS1_3genE3ELNS1_11target_archE908ELNS1_3gpuE7ELNS1_3repE0EEENS1_30default_config_static_selectorELNS0_4arch9wavefront6targetE1EEEvT1_,@function
_ZN7rocprim17ROCPRIM_400000_NS6detail17trampoline_kernelINS0_14default_configENS1_20scan_config_selectorIN3c107complexIdEEEEZZNS1_9scan_implILNS1_25lookback_scan_determinismE0ELb0ELb0ES3_PKS7_PS7_S7_ZZZN2at6native31launch_logcumsumexp_cuda_kernelERKNSE_10TensorBaseESI_lENKUlvE_clEvENKUlvE1_clEvEUlS7_S7_E_S7_EEDaPvRmT3_T4_T5_mT6_P12ihipStream_tbENKUlT_T0_E_clISt17integral_constantIbLb0EESY_IbLb1EEEEDaSU_SV_EUlSU_E_NS1_11comp_targetILNS1_3genE3ELNS1_11target_archE908ELNS1_3gpuE7ELNS1_3repE0EEENS1_30default_config_static_selectorELNS0_4arch9wavefront6targetE1EEEvT1_: ; @_ZN7rocprim17ROCPRIM_400000_NS6detail17trampoline_kernelINS0_14default_configENS1_20scan_config_selectorIN3c107complexIdEEEEZZNS1_9scan_implILNS1_25lookback_scan_determinismE0ELb0ELb0ES3_PKS7_PS7_S7_ZZZN2at6native31launch_logcumsumexp_cuda_kernelERKNSE_10TensorBaseESI_lENKUlvE_clEvENKUlvE1_clEvEUlS7_S7_E_S7_EEDaPvRmT3_T4_T5_mT6_P12ihipStream_tbENKUlT_T0_E_clISt17integral_constantIbLb0EESY_IbLb1EEEEDaSU_SV_EUlSU_E_NS1_11comp_targetILNS1_3genE3ELNS1_11target_archE908ELNS1_3gpuE7ELNS1_3repE0EEENS1_30default_config_static_selectorELNS0_4arch9wavefront6targetE1EEEvT1_
; %bb.0:
	.section	.rodata,"a",@progbits
	.p2align	6, 0x0
	.amdhsa_kernel _ZN7rocprim17ROCPRIM_400000_NS6detail17trampoline_kernelINS0_14default_configENS1_20scan_config_selectorIN3c107complexIdEEEEZZNS1_9scan_implILNS1_25lookback_scan_determinismE0ELb0ELb0ES3_PKS7_PS7_S7_ZZZN2at6native31launch_logcumsumexp_cuda_kernelERKNSE_10TensorBaseESI_lENKUlvE_clEvENKUlvE1_clEvEUlS7_S7_E_S7_EEDaPvRmT3_T4_T5_mT6_P12ihipStream_tbENKUlT_T0_E_clISt17integral_constantIbLb0EESY_IbLb1EEEEDaSU_SV_EUlSU_E_NS1_11comp_targetILNS1_3genE3ELNS1_11target_archE908ELNS1_3gpuE7ELNS1_3repE0EEENS1_30default_config_static_selectorELNS0_4arch9wavefront6targetE1EEEvT1_
		.amdhsa_group_segment_fixed_size 0
		.amdhsa_private_segment_fixed_size 0
		.amdhsa_kernarg_size 128
		.amdhsa_user_sgpr_count 6
		.amdhsa_user_sgpr_private_segment_buffer 1
		.amdhsa_user_sgpr_dispatch_ptr 0
		.amdhsa_user_sgpr_queue_ptr 0
		.amdhsa_user_sgpr_kernarg_segment_ptr 1
		.amdhsa_user_sgpr_dispatch_id 0
		.amdhsa_user_sgpr_flat_scratch_init 0
		.amdhsa_user_sgpr_private_segment_size 0
		.amdhsa_uses_dynamic_stack 0
		.amdhsa_system_sgpr_private_segment_wavefront_offset 0
		.amdhsa_system_sgpr_workgroup_id_x 1
		.amdhsa_system_sgpr_workgroup_id_y 0
		.amdhsa_system_sgpr_workgroup_id_z 0
		.amdhsa_system_sgpr_workgroup_info 0
		.amdhsa_system_vgpr_workitem_id 0
		.amdhsa_next_free_vgpr 1
		.amdhsa_next_free_sgpr 0
		.amdhsa_reserve_vcc 0
		.amdhsa_reserve_flat_scratch 0
		.amdhsa_float_round_mode_32 0
		.amdhsa_float_round_mode_16_64 0
		.amdhsa_float_denorm_mode_32 3
		.amdhsa_float_denorm_mode_16_64 3
		.amdhsa_dx10_clamp 1
		.amdhsa_ieee_mode 1
		.amdhsa_fp16_overflow 0
		.amdhsa_exception_fp_ieee_invalid_op 0
		.amdhsa_exception_fp_denorm_src 0
		.amdhsa_exception_fp_ieee_div_zero 0
		.amdhsa_exception_fp_ieee_overflow 0
		.amdhsa_exception_fp_ieee_underflow 0
		.amdhsa_exception_fp_ieee_inexact 0
		.amdhsa_exception_int_div_zero 0
	.end_amdhsa_kernel
	.section	.text._ZN7rocprim17ROCPRIM_400000_NS6detail17trampoline_kernelINS0_14default_configENS1_20scan_config_selectorIN3c107complexIdEEEEZZNS1_9scan_implILNS1_25lookback_scan_determinismE0ELb0ELb0ES3_PKS7_PS7_S7_ZZZN2at6native31launch_logcumsumexp_cuda_kernelERKNSE_10TensorBaseESI_lENKUlvE_clEvENKUlvE1_clEvEUlS7_S7_E_S7_EEDaPvRmT3_T4_T5_mT6_P12ihipStream_tbENKUlT_T0_E_clISt17integral_constantIbLb0EESY_IbLb1EEEEDaSU_SV_EUlSU_E_NS1_11comp_targetILNS1_3genE3ELNS1_11target_archE908ELNS1_3gpuE7ELNS1_3repE0EEENS1_30default_config_static_selectorELNS0_4arch9wavefront6targetE1EEEvT1_,"axG",@progbits,_ZN7rocprim17ROCPRIM_400000_NS6detail17trampoline_kernelINS0_14default_configENS1_20scan_config_selectorIN3c107complexIdEEEEZZNS1_9scan_implILNS1_25lookback_scan_determinismE0ELb0ELb0ES3_PKS7_PS7_S7_ZZZN2at6native31launch_logcumsumexp_cuda_kernelERKNSE_10TensorBaseESI_lENKUlvE_clEvENKUlvE1_clEvEUlS7_S7_E_S7_EEDaPvRmT3_T4_T5_mT6_P12ihipStream_tbENKUlT_T0_E_clISt17integral_constantIbLb0EESY_IbLb1EEEEDaSU_SV_EUlSU_E_NS1_11comp_targetILNS1_3genE3ELNS1_11target_archE908ELNS1_3gpuE7ELNS1_3repE0EEENS1_30default_config_static_selectorELNS0_4arch9wavefront6targetE1EEEvT1_,comdat
.Lfunc_end244:
	.size	_ZN7rocprim17ROCPRIM_400000_NS6detail17trampoline_kernelINS0_14default_configENS1_20scan_config_selectorIN3c107complexIdEEEEZZNS1_9scan_implILNS1_25lookback_scan_determinismE0ELb0ELb0ES3_PKS7_PS7_S7_ZZZN2at6native31launch_logcumsumexp_cuda_kernelERKNSE_10TensorBaseESI_lENKUlvE_clEvENKUlvE1_clEvEUlS7_S7_E_S7_EEDaPvRmT3_T4_T5_mT6_P12ihipStream_tbENKUlT_T0_E_clISt17integral_constantIbLb0EESY_IbLb1EEEEDaSU_SV_EUlSU_E_NS1_11comp_targetILNS1_3genE3ELNS1_11target_archE908ELNS1_3gpuE7ELNS1_3repE0EEENS1_30default_config_static_selectorELNS0_4arch9wavefront6targetE1EEEvT1_, .Lfunc_end244-_ZN7rocprim17ROCPRIM_400000_NS6detail17trampoline_kernelINS0_14default_configENS1_20scan_config_selectorIN3c107complexIdEEEEZZNS1_9scan_implILNS1_25lookback_scan_determinismE0ELb0ELb0ES3_PKS7_PS7_S7_ZZZN2at6native31launch_logcumsumexp_cuda_kernelERKNSE_10TensorBaseESI_lENKUlvE_clEvENKUlvE1_clEvEUlS7_S7_E_S7_EEDaPvRmT3_T4_T5_mT6_P12ihipStream_tbENKUlT_T0_E_clISt17integral_constantIbLb0EESY_IbLb1EEEEDaSU_SV_EUlSU_E_NS1_11comp_targetILNS1_3genE3ELNS1_11target_archE908ELNS1_3gpuE7ELNS1_3repE0EEENS1_30default_config_static_selectorELNS0_4arch9wavefront6targetE1EEEvT1_
                                        ; -- End function
	.set _ZN7rocprim17ROCPRIM_400000_NS6detail17trampoline_kernelINS0_14default_configENS1_20scan_config_selectorIN3c107complexIdEEEEZZNS1_9scan_implILNS1_25lookback_scan_determinismE0ELb0ELb0ES3_PKS7_PS7_S7_ZZZN2at6native31launch_logcumsumexp_cuda_kernelERKNSE_10TensorBaseESI_lENKUlvE_clEvENKUlvE1_clEvEUlS7_S7_E_S7_EEDaPvRmT3_T4_T5_mT6_P12ihipStream_tbENKUlT_T0_E_clISt17integral_constantIbLb0EESY_IbLb1EEEEDaSU_SV_EUlSU_E_NS1_11comp_targetILNS1_3genE3ELNS1_11target_archE908ELNS1_3gpuE7ELNS1_3repE0EEENS1_30default_config_static_selectorELNS0_4arch9wavefront6targetE1EEEvT1_.num_vgpr, 0
	.set _ZN7rocprim17ROCPRIM_400000_NS6detail17trampoline_kernelINS0_14default_configENS1_20scan_config_selectorIN3c107complexIdEEEEZZNS1_9scan_implILNS1_25lookback_scan_determinismE0ELb0ELb0ES3_PKS7_PS7_S7_ZZZN2at6native31launch_logcumsumexp_cuda_kernelERKNSE_10TensorBaseESI_lENKUlvE_clEvENKUlvE1_clEvEUlS7_S7_E_S7_EEDaPvRmT3_T4_T5_mT6_P12ihipStream_tbENKUlT_T0_E_clISt17integral_constantIbLb0EESY_IbLb1EEEEDaSU_SV_EUlSU_E_NS1_11comp_targetILNS1_3genE3ELNS1_11target_archE908ELNS1_3gpuE7ELNS1_3repE0EEENS1_30default_config_static_selectorELNS0_4arch9wavefront6targetE1EEEvT1_.num_agpr, 0
	.set _ZN7rocprim17ROCPRIM_400000_NS6detail17trampoline_kernelINS0_14default_configENS1_20scan_config_selectorIN3c107complexIdEEEEZZNS1_9scan_implILNS1_25lookback_scan_determinismE0ELb0ELb0ES3_PKS7_PS7_S7_ZZZN2at6native31launch_logcumsumexp_cuda_kernelERKNSE_10TensorBaseESI_lENKUlvE_clEvENKUlvE1_clEvEUlS7_S7_E_S7_EEDaPvRmT3_T4_T5_mT6_P12ihipStream_tbENKUlT_T0_E_clISt17integral_constantIbLb0EESY_IbLb1EEEEDaSU_SV_EUlSU_E_NS1_11comp_targetILNS1_3genE3ELNS1_11target_archE908ELNS1_3gpuE7ELNS1_3repE0EEENS1_30default_config_static_selectorELNS0_4arch9wavefront6targetE1EEEvT1_.numbered_sgpr, 0
	.set _ZN7rocprim17ROCPRIM_400000_NS6detail17trampoline_kernelINS0_14default_configENS1_20scan_config_selectorIN3c107complexIdEEEEZZNS1_9scan_implILNS1_25lookback_scan_determinismE0ELb0ELb0ES3_PKS7_PS7_S7_ZZZN2at6native31launch_logcumsumexp_cuda_kernelERKNSE_10TensorBaseESI_lENKUlvE_clEvENKUlvE1_clEvEUlS7_S7_E_S7_EEDaPvRmT3_T4_T5_mT6_P12ihipStream_tbENKUlT_T0_E_clISt17integral_constantIbLb0EESY_IbLb1EEEEDaSU_SV_EUlSU_E_NS1_11comp_targetILNS1_3genE3ELNS1_11target_archE908ELNS1_3gpuE7ELNS1_3repE0EEENS1_30default_config_static_selectorELNS0_4arch9wavefront6targetE1EEEvT1_.num_named_barrier, 0
	.set _ZN7rocprim17ROCPRIM_400000_NS6detail17trampoline_kernelINS0_14default_configENS1_20scan_config_selectorIN3c107complexIdEEEEZZNS1_9scan_implILNS1_25lookback_scan_determinismE0ELb0ELb0ES3_PKS7_PS7_S7_ZZZN2at6native31launch_logcumsumexp_cuda_kernelERKNSE_10TensorBaseESI_lENKUlvE_clEvENKUlvE1_clEvEUlS7_S7_E_S7_EEDaPvRmT3_T4_T5_mT6_P12ihipStream_tbENKUlT_T0_E_clISt17integral_constantIbLb0EESY_IbLb1EEEEDaSU_SV_EUlSU_E_NS1_11comp_targetILNS1_3genE3ELNS1_11target_archE908ELNS1_3gpuE7ELNS1_3repE0EEENS1_30default_config_static_selectorELNS0_4arch9wavefront6targetE1EEEvT1_.private_seg_size, 0
	.set _ZN7rocprim17ROCPRIM_400000_NS6detail17trampoline_kernelINS0_14default_configENS1_20scan_config_selectorIN3c107complexIdEEEEZZNS1_9scan_implILNS1_25lookback_scan_determinismE0ELb0ELb0ES3_PKS7_PS7_S7_ZZZN2at6native31launch_logcumsumexp_cuda_kernelERKNSE_10TensorBaseESI_lENKUlvE_clEvENKUlvE1_clEvEUlS7_S7_E_S7_EEDaPvRmT3_T4_T5_mT6_P12ihipStream_tbENKUlT_T0_E_clISt17integral_constantIbLb0EESY_IbLb1EEEEDaSU_SV_EUlSU_E_NS1_11comp_targetILNS1_3genE3ELNS1_11target_archE908ELNS1_3gpuE7ELNS1_3repE0EEENS1_30default_config_static_selectorELNS0_4arch9wavefront6targetE1EEEvT1_.uses_vcc, 0
	.set _ZN7rocprim17ROCPRIM_400000_NS6detail17trampoline_kernelINS0_14default_configENS1_20scan_config_selectorIN3c107complexIdEEEEZZNS1_9scan_implILNS1_25lookback_scan_determinismE0ELb0ELb0ES3_PKS7_PS7_S7_ZZZN2at6native31launch_logcumsumexp_cuda_kernelERKNSE_10TensorBaseESI_lENKUlvE_clEvENKUlvE1_clEvEUlS7_S7_E_S7_EEDaPvRmT3_T4_T5_mT6_P12ihipStream_tbENKUlT_T0_E_clISt17integral_constantIbLb0EESY_IbLb1EEEEDaSU_SV_EUlSU_E_NS1_11comp_targetILNS1_3genE3ELNS1_11target_archE908ELNS1_3gpuE7ELNS1_3repE0EEENS1_30default_config_static_selectorELNS0_4arch9wavefront6targetE1EEEvT1_.uses_flat_scratch, 0
	.set _ZN7rocprim17ROCPRIM_400000_NS6detail17trampoline_kernelINS0_14default_configENS1_20scan_config_selectorIN3c107complexIdEEEEZZNS1_9scan_implILNS1_25lookback_scan_determinismE0ELb0ELb0ES3_PKS7_PS7_S7_ZZZN2at6native31launch_logcumsumexp_cuda_kernelERKNSE_10TensorBaseESI_lENKUlvE_clEvENKUlvE1_clEvEUlS7_S7_E_S7_EEDaPvRmT3_T4_T5_mT6_P12ihipStream_tbENKUlT_T0_E_clISt17integral_constantIbLb0EESY_IbLb1EEEEDaSU_SV_EUlSU_E_NS1_11comp_targetILNS1_3genE3ELNS1_11target_archE908ELNS1_3gpuE7ELNS1_3repE0EEENS1_30default_config_static_selectorELNS0_4arch9wavefront6targetE1EEEvT1_.has_dyn_sized_stack, 0
	.set _ZN7rocprim17ROCPRIM_400000_NS6detail17trampoline_kernelINS0_14default_configENS1_20scan_config_selectorIN3c107complexIdEEEEZZNS1_9scan_implILNS1_25lookback_scan_determinismE0ELb0ELb0ES3_PKS7_PS7_S7_ZZZN2at6native31launch_logcumsumexp_cuda_kernelERKNSE_10TensorBaseESI_lENKUlvE_clEvENKUlvE1_clEvEUlS7_S7_E_S7_EEDaPvRmT3_T4_T5_mT6_P12ihipStream_tbENKUlT_T0_E_clISt17integral_constantIbLb0EESY_IbLb1EEEEDaSU_SV_EUlSU_E_NS1_11comp_targetILNS1_3genE3ELNS1_11target_archE908ELNS1_3gpuE7ELNS1_3repE0EEENS1_30default_config_static_selectorELNS0_4arch9wavefront6targetE1EEEvT1_.has_recursion, 0
	.set _ZN7rocprim17ROCPRIM_400000_NS6detail17trampoline_kernelINS0_14default_configENS1_20scan_config_selectorIN3c107complexIdEEEEZZNS1_9scan_implILNS1_25lookback_scan_determinismE0ELb0ELb0ES3_PKS7_PS7_S7_ZZZN2at6native31launch_logcumsumexp_cuda_kernelERKNSE_10TensorBaseESI_lENKUlvE_clEvENKUlvE1_clEvEUlS7_S7_E_S7_EEDaPvRmT3_T4_T5_mT6_P12ihipStream_tbENKUlT_T0_E_clISt17integral_constantIbLb0EESY_IbLb1EEEEDaSU_SV_EUlSU_E_NS1_11comp_targetILNS1_3genE3ELNS1_11target_archE908ELNS1_3gpuE7ELNS1_3repE0EEENS1_30default_config_static_selectorELNS0_4arch9wavefront6targetE1EEEvT1_.has_indirect_call, 0
	.section	.AMDGPU.csdata,"",@progbits
; Kernel info:
; codeLenInByte = 0
; TotalNumSgprs: 4
; NumVgprs: 0
; ScratchSize: 0
; MemoryBound: 0
; FloatMode: 240
; IeeeMode: 1
; LDSByteSize: 0 bytes/workgroup (compile time only)
; SGPRBlocks: 0
; VGPRBlocks: 0
; NumSGPRsForWavesPerEU: 4
; NumVGPRsForWavesPerEU: 1
; Occupancy: 10
; WaveLimiterHint : 0
; COMPUTE_PGM_RSRC2:SCRATCH_EN: 0
; COMPUTE_PGM_RSRC2:USER_SGPR: 6
; COMPUTE_PGM_RSRC2:TRAP_HANDLER: 0
; COMPUTE_PGM_RSRC2:TGID_X_EN: 1
; COMPUTE_PGM_RSRC2:TGID_Y_EN: 0
; COMPUTE_PGM_RSRC2:TGID_Z_EN: 0
; COMPUTE_PGM_RSRC2:TIDIG_COMP_CNT: 0
	.section	.text._ZN7rocprim17ROCPRIM_400000_NS6detail17trampoline_kernelINS0_14default_configENS1_20scan_config_selectorIN3c107complexIdEEEEZZNS1_9scan_implILNS1_25lookback_scan_determinismE0ELb0ELb0ES3_PKS7_PS7_S7_ZZZN2at6native31launch_logcumsumexp_cuda_kernelERKNSE_10TensorBaseESI_lENKUlvE_clEvENKUlvE1_clEvEUlS7_S7_E_S7_EEDaPvRmT3_T4_T5_mT6_P12ihipStream_tbENKUlT_T0_E_clISt17integral_constantIbLb0EESY_IbLb1EEEEDaSU_SV_EUlSU_E_NS1_11comp_targetILNS1_3genE2ELNS1_11target_archE906ELNS1_3gpuE6ELNS1_3repE0EEENS1_30default_config_static_selectorELNS0_4arch9wavefront6targetE1EEEvT1_,"axG",@progbits,_ZN7rocprim17ROCPRIM_400000_NS6detail17trampoline_kernelINS0_14default_configENS1_20scan_config_selectorIN3c107complexIdEEEEZZNS1_9scan_implILNS1_25lookback_scan_determinismE0ELb0ELb0ES3_PKS7_PS7_S7_ZZZN2at6native31launch_logcumsumexp_cuda_kernelERKNSE_10TensorBaseESI_lENKUlvE_clEvENKUlvE1_clEvEUlS7_S7_E_S7_EEDaPvRmT3_T4_T5_mT6_P12ihipStream_tbENKUlT_T0_E_clISt17integral_constantIbLb0EESY_IbLb1EEEEDaSU_SV_EUlSU_E_NS1_11comp_targetILNS1_3genE2ELNS1_11target_archE906ELNS1_3gpuE6ELNS1_3repE0EEENS1_30default_config_static_selectorELNS0_4arch9wavefront6targetE1EEEvT1_,comdat
	.globl	_ZN7rocprim17ROCPRIM_400000_NS6detail17trampoline_kernelINS0_14default_configENS1_20scan_config_selectorIN3c107complexIdEEEEZZNS1_9scan_implILNS1_25lookback_scan_determinismE0ELb0ELb0ES3_PKS7_PS7_S7_ZZZN2at6native31launch_logcumsumexp_cuda_kernelERKNSE_10TensorBaseESI_lENKUlvE_clEvENKUlvE1_clEvEUlS7_S7_E_S7_EEDaPvRmT3_T4_T5_mT6_P12ihipStream_tbENKUlT_T0_E_clISt17integral_constantIbLb0EESY_IbLb1EEEEDaSU_SV_EUlSU_E_NS1_11comp_targetILNS1_3genE2ELNS1_11target_archE906ELNS1_3gpuE6ELNS1_3repE0EEENS1_30default_config_static_selectorELNS0_4arch9wavefront6targetE1EEEvT1_ ; -- Begin function _ZN7rocprim17ROCPRIM_400000_NS6detail17trampoline_kernelINS0_14default_configENS1_20scan_config_selectorIN3c107complexIdEEEEZZNS1_9scan_implILNS1_25lookback_scan_determinismE0ELb0ELb0ES3_PKS7_PS7_S7_ZZZN2at6native31launch_logcumsumexp_cuda_kernelERKNSE_10TensorBaseESI_lENKUlvE_clEvENKUlvE1_clEvEUlS7_S7_E_S7_EEDaPvRmT3_T4_T5_mT6_P12ihipStream_tbENKUlT_T0_E_clISt17integral_constantIbLb0EESY_IbLb1EEEEDaSU_SV_EUlSU_E_NS1_11comp_targetILNS1_3genE2ELNS1_11target_archE906ELNS1_3gpuE6ELNS1_3repE0EEENS1_30default_config_static_selectorELNS0_4arch9wavefront6targetE1EEEvT1_
	.p2align	8
	.type	_ZN7rocprim17ROCPRIM_400000_NS6detail17trampoline_kernelINS0_14default_configENS1_20scan_config_selectorIN3c107complexIdEEEEZZNS1_9scan_implILNS1_25lookback_scan_determinismE0ELb0ELb0ES3_PKS7_PS7_S7_ZZZN2at6native31launch_logcumsumexp_cuda_kernelERKNSE_10TensorBaseESI_lENKUlvE_clEvENKUlvE1_clEvEUlS7_S7_E_S7_EEDaPvRmT3_T4_T5_mT6_P12ihipStream_tbENKUlT_T0_E_clISt17integral_constantIbLb0EESY_IbLb1EEEEDaSU_SV_EUlSU_E_NS1_11comp_targetILNS1_3genE2ELNS1_11target_archE906ELNS1_3gpuE6ELNS1_3repE0EEENS1_30default_config_static_selectorELNS0_4arch9wavefront6targetE1EEEvT1_,@function
_ZN7rocprim17ROCPRIM_400000_NS6detail17trampoline_kernelINS0_14default_configENS1_20scan_config_selectorIN3c107complexIdEEEEZZNS1_9scan_implILNS1_25lookback_scan_determinismE0ELb0ELb0ES3_PKS7_PS7_S7_ZZZN2at6native31launch_logcumsumexp_cuda_kernelERKNSE_10TensorBaseESI_lENKUlvE_clEvENKUlvE1_clEvEUlS7_S7_E_S7_EEDaPvRmT3_T4_T5_mT6_P12ihipStream_tbENKUlT_T0_E_clISt17integral_constantIbLb0EESY_IbLb1EEEEDaSU_SV_EUlSU_E_NS1_11comp_targetILNS1_3genE2ELNS1_11target_archE906ELNS1_3gpuE6ELNS1_3repE0EEENS1_30default_config_static_selectorELNS0_4arch9wavefront6targetE1EEEvT1_: ; @_ZN7rocprim17ROCPRIM_400000_NS6detail17trampoline_kernelINS0_14default_configENS1_20scan_config_selectorIN3c107complexIdEEEEZZNS1_9scan_implILNS1_25lookback_scan_determinismE0ELb0ELb0ES3_PKS7_PS7_S7_ZZZN2at6native31launch_logcumsumexp_cuda_kernelERKNSE_10TensorBaseESI_lENKUlvE_clEvENKUlvE1_clEvEUlS7_S7_E_S7_EEDaPvRmT3_T4_T5_mT6_P12ihipStream_tbENKUlT_T0_E_clISt17integral_constantIbLb0EESY_IbLb1EEEEDaSU_SV_EUlSU_E_NS1_11comp_targetILNS1_3genE2ELNS1_11target_archE906ELNS1_3gpuE6ELNS1_3repE0EEENS1_30default_config_static_selectorELNS0_4arch9wavefront6targetE1EEEvT1_
; %bb.0:
	s_load_dwordx4 s[60:63], s[4:5], 0x38
	s_load_dwordx2 s[64:65], s[4:5], 0x48
	s_add_u32 s0, s0, s7
	v_mov_b32_e32 v167, v0
	s_addc_u32 s1, s1, 0
	v_cmp_ne_u32_e64 s[36:37], 0, v167
	v_cmp_eq_u32_e64 s[38:39], 0, v167
	s_mov_b32 s32, 0
	s_and_saveexec_b64 s[6:7], s[38:39]
	s_cbranch_execz .LBB245_4
; %bb.1:
	s_mov_b64 s[10:11], exec
	v_mbcnt_lo_u32_b32 v0, s10, 0
	v_mbcnt_hi_u32_b32 v0, s11, v0
	v_cmp_eq_u32_e32 vcc, 0, v0
                                        ; implicit-def: $vgpr1
	s_and_saveexec_b64 s[8:9], vcc
	s_cbranch_execz .LBB245_3
; %bb.2:
	s_load_dwordx2 s[12:13], s[4:5], 0x78
	s_bcnt1_i32_b64 s10, s[10:11]
	v_mov_b32_e32 v1, 0
	v_mov_b32_e32 v2, s10
	s_waitcnt lgkmcnt(0)
	global_atomic_add v1, v1, v2, s[12:13] glc
.LBB245_3:
	s_or_b64 exec, exec, s[8:9]
	s_waitcnt vmcnt(0)
	v_readfirstlane_b32 s8, v1
	v_add_u32_e32 v0, s8, v0
	v_mov_b32_e32 v1, 0
	ds_write_b32 v1, v0
.LBB245_4:
	s_or_b64 exec, exec, s[6:7]
	s_load_dwordx8 s[52:59], s[4:5], 0x0
	s_load_dword s6, s[4:5], 0x50
	s_load_dwordx8 s[44:51], s[4:5], 0x58
	v_mov_b32_e32 v0, 0
	s_waitcnt lgkmcnt(0)
	; wave barrier
	ds_read_b32 v0, v0
	s_lshl_b64 s[54:55], s[54:55], 4
	s_add_u32 s7, s52, s54
	s_addc_u32 s8, s53, s55
	s_add_i32 s6, s6, -1
	s_waitcnt lgkmcnt(0)
	v_readfirstlane_b32 s66, v0
	s_mul_i32 s9, s6, 0x3c0
	s_mov_b32 s5, 0
	s_mul_i32 s4, s66, 0x3c0
	s_sub_u32 s33, s58, s9
	s_subb_u32 s41, s59, 0
	s_lshl_b64 s[52:53], s[4:5], 4
	v_cmp_ne_u32_e64 s[34:35], s6, v0
	s_add_u32 s6, s7, s52
	s_addc_u32 s7, s8, s53
	s_mov_b64 s[4:5], -1
	s_and_b64 vcc, exec, s[34:35]
	v_lshlrev_b32_e32 v169, 4, v167
	; wave barrier
	s_cbranch_vccz .LBB245_6
; %bb.5:
	v_mov_b32_e32 v0, s7
	v_add_co_u32_e32 v50, vcc, s6, v169
	v_addc_co_u32_e32 v51, vcc, 0, v0, vcc
	v_add_co_u32_e32 v32, vcc, 0x1000, v50
	v_addc_co_u32_e32 v33, vcc, 0, v51, vcc
	;; [unrolled: 2-line block ×4, first 2 shown]
	global_load_dwordx4 v[0:3], v169, s[6:7]
	global_load_dwordx4 v[4:7], v169, s[6:7] offset:1024
	global_load_dwordx4 v[8:11], v169, s[6:7] offset:2048
	global_load_dwordx4 v[12:15], v169, s[6:7] offset:3072
	global_load_dwordx4 v[16:19], v[32:33], off
	global_load_dwordx4 v[20:23], v[32:33], off offset:1024
	global_load_dwordx4 v[24:27], v[32:33], off offset:2048
	;; [unrolled: 1-line block ×3, first 2 shown]
	s_nop 0
	global_load_dwordx4 v[32:35], v[48:49], off
	global_load_dwordx4 v[36:39], v[48:49], off offset:1024
	global_load_dwordx4 v[40:43], v[48:49], off offset:2048
	;; [unrolled: 1-line block ×3, first 2 shown]
	s_nop 0
	global_load_dwordx4 v[48:51], v[60:61], off
	global_load_dwordx4 v[52:55], v[60:61], off offset:1024
	global_load_dwordx4 v[56:59], v[60:61], off offset:2048
	s_mov_b64 s[4:5], 0
	s_waitcnt vmcnt(14)
	ds_write_b128 v169, v[0:3]
	s_waitcnt vmcnt(13)
	ds_write_b128 v169, v[4:7] offset:1024
	s_waitcnt vmcnt(12)
	ds_write_b128 v169, v[8:11] offset:2048
	;; [unrolled: 2-line block ×14, first 2 shown]
	s_waitcnt lgkmcnt(0)
	; wave barrier
.LBB245_6:
	s_andn2_b64 vcc, exec, s[4:5]
	v_cmp_gt_u32_e64 s[4:5], s33, v167
	s_cbranch_vccnz .LBB245_38
; %bb.7:
	v_mov_b32_e32 v0, 0
	global_load_dwordx4 v[0:3], v0, s[6:7]
	s_waitcnt vmcnt(0)
	v_mov_b32_e32 v7, v3
	v_mov_b32_e32 v5, v1
	;; [unrolled: 1-line block ×4, first 2 shown]
	s_and_saveexec_b64 s[8:9], s[4:5]
	s_cbranch_execz .LBB245_9
; %bb.8:
	global_load_dwordx4 v[4:7], v169, s[6:7]
.LBB245_9:
	s_or_b64 exec, exec, s[8:9]
	v_or_b32_e32 v8, 64, v167
	v_cmp_gt_u32_e32 vcc, s33, v8
	v_mov_b32_e32 v11, v3
	v_mov_b32_e32 v9, v1
	v_mov_b32_e32 v10, v2
	v_mov_b32_e32 v8, v0
	s_and_saveexec_b64 s[4:5], vcc
	s_cbranch_execz .LBB245_11
; %bb.10:
	global_load_dwordx4 v[8:11], v169, s[6:7] offset:1024
.LBB245_11:
	s_or_b64 exec, exec, s[4:5]
	v_or_b32_e32 v12, 0x80, v167
	v_cmp_gt_u32_e32 vcc, s33, v12
	v_mov_b32_e32 v15, v3
	v_mov_b32_e32 v13, v1
	v_mov_b32_e32 v14, v2
	v_mov_b32_e32 v12, v0
	s_and_saveexec_b64 s[4:5], vcc
	s_cbranch_execz .LBB245_13
; %bb.12:
	global_load_dwordx4 v[12:15], v169, s[6:7] offset:2048
.LBB245_13:
	;; [unrolled: 12-line block ×3, first 2 shown]
	s_or_b64 exec, exec, s[4:5]
	v_or_b32_e32 v24, 0x100, v167
	v_mov_b32_e32 v23, v3
	v_mov_b32_e32 v21, v1
	v_cmp_gt_u32_e32 vcc, s33, v24
	v_mov_b32_e32 v22, v2
	v_mov_b32_e32 v20, v0
	s_and_saveexec_b64 s[4:5], vcc
	s_cbranch_execz .LBB245_17
; %bb.16:
	v_lshlrev_b32_e32 v20, 4, v24
	global_load_dwordx4 v[20:23], v20, s[6:7]
.LBB245_17:
	s_or_b64 exec, exec, s[4:5]
	v_or_b32_e32 v28, 0x140, v167
	v_mov_b32_e32 v27, v3
	v_mov_b32_e32 v25, v1
	v_cmp_gt_u32_e32 vcc, s33, v28
	v_mov_b32_e32 v26, v2
	v_mov_b32_e32 v24, v0
	s_and_saveexec_b64 s[4:5], vcc
	s_cbranch_execz .LBB245_19
; %bb.18:
	v_lshlrev_b32_e32 v24, 4, v28
	global_load_dwordx4 v[24:27], v24, s[6:7]
.LBB245_19:
	;; [unrolled: 13-line block ×10, first 2 shown]
	s_or_b64 exec, exec, s[4:5]
	v_or_b32_e32 v60, 0x380, v167
	v_cmp_gt_u32_e32 vcc, s33, v60
	s_and_saveexec_b64 s[4:5], vcc
	s_cbranch_execz .LBB245_37
; %bb.36:
	v_lshlrev_b32_e32 v0, 4, v60
	global_load_dwordx4 v[0:3], v0, s[6:7]
.LBB245_37:
	s_or_b64 exec, exec, s[4:5]
	s_waitcnt vmcnt(0)
	ds_write_b128 v169, v[4:7]
	ds_write_b128 v169, v[8:11] offset:1024
	ds_write_b128 v169, v[12:15] offset:2048
	ds_write_b128 v169, v[16:19] offset:3072
	ds_write_b128 v169, v[20:23] offset:4096
	ds_write_b128 v169, v[24:27] offset:5120
	ds_write_b128 v169, v[28:31] offset:6144
	ds_write_b128 v169, v[32:35] offset:7168
	ds_write_b128 v169, v[36:39] offset:8192
	ds_write_b128 v169, v[40:43] offset:9216
	ds_write_b128 v169, v[44:47] offset:10240
	ds_write_b128 v169, v[48:51] offset:11264
	ds_write_b128 v169, v[52:55] offset:12288
	ds_write_b128 v169, v[56:59] offset:13312
	ds_write_b128 v169, v[0:3] offset:14336
	s_waitcnt lgkmcnt(0)
	; wave barrier
.LBB245_38:
	v_mul_u32_u24_e32 v170, 0xf0, v167
	ds_read_b128 v[40:43], v170
	ds_read_b128 v[103:106], v170 offset:16
	ds_read_b128 v[99:102], v170 offset:32
	;; [unrolled: 1-line block ×14, first 2 shown]
	s_cmp_lg_u32 s66, 0
	s_waitcnt lgkmcnt(0)
	; wave barrier
	s_cbranch_scc0 .LBB245_98
; %bb.39:
	s_getpc_b64 s[42:43]
	s_add_u32 s42, s42, _ZZZZN2at6native31launch_logcumsumexp_cuda_kernelERKNS_10TensorBaseES3_lENKUlvE_clEvENKUlvE1_clEvENKUlN3c107complexIdEES8_E_clES8_S8_@rel32@lo+4
	s_addc_u32 s43, s43, _ZZZZN2at6native31launch_logcumsumexp_cuda_kernelERKNS_10TensorBaseES3_lENKUlvE_clEvENKUlvE1_clEvENKUlN3c107complexIdEES8_E_clES8_S8_@rel32@hi+12
	v_mov_b32_e32 v0, v40
	v_mov_b32_e32 v1, v41
	;; [unrolled: 1-line block ×8, first 2 shown]
	s_swappc_b64 s[30:31], s[42:43]
	v_mov_b32_e32 v4, v99
	v_mov_b32_e32 v5, v100
	v_mov_b32_e32 v6, v101
	v_mov_b32_e32 v7, v102
	s_swappc_b64 s[30:31], s[42:43]
	v_mov_b32_e32 v4, v95
	v_mov_b32_e32 v5, v96
	v_mov_b32_e32 v6, v97
	v_mov_b32_e32 v7, v98
	;; [unrolled: 5-line block ×13, first 2 shown]
	s_swappc_b64 s[30:31], s[42:43]
	v_mov_b32_e32 v4, v0
	v_mbcnt_lo_u32_b32 v0, -1, 0
	v_mbcnt_hi_u32_b32 v111, -1, v0
	v_mov_b32_e32 v5, v1
	v_mov_b32_e32 v6, v2
	;; [unrolled: 1-line block ×3, first 2 shown]
	v_and_b32_e32 v107, 15, v111
	v_mov_b32_dpp v0, v4 row_shr:1 row_mask:0xf bank_mask:0xf
	v_mov_b32_dpp v1, v5 row_shr:1 row_mask:0xf bank_mask:0xf
	;; [unrolled: 1-line block ×4, first 2 shown]
	v_cmp_ne_u32_e32 vcc, 0, v107
	s_and_saveexec_b64 s[58:59], vcc
	s_cbranch_execz .LBB245_41
; %bb.40:
	s_swappc_b64 s[30:31], s[42:43]
	v_mov_b32_e32 v4, v0
	v_mov_b32_e32 v5, v1
	v_mov_b32_e32 v6, v2
	v_mov_b32_e32 v7, v3
.LBB245_41:
	s_or_b64 exec, exec, s[58:59]
	v_mov_b32_dpp v0, v4 row_shr:2 row_mask:0xf bank_mask:0xf
	v_mov_b32_dpp v1, v5 row_shr:2 row_mask:0xf bank_mask:0xf
	v_mov_b32_dpp v2, v6 row_shr:2 row_mask:0xf bank_mask:0xf
	v_mov_b32_dpp v3, v7 row_shr:2 row_mask:0xf bank_mask:0xf
	v_cmp_lt_u32_e32 vcc, 1, v107
	s_and_saveexec_b64 s[42:43], vcc
	s_cbranch_execz .LBB245_43
; %bb.42:
	s_getpc_b64 s[4:5]
	s_add_u32 s4, s4, _ZZZZN2at6native31launch_logcumsumexp_cuda_kernelERKNS_10TensorBaseES3_lENKUlvE_clEvENKUlvE1_clEvENKUlN3c107complexIdEES8_E_clES8_S8_@rel32@lo+4
	s_addc_u32 s5, s5, _ZZZZN2at6native31launch_logcumsumexp_cuda_kernelERKNS_10TensorBaseES3_lENKUlvE_clEvENKUlvE1_clEvENKUlN3c107complexIdEES8_E_clES8_S8_@rel32@hi+12
	s_swappc_b64 s[30:31], s[4:5]
	v_mov_b32_e32 v4, v0
	v_mov_b32_e32 v5, v1
	v_mov_b32_e32 v6, v2
	v_mov_b32_e32 v7, v3
.LBB245_43:
	s_or_b64 exec, exec, s[42:43]
	v_mov_b32_dpp v0, v4 row_shr:4 row_mask:0xf bank_mask:0xf
	v_mov_b32_dpp v1, v5 row_shr:4 row_mask:0xf bank_mask:0xf
	v_mov_b32_dpp v2, v6 row_shr:4 row_mask:0xf bank_mask:0xf
	v_mov_b32_dpp v3, v7 row_shr:4 row_mask:0xf bank_mask:0xf
	v_cmp_lt_u32_e32 vcc, 3, v107
	s_and_saveexec_b64 s[42:43], vcc
	s_cbranch_execz .LBB245_45
; %bb.44:
	s_getpc_b64 s[4:5]
	s_add_u32 s4, s4, _ZZZZN2at6native31launch_logcumsumexp_cuda_kernelERKNS_10TensorBaseES3_lENKUlvE_clEvENKUlvE1_clEvENKUlN3c107complexIdEES8_E_clES8_S8_@rel32@lo+4
	s_addc_u32 s5, s5, _ZZZZN2at6native31launch_logcumsumexp_cuda_kernelERKNS_10TensorBaseES3_lENKUlvE_clEvENKUlvE1_clEvENKUlN3c107complexIdEES8_E_clES8_S8_@rel32@hi+12
	s_swappc_b64 s[30:31], s[4:5]
	v_mov_b32_e32 v4, v0
	v_mov_b32_e32 v5, v1
	v_mov_b32_e32 v6, v2
	v_mov_b32_e32 v7, v3
.LBB245_45:
	;; [unrolled: 18-line block ×3, first 2 shown]
	s_or_b64 exec, exec, s[42:43]
	v_and_b32_e32 v8, 16, v111
	v_mov_b32_dpp v0, v4 row_bcast:15 row_mask:0xf bank_mask:0xf
	v_mov_b32_dpp v1, v5 row_bcast:15 row_mask:0xf bank_mask:0xf
	;; [unrolled: 1-line block ×4, first 2 shown]
	v_cmp_ne_u32_e32 vcc, 0, v8
	s_and_saveexec_b64 s[42:43], vcc
	s_cbranch_execz .LBB245_49
; %bb.48:
	s_getpc_b64 s[4:5]
	s_add_u32 s4, s4, _ZZZZN2at6native31launch_logcumsumexp_cuda_kernelERKNS_10TensorBaseES3_lENKUlvE_clEvENKUlvE1_clEvENKUlN3c107complexIdEES8_E_clES8_S8_@rel32@lo+4
	s_addc_u32 s5, s5, _ZZZZN2at6native31launch_logcumsumexp_cuda_kernelERKNS_10TensorBaseES3_lENKUlvE_clEvENKUlvE1_clEvENKUlN3c107complexIdEES8_E_clES8_S8_@rel32@hi+12
	s_swappc_b64 s[30:31], s[4:5]
	v_mov_b32_e32 v4, v0
	v_mov_b32_e32 v5, v1
	;; [unrolled: 1-line block ×4, first 2 shown]
.LBB245_49:
	s_or_b64 exec, exec, s[42:43]
	v_mov_b32_dpp v0, v4 row_bcast:31 row_mask:0xf bank_mask:0xf
	v_mov_b32_dpp v1, v5 row_bcast:31 row_mask:0xf bank_mask:0xf
	;; [unrolled: 1-line block ×4, first 2 shown]
	v_cmp_lt_u32_e32 vcc, 31, v111
	s_and_saveexec_b64 s[42:43], vcc
	s_cbranch_execz .LBB245_51
; %bb.50:
	s_getpc_b64 s[4:5]
	s_add_u32 s4, s4, _ZZZZN2at6native31launch_logcumsumexp_cuda_kernelERKNS_10TensorBaseES3_lENKUlvE_clEvENKUlvE1_clEvENKUlN3c107complexIdEES8_E_clES8_S8_@rel32@lo+4
	s_addc_u32 s5, s5, _ZZZZN2at6native31launch_logcumsumexp_cuda_kernelERKNS_10TensorBaseES3_lENKUlvE_clEvENKUlvE1_clEvENKUlN3c107complexIdEES8_E_clES8_S8_@rel32@hi+12
	s_swappc_b64 s[30:31], s[4:5]
	v_mov_b32_e32 v4, v0
	v_mov_b32_e32 v5, v1
	;; [unrolled: 1-line block ×4, first 2 shown]
.LBB245_51:
	s_or_b64 exec, exec, s[42:43]
	v_cmp_eq_u32_e32 vcc, 63, v167
	s_and_saveexec_b64 s[4:5], vcc
; %bb.52:
	v_mov_b32_e32 v0, 0
	ds_write_b128 v0, v[4:7]
; %bb.53:
	s_or_b64 exec, exec, s[4:5]
	v_subrev_co_u32_e64 v0, s[42:43], 1, v111
	v_and_b32_e32 v1, 64, v111
	v_cmp_lt_i32_e32 vcc, v0, v1
	v_cndmask_b32_e32 v0, v0, v111, vcc
	v_lshlrev_b32_e32 v0, 2, v0
	v_mov_b32_e32 v1, 0
	s_waitcnt lgkmcnt(0)
	; wave barrier
	ds_bpermute_b32 v115, v0, v4
	ds_bpermute_b32 v116, v0, v5
	;; [unrolled: 1-line block ×4, first 2 shown]
	ds_read_b128 v[107:110], v1
	s_and_saveexec_b64 s[4:5], s[42:43]
	s_cbranch_execz .LBB245_55
; %bb.54:
	s_add_i32 s6, s66, 64
	s_mov_b32 s7, 0
	s_lshl_b64 s[8:9], s[6:7], 4
	s_add_u32 s8, s60, s8
	s_addc_u32 s9, s61, s9
	v_mov_b32_e32 v0, 1
	v_mov_b32_e32 v2, s6
	s_waitcnt lgkmcnt(0)
	global_store_dwordx4 v1, v[107:110], s[8:9]
	s_waitcnt vmcnt(0)
	buffer_wbinvl1_vol
	global_store_byte v2, v0, s[64:65]
.LBB245_55:
	s_or_b64 exec, exec, s[4:5]
	v_xad_u32 v119, v111, -1, s66
	v_add_u32_e32 v0, 64, v119
	global_load_ubyte v123, v0, s[64:65] glc
	s_waitcnt vmcnt(0)
	v_cmp_eq_u16_e32 vcc, 0, v123
	s_and_saveexec_b64 s[4:5], vcc
	s_cbranch_execz .LBB245_59
; %bb.56:
	v_mov_b32_e32 v3, s65
	v_add_co_u32_e32 v2, vcc, s64, v0
	v_addc_co_u32_e32 v3, vcc, 0, v3, vcc
	s_mov_b64 s[6:7], 0
.LBB245_57:                             ; =>This Inner Loop Header: Depth=1
	global_load_ubyte v123, v[2:3], off glc
	s_waitcnt vmcnt(0)
	v_cmp_ne_u16_e32 vcc, 0, v123
	s_or_b64 s[6:7], vcc, s[6:7]
	s_andn2_b64 exec, exec, s[6:7]
	s_cbranch_execnz .LBB245_57
; %bb.58:
	s_or_b64 exec, exec, s[6:7]
.LBB245_59:
	s_or_b64 exec, exec, s[4:5]
	v_mov_b32_e32 v2, s63
	v_mov_b32_e32 v3, s61
	v_cmp_eq_u16_e32 vcc, 1, v123
	v_cndmask_b32_e32 v2, v2, v3, vcc
	v_mov_b32_e32 v3, s62
	v_mov_b32_e32 v4, s60
	v_lshlrev_b64 v[0:1], 4, v[0:1]
	v_cndmask_b32_e32 v3, v3, v4, vcc
	v_add_co_u32_e32 v0, vcc, v3, v0
	v_addc_co_u32_e32 v1, vcc, v2, v1, vcc
	s_waitcnt lgkmcnt(0)
	buffer_wbinvl1_vol
	global_load_dwordx4 v[4:7], v[0:1], off
	v_lshlrev_b64 v[121:122], v111, -1
	v_and_b32_e32 v124, 63, v111
	v_cmp_eq_u16_e32 vcc, 2, v123
	v_cmp_ne_u32_e64 s[4:5], 63, v124
	v_addc_co_u32_e64 v0, s[4:5], 0, v111, s[4:5]
	v_and_b32_e32 v1, vcc_hi, v122
	v_lshlrev_b32_e32 v125, 2, v0
	v_or_b32_e32 v0, 0x80000000, v1
	v_ffbl_b32_e32 v9, v0
	v_and_b32_e32 v8, vcc_lo, v121
	v_add_u32_e32 v9, 32, v9
	v_ffbl_b32_e32 v8, v8
	v_min_u32_e32 v112, v8, v9
	v_cmp_lt_u32_e32 vcc, v124, v112
	s_waitcnt vmcnt(0)
	ds_bpermute_b32 v0, v125, v4
	ds_bpermute_b32 v1, v125, v5
	;; [unrolled: 1-line block ×4, first 2 shown]
	s_and_saveexec_b64 s[58:59], vcc
	s_cbranch_execz .LBB245_61
; %bb.60:
	s_getpc_b64 s[4:5]
	s_add_u32 s4, s4, _ZZZZN2at6native31launch_logcumsumexp_cuda_kernelERKNS_10TensorBaseES3_lENKUlvE_clEvENKUlvE1_clEvENKUlN3c107complexIdEES8_E_clES8_S8_@rel32@lo+4
	s_addc_u32 s5, s5, _ZZZZN2at6native31launch_logcumsumexp_cuda_kernelERKNS_10TensorBaseES3_lENKUlvE_clEvENKUlvE1_clEvENKUlN3c107complexIdEES8_E_clES8_S8_@rel32@hi+12
	s_swappc_b64 s[30:31], s[4:5]
	v_mov_b32_e32 v4, v0
	v_mov_b32_e32 v5, v1
	v_mov_b32_e32 v6, v2
	v_mov_b32_e32 v7, v3
.LBB245_61:
	s_or_b64 exec, exec, s[58:59]
	v_cmp_gt_u32_e32 vcc, 62, v124
	s_waitcnt lgkmcnt(3)
	v_cndmask_b32_e64 v0, 0, 2, vcc
	v_add_lshl_u32 v126, v0, v111, 2
	ds_bpermute_b32 v0, v126, v4
	s_waitcnt lgkmcnt(3)
	ds_bpermute_b32 v1, v126, v5
	s_waitcnt lgkmcnt(3)
	ds_bpermute_b32 v2, v126, v6
	s_waitcnt lgkmcnt(3)
	ds_bpermute_b32 v3, v126, v7
	v_add_u32_e32 v127, 2, v124
	v_cmp_le_u32_e32 vcc, v127, v112
	s_and_saveexec_b64 s[58:59], vcc
	s_cbranch_execz .LBB245_63
; %bb.62:
	s_getpc_b64 s[4:5]
	s_add_u32 s4, s4, _ZZZZN2at6native31launch_logcumsumexp_cuda_kernelERKNS_10TensorBaseES3_lENKUlvE_clEvENKUlvE1_clEvENKUlN3c107complexIdEES8_E_clES8_S8_@rel32@lo+4
	s_addc_u32 s5, s5, _ZZZZN2at6native31launch_logcumsumexp_cuda_kernelERKNS_10TensorBaseES3_lENKUlvE_clEvENKUlvE1_clEvENKUlN3c107complexIdEES8_E_clES8_S8_@rel32@hi+12
	s_swappc_b64 s[30:31], s[4:5]
	v_mov_b32_e32 v4, v0
	v_mov_b32_e32 v5, v1
	v_mov_b32_e32 v6, v2
	v_mov_b32_e32 v7, v3
.LBB245_63:
	s_or_b64 exec, exec, s[58:59]
	v_cmp_gt_u32_e32 vcc, 60, v124
	s_waitcnt lgkmcnt(3)
	v_cndmask_b32_e64 v0, 0, 4, vcc
	v_add_lshl_u32 v128, v0, v111, 2
	ds_bpermute_b32 v0, v128, v4
	s_waitcnt lgkmcnt(3)
	ds_bpermute_b32 v1, v128, v5
	s_waitcnt lgkmcnt(3)
	ds_bpermute_b32 v2, v128, v6
	s_waitcnt lgkmcnt(3)
	ds_bpermute_b32 v3, v128, v7
	v_add_u32_e32 v129, 4, v124
	v_cmp_le_u32_e32 vcc, v129, v112
	;; [unrolled: 26-line block ×4, first 2 shown]
	s_and_saveexec_b64 s[58:59], vcc
	s_cbranch_execz .LBB245_69
; %bb.68:
	s_getpc_b64 s[4:5]
	s_add_u32 s4, s4, _ZZZZN2at6native31launch_logcumsumexp_cuda_kernelERKNS_10TensorBaseES3_lENKUlvE_clEvENKUlvE1_clEvENKUlN3c107complexIdEES8_E_clES8_S8_@rel32@lo+4
	s_addc_u32 s5, s5, _ZZZZN2at6native31launch_logcumsumexp_cuda_kernelERKNS_10TensorBaseES3_lENKUlvE_clEvENKUlvE1_clEvENKUlN3c107complexIdEES8_E_clES8_S8_@rel32@hi+12
	s_swappc_b64 s[30:31], s[4:5]
	v_mov_b32_e32 v4, v0
	v_mov_b32_e32 v5, v1
	;; [unrolled: 1-line block ×4, first 2 shown]
.LBB245_69:
	s_or_b64 exec, exec, s[58:59]
	s_waitcnt lgkmcnt(3)
	v_mov_b32_e32 v0, 0x80
	v_lshl_or_b32 v134, v111, 2, v0
	ds_bpermute_b32 v0, v134, v4
	s_waitcnt lgkmcnt(3)
	ds_bpermute_b32 v1, v134, v5
	s_waitcnt lgkmcnt(3)
	;; [unrolled: 2-line block ×3, first 2 shown]
	ds_bpermute_b32 v3, v134, v7
	v_add_u32_e32 v135, 32, v124
	v_cmp_le_u32_e32 vcc, v135, v112
	s_and_saveexec_b64 s[58:59], vcc
	s_cbranch_execz .LBB245_71
; %bb.70:
	s_getpc_b64 s[4:5]
	s_add_u32 s4, s4, _ZZZZN2at6native31launch_logcumsumexp_cuda_kernelERKNS_10TensorBaseES3_lENKUlvE_clEvENKUlvE1_clEvENKUlN3c107complexIdEES8_E_clES8_S8_@rel32@lo+4
	s_addc_u32 s5, s5, _ZZZZN2at6native31launch_logcumsumexp_cuda_kernelERKNS_10TensorBaseES3_lENKUlvE_clEvENKUlvE1_clEvENKUlN3c107complexIdEES8_E_clES8_S8_@rel32@hi+12
	s_swappc_b64 s[30:31], s[4:5]
	v_mov_b32_e32 v4, v0
	v_mov_b32_e32 v5, v1
	;; [unrolled: 1-line block ×4, first 2 shown]
.LBB245_71:
	s_or_b64 exec, exec, s[58:59]
	v_mov_b32_e32 v120, 0
	v_mov_b32_e32 v136, 2
	s_branch .LBB245_74
.LBB245_72:                             ;   in Loop: Header=BB245_74 Depth=1
	s_or_b64 exec, exec, s[58:59]
	s_getpc_b64 s[4:5]
	s_add_u32 s4, s4, _ZZZZN2at6native31launch_logcumsumexp_cuda_kernelERKNS_10TensorBaseES3_lENKUlvE_clEvENKUlvE1_clEvENKUlN3c107complexIdEES8_E_clES8_S8_@rel32@lo+4
	s_addc_u32 s5, s5, _ZZZZN2at6native31launch_logcumsumexp_cuda_kernelERKNS_10TensorBaseES3_lENKUlvE_clEvENKUlvE1_clEvENKUlN3c107complexIdEES8_E_clES8_S8_@rel32@hi+12
	s_waitcnt lgkmcnt(3)
	v_mov_b32_e32 v0, v4
	s_waitcnt lgkmcnt(2)
	v_mov_b32_e32 v1, v5
	;; [unrolled: 2-line block ×4, first 2 shown]
	v_mov_b32_e32 v4, v111
	v_mov_b32_e32 v5, v112
	;; [unrolled: 1-line block ×4, first 2 shown]
	v_subrev_u32_e32 v119, 64, v119
	s_swappc_b64 s[30:31], s[4:5]
	v_mov_b32_e32 v4, v0
	v_mov_b32_e32 v5, v1
	;; [unrolled: 1-line block ×4, first 2 shown]
	s_mov_b64 s[4:5], 0
.LBB245_73:                             ;   in Loop: Header=BB245_74 Depth=1
	s_and_b64 vcc, exec, s[4:5]
	s_cbranch_vccnz .LBB245_91
.LBB245_74:                             ; =>This Loop Header: Depth=1
                                        ;     Child Loop BB245_77 Depth 2
	v_mov_b32_e32 v114, v7
	v_mov_b32_e32 v112, v5
	v_cmp_ne_u16_sdwa s[4:5], v123, v136 src0_sel:BYTE_0 src1_sel:DWORD
	v_mov_b32_e32 v113, v6
	v_mov_b32_e32 v111, v4
	s_cmp_lg_u64 s[4:5], exec
	s_mov_b64 s[4:5], -1
                                        ; implicit-def: $vgpr6_vgpr7
                                        ; implicit-def: $vgpr123
	s_cbranch_scc1 .LBB245_73
; %bb.75:                               ;   in Loop: Header=BB245_74 Depth=1
	global_load_ubyte v123, v119, s[64:65] glc
	s_waitcnt vmcnt(0)
	v_cmp_eq_u16_e32 vcc, 0, v123
	s_and_saveexec_b64 s[4:5], vcc
	s_cbranch_execz .LBB245_79
; %bb.76:                               ;   in Loop: Header=BB245_74 Depth=1
	s_waitcnt lgkmcnt(2)
	v_mov_b32_e32 v1, s65
	v_add_co_u32_e32 v0, vcc, s64, v119
	v_addc_co_u32_e32 v1, vcc, 0, v1, vcc
	s_mov_b64 s[6:7], 0
.LBB245_77:                             ;   Parent Loop BB245_74 Depth=1
                                        ; =>  This Inner Loop Header: Depth=2
	global_load_ubyte v123, v[0:1], off glc
	s_waitcnt vmcnt(0)
	v_cmp_ne_u16_e32 vcc, 0, v123
	s_or_b64 s[6:7], vcc, s[6:7]
	s_andn2_b64 exec, exec, s[6:7]
	s_cbranch_execnz .LBB245_77
; %bb.78:                               ;   in Loop: Header=BB245_74 Depth=1
	s_or_b64 exec, exec, s[6:7]
.LBB245_79:                             ;   in Loop: Header=BB245_74 Depth=1
	s_or_b64 exec, exec, s[4:5]
	s_waitcnt lgkmcnt(3)
	v_mov_b32_e32 v0, s63
	s_waitcnt lgkmcnt(2)
	v_mov_b32_e32 v1, s61
	v_cmp_eq_u16_e32 vcc, 1, v123
	s_waitcnt lgkmcnt(1)
	v_cndmask_b32_e32 v2, v0, v1, vcc
	v_mov_b32_e32 v0, s62
	v_mov_b32_e32 v1, s60
	s_waitcnt lgkmcnt(0)
	v_cndmask_b32_e32 v3, v0, v1, vcc
	v_lshlrev_b64 v[0:1], 4, v[119:120]
	buffer_wbinvl1_vol
	v_add_co_u32_e32 v0, vcc, v3, v0
	v_addc_co_u32_e32 v1, vcc, v2, v1, vcc
	global_load_dwordx4 v[4:7], v[0:1], off
	v_cmp_eq_u16_e32 vcc, 2, v123
	v_and_b32_e32 v0, vcc_hi, v122
	v_or_b32_e32 v0, 0x80000000, v0
	v_ffbl_b32_e32 v9, v0
	v_and_b32_e32 v8, vcc_lo, v121
	v_add_u32_e32 v9, 32, v9
	v_ffbl_b32_e32 v8, v8
	v_min_u32_e32 v137, v8, v9
	v_cmp_lt_u32_e32 vcc, v124, v137
	s_waitcnt vmcnt(0)
	ds_bpermute_b32 v0, v125, v4
	ds_bpermute_b32 v1, v125, v5
	;; [unrolled: 1-line block ×4, first 2 shown]
	s_and_saveexec_b64 s[58:59], vcc
	s_cbranch_execz .LBB245_81
; %bb.80:                               ;   in Loop: Header=BB245_74 Depth=1
	s_getpc_b64 s[4:5]
	s_add_u32 s4, s4, _ZZZZN2at6native31launch_logcumsumexp_cuda_kernelERKNS_10TensorBaseES3_lENKUlvE_clEvENKUlvE1_clEvENKUlN3c107complexIdEES8_E_clES8_S8_@rel32@lo+4
	s_addc_u32 s5, s5, _ZZZZN2at6native31launch_logcumsumexp_cuda_kernelERKNS_10TensorBaseES3_lENKUlvE_clEvENKUlvE1_clEvENKUlN3c107complexIdEES8_E_clES8_S8_@rel32@hi+12
	s_swappc_b64 s[30:31], s[4:5]
	v_mov_b32_e32 v4, v0
	v_mov_b32_e32 v5, v1
	v_mov_b32_e32 v6, v2
	v_mov_b32_e32 v7, v3
.LBB245_81:                             ;   in Loop: Header=BB245_74 Depth=1
	s_or_b64 exec, exec, s[58:59]
	s_waitcnt lgkmcnt(3)
	ds_bpermute_b32 v0, v126, v4
	s_waitcnt lgkmcnt(3)
	ds_bpermute_b32 v1, v126, v5
	s_waitcnt lgkmcnt(3)
	ds_bpermute_b32 v2, v126, v6
	s_waitcnt lgkmcnt(3)
	ds_bpermute_b32 v3, v126, v7
	v_cmp_le_u32_e32 vcc, v127, v137
	s_and_saveexec_b64 s[58:59], vcc
	s_cbranch_execz .LBB245_83
; %bb.82:                               ;   in Loop: Header=BB245_74 Depth=1
	s_getpc_b64 s[4:5]
	s_add_u32 s4, s4, _ZZZZN2at6native31launch_logcumsumexp_cuda_kernelERKNS_10TensorBaseES3_lENKUlvE_clEvENKUlvE1_clEvENKUlN3c107complexIdEES8_E_clES8_S8_@rel32@lo+4
	s_addc_u32 s5, s5, _ZZZZN2at6native31launch_logcumsumexp_cuda_kernelERKNS_10TensorBaseES3_lENKUlvE_clEvENKUlvE1_clEvENKUlN3c107complexIdEES8_E_clES8_S8_@rel32@hi+12
	s_swappc_b64 s[30:31], s[4:5]
	v_mov_b32_e32 v4, v0
	v_mov_b32_e32 v5, v1
	v_mov_b32_e32 v6, v2
	v_mov_b32_e32 v7, v3
.LBB245_83:                             ;   in Loop: Header=BB245_74 Depth=1
	s_or_b64 exec, exec, s[58:59]
	s_waitcnt lgkmcnt(3)
	ds_bpermute_b32 v0, v128, v4
	s_waitcnt lgkmcnt(3)
	ds_bpermute_b32 v1, v128, v5
	s_waitcnt lgkmcnt(3)
	ds_bpermute_b32 v2, v128, v6
	s_waitcnt lgkmcnt(3)
	ds_bpermute_b32 v3, v128, v7
	v_cmp_le_u32_e32 vcc, v129, v137
	;; [unrolled: 22-line block ×5, first 2 shown]
	s_and_saveexec_b64 s[58:59], vcc
	s_cbranch_execz .LBB245_72
; %bb.90:                               ;   in Loop: Header=BB245_74 Depth=1
	s_getpc_b64 s[4:5]
	s_add_u32 s4, s4, _ZZZZN2at6native31launch_logcumsumexp_cuda_kernelERKNS_10TensorBaseES3_lENKUlvE_clEvENKUlvE1_clEvENKUlN3c107complexIdEES8_E_clES8_S8_@rel32@lo+4
	s_addc_u32 s5, s5, _ZZZZN2at6native31launch_logcumsumexp_cuda_kernelERKNS_10TensorBaseES3_lENKUlvE_clEvENKUlvE1_clEvENKUlN3c107complexIdEES8_E_clES8_S8_@rel32@hi+12
	s_swappc_b64 s[30:31], s[4:5]
	v_mov_b32_e32 v4, v0
	v_mov_b32_e32 v5, v1
	;; [unrolled: 1-line block ×4, first 2 shown]
	s_branch .LBB245_72
.LBB245_91:
	s_and_saveexec_b64 s[58:59], s[42:43]
	s_cbranch_execz .LBB245_93
; %bb.92:
	s_getpc_b64 s[4:5]
	s_add_u32 s4, s4, _ZZZZN2at6native31launch_logcumsumexp_cuda_kernelERKNS_10TensorBaseES3_lENKUlvE_clEvENKUlvE1_clEvENKUlN3c107complexIdEES8_E_clES8_S8_@rel32@lo+4
	s_addc_u32 s5, s5, _ZZZZN2at6native31launch_logcumsumexp_cuda_kernelERKNS_10TensorBaseES3_lENKUlvE_clEvENKUlvE1_clEvENKUlN3c107complexIdEES8_E_clES8_S8_@rel32@hi+12
	s_waitcnt lgkmcnt(3)
	v_mov_b32_e32 v0, v111
	s_waitcnt lgkmcnt(2)
	v_mov_b32_e32 v1, v112
	;; [unrolled: 2-line block ×4, first 2 shown]
	v_mov_b32_e32 v4, v107
	v_mov_b32_e32 v5, v108
	;; [unrolled: 1-line block ×4, first 2 shown]
	s_swappc_b64 s[30:31], s[4:5]
	s_add_i32 s4, s66, 64
	s_mov_b32 s5, 0
	s_lshl_b64 s[6:7], s[4:5], 4
	s_add_u32 s6, s62, s6
	s_addc_u32 s7, s63, s7
	v_mov_b32_e32 v4, 0
	global_store_dwordx4 v4, v[0:3], s[6:7]
	s_waitcnt vmcnt(0)
	buffer_wbinvl1_vol
	v_mov_b32_e32 v0, 2
	v_mov_b32_e32 v1, s4
	global_store_byte v1, v0, s[64:65]
.LBB245_93:
	s_or_b64 exec, exec, s[58:59]
	s_and_saveexec_b64 s[4:5], s[38:39]
	s_cbranch_execz .LBB245_95
; %bb.94:
	s_waitcnt lgkmcnt(3)
	v_mov_b32_e32 v0, 0
	ds_write_b128 v0, v[111:114]
.LBB245_95:
	s_or_b64 exec, exec, s[4:5]
	s_waitcnt lgkmcnt(3)
	v_mov_b32_e32 v0, 0
	s_waitcnt lgkmcnt(0)
	; wave barrier
	ds_read_b128 v[0:3], v0
	v_mov_b32_e32 v6, v42
	v_mov_b32_e32 v4, v40
	;; [unrolled: 1-line block ×4, first 2 shown]
	s_and_saveexec_b64 s[42:43], s[36:37]
	s_cbranch_execz .LBB245_97
; %bb.96:
	s_waitcnt lgkmcnt(0)
	v_mov_b32_e32 v110, v3
	s_getpc_b64 s[4:5]
	s_add_u32 s4, s4, _ZZZZN2at6native31launch_logcumsumexp_cuda_kernelERKNS_10TensorBaseES3_lENKUlvE_clEvENKUlvE1_clEvENKUlN3c107complexIdEES8_E_clES8_S8_@rel32@lo+4
	s_addc_u32 s5, s5, _ZZZZN2at6native31launch_logcumsumexp_cuda_kernelERKNS_10TensorBaseES3_lENKUlvE_clEvENKUlvE1_clEvENKUlN3c107complexIdEES8_E_clES8_S8_@rel32@hi+12
	v_mov_b32_e32 v109, v2
	v_mov_b32_e32 v108, v1
	v_mov_b32_e32 v107, v0
	v_mov_b32_e32 v0, v115
	v_mov_b32_e32 v1, v116
	v_mov_b32_e32 v2, v117
	v_mov_b32_e32 v3, v118
	v_mov_b32_e32 v4, v40
	v_mov_b32_e32 v5, v41
	v_mov_b32_e32 v6, v42
	v_mov_b32_e32 v7, v43
	s_swappc_b64 s[30:31], s[4:5]
	v_mov_b32_e32 v4, v0
	v_mov_b32_e32 v5, v1
	;; [unrolled: 1-line block ×8, first 2 shown]
.LBB245_97:
	s_or_b64 exec, exec, s[42:43]
	s_getpc_b64 s[42:43]
	s_add_u32 s42, s42, _ZZZZN2at6native31launch_logcumsumexp_cuda_kernelERKNS_10TensorBaseES3_lENKUlvE_clEvENKUlvE1_clEvENKUlN3c107complexIdEES8_E_clES8_S8_@rel32@lo+4
	s_addc_u32 s43, s43, _ZZZZN2at6native31launch_logcumsumexp_cuda_kernelERKNS_10TensorBaseES3_lENKUlvE_clEvENKUlvE1_clEvENKUlN3c107complexIdEES8_E_clES8_S8_@rel32@hi+12
	s_swappc_b64 s[30:31], s[42:43]
	v_mov_b32_e32 v4, v103
	v_mov_b32_e32 v5, v104
	v_mov_b32_e32 v6, v105
	v_mov_b32_e32 v7, v106
	v_mov_b32_e32 v163, v0
	v_mov_b32_e32 v164, v1
	v_mov_b32_e32 v165, v2
	v_mov_b32_e32 v166, v3
	s_swappc_b64 s[30:31], s[42:43]
	v_mov_b32_e32 v4, v99
	v_mov_b32_e32 v5, v100
	v_mov_b32_e32 v6, v101
	v_mov_b32_e32 v7, v102
	v_mov_b32_e32 v107, v0
	v_mov_b32_e32 v108, v1
	v_mov_b32_e32 v109, v2
	v_mov_b32_e32 v110, v3
	;; [unrolled: 9-line block ×14, first 2 shown]
	s_swappc_b64 s[30:31], s[42:43]
	v_mov_b32_e32 v159, v0
	v_mov_b32_e32 v160, v1
	v_mov_b32_e32 v161, v2
	v_mov_b32_e32 v162, v3
	s_branch .LBB245_120
.LBB245_98:
                                        ; implicit-def: $vgpr163_vgpr164
                                        ; implicit-def: $vgpr107_vgpr108
                                        ; implicit-def: $vgpr111_vgpr112
                                        ; implicit-def: $vgpr115_vgpr116
                                        ; implicit-def: $vgpr119_vgpr120
                                        ; implicit-def: $vgpr123_vgpr124
                                        ; implicit-def: $vgpr127_vgpr128
                                        ; implicit-def: $vgpr131_vgpr132
                                        ; implicit-def: $vgpr135_vgpr136
                                        ; implicit-def: $vgpr139_vgpr140
                                        ; implicit-def: $vgpr143_vgpr144
                                        ; implicit-def: $vgpr147_vgpr148
                                        ; implicit-def: $vgpr151_vgpr152
                                        ; implicit-def: $vgpr155_vgpr156
                                        ; implicit-def: $vgpr159_vgpr160
	s_cbranch_execz .LBB245_120
; %bb.99:
	s_cmp_lg_u64 s[48:49], 0
	s_cselect_b64 s[4:5], -1, 0
	s_and_b64 s[4:5], s[38:39], s[4:5]
	s_and_saveexec_b64 s[38:39], s[4:5]
	s_cbranch_execz .LBB245_101
; %bb.100:
	v_mov_b32_e32 v0, 0
	global_load_dwordx4 v[0:3], v0, s[44:45]
	s_getpc_b64 s[4:5]
	s_add_u32 s4, s4, _ZZZZN2at6native31launch_logcumsumexp_cuda_kernelERKNS_10TensorBaseES3_lENKUlvE_clEvENKUlvE1_clEvENKUlN3c107complexIdEES8_E_clES8_S8_@rel32@lo+4
	s_addc_u32 s5, s5, _ZZZZN2at6native31launch_logcumsumexp_cuda_kernelERKNS_10TensorBaseES3_lENKUlvE_clEvENKUlvE1_clEvENKUlN3c107complexIdEES8_E_clES8_S8_@rel32@hi+12
	v_mov_b32_e32 v4, v40
	v_mov_b32_e32 v5, v41
	;; [unrolled: 1-line block ×4, first 2 shown]
	s_swappc_b64 s[30:31], s[4:5]
	v_mov_b32_e32 v40, v0
	v_mov_b32_e32 v41, v1
	;; [unrolled: 1-line block ×4, first 2 shown]
.LBB245_101:
	s_or_b64 exec, exec, s[38:39]
	s_getpc_b64 s[38:39]
	s_add_u32 s38, s38, _ZZZZN2at6native31launch_logcumsumexp_cuda_kernelERKNS_10TensorBaseES3_lENKUlvE_clEvENKUlvE1_clEvENKUlN3c107complexIdEES8_E_clES8_S8_@rel32@lo+4
	s_addc_u32 s39, s39, _ZZZZN2at6native31launch_logcumsumexp_cuda_kernelERKNS_10TensorBaseES3_lENKUlvE_clEvENKUlvE1_clEvENKUlN3c107complexIdEES8_E_clES8_S8_@rel32@hi+12
	v_mov_b32_e32 v0, v40
	v_mov_b32_e32 v1, v41
	v_mov_b32_e32 v2, v42
	v_mov_b32_e32 v3, v43
	v_mov_b32_e32 v4, v103
	v_mov_b32_e32 v5, v104
	v_mov_b32_e32 v6, v105
	v_mov_b32_e32 v7, v106
	s_swappc_b64 s[30:31], s[38:39]
	v_mov_b32_e32 v4, v99
	v_mov_b32_e32 v5, v100
	v_mov_b32_e32 v6, v101
	v_mov_b32_e32 v7, v102
	v_mov_b32_e32 v107, v0
	v_mov_b32_e32 v108, v1
	v_mov_b32_e32 v109, v2
	v_mov_b32_e32 v110, v3
	s_swappc_b64 s[30:31], s[38:39]
	;; [unrolled: 9-line block ×14, first 2 shown]
	v_mov_b32_e32 v159, v0
	v_mbcnt_lo_u32_b32 v0, -1, 0
	v_mov_b32_e32 v161, v2
	v_mbcnt_hi_u32_b32 v163, -1, v0
	v_mov_b32_e32 v160, v1
	v_mov_b32_e32 v162, v3
	v_and_b32_e32 v164, 15, v163
	v_mov_b32_e32 v4, v159
	v_mov_b32_e32 v6, v161
	v_mov_b32_dpp v8, v159 row_shr:1 row_mask:0xf bank_mask:0xf
	v_mov_b32_dpp v9, v160 row_shr:1 row_mask:0xf bank_mask:0xf
	;; [unrolled: 1-line block ×4, first 2 shown]
	v_cmp_ne_u32_e32 vcc, 0, v164
	v_mov_b32_e32 v5, v160
	v_mov_b32_e32 v7, v162
	;; [unrolled: 1-line block ×3, first 2 shown]
	s_and_saveexec_b64 s[42:43], vcc
	s_cbranch_execz .LBB245_103
; %bb.102:
	v_mov_b32_e32 v0, v8
	v_mov_b32_e32 v1, v9
	;; [unrolled: 1-line block ×8, first 2 shown]
	s_swappc_b64 s[30:31], s[38:39]
	v_mov_b32_e32 v4, v0
	v_mov_b32_e32 v5, v1
	;; [unrolled: 1-line block ×4, first 2 shown]
.LBB245_103:
	s_or_b64 exec, exec, s[42:43]
	v_mov_b32_dpp v8, v0 row_shr:2 row_mask:0xf bank_mask:0xf
	v_mov_b32_dpp v9, v1 row_shr:2 row_mask:0xf bank_mask:0xf
	v_mov_b32_dpp v10, v2 row_shr:2 row_mask:0xf bank_mask:0xf
	v_mov_b32_dpp v11, v3 row_shr:2 row_mask:0xf bank_mask:0xf
	v_cmp_lt_u32_e32 vcc, 1, v164
	s_and_saveexec_b64 s[38:39], vcc
	s_cbranch_execz .LBB245_105
; %bb.104:
	s_getpc_b64 s[4:5]
	s_add_u32 s4, s4, _ZZZZN2at6native31launch_logcumsumexp_cuda_kernelERKNS_10TensorBaseES3_lENKUlvE_clEvENKUlvE1_clEvENKUlN3c107complexIdEES8_E_clES8_S8_@rel32@lo+4
	s_addc_u32 s5, s5, _ZZZZN2at6native31launch_logcumsumexp_cuda_kernelERKNS_10TensorBaseES3_lENKUlvE_clEvENKUlvE1_clEvENKUlN3c107complexIdEES8_E_clES8_S8_@rel32@hi+12
	v_mov_b32_e32 v0, v8
	v_mov_b32_e32 v1, v9
	v_mov_b32_e32 v2, v10
	v_mov_b32_e32 v3, v11
	s_swappc_b64 s[30:31], s[4:5]
	v_mov_b32_e32 v7, v3
	v_mov_b32_e32 v5, v1
	v_mov_b32_e32 v6, v2
	v_mov_b32_e32 v4, v0
.LBB245_105:
	s_or_b64 exec, exec, s[38:39]
	v_mov_b32_dpp v8, v0 row_shr:4 row_mask:0xf bank_mask:0xf
	v_mov_b32_dpp v9, v1 row_shr:4 row_mask:0xf bank_mask:0xf
	v_mov_b32_dpp v10, v2 row_shr:4 row_mask:0xf bank_mask:0xf
	v_mov_b32_dpp v11, v3 row_shr:4 row_mask:0xf bank_mask:0xf
	v_cmp_lt_u32_e32 vcc, 3, v164
	s_and_saveexec_b64 s[38:39], vcc
	s_cbranch_execz .LBB245_107
; %bb.106:
	s_getpc_b64 s[4:5]
	s_add_u32 s4, s4, _ZZZZN2at6native31launch_logcumsumexp_cuda_kernelERKNS_10TensorBaseES3_lENKUlvE_clEvENKUlvE1_clEvENKUlN3c107complexIdEES8_E_clES8_S8_@rel32@lo+4
	s_addc_u32 s5, s5, _ZZZZN2at6native31launch_logcumsumexp_cuda_kernelERKNS_10TensorBaseES3_lENKUlvE_clEvENKUlvE1_clEvENKUlN3c107complexIdEES8_E_clES8_S8_@rel32@hi+12
	v_mov_b32_e32 v0, v8
	v_mov_b32_e32 v1, v9
	v_mov_b32_e32 v2, v10
	v_mov_b32_e32 v3, v11
	s_swappc_b64 s[30:31], s[4:5]
	v_mov_b32_e32 v7, v3
	v_mov_b32_e32 v5, v1
	v_mov_b32_e32 v6, v2
	v_mov_b32_e32 v4, v0
.LBB245_107:
	;; [unrolled: 22-line block ×3, first 2 shown]
	s_or_b64 exec, exec, s[38:39]
	v_and_b32_e32 v12, 16, v163
	v_mov_b32_dpp v8, v0 row_bcast:15 row_mask:0xf bank_mask:0xf
	v_mov_b32_dpp v9, v1 row_bcast:15 row_mask:0xf bank_mask:0xf
	v_mov_b32_dpp v10, v2 row_bcast:15 row_mask:0xf bank_mask:0xf
	v_mov_b32_dpp v11, v3 row_bcast:15 row_mask:0xf bank_mask:0xf
	v_cmp_ne_u32_e32 vcc, 0, v12
	s_and_saveexec_b64 s[38:39], vcc
	s_cbranch_execz .LBB245_111
; %bb.110:
	s_getpc_b64 s[4:5]
	s_add_u32 s4, s4, _ZZZZN2at6native31launch_logcumsumexp_cuda_kernelERKNS_10TensorBaseES3_lENKUlvE_clEvENKUlvE1_clEvENKUlN3c107complexIdEES8_E_clES8_S8_@rel32@lo+4
	s_addc_u32 s5, s5, _ZZZZN2at6native31launch_logcumsumexp_cuda_kernelERKNS_10TensorBaseES3_lENKUlvE_clEvENKUlvE1_clEvENKUlN3c107complexIdEES8_E_clES8_S8_@rel32@hi+12
	v_mov_b32_e32 v0, v8
	v_mov_b32_e32 v1, v9
	;; [unrolled: 1-line block ×4, first 2 shown]
	s_swappc_b64 s[30:31], s[4:5]
	v_mov_b32_e32 v4, v0
	v_mov_b32_e32 v5, v1
	;; [unrolled: 1-line block ×4, first 2 shown]
.LBB245_111:
	s_or_b64 exec, exec, s[38:39]
	v_mov_b32_dpp v0, v0 row_bcast:31 row_mask:0xf bank_mask:0xf
	v_mov_b32_dpp v1, v1 row_bcast:31 row_mask:0xf bank_mask:0xf
	;; [unrolled: 1-line block ×4, first 2 shown]
	v_cmp_lt_u32_e32 vcc, 31, v163
	s_and_saveexec_b64 s[38:39], vcc
	s_cbranch_execz .LBB245_113
; %bb.112:
	s_getpc_b64 s[4:5]
	s_add_u32 s4, s4, _ZZZZN2at6native31launch_logcumsumexp_cuda_kernelERKNS_10TensorBaseES3_lENKUlvE_clEvENKUlvE1_clEvENKUlN3c107complexIdEES8_E_clES8_S8_@rel32@lo+4
	s_addc_u32 s5, s5, _ZZZZN2at6native31launch_logcumsumexp_cuda_kernelERKNS_10TensorBaseES3_lENKUlvE_clEvENKUlvE1_clEvENKUlN3c107complexIdEES8_E_clES8_S8_@rel32@hi+12
	s_swappc_b64 s[30:31], s[4:5]
	v_mov_b32_e32 v4, v0
	v_mov_b32_e32 v5, v1
	;; [unrolled: 1-line block ×4, first 2 shown]
.LBB245_113:
	s_or_b64 exec, exec, s[38:39]
	v_cmp_eq_u32_e64 s[38:39], 63, v167
	s_and_saveexec_b64 s[4:5], s[38:39]
; %bb.114:
	v_mov_b32_e32 v0, 0
	ds_write_b128 v0, v[4:7]
; %bb.115:
	s_or_b64 exec, exec, s[4:5]
	v_add_u32_e32 v0, -1, v163
	v_and_b32_e32 v1, 64, v163
	v_cmp_lt_i32_e32 vcc, v0, v1
	v_cndmask_b32_e32 v0, v0, v163, vcc
	v_lshlrev_b32_e32 v3, 2, v0
	ds_bpermute_b32 v0, v3, v4
	ds_bpermute_b32 v1, v3, v5
	;; [unrolled: 1-line block ×4, first 2 shown]
	s_waitcnt lgkmcnt(0)
	; wave barrier
	s_and_saveexec_b64 s[42:43], s[36:37]
	s_cbranch_execz .LBB245_117
; %bb.116:
	s_getpc_b64 s[36:37]
	s_add_u32 s36, s36, _ZZZZN2at6native31launch_logcumsumexp_cuda_kernelERKNS_10TensorBaseES3_lENKUlvE_clEvENKUlvE1_clEvENKUlN3c107complexIdEES8_E_clES8_S8_@rel32@lo+4
	s_addc_u32 s37, s37, _ZZZZN2at6native31launch_logcumsumexp_cuda_kernelERKNS_10TensorBaseES3_lENKUlvE_clEvENKUlvE1_clEvENKUlN3c107complexIdEES8_E_clES8_S8_@rel32@hi+12
	v_mov_b32_e32 v4, v40
	v_mov_b32_e32 v5, v41
	;; [unrolled: 1-line block ×4, first 2 shown]
	s_swappc_b64 s[30:31], s[36:37]
	v_mov_b32_e32 v4, v103
	v_mov_b32_e32 v5, v104
	;; [unrolled: 1-line block ×8, first 2 shown]
	;;#ASMSTART
	;;#ASMEND
	s_swappc_b64 s[30:31], s[36:37]
	v_mov_b32_e32 v4, v99
	v_mov_b32_e32 v5, v100
	v_mov_b32_e32 v6, v101
	v_mov_b32_e32 v7, v102
	v_mov_b32_e32 v107, v0
	v_mov_b32_e32 v108, v1
	v_mov_b32_e32 v109, v2
	v_mov_b32_e32 v110, v3
	s_swappc_b64 s[30:31], s[36:37]
	v_mov_b32_e32 v4, v95
	v_mov_b32_e32 v5, v96
	v_mov_b32_e32 v6, v97
	v_mov_b32_e32 v7, v98
	v_mov_b32_e32 v111, v0
	v_mov_b32_e32 v112, v1
	v_mov_b32_e32 v113, v2
	v_mov_b32_e32 v114, v3
	;; [unrolled: 9-line block ×13, first 2 shown]
	s_swappc_b64 s[30:31], s[36:37]
	v_mov_b32_e32 v159, v0
	v_mov_b32_e32 v160, v1
	;; [unrolled: 1-line block ×4, first 2 shown]
.LBB245_117:
	s_or_b64 exec, exec, s[42:43]
	s_and_saveexec_b64 s[4:5], s[38:39]
	s_cbranch_execz .LBB245_119
; %bb.118:
	v_mov_b32_e32 v0, 0
	v_mov_b32_e32 v1, 2
	global_store_dwordx4 v0, v[159:162], s[62:63] offset:1024
	s_waitcnt vmcnt(0)
	buffer_wbinvl1_vol
	global_store_byte v0, v1, s[64:65] offset:64
.LBB245_119:
	s_or_b64 exec, exec, s[4:5]
	v_mov_b32_e32 v164, v41
	v_mov_b32_e32 v166, v43
	;; [unrolled: 1-line block ×4, first 2 shown]
.LBB245_120:
	s_add_u32 s4, s56, s54
	s_addc_u32 s5, s57, s55
	s_add_u32 s4, s4, s52
	s_addc_u32 s5, s5, s53
	s_mov_b64 s[6:7], -1
	s_and_b64 vcc, exec, s[34:35]
	; wave barrier
	s_cbranch_vccz .LBB245_122
; %bb.121:
	v_mov_b32_e32 v60, s5
	v_add_co_u32_e32 v61, vcc, s4, v169
	ds_write_b128 v170, v[163:166]
	ds_write_b128 v170, v[107:110] offset:16
	ds_write_b128 v170, v[111:114] offset:32
	ds_write_b128 v170, v[115:118] offset:48
	ds_write_b128 v170, v[119:122] offset:64
	ds_write_b128 v170, v[123:126] offset:80
	ds_write_b128 v170, v[127:130] offset:96
	ds_write_b128 v170, v[131:134] offset:112
	ds_write_b128 v170, v[135:138] offset:128
	ds_write_b128 v170, v[139:142] offset:144
	ds_write_b128 v170, v[143:146] offset:160
	ds_write_b128 v170, v[147:150] offset:176
	ds_write_b128 v170, v[151:154] offset:192
	ds_write_b128 v170, v[155:158] offset:208
	ds_write_b128 v170, v[159:162] offset:224
	s_waitcnt lgkmcnt(0)
	; wave barrier
	ds_read_b128 v[0:3], v169
	ds_read_b128 v[4:7], v169 offset:1024
	ds_read_b128 v[8:11], v169 offset:2048
	;; [unrolled: 1-line block ×14, first 2 shown]
	v_addc_co_u32_e32 v60, vcc, 0, v60, vcc
	s_movk_i32 s6, 0x1000
	s_waitcnt lgkmcnt(14)
	global_store_dwordx4 v169, v[0:3], s[4:5]
	s_waitcnt lgkmcnt(13)
	global_store_dwordx4 v169, v[4:7], s[4:5] offset:1024
	s_waitcnt lgkmcnt(12)
	global_store_dwordx4 v169, v[8:11], s[4:5] offset:2048
	;; [unrolled: 2-line block ×3, first 2 shown]
	v_add_co_u32_e32 v0, vcc, s6, v61
	v_addc_co_u32_e32 v1, vcc, 0, v60, vcc
	s_movk_i32 s6, 0x2000
	v_add_co_u32_e32 v2, vcc, s6, v61
	v_addc_co_u32_e32 v3, vcc, 0, v60, vcc
	s_waitcnt lgkmcnt(10)
	global_store_dwordx4 v[2:3], v[16:19], off offset:-4096
	s_waitcnt lgkmcnt(9)
	global_store_dwordx4 v[0:1], v[20:23], off offset:1024
	s_waitcnt lgkmcnt(8)
	global_store_dwordx4 v[0:1], v[24:27], off offset:2048
	;; [unrolled: 2-line block ×3, first 2 shown]
	s_waitcnt lgkmcnt(6)
	global_store_dwordx4 v[2:3], v[32:35], off
	s_waitcnt lgkmcnt(5)
	global_store_dwordx4 v[2:3], v[36:39], off offset:1024
	s_waitcnt lgkmcnt(4)
	global_store_dwordx4 v[2:3], v[40:43], off offset:2048
	;; [unrolled: 2-line block ×3, first 2 shown]
	v_add_co_u32_e32 v0, vcc, 0x3000, v61
	v_addc_co_u32_e32 v1, vcc, 0, v60, vcc
	s_waitcnt lgkmcnt(2)
	global_store_dwordx4 v[0:1], v[48:51], off
	s_waitcnt lgkmcnt(1)
	global_store_dwordx4 v[0:1], v[52:55], off offset:1024
	s_waitcnt lgkmcnt(0)
	global_store_dwordx4 v[0:1], v[56:59], off offset:2048
	s_mov_b64 s[6:7], 0
.LBB245_122:
	s_andn2_b64 vcc, exec, s[6:7]
	s_cbranch_vccnz .LBB245_208
; %bb.123:
	s_movk_i32 s6, 0xff20
	v_mad_i32_i24 v56, v167, s6, v170
	ds_write_b128 v170, v[163:166]
	ds_write_b128 v170, v[107:110] offset:16
	ds_write_b128 v170, v[111:114] offset:32
	;; [unrolled: 1-line block ×14, first 2 shown]
	s_waitcnt lgkmcnt(0)
	; wave barrier
	ds_read_b128 v[8:11], v56
	ds_read_b128 v[0:3], v56 offset:1024
	ds_read_b128 v[4:7], v56 offset:2048
	;; [unrolled: 1-line block ×14, first 2 shown]
	v_mov_b32_e32 v61, s5
	v_add_co_u32_e32 v60, vcc, s4, v169
	v_addc_co_u32_e32 v61, vcc, 0, v61, vcc
	v_mov_b32_e32 v168, 0
	v_cmp_gt_u32_e32 vcc, s33, v167
	s_and_saveexec_b64 s[4:5], vcc
	s_cbranch_execz .LBB245_125
; %bb.124:
	s_waitcnt lgkmcnt(14)
	global_store_dwordx4 v[60:61], v[8:11], off
.LBB245_125:
	s_or_b64 exec, exec, s[4:5]
	v_or_b32_e32 v62, 64, v167
	v_cmp_gt_u32_e32 vcc, s33, v62
	s_and_saveexec_b64 s[4:5], vcc
	s_cbranch_execz .LBB245_127
; %bb.126:
	s_waitcnt lgkmcnt(13)
	global_store_dwordx4 v[60:61], v[0:3], off offset:1024
.LBB245_127:
	s_or_b64 exec, exec, s[4:5]
	v_or_b32_e32 v62, 0x80, v167
	v_cmp_gt_u32_e32 vcc, s33, v62
	s_and_saveexec_b64 s[4:5], vcc
	s_cbranch_execz .LBB245_129
; %bb.128:
	s_waitcnt lgkmcnt(12)
	global_store_dwordx4 v[60:61], v[4:7], off offset:2048
.LBB245_129:
	;; [unrolled: 9-line block ×3, first 2 shown]
	s_or_b64 exec, exec, s[4:5]
	v_or_b32_e32 v62, 0x100, v167
	v_cmp_gt_u32_e32 vcc, s33, v62
	s_and_saveexec_b64 s[4:5], vcc
	s_cbranch_execz .LBB245_133
; %bb.132:
	v_add_co_u32_e32 v62, vcc, 0x1000, v60
	v_addc_co_u32_e32 v63, vcc, 0, v61, vcc
	s_waitcnt lgkmcnt(10)
	global_store_dwordx4 v[62:63], v[12:15], off
.LBB245_133:
	s_or_b64 exec, exec, s[4:5]
	v_or_b32_e32 v62, 0x140, v167
	v_cmp_gt_u32_e32 vcc, s33, v62
	s_and_saveexec_b64 s[4:5], vcc
	s_cbranch_execz .LBB245_135
; %bb.134:
	v_add_co_u32_e32 v62, vcc, 0x1000, v60
	v_addc_co_u32_e32 v63, vcc, 0, v61, vcc
	s_waitcnt lgkmcnt(9)
	global_store_dwordx4 v[62:63], v[20:23], off offset:1024
.LBB245_135:
	s_or_b64 exec, exec, s[4:5]
	v_or_b32_e32 v62, 0x180, v167
	v_cmp_gt_u32_e32 vcc, s33, v62
	s_and_saveexec_b64 s[4:5], vcc
	s_cbranch_execz .LBB245_137
; %bb.136:
	v_add_co_u32_e32 v62, vcc, 0x1000, v60
	v_addc_co_u32_e32 v63, vcc, 0, v61, vcc
	s_waitcnt lgkmcnt(8)
	global_store_dwordx4 v[62:63], v[24:27], off offset:2048
.LBB245_137:
	;; [unrolled: 11-line block ×3, first 2 shown]
	s_or_b64 exec, exec, s[4:5]
	v_or_b32_e32 v62, 0x200, v167
	v_cmp_gt_u32_e32 vcc, s33, v62
	s_and_saveexec_b64 s[4:5], vcc
	s_cbranch_execz .LBB245_141
; %bb.140:
	v_add_co_u32_e32 v62, vcc, 0x2000, v60
	v_addc_co_u32_e32 v63, vcc, 0, v61, vcc
	s_waitcnt lgkmcnt(6)
	global_store_dwordx4 v[62:63], v[40:43], off
.LBB245_141:
	s_or_b64 exec, exec, s[4:5]
	v_or_b32_e32 v62, 0x240, v167
	v_cmp_gt_u32_e32 vcc, s33, v62
	s_and_saveexec_b64 s[4:5], vcc
	s_cbranch_execz .LBB245_143
; %bb.142:
	v_add_co_u32_e32 v62, vcc, 0x2000, v60
	v_addc_co_u32_e32 v63, vcc, 0, v61, vcc
	s_waitcnt lgkmcnt(5)
	global_store_dwordx4 v[62:63], v[36:39], off offset:1024
.LBB245_143:
	s_or_b64 exec, exec, s[4:5]
	v_or_b32_e32 v62, 0x280, v167
	v_cmp_gt_u32_e32 vcc, s33, v62
	s_and_saveexec_b64 s[4:5], vcc
	s_cbranch_execz .LBB245_145
; %bb.144:
	v_add_co_u32_e32 v62, vcc, 0x2000, v60
	v_addc_co_u32_e32 v63, vcc, 0, v61, vcc
	s_waitcnt lgkmcnt(4)
	global_store_dwordx4 v[62:63], v[44:47], off offset:2048
.LBB245_145:
	s_or_b64 exec, exec, s[4:5]
	v_or_b32_e32 v62, 0x2c0, v167
	v_cmp_gt_u32_e32 vcc, s33, v62
	s_and_saveexec_b64 s[4:5], vcc
	s_cbranch_execz .LBB245_147
; %bb.146:
	v_add_co_u32_e32 v62, vcc, 0x2000, v60
	v_addc_co_u32_e32 v63, vcc, 0, v61, vcc
	s_waitcnt lgkmcnt(3)
	global_store_dwordx4 v[62:63], v[32:35], off offset:3072
.LBB245_147:
	s_or_b64 exec, exec, s[4:5]
	v_or_b32_e32 v62, 0x300, v167
	v_cmp_gt_u32_e32 vcc, s33, v62
	s_and_saveexec_b64 s[4:5], vcc
	s_cbranch_execz .LBB245_149
; %bb.148:
	v_add_co_u32_e32 v62, vcc, 0x3000, v60
	v_addc_co_u32_e32 v63, vcc, 0, v61, vcc
	s_waitcnt lgkmcnt(2)
	global_store_dwordx4 v[62:63], v[48:51], off
.LBB245_149:
	s_or_b64 exec, exec, s[4:5]
	v_or_b32_e32 v62, 0x340, v167
	v_cmp_gt_u32_e32 vcc, s33, v62
	s_and_saveexec_b64 s[4:5], vcc
	s_cbranch_execz .LBB245_151
; %bb.150:
	v_add_co_u32_e32 v62, vcc, 0x3000, v60
	v_addc_co_u32_e32 v63, vcc, 0, v61, vcc
	s_waitcnt lgkmcnt(1)
	global_store_dwordx4 v[62:63], v[52:55], off offset:1024
.LBB245_151:
	s_or_b64 exec, exec, s[4:5]
	v_or_b32_e32 v62, 0x380, v167
	v_cmp_gt_u32_e32 vcc, s33, v62
	s_and_saveexec_b64 s[4:5], vcc
	s_cbranch_execz .LBB245_153
; %bb.152:
	v_add_co_u32_e32 v60, vcc, 0x3000, v60
	v_addc_co_u32_e32 v61, vcc, 0, v61, vcc
	s_waitcnt lgkmcnt(0)
	global_store_dwordx4 v[60:61], v[56:59], off offset:2048
.LBB245_153:
	s_or_b64 exec, exec, s[4:5]
	v_cmp_lt_u64_e64 s[4:5], s[50:51], 2
	s_and_b64 vcc, exec, s[4:5]
	s_cbranch_vccnz .LBB245_208
; %bb.154:
	s_add_u32 s4, s33, -1
	s_addc_u32 s5, s41, -1
	s_mul_i32 s9, s5, 0x88888889
	s_mul_hi_u32 s10, s4, 0x88888889
	s_mul_hi_u32 s8, s5, 0x88888889
	s_add_u32 s9, s9, s10
	s_mul_i32 s7, s4, 0x88888888
	s_addc_u32 s8, s8, 0
	s_mul_hi_u32 s6, s4, 0x88888888
	s_add_u32 s7, s7, s9
	s_addc_u32 s6, s6, 0
	s_add_u32 s6, s8, s6
	s_addc_u32 s7, 0, 0
	s_mul_i32 s9, s5, 0x88888888
	s_mul_hi_u32 s8, s5, 0x88888888
	s_add_u32 s6, s9, s6
	s_addc_u32 s7, s8, s7
	s_lshr_b64 s[6:7], s[6:7], 3
	v_cmp_eq_u64_e32 vcc, s[6:7], v[167:168]
	s_and_saveexec_b64 s[6:7], vcc
	s_cbranch_execz .LBB245_208
; %bb.155:
	v_mul_u32_u24_e32 v60, 15, v167
	v_mul_hi_u32_u24_e32 v61, 15, v167
	v_mov_b32_e32 v62, s5
	v_sub_co_u32_e32 v60, vcc, s4, v60
	v_subb_co_u32_e32 v61, vcc, v62, v61, vcc
	v_cmp_lt_i64_e32 vcc, 7, v[60:61]
	s_and_saveexec_b64 s[4:5], vcc
	s_xor_b64 s[4:5], exec, s[4:5]
	s_cbranch_execz .LBB245_181
; %bb.156:
	v_cmp_lt_i64_e32 vcc, 10, v[60:61]
	s_and_saveexec_b64 s[6:7], vcc
	s_xor_b64 s[6:7], exec, s[6:7]
	s_cbranch_execz .LBB245_170
; %bb.157:
	v_cmp_lt_i64_e32 vcc, 12, v[60:61]
	s_and_saveexec_b64 s[8:9], vcc
	s_xor_b64 s[8:9], exec, s[8:9]
	s_cbranch_execz .LBB245_163
; %bb.158:
	v_cmp_lt_i64_e32 vcc, 13, v[60:61]
	s_and_saveexec_b64 s[10:11], vcc
	s_xor_b64 s[10:11], exec, s[10:11]
	s_cbranch_execz .LBB245_160
; %bb.159:
	s_waitcnt lgkmcnt(13)
	v_mov_b32_e32 v0, 0
	s_waitcnt lgkmcnt(0)
	global_store_dwordx4 v0, v[56:59], s[46:47]
                                        ; implicit-def: $vgpr52_vgpr53_vgpr54_vgpr55
.LBB245_160:
	s_andn2_saveexec_b64 s[10:11], s[10:11]
	s_cbranch_execz .LBB245_162
; %bb.161:
	s_waitcnt lgkmcnt(13)
	v_mov_b32_e32 v0, 0
	s_waitcnt lgkmcnt(1)
	global_store_dwordx4 v0, v[52:55], s[46:47]
.LBB245_162:
	s_or_b64 exec, exec, s[10:11]
                                        ; implicit-def: $vgpr32_vgpr33_vgpr34_vgpr35
                                        ; implicit-def: $vgpr60_vgpr61
                                        ; implicit-def: $vgpr48_vgpr49_vgpr50_vgpr51
.LBB245_163:
	s_andn2_saveexec_b64 s[8:9], s[8:9]
	s_cbranch_execz .LBB245_169
; %bb.164:
	v_cmp_lt_i64_e32 vcc, 11, v[60:61]
	s_and_saveexec_b64 s[10:11], vcc
	s_xor_b64 s[10:11], exec, s[10:11]
	s_cbranch_execz .LBB245_166
; %bb.165:
	s_waitcnt lgkmcnt(13)
	v_mov_b32_e32 v0, 0
	s_waitcnt lgkmcnt(2)
	global_store_dwordx4 v0, v[48:51], s[46:47]
                                        ; implicit-def: $vgpr32_vgpr33_vgpr34_vgpr35
.LBB245_166:
	s_andn2_saveexec_b64 s[10:11], s[10:11]
	s_cbranch_execz .LBB245_168
; %bb.167:
	s_waitcnt lgkmcnt(13)
	v_mov_b32_e32 v0, 0
	s_waitcnt lgkmcnt(3)
	global_store_dwordx4 v0, v[32:35], s[46:47]
.LBB245_168:
	s_or_b64 exec, exec, s[10:11]
.LBB245_169:
	s_or_b64 exec, exec, s[8:9]
                                        ; implicit-def: $vgpr40_vgpr41_vgpr42_vgpr43
                                        ; implicit-def: $vgpr60_vgpr61
                                        ; implicit-def: $vgpr36_vgpr37_vgpr38_vgpr39
                                        ; implicit-def: $vgpr44_vgpr45_vgpr46_vgpr47
.LBB245_170:
	s_andn2_saveexec_b64 s[6:7], s[6:7]
	s_cbranch_execz .LBB245_180
; %bb.171:
	v_cmp_lt_i64_e32 vcc, 8, v[60:61]
	s_and_saveexec_b64 s[8:9], vcc
	s_xor_b64 s[8:9], exec, s[8:9]
	s_cbranch_execz .LBB245_177
; %bb.172:
	v_cmp_lt_i64_e32 vcc, 9, v[60:61]
	s_and_saveexec_b64 s[10:11], vcc
	s_xor_b64 s[10:11], exec, s[10:11]
	s_cbranch_execz .LBB245_174
; %bb.173:
	s_waitcnt lgkmcnt(13)
	v_mov_b32_e32 v0, 0
	s_waitcnt lgkmcnt(4)
	global_store_dwordx4 v0, v[44:47], s[46:47]
                                        ; implicit-def: $vgpr36_vgpr37_vgpr38_vgpr39
.LBB245_174:
	s_andn2_saveexec_b64 s[10:11], s[10:11]
	s_cbranch_execz .LBB245_176
; %bb.175:
	s_waitcnt lgkmcnt(13)
	v_mov_b32_e32 v0, 0
	s_waitcnt lgkmcnt(5)
	global_store_dwordx4 v0, v[36:39], s[46:47]
.LBB245_176:
	s_or_b64 exec, exec, s[10:11]
                                        ; implicit-def: $vgpr40_vgpr41_vgpr42_vgpr43
.LBB245_177:
	s_andn2_saveexec_b64 s[8:9], s[8:9]
	s_cbranch_execz .LBB245_179
; %bb.178:
	s_waitcnt lgkmcnt(13)
	v_mov_b32_e32 v0, 0
	s_waitcnt lgkmcnt(6)
	global_store_dwordx4 v0, v[40:43], s[46:47]
.LBB245_179:
	s_or_b64 exec, exec, s[8:9]
.LBB245_180:
	s_or_b64 exec, exec, s[6:7]
                                        ; implicit-def: $vgpr0_vgpr1_vgpr2_vgpr3
                                        ; implicit-def: $vgpr4_vgpr5_vgpr6_vgpr7
                                        ; implicit-def: $vgpr16_vgpr17_vgpr18_vgpr19
                                        ; implicit-def: $vgpr12_vgpr13_vgpr14_vgpr15
                                        ; implicit-def: $vgpr20_vgpr21_vgpr22_vgpr23
                                        ; implicit-def: $vgpr24_vgpr25_vgpr26_vgpr27
                                        ; implicit-def: $vgpr28_vgpr29_vgpr30_vgpr31
                                        ; implicit-def: $vgpr60_vgpr61
                                        ; implicit-def: $vgpr8_vgpr9_vgpr10_vgpr11
.LBB245_181:
	s_andn2_saveexec_b64 s[4:5], s[4:5]
	s_cbranch_execz .LBB245_208
; %bb.182:
	v_cmp_lt_i64_e32 vcc, 3, v[60:61]
	s_and_saveexec_b64 s[4:5], vcc
	s_xor_b64 s[4:5], exec, s[4:5]
	s_cbranch_execz .LBB245_196
; %bb.183:
	v_cmp_lt_i64_e32 vcc, 5, v[60:61]
	s_and_saveexec_b64 s[6:7], vcc
	s_xor_b64 s[6:7], exec, s[6:7]
	;; [unrolled: 5-line block ×3, first 2 shown]
	s_cbranch_execz .LBB245_186
; %bb.185:
	s_waitcnt lgkmcnt(13)
	v_mov_b32_e32 v0, 0
	s_waitcnt lgkmcnt(7)
	global_store_dwordx4 v0, v[28:31], s[46:47]
                                        ; implicit-def: $vgpr24_vgpr25_vgpr26_vgpr27
.LBB245_186:
	s_andn2_saveexec_b64 s[8:9], s[8:9]
	s_cbranch_execz .LBB245_188
; %bb.187:
	s_waitcnt lgkmcnt(13)
	v_mov_b32_e32 v0, 0
	s_waitcnt lgkmcnt(8)
	global_store_dwordx4 v0, v[24:27], s[46:47]
.LBB245_188:
	s_or_b64 exec, exec, s[8:9]
                                        ; implicit-def: $vgpr12_vgpr13_vgpr14_vgpr15
                                        ; implicit-def: $vgpr60_vgpr61
                                        ; implicit-def: $vgpr20_vgpr21_vgpr22_vgpr23
.LBB245_189:
	s_andn2_saveexec_b64 s[6:7], s[6:7]
	s_cbranch_execz .LBB245_195
; %bb.190:
	v_cmp_lt_i64_e32 vcc, 4, v[60:61]
	s_and_saveexec_b64 s[8:9], vcc
	s_xor_b64 s[8:9], exec, s[8:9]
	s_cbranch_execz .LBB245_192
; %bb.191:
	s_waitcnt lgkmcnt(13)
	v_mov_b32_e32 v0, 0
	s_waitcnt lgkmcnt(9)
	global_store_dwordx4 v0, v[20:23], s[46:47]
                                        ; implicit-def: $vgpr12_vgpr13_vgpr14_vgpr15
.LBB245_192:
	s_andn2_saveexec_b64 s[8:9], s[8:9]
	s_cbranch_execz .LBB245_194
; %bb.193:
	s_waitcnt lgkmcnt(13)
	v_mov_b32_e32 v0, 0
	s_waitcnt lgkmcnt(10)
	global_store_dwordx4 v0, v[12:15], s[46:47]
.LBB245_194:
	s_or_b64 exec, exec, s[8:9]
.LBB245_195:
	s_or_b64 exec, exec, s[6:7]
                                        ; implicit-def: $vgpr60_vgpr61
                                        ; implicit-def: $vgpr0_vgpr1_vgpr2_vgpr3
                                        ; implicit-def: $vgpr4_vgpr5_vgpr6_vgpr7
                                        ; implicit-def: $vgpr8_vgpr9_vgpr10_vgpr11
                                        ; implicit-def: $vgpr16_vgpr17_vgpr18_vgpr19
.LBB245_196:
	s_andn2_saveexec_b64 s[4:5], s[4:5]
	s_cbranch_execz .LBB245_208
; %bb.197:
	v_cmp_lt_i64_e32 vcc, 1, v[60:61]
	s_and_saveexec_b64 s[4:5], vcc
	s_xor_b64 s[4:5], exec, s[4:5]
	s_cbranch_execz .LBB245_203
; %bb.198:
	v_cmp_lt_i64_e32 vcc, 2, v[60:61]
	s_and_saveexec_b64 s[6:7], vcc
	s_xor_b64 s[6:7], exec, s[6:7]
	s_cbranch_execz .LBB245_200
; %bb.199:
	s_waitcnt lgkmcnt(13)
	v_mov_b32_e32 v0, 0
	s_waitcnt lgkmcnt(11)
	global_store_dwordx4 v0, v[16:19], s[46:47]
                                        ; implicit-def: $vgpr4_vgpr5_vgpr6_vgpr7
.LBB245_200:
	s_andn2_saveexec_b64 s[6:7], s[6:7]
	s_cbranch_execz .LBB245_202
; %bb.201:
	s_waitcnt lgkmcnt(13)
	v_mov_b32_e32 v0, 0
	s_waitcnt lgkmcnt(12)
	global_store_dwordx4 v0, v[4:7], s[46:47]
.LBB245_202:
	s_or_b64 exec, exec, s[6:7]
                                        ; implicit-def: $vgpr0_vgpr1_vgpr2_vgpr3
                                        ; implicit-def: $vgpr60_vgpr61
                                        ; implicit-def: $vgpr8_vgpr9_vgpr10_vgpr11
.LBB245_203:
	s_andn2_saveexec_b64 s[4:5], s[4:5]
	s_cbranch_execz .LBB245_208
; %bb.204:
	v_cmp_ne_u64_e32 vcc, 1, v[60:61]
	s_and_saveexec_b64 s[4:5], vcc
	s_xor_b64 s[4:5], exec, s[4:5]
	s_cbranch_execz .LBB245_206
; %bb.205:
	s_waitcnt lgkmcnt(13)
	v_mov_b32_e32 v0, 0
	global_store_dwordx4 v0, v[8:11], s[46:47]
                                        ; implicit-def: $vgpr0_vgpr1_vgpr2_vgpr3
.LBB245_206:
	s_andn2_saveexec_b64 s[4:5], s[4:5]
	s_cbranch_execz .LBB245_208
; %bb.207:
	s_waitcnt lgkmcnt(12)
	v_mov_b32_e32 v4, 0
	global_store_dwordx4 v4, v[0:3], s[46:47]
.LBB245_208:
	s_endpgm
	.section	.rodata,"a",@progbits
	.p2align	6, 0x0
	.amdhsa_kernel _ZN7rocprim17ROCPRIM_400000_NS6detail17trampoline_kernelINS0_14default_configENS1_20scan_config_selectorIN3c107complexIdEEEEZZNS1_9scan_implILNS1_25lookback_scan_determinismE0ELb0ELb0ES3_PKS7_PS7_S7_ZZZN2at6native31launch_logcumsumexp_cuda_kernelERKNSE_10TensorBaseESI_lENKUlvE_clEvENKUlvE1_clEvEUlS7_S7_E_S7_EEDaPvRmT3_T4_T5_mT6_P12ihipStream_tbENKUlT_T0_E_clISt17integral_constantIbLb0EESY_IbLb1EEEEDaSU_SV_EUlSU_E_NS1_11comp_targetILNS1_3genE2ELNS1_11target_archE906ELNS1_3gpuE6ELNS1_3repE0EEENS1_30default_config_static_selectorELNS0_4arch9wavefront6targetE1EEEvT1_
		.amdhsa_group_segment_fixed_size 15360
		.amdhsa_private_segment_fixed_size 0
		.amdhsa_kernarg_size 128
		.amdhsa_user_sgpr_count 6
		.amdhsa_user_sgpr_private_segment_buffer 1
		.amdhsa_user_sgpr_dispatch_ptr 0
		.amdhsa_user_sgpr_queue_ptr 0
		.amdhsa_user_sgpr_kernarg_segment_ptr 1
		.amdhsa_user_sgpr_dispatch_id 0
		.amdhsa_user_sgpr_flat_scratch_init 0
		.amdhsa_user_sgpr_private_segment_size 0
		.amdhsa_uses_dynamic_stack 0
		.amdhsa_system_sgpr_private_segment_wavefront_offset 0
		.amdhsa_system_sgpr_workgroup_id_x 1
		.amdhsa_system_sgpr_workgroup_id_y 0
		.amdhsa_system_sgpr_workgroup_id_z 0
		.amdhsa_system_sgpr_workgroup_info 0
		.amdhsa_system_vgpr_workitem_id 0
		.amdhsa_next_free_vgpr 171
		.amdhsa_next_free_sgpr 98
		.amdhsa_reserve_vcc 1
		.amdhsa_reserve_flat_scratch 0
		.amdhsa_float_round_mode_32 0
		.amdhsa_float_round_mode_16_64 0
		.amdhsa_float_denorm_mode_32 3
		.amdhsa_float_denorm_mode_16_64 3
		.amdhsa_dx10_clamp 1
		.amdhsa_ieee_mode 1
		.amdhsa_fp16_overflow 0
		.amdhsa_exception_fp_ieee_invalid_op 0
		.amdhsa_exception_fp_denorm_src 0
		.amdhsa_exception_fp_ieee_div_zero 0
		.amdhsa_exception_fp_ieee_overflow 0
		.amdhsa_exception_fp_ieee_underflow 0
		.amdhsa_exception_fp_ieee_inexact 0
		.amdhsa_exception_int_div_zero 0
	.end_amdhsa_kernel
	.section	.text._ZN7rocprim17ROCPRIM_400000_NS6detail17trampoline_kernelINS0_14default_configENS1_20scan_config_selectorIN3c107complexIdEEEEZZNS1_9scan_implILNS1_25lookback_scan_determinismE0ELb0ELb0ES3_PKS7_PS7_S7_ZZZN2at6native31launch_logcumsumexp_cuda_kernelERKNSE_10TensorBaseESI_lENKUlvE_clEvENKUlvE1_clEvEUlS7_S7_E_S7_EEDaPvRmT3_T4_T5_mT6_P12ihipStream_tbENKUlT_T0_E_clISt17integral_constantIbLb0EESY_IbLb1EEEEDaSU_SV_EUlSU_E_NS1_11comp_targetILNS1_3genE2ELNS1_11target_archE906ELNS1_3gpuE6ELNS1_3repE0EEENS1_30default_config_static_selectorELNS0_4arch9wavefront6targetE1EEEvT1_,"axG",@progbits,_ZN7rocprim17ROCPRIM_400000_NS6detail17trampoline_kernelINS0_14default_configENS1_20scan_config_selectorIN3c107complexIdEEEEZZNS1_9scan_implILNS1_25lookback_scan_determinismE0ELb0ELb0ES3_PKS7_PS7_S7_ZZZN2at6native31launch_logcumsumexp_cuda_kernelERKNSE_10TensorBaseESI_lENKUlvE_clEvENKUlvE1_clEvEUlS7_S7_E_S7_EEDaPvRmT3_T4_T5_mT6_P12ihipStream_tbENKUlT_T0_E_clISt17integral_constantIbLb0EESY_IbLb1EEEEDaSU_SV_EUlSU_E_NS1_11comp_targetILNS1_3genE2ELNS1_11target_archE906ELNS1_3gpuE6ELNS1_3repE0EEENS1_30default_config_static_selectorELNS0_4arch9wavefront6targetE1EEEvT1_,comdat
.Lfunc_end245:
	.size	_ZN7rocprim17ROCPRIM_400000_NS6detail17trampoline_kernelINS0_14default_configENS1_20scan_config_selectorIN3c107complexIdEEEEZZNS1_9scan_implILNS1_25lookback_scan_determinismE0ELb0ELb0ES3_PKS7_PS7_S7_ZZZN2at6native31launch_logcumsumexp_cuda_kernelERKNSE_10TensorBaseESI_lENKUlvE_clEvENKUlvE1_clEvEUlS7_S7_E_S7_EEDaPvRmT3_T4_T5_mT6_P12ihipStream_tbENKUlT_T0_E_clISt17integral_constantIbLb0EESY_IbLb1EEEEDaSU_SV_EUlSU_E_NS1_11comp_targetILNS1_3genE2ELNS1_11target_archE906ELNS1_3gpuE6ELNS1_3repE0EEENS1_30default_config_static_selectorELNS0_4arch9wavefront6targetE1EEEvT1_, .Lfunc_end245-_ZN7rocprim17ROCPRIM_400000_NS6detail17trampoline_kernelINS0_14default_configENS1_20scan_config_selectorIN3c107complexIdEEEEZZNS1_9scan_implILNS1_25lookback_scan_determinismE0ELb0ELb0ES3_PKS7_PS7_S7_ZZZN2at6native31launch_logcumsumexp_cuda_kernelERKNSE_10TensorBaseESI_lENKUlvE_clEvENKUlvE1_clEvEUlS7_S7_E_S7_EEDaPvRmT3_T4_T5_mT6_P12ihipStream_tbENKUlT_T0_E_clISt17integral_constantIbLb0EESY_IbLb1EEEEDaSU_SV_EUlSU_E_NS1_11comp_targetILNS1_3genE2ELNS1_11target_archE906ELNS1_3gpuE6ELNS1_3repE0EEENS1_30default_config_static_selectorELNS0_4arch9wavefront6targetE1EEEvT1_
                                        ; -- End function
	.set _ZN7rocprim17ROCPRIM_400000_NS6detail17trampoline_kernelINS0_14default_configENS1_20scan_config_selectorIN3c107complexIdEEEEZZNS1_9scan_implILNS1_25lookback_scan_determinismE0ELb0ELb0ES3_PKS7_PS7_S7_ZZZN2at6native31launch_logcumsumexp_cuda_kernelERKNSE_10TensorBaseESI_lENKUlvE_clEvENKUlvE1_clEvEUlS7_S7_E_S7_EEDaPvRmT3_T4_T5_mT6_P12ihipStream_tbENKUlT_T0_E_clISt17integral_constantIbLb0EESY_IbLb1EEEEDaSU_SV_EUlSU_E_NS1_11comp_targetILNS1_3genE2ELNS1_11target_archE906ELNS1_3gpuE6ELNS1_3repE0EEENS1_30default_config_static_selectorELNS0_4arch9wavefront6targetE1EEEvT1_.num_vgpr, max(171, .L_ZZZZN2at6native31launch_logcumsumexp_cuda_kernelERKNS_10TensorBaseES3_lENKUlvE_clEvENKUlvE1_clEvENKUlN3c107complexIdEES8_E_clES8_S8_.num_vgpr)
	.set _ZN7rocprim17ROCPRIM_400000_NS6detail17trampoline_kernelINS0_14default_configENS1_20scan_config_selectorIN3c107complexIdEEEEZZNS1_9scan_implILNS1_25lookback_scan_determinismE0ELb0ELb0ES3_PKS7_PS7_S7_ZZZN2at6native31launch_logcumsumexp_cuda_kernelERKNSE_10TensorBaseESI_lENKUlvE_clEvENKUlvE1_clEvEUlS7_S7_E_S7_EEDaPvRmT3_T4_T5_mT6_P12ihipStream_tbENKUlT_T0_E_clISt17integral_constantIbLb0EESY_IbLb1EEEEDaSU_SV_EUlSU_E_NS1_11comp_targetILNS1_3genE2ELNS1_11target_archE906ELNS1_3gpuE6ELNS1_3repE0EEENS1_30default_config_static_selectorELNS0_4arch9wavefront6targetE1EEEvT1_.num_agpr, max(0, .L_ZZZZN2at6native31launch_logcumsumexp_cuda_kernelERKNS_10TensorBaseES3_lENKUlvE_clEvENKUlvE1_clEvENKUlN3c107complexIdEES8_E_clES8_S8_.num_agpr)
	.set _ZN7rocprim17ROCPRIM_400000_NS6detail17trampoline_kernelINS0_14default_configENS1_20scan_config_selectorIN3c107complexIdEEEEZZNS1_9scan_implILNS1_25lookback_scan_determinismE0ELb0ELb0ES3_PKS7_PS7_S7_ZZZN2at6native31launch_logcumsumexp_cuda_kernelERKNSE_10TensorBaseESI_lENKUlvE_clEvENKUlvE1_clEvEUlS7_S7_E_S7_EEDaPvRmT3_T4_T5_mT6_P12ihipStream_tbENKUlT_T0_E_clISt17integral_constantIbLb0EESY_IbLb1EEEEDaSU_SV_EUlSU_E_NS1_11comp_targetILNS1_3genE2ELNS1_11target_archE906ELNS1_3gpuE6ELNS1_3repE0EEENS1_30default_config_static_selectorELNS0_4arch9wavefront6targetE1EEEvT1_.numbered_sgpr, max(67, .L_ZZZZN2at6native31launch_logcumsumexp_cuda_kernelERKNS_10TensorBaseES3_lENKUlvE_clEvENKUlvE1_clEvENKUlN3c107complexIdEES8_E_clES8_S8_.numbered_sgpr)
	.set _ZN7rocprim17ROCPRIM_400000_NS6detail17trampoline_kernelINS0_14default_configENS1_20scan_config_selectorIN3c107complexIdEEEEZZNS1_9scan_implILNS1_25lookback_scan_determinismE0ELb0ELb0ES3_PKS7_PS7_S7_ZZZN2at6native31launch_logcumsumexp_cuda_kernelERKNSE_10TensorBaseESI_lENKUlvE_clEvENKUlvE1_clEvEUlS7_S7_E_S7_EEDaPvRmT3_T4_T5_mT6_P12ihipStream_tbENKUlT_T0_E_clISt17integral_constantIbLb0EESY_IbLb1EEEEDaSU_SV_EUlSU_E_NS1_11comp_targetILNS1_3genE2ELNS1_11target_archE906ELNS1_3gpuE6ELNS1_3repE0EEENS1_30default_config_static_selectorELNS0_4arch9wavefront6targetE1EEEvT1_.num_named_barrier, max(0, .L_ZZZZN2at6native31launch_logcumsumexp_cuda_kernelERKNS_10TensorBaseES3_lENKUlvE_clEvENKUlvE1_clEvENKUlN3c107complexIdEES8_E_clES8_S8_.num_named_barrier)
	.set _ZN7rocprim17ROCPRIM_400000_NS6detail17trampoline_kernelINS0_14default_configENS1_20scan_config_selectorIN3c107complexIdEEEEZZNS1_9scan_implILNS1_25lookback_scan_determinismE0ELb0ELb0ES3_PKS7_PS7_S7_ZZZN2at6native31launch_logcumsumexp_cuda_kernelERKNSE_10TensorBaseESI_lENKUlvE_clEvENKUlvE1_clEvEUlS7_S7_E_S7_EEDaPvRmT3_T4_T5_mT6_P12ihipStream_tbENKUlT_T0_E_clISt17integral_constantIbLb0EESY_IbLb1EEEEDaSU_SV_EUlSU_E_NS1_11comp_targetILNS1_3genE2ELNS1_11target_archE906ELNS1_3gpuE6ELNS1_3repE0EEENS1_30default_config_static_selectorELNS0_4arch9wavefront6targetE1EEEvT1_.private_seg_size, 0+max(.L_ZZZZN2at6native31launch_logcumsumexp_cuda_kernelERKNS_10TensorBaseES3_lENKUlvE_clEvENKUlvE1_clEvENKUlN3c107complexIdEES8_E_clES8_S8_.private_seg_size)
	.set _ZN7rocprim17ROCPRIM_400000_NS6detail17trampoline_kernelINS0_14default_configENS1_20scan_config_selectorIN3c107complexIdEEEEZZNS1_9scan_implILNS1_25lookback_scan_determinismE0ELb0ELb0ES3_PKS7_PS7_S7_ZZZN2at6native31launch_logcumsumexp_cuda_kernelERKNSE_10TensorBaseESI_lENKUlvE_clEvENKUlvE1_clEvEUlS7_S7_E_S7_EEDaPvRmT3_T4_T5_mT6_P12ihipStream_tbENKUlT_T0_E_clISt17integral_constantIbLb0EESY_IbLb1EEEEDaSU_SV_EUlSU_E_NS1_11comp_targetILNS1_3genE2ELNS1_11target_archE906ELNS1_3gpuE6ELNS1_3repE0EEENS1_30default_config_static_selectorELNS0_4arch9wavefront6targetE1EEEvT1_.uses_vcc, or(1, .L_ZZZZN2at6native31launch_logcumsumexp_cuda_kernelERKNS_10TensorBaseES3_lENKUlvE_clEvENKUlvE1_clEvENKUlN3c107complexIdEES8_E_clES8_S8_.uses_vcc)
	.set _ZN7rocprim17ROCPRIM_400000_NS6detail17trampoline_kernelINS0_14default_configENS1_20scan_config_selectorIN3c107complexIdEEEEZZNS1_9scan_implILNS1_25lookback_scan_determinismE0ELb0ELb0ES3_PKS7_PS7_S7_ZZZN2at6native31launch_logcumsumexp_cuda_kernelERKNSE_10TensorBaseESI_lENKUlvE_clEvENKUlvE1_clEvEUlS7_S7_E_S7_EEDaPvRmT3_T4_T5_mT6_P12ihipStream_tbENKUlT_T0_E_clISt17integral_constantIbLb0EESY_IbLb1EEEEDaSU_SV_EUlSU_E_NS1_11comp_targetILNS1_3genE2ELNS1_11target_archE906ELNS1_3gpuE6ELNS1_3repE0EEENS1_30default_config_static_selectorELNS0_4arch9wavefront6targetE1EEEvT1_.uses_flat_scratch, or(0, .L_ZZZZN2at6native31launch_logcumsumexp_cuda_kernelERKNS_10TensorBaseES3_lENKUlvE_clEvENKUlvE1_clEvENKUlN3c107complexIdEES8_E_clES8_S8_.uses_flat_scratch)
	.set _ZN7rocprim17ROCPRIM_400000_NS6detail17trampoline_kernelINS0_14default_configENS1_20scan_config_selectorIN3c107complexIdEEEEZZNS1_9scan_implILNS1_25lookback_scan_determinismE0ELb0ELb0ES3_PKS7_PS7_S7_ZZZN2at6native31launch_logcumsumexp_cuda_kernelERKNSE_10TensorBaseESI_lENKUlvE_clEvENKUlvE1_clEvEUlS7_S7_E_S7_EEDaPvRmT3_T4_T5_mT6_P12ihipStream_tbENKUlT_T0_E_clISt17integral_constantIbLb0EESY_IbLb1EEEEDaSU_SV_EUlSU_E_NS1_11comp_targetILNS1_3genE2ELNS1_11target_archE906ELNS1_3gpuE6ELNS1_3repE0EEENS1_30default_config_static_selectorELNS0_4arch9wavefront6targetE1EEEvT1_.has_dyn_sized_stack, or(0, .L_ZZZZN2at6native31launch_logcumsumexp_cuda_kernelERKNS_10TensorBaseES3_lENKUlvE_clEvENKUlvE1_clEvENKUlN3c107complexIdEES8_E_clES8_S8_.has_dyn_sized_stack)
	.set _ZN7rocprim17ROCPRIM_400000_NS6detail17trampoline_kernelINS0_14default_configENS1_20scan_config_selectorIN3c107complexIdEEEEZZNS1_9scan_implILNS1_25lookback_scan_determinismE0ELb0ELb0ES3_PKS7_PS7_S7_ZZZN2at6native31launch_logcumsumexp_cuda_kernelERKNSE_10TensorBaseESI_lENKUlvE_clEvENKUlvE1_clEvEUlS7_S7_E_S7_EEDaPvRmT3_T4_T5_mT6_P12ihipStream_tbENKUlT_T0_E_clISt17integral_constantIbLb0EESY_IbLb1EEEEDaSU_SV_EUlSU_E_NS1_11comp_targetILNS1_3genE2ELNS1_11target_archE906ELNS1_3gpuE6ELNS1_3repE0EEENS1_30default_config_static_selectorELNS0_4arch9wavefront6targetE1EEEvT1_.has_recursion, or(0, .L_ZZZZN2at6native31launch_logcumsumexp_cuda_kernelERKNS_10TensorBaseES3_lENKUlvE_clEvENKUlvE1_clEvENKUlN3c107complexIdEES8_E_clES8_S8_.has_recursion)
	.set _ZN7rocprim17ROCPRIM_400000_NS6detail17trampoline_kernelINS0_14default_configENS1_20scan_config_selectorIN3c107complexIdEEEEZZNS1_9scan_implILNS1_25lookback_scan_determinismE0ELb0ELb0ES3_PKS7_PS7_S7_ZZZN2at6native31launch_logcumsumexp_cuda_kernelERKNSE_10TensorBaseESI_lENKUlvE_clEvENKUlvE1_clEvEUlS7_S7_E_S7_EEDaPvRmT3_T4_T5_mT6_P12ihipStream_tbENKUlT_T0_E_clISt17integral_constantIbLb0EESY_IbLb1EEEEDaSU_SV_EUlSU_E_NS1_11comp_targetILNS1_3genE2ELNS1_11target_archE906ELNS1_3gpuE6ELNS1_3repE0EEENS1_30default_config_static_selectorELNS0_4arch9wavefront6targetE1EEEvT1_.has_indirect_call, or(0, .L_ZZZZN2at6native31launch_logcumsumexp_cuda_kernelERKNS_10TensorBaseES3_lENKUlvE_clEvENKUlvE1_clEvENKUlN3c107complexIdEES8_E_clES8_S8_.has_indirect_call)
	.section	.AMDGPU.csdata,"",@progbits
; Kernel info:
; codeLenInByte = 9760
; TotalNumSgprs: 71
; NumVgprs: 171
; ScratchSize: 0
; MemoryBound: 1
; FloatMode: 240
; IeeeMode: 1
; LDSByteSize: 15360 bytes/workgroup (compile time only)
; SGPRBlocks: 12
; VGPRBlocks: 42
; NumSGPRsForWavesPerEU: 102
; NumVGPRsForWavesPerEU: 171
; Occupancy: 1
; WaveLimiterHint : 1
; COMPUTE_PGM_RSRC2:SCRATCH_EN: 0
; COMPUTE_PGM_RSRC2:USER_SGPR: 6
; COMPUTE_PGM_RSRC2:TRAP_HANDLER: 0
; COMPUTE_PGM_RSRC2:TGID_X_EN: 1
; COMPUTE_PGM_RSRC2:TGID_Y_EN: 0
; COMPUTE_PGM_RSRC2:TGID_Z_EN: 0
; COMPUTE_PGM_RSRC2:TIDIG_COMP_CNT: 0
	.section	.text._ZN7rocprim17ROCPRIM_400000_NS6detail17trampoline_kernelINS0_14default_configENS1_20scan_config_selectorIN3c107complexIdEEEEZZNS1_9scan_implILNS1_25lookback_scan_determinismE0ELb0ELb0ES3_PKS7_PS7_S7_ZZZN2at6native31launch_logcumsumexp_cuda_kernelERKNSE_10TensorBaseESI_lENKUlvE_clEvENKUlvE1_clEvEUlS7_S7_E_S7_EEDaPvRmT3_T4_T5_mT6_P12ihipStream_tbENKUlT_T0_E_clISt17integral_constantIbLb0EESY_IbLb1EEEEDaSU_SV_EUlSU_E_NS1_11comp_targetILNS1_3genE10ELNS1_11target_archE1201ELNS1_3gpuE5ELNS1_3repE0EEENS1_30default_config_static_selectorELNS0_4arch9wavefront6targetE1EEEvT1_,"axG",@progbits,_ZN7rocprim17ROCPRIM_400000_NS6detail17trampoline_kernelINS0_14default_configENS1_20scan_config_selectorIN3c107complexIdEEEEZZNS1_9scan_implILNS1_25lookback_scan_determinismE0ELb0ELb0ES3_PKS7_PS7_S7_ZZZN2at6native31launch_logcumsumexp_cuda_kernelERKNSE_10TensorBaseESI_lENKUlvE_clEvENKUlvE1_clEvEUlS7_S7_E_S7_EEDaPvRmT3_T4_T5_mT6_P12ihipStream_tbENKUlT_T0_E_clISt17integral_constantIbLb0EESY_IbLb1EEEEDaSU_SV_EUlSU_E_NS1_11comp_targetILNS1_3genE10ELNS1_11target_archE1201ELNS1_3gpuE5ELNS1_3repE0EEENS1_30default_config_static_selectorELNS0_4arch9wavefront6targetE1EEEvT1_,comdat
	.globl	_ZN7rocprim17ROCPRIM_400000_NS6detail17trampoline_kernelINS0_14default_configENS1_20scan_config_selectorIN3c107complexIdEEEEZZNS1_9scan_implILNS1_25lookback_scan_determinismE0ELb0ELb0ES3_PKS7_PS7_S7_ZZZN2at6native31launch_logcumsumexp_cuda_kernelERKNSE_10TensorBaseESI_lENKUlvE_clEvENKUlvE1_clEvEUlS7_S7_E_S7_EEDaPvRmT3_T4_T5_mT6_P12ihipStream_tbENKUlT_T0_E_clISt17integral_constantIbLb0EESY_IbLb1EEEEDaSU_SV_EUlSU_E_NS1_11comp_targetILNS1_3genE10ELNS1_11target_archE1201ELNS1_3gpuE5ELNS1_3repE0EEENS1_30default_config_static_selectorELNS0_4arch9wavefront6targetE1EEEvT1_ ; -- Begin function _ZN7rocprim17ROCPRIM_400000_NS6detail17trampoline_kernelINS0_14default_configENS1_20scan_config_selectorIN3c107complexIdEEEEZZNS1_9scan_implILNS1_25lookback_scan_determinismE0ELb0ELb0ES3_PKS7_PS7_S7_ZZZN2at6native31launch_logcumsumexp_cuda_kernelERKNSE_10TensorBaseESI_lENKUlvE_clEvENKUlvE1_clEvEUlS7_S7_E_S7_EEDaPvRmT3_T4_T5_mT6_P12ihipStream_tbENKUlT_T0_E_clISt17integral_constantIbLb0EESY_IbLb1EEEEDaSU_SV_EUlSU_E_NS1_11comp_targetILNS1_3genE10ELNS1_11target_archE1201ELNS1_3gpuE5ELNS1_3repE0EEENS1_30default_config_static_selectorELNS0_4arch9wavefront6targetE1EEEvT1_
	.p2align	8
	.type	_ZN7rocprim17ROCPRIM_400000_NS6detail17trampoline_kernelINS0_14default_configENS1_20scan_config_selectorIN3c107complexIdEEEEZZNS1_9scan_implILNS1_25lookback_scan_determinismE0ELb0ELb0ES3_PKS7_PS7_S7_ZZZN2at6native31launch_logcumsumexp_cuda_kernelERKNSE_10TensorBaseESI_lENKUlvE_clEvENKUlvE1_clEvEUlS7_S7_E_S7_EEDaPvRmT3_T4_T5_mT6_P12ihipStream_tbENKUlT_T0_E_clISt17integral_constantIbLb0EESY_IbLb1EEEEDaSU_SV_EUlSU_E_NS1_11comp_targetILNS1_3genE10ELNS1_11target_archE1201ELNS1_3gpuE5ELNS1_3repE0EEENS1_30default_config_static_selectorELNS0_4arch9wavefront6targetE1EEEvT1_,@function
_ZN7rocprim17ROCPRIM_400000_NS6detail17trampoline_kernelINS0_14default_configENS1_20scan_config_selectorIN3c107complexIdEEEEZZNS1_9scan_implILNS1_25lookback_scan_determinismE0ELb0ELb0ES3_PKS7_PS7_S7_ZZZN2at6native31launch_logcumsumexp_cuda_kernelERKNSE_10TensorBaseESI_lENKUlvE_clEvENKUlvE1_clEvEUlS7_S7_E_S7_EEDaPvRmT3_T4_T5_mT6_P12ihipStream_tbENKUlT_T0_E_clISt17integral_constantIbLb0EESY_IbLb1EEEEDaSU_SV_EUlSU_E_NS1_11comp_targetILNS1_3genE10ELNS1_11target_archE1201ELNS1_3gpuE5ELNS1_3repE0EEENS1_30default_config_static_selectorELNS0_4arch9wavefront6targetE1EEEvT1_: ; @_ZN7rocprim17ROCPRIM_400000_NS6detail17trampoline_kernelINS0_14default_configENS1_20scan_config_selectorIN3c107complexIdEEEEZZNS1_9scan_implILNS1_25lookback_scan_determinismE0ELb0ELb0ES3_PKS7_PS7_S7_ZZZN2at6native31launch_logcumsumexp_cuda_kernelERKNSE_10TensorBaseESI_lENKUlvE_clEvENKUlvE1_clEvEUlS7_S7_E_S7_EEDaPvRmT3_T4_T5_mT6_P12ihipStream_tbENKUlT_T0_E_clISt17integral_constantIbLb0EESY_IbLb1EEEEDaSU_SV_EUlSU_E_NS1_11comp_targetILNS1_3genE10ELNS1_11target_archE1201ELNS1_3gpuE5ELNS1_3repE0EEENS1_30default_config_static_selectorELNS0_4arch9wavefront6targetE1EEEvT1_
; %bb.0:
	.section	.rodata,"a",@progbits
	.p2align	6, 0x0
	.amdhsa_kernel _ZN7rocprim17ROCPRIM_400000_NS6detail17trampoline_kernelINS0_14default_configENS1_20scan_config_selectorIN3c107complexIdEEEEZZNS1_9scan_implILNS1_25lookback_scan_determinismE0ELb0ELb0ES3_PKS7_PS7_S7_ZZZN2at6native31launch_logcumsumexp_cuda_kernelERKNSE_10TensorBaseESI_lENKUlvE_clEvENKUlvE1_clEvEUlS7_S7_E_S7_EEDaPvRmT3_T4_T5_mT6_P12ihipStream_tbENKUlT_T0_E_clISt17integral_constantIbLb0EESY_IbLb1EEEEDaSU_SV_EUlSU_E_NS1_11comp_targetILNS1_3genE10ELNS1_11target_archE1201ELNS1_3gpuE5ELNS1_3repE0EEENS1_30default_config_static_selectorELNS0_4arch9wavefront6targetE1EEEvT1_
		.amdhsa_group_segment_fixed_size 0
		.amdhsa_private_segment_fixed_size 0
		.amdhsa_kernarg_size 128
		.amdhsa_user_sgpr_count 6
		.amdhsa_user_sgpr_private_segment_buffer 1
		.amdhsa_user_sgpr_dispatch_ptr 0
		.amdhsa_user_sgpr_queue_ptr 0
		.amdhsa_user_sgpr_kernarg_segment_ptr 1
		.amdhsa_user_sgpr_dispatch_id 0
		.amdhsa_user_sgpr_flat_scratch_init 0
		.amdhsa_user_sgpr_private_segment_size 0
		.amdhsa_uses_dynamic_stack 0
		.amdhsa_system_sgpr_private_segment_wavefront_offset 0
		.amdhsa_system_sgpr_workgroup_id_x 1
		.amdhsa_system_sgpr_workgroup_id_y 0
		.amdhsa_system_sgpr_workgroup_id_z 0
		.amdhsa_system_sgpr_workgroup_info 0
		.amdhsa_system_vgpr_workitem_id 0
		.amdhsa_next_free_vgpr 1
		.amdhsa_next_free_sgpr 0
		.amdhsa_reserve_vcc 0
		.amdhsa_reserve_flat_scratch 0
		.amdhsa_float_round_mode_32 0
		.amdhsa_float_round_mode_16_64 0
		.amdhsa_float_denorm_mode_32 3
		.amdhsa_float_denorm_mode_16_64 3
		.amdhsa_dx10_clamp 1
		.amdhsa_ieee_mode 1
		.amdhsa_fp16_overflow 0
		.amdhsa_exception_fp_ieee_invalid_op 0
		.amdhsa_exception_fp_denorm_src 0
		.amdhsa_exception_fp_ieee_div_zero 0
		.amdhsa_exception_fp_ieee_overflow 0
		.amdhsa_exception_fp_ieee_underflow 0
		.amdhsa_exception_fp_ieee_inexact 0
		.amdhsa_exception_int_div_zero 0
	.end_amdhsa_kernel
	.section	.text._ZN7rocprim17ROCPRIM_400000_NS6detail17trampoline_kernelINS0_14default_configENS1_20scan_config_selectorIN3c107complexIdEEEEZZNS1_9scan_implILNS1_25lookback_scan_determinismE0ELb0ELb0ES3_PKS7_PS7_S7_ZZZN2at6native31launch_logcumsumexp_cuda_kernelERKNSE_10TensorBaseESI_lENKUlvE_clEvENKUlvE1_clEvEUlS7_S7_E_S7_EEDaPvRmT3_T4_T5_mT6_P12ihipStream_tbENKUlT_T0_E_clISt17integral_constantIbLb0EESY_IbLb1EEEEDaSU_SV_EUlSU_E_NS1_11comp_targetILNS1_3genE10ELNS1_11target_archE1201ELNS1_3gpuE5ELNS1_3repE0EEENS1_30default_config_static_selectorELNS0_4arch9wavefront6targetE1EEEvT1_,"axG",@progbits,_ZN7rocprim17ROCPRIM_400000_NS6detail17trampoline_kernelINS0_14default_configENS1_20scan_config_selectorIN3c107complexIdEEEEZZNS1_9scan_implILNS1_25lookback_scan_determinismE0ELb0ELb0ES3_PKS7_PS7_S7_ZZZN2at6native31launch_logcumsumexp_cuda_kernelERKNSE_10TensorBaseESI_lENKUlvE_clEvENKUlvE1_clEvEUlS7_S7_E_S7_EEDaPvRmT3_T4_T5_mT6_P12ihipStream_tbENKUlT_T0_E_clISt17integral_constantIbLb0EESY_IbLb1EEEEDaSU_SV_EUlSU_E_NS1_11comp_targetILNS1_3genE10ELNS1_11target_archE1201ELNS1_3gpuE5ELNS1_3repE0EEENS1_30default_config_static_selectorELNS0_4arch9wavefront6targetE1EEEvT1_,comdat
.Lfunc_end246:
	.size	_ZN7rocprim17ROCPRIM_400000_NS6detail17trampoline_kernelINS0_14default_configENS1_20scan_config_selectorIN3c107complexIdEEEEZZNS1_9scan_implILNS1_25lookback_scan_determinismE0ELb0ELb0ES3_PKS7_PS7_S7_ZZZN2at6native31launch_logcumsumexp_cuda_kernelERKNSE_10TensorBaseESI_lENKUlvE_clEvENKUlvE1_clEvEUlS7_S7_E_S7_EEDaPvRmT3_T4_T5_mT6_P12ihipStream_tbENKUlT_T0_E_clISt17integral_constantIbLb0EESY_IbLb1EEEEDaSU_SV_EUlSU_E_NS1_11comp_targetILNS1_3genE10ELNS1_11target_archE1201ELNS1_3gpuE5ELNS1_3repE0EEENS1_30default_config_static_selectorELNS0_4arch9wavefront6targetE1EEEvT1_, .Lfunc_end246-_ZN7rocprim17ROCPRIM_400000_NS6detail17trampoline_kernelINS0_14default_configENS1_20scan_config_selectorIN3c107complexIdEEEEZZNS1_9scan_implILNS1_25lookback_scan_determinismE0ELb0ELb0ES3_PKS7_PS7_S7_ZZZN2at6native31launch_logcumsumexp_cuda_kernelERKNSE_10TensorBaseESI_lENKUlvE_clEvENKUlvE1_clEvEUlS7_S7_E_S7_EEDaPvRmT3_T4_T5_mT6_P12ihipStream_tbENKUlT_T0_E_clISt17integral_constantIbLb0EESY_IbLb1EEEEDaSU_SV_EUlSU_E_NS1_11comp_targetILNS1_3genE10ELNS1_11target_archE1201ELNS1_3gpuE5ELNS1_3repE0EEENS1_30default_config_static_selectorELNS0_4arch9wavefront6targetE1EEEvT1_
                                        ; -- End function
	.set _ZN7rocprim17ROCPRIM_400000_NS6detail17trampoline_kernelINS0_14default_configENS1_20scan_config_selectorIN3c107complexIdEEEEZZNS1_9scan_implILNS1_25lookback_scan_determinismE0ELb0ELb0ES3_PKS7_PS7_S7_ZZZN2at6native31launch_logcumsumexp_cuda_kernelERKNSE_10TensorBaseESI_lENKUlvE_clEvENKUlvE1_clEvEUlS7_S7_E_S7_EEDaPvRmT3_T4_T5_mT6_P12ihipStream_tbENKUlT_T0_E_clISt17integral_constantIbLb0EESY_IbLb1EEEEDaSU_SV_EUlSU_E_NS1_11comp_targetILNS1_3genE10ELNS1_11target_archE1201ELNS1_3gpuE5ELNS1_3repE0EEENS1_30default_config_static_selectorELNS0_4arch9wavefront6targetE1EEEvT1_.num_vgpr, 0
	.set _ZN7rocprim17ROCPRIM_400000_NS6detail17trampoline_kernelINS0_14default_configENS1_20scan_config_selectorIN3c107complexIdEEEEZZNS1_9scan_implILNS1_25lookback_scan_determinismE0ELb0ELb0ES3_PKS7_PS7_S7_ZZZN2at6native31launch_logcumsumexp_cuda_kernelERKNSE_10TensorBaseESI_lENKUlvE_clEvENKUlvE1_clEvEUlS7_S7_E_S7_EEDaPvRmT3_T4_T5_mT6_P12ihipStream_tbENKUlT_T0_E_clISt17integral_constantIbLb0EESY_IbLb1EEEEDaSU_SV_EUlSU_E_NS1_11comp_targetILNS1_3genE10ELNS1_11target_archE1201ELNS1_3gpuE5ELNS1_3repE0EEENS1_30default_config_static_selectorELNS0_4arch9wavefront6targetE1EEEvT1_.num_agpr, 0
	.set _ZN7rocprim17ROCPRIM_400000_NS6detail17trampoline_kernelINS0_14default_configENS1_20scan_config_selectorIN3c107complexIdEEEEZZNS1_9scan_implILNS1_25lookback_scan_determinismE0ELb0ELb0ES3_PKS7_PS7_S7_ZZZN2at6native31launch_logcumsumexp_cuda_kernelERKNSE_10TensorBaseESI_lENKUlvE_clEvENKUlvE1_clEvEUlS7_S7_E_S7_EEDaPvRmT3_T4_T5_mT6_P12ihipStream_tbENKUlT_T0_E_clISt17integral_constantIbLb0EESY_IbLb1EEEEDaSU_SV_EUlSU_E_NS1_11comp_targetILNS1_3genE10ELNS1_11target_archE1201ELNS1_3gpuE5ELNS1_3repE0EEENS1_30default_config_static_selectorELNS0_4arch9wavefront6targetE1EEEvT1_.numbered_sgpr, 0
	.set _ZN7rocprim17ROCPRIM_400000_NS6detail17trampoline_kernelINS0_14default_configENS1_20scan_config_selectorIN3c107complexIdEEEEZZNS1_9scan_implILNS1_25lookback_scan_determinismE0ELb0ELb0ES3_PKS7_PS7_S7_ZZZN2at6native31launch_logcumsumexp_cuda_kernelERKNSE_10TensorBaseESI_lENKUlvE_clEvENKUlvE1_clEvEUlS7_S7_E_S7_EEDaPvRmT3_T4_T5_mT6_P12ihipStream_tbENKUlT_T0_E_clISt17integral_constantIbLb0EESY_IbLb1EEEEDaSU_SV_EUlSU_E_NS1_11comp_targetILNS1_3genE10ELNS1_11target_archE1201ELNS1_3gpuE5ELNS1_3repE0EEENS1_30default_config_static_selectorELNS0_4arch9wavefront6targetE1EEEvT1_.num_named_barrier, 0
	.set _ZN7rocprim17ROCPRIM_400000_NS6detail17trampoline_kernelINS0_14default_configENS1_20scan_config_selectorIN3c107complexIdEEEEZZNS1_9scan_implILNS1_25lookback_scan_determinismE0ELb0ELb0ES3_PKS7_PS7_S7_ZZZN2at6native31launch_logcumsumexp_cuda_kernelERKNSE_10TensorBaseESI_lENKUlvE_clEvENKUlvE1_clEvEUlS7_S7_E_S7_EEDaPvRmT3_T4_T5_mT6_P12ihipStream_tbENKUlT_T0_E_clISt17integral_constantIbLb0EESY_IbLb1EEEEDaSU_SV_EUlSU_E_NS1_11comp_targetILNS1_3genE10ELNS1_11target_archE1201ELNS1_3gpuE5ELNS1_3repE0EEENS1_30default_config_static_selectorELNS0_4arch9wavefront6targetE1EEEvT1_.private_seg_size, 0
	.set _ZN7rocprim17ROCPRIM_400000_NS6detail17trampoline_kernelINS0_14default_configENS1_20scan_config_selectorIN3c107complexIdEEEEZZNS1_9scan_implILNS1_25lookback_scan_determinismE0ELb0ELb0ES3_PKS7_PS7_S7_ZZZN2at6native31launch_logcumsumexp_cuda_kernelERKNSE_10TensorBaseESI_lENKUlvE_clEvENKUlvE1_clEvEUlS7_S7_E_S7_EEDaPvRmT3_T4_T5_mT6_P12ihipStream_tbENKUlT_T0_E_clISt17integral_constantIbLb0EESY_IbLb1EEEEDaSU_SV_EUlSU_E_NS1_11comp_targetILNS1_3genE10ELNS1_11target_archE1201ELNS1_3gpuE5ELNS1_3repE0EEENS1_30default_config_static_selectorELNS0_4arch9wavefront6targetE1EEEvT1_.uses_vcc, 0
	.set _ZN7rocprim17ROCPRIM_400000_NS6detail17trampoline_kernelINS0_14default_configENS1_20scan_config_selectorIN3c107complexIdEEEEZZNS1_9scan_implILNS1_25lookback_scan_determinismE0ELb0ELb0ES3_PKS7_PS7_S7_ZZZN2at6native31launch_logcumsumexp_cuda_kernelERKNSE_10TensorBaseESI_lENKUlvE_clEvENKUlvE1_clEvEUlS7_S7_E_S7_EEDaPvRmT3_T4_T5_mT6_P12ihipStream_tbENKUlT_T0_E_clISt17integral_constantIbLb0EESY_IbLb1EEEEDaSU_SV_EUlSU_E_NS1_11comp_targetILNS1_3genE10ELNS1_11target_archE1201ELNS1_3gpuE5ELNS1_3repE0EEENS1_30default_config_static_selectorELNS0_4arch9wavefront6targetE1EEEvT1_.uses_flat_scratch, 0
	.set _ZN7rocprim17ROCPRIM_400000_NS6detail17trampoline_kernelINS0_14default_configENS1_20scan_config_selectorIN3c107complexIdEEEEZZNS1_9scan_implILNS1_25lookback_scan_determinismE0ELb0ELb0ES3_PKS7_PS7_S7_ZZZN2at6native31launch_logcumsumexp_cuda_kernelERKNSE_10TensorBaseESI_lENKUlvE_clEvENKUlvE1_clEvEUlS7_S7_E_S7_EEDaPvRmT3_T4_T5_mT6_P12ihipStream_tbENKUlT_T0_E_clISt17integral_constantIbLb0EESY_IbLb1EEEEDaSU_SV_EUlSU_E_NS1_11comp_targetILNS1_3genE10ELNS1_11target_archE1201ELNS1_3gpuE5ELNS1_3repE0EEENS1_30default_config_static_selectorELNS0_4arch9wavefront6targetE1EEEvT1_.has_dyn_sized_stack, 0
	.set _ZN7rocprim17ROCPRIM_400000_NS6detail17trampoline_kernelINS0_14default_configENS1_20scan_config_selectorIN3c107complexIdEEEEZZNS1_9scan_implILNS1_25lookback_scan_determinismE0ELb0ELb0ES3_PKS7_PS7_S7_ZZZN2at6native31launch_logcumsumexp_cuda_kernelERKNSE_10TensorBaseESI_lENKUlvE_clEvENKUlvE1_clEvEUlS7_S7_E_S7_EEDaPvRmT3_T4_T5_mT6_P12ihipStream_tbENKUlT_T0_E_clISt17integral_constantIbLb0EESY_IbLb1EEEEDaSU_SV_EUlSU_E_NS1_11comp_targetILNS1_3genE10ELNS1_11target_archE1201ELNS1_3gpuE5ELNS1_3repE0EEENS1_30default_config_static_selectorELNS0_4arch9wavefront6targetE1EEEvT1_.has_recursion, 0
	.set _ZN7rocprim17ROCPRIM_400000_NS6detail17trampoline_kernelINS0_14default_configENS1_20scan_config_selectorIN3c107complexIdEEEEZZNS1_9scan_implILNS1_25lookback_scan_determinismE0ELb0ELb0ES3_PKS7_PS7_S7_ZZZN2at6native31launch_logcumsumexp_cuda_kernelERKNSE_10TensorBaseESI_lENKUlvE_clEvENKUlvE1_clEvEUlS7_S7_E_S7_EEDaPvRmT3_T4_T5_mT6_P12ihipStream_tbENKUlT_T0_E_clISt17integral_constantIbLb0EESY_IbLb1EEEEDaSU_SV_EUlSU_E_NS1_11comp_targetILNS1_3genE10ELNS1_11target_archE1201ELNS1_3gpuE5ELNS1_3repE0EEENS1_30default_config_static_selectorELNS0_4arch9wavefront6targetE1EEEvT1_.has_indirect_call, 0
	.section	.AMDGPU.csdata,"",@progbits
; Kernel info:
; codeLenInByte = 0
; TotalNumSgprs: 4
; NumVgprs: 0
; ScratchSize: 0
; MemoryBound: 0
; FloatMode: 240
; IeeeMode: 1
; LDSByteSize: 0 bytes/workgroup (compile time only)
; SGPRBlocks: 0
; VGPRBlocks: 0
; NumSGPRsForWavesPerEU: 4
; NumVGPRsForWavesPerEU: 1
; Occupancy: 10
; WaveLimiterHint : 0
; COMPUTE_PGM_RSRC2:SCRATCH_EN: 0
; COMPUTE_PGM_RSRC2:USER_SGPR: 6
; COMPUTE_PGM_RSRC2:TRAP_HANDLER: 0
; COMPUTE_PGM_RSRC2:TGID_X_EN: 1
; COMPUTE_PGM_RSRC2:TGID_Y_EN: 0
; COMPUTE_PGM_RSRC2:TGID_Z_EN: 0
; COMPUTE_PGM_RSRC2:TIDIG_COMP_CNT: 0
	.section	.text._ZN7rocprim17ROCPRIM_400000_NS6detail17trampoline_kernelINS0_14default_configENS1_20scan_config_selectorIN3c107complexIdEEEEZZNS1_9scan_implILNS1_25lookback_scan_determinismE0ELb0ELb0ES3_PKS7_PS7_S7_ZZZN2at6native31launch_logcumsumexp_cuda_kernelERKNSE_10TensorBaseESI_lENKUlvE_clEvENKUlvE1_clEvEUlS7_S7_E_S7_EEDaPvRmT3_T4_T5_mT6_P12ihipStream_tbENKUlT_T0_E_clISt17integral_constantIbLb0EESY_IbLb1EEEEDaSU_SV_EUlSU_E_NS1_11comp_targetILNS1_3genE10ELNS1_11target_archE1200ELNS1_3gpuE4ELNS1_3repE0EEENS1_30default_config_static_selectorELNS0_4arch9wavefront6targetE1EEEvT1_,"axG",@progbits,_ZN7rocprim17ROCPRIM_400000_NS6detail17trampoline_kernelINS0_14default_configENS1_20scan_config_selectorIN3c107complexIdEEEEZZNS1_9scan_implILNS1_25lookback_scan_determinismE0ELb0ELb0ES3_PKS7_PS7_S7_ZZZN2at6native31launch_logcumsumexp_cuda_kernelERKNSE_10TensorBaseESI_lENKUlvE_clEvENKUlvE1_clEvEUlS7_S7_E_S7_EEDaPvRmT3_T4_T5_mT6_P12ihipStream_tbENKUlT_T0_E_clISt17integral_constantIbLb0EESY_IbLb1EEEEDaSU_SV_EUlSU_E_NS1_11comp_targetILNS1_3genE10ELNS1_11target_archE1200ELNS1_3gpuE4ELNS1_3repE0EEENS1_30default_config_static_selectorELNS0_4arch9wavefront6targetE1EEEvT1_,comdat
	.globl	_ZN7rocprim17ROCPRIM_400000_NS6detail17trampoline_kernelINS0_14default_configENS1_20scan_config_selectorIN3c107complexIdEEEEZZNS1_9scan_implILNS1_25lookback_scan_determinismE0ELb0ELb0ES3_PKS7_PS7_S7_ZZZN2at6native31launch_logcumsumexp_cuda_kernelERKNSE_10TensorBaseESI_lENKUlvE_clEvENKUlvE1_clEvEUlS7_S7_E_S7_EEDaPvRmT3_T4_T5_mT6_P12ihipStream_tbENKUlT_T0_E_clISt17integral_constantIbLb0EESY_IbLb1EEEEDaSU_SV_EUlSU_E_NS1_11comp_targetILNS1_3genE10ELNS1_11target_archE1200ELNS1_3gpuE4ELNS1_3repE0EEENS1_30default_config_static_selectorELNS0_4arch9wavefront6targetE1EEEvT1_ ; -- Begin function _ZN7rocprim17ROCPRIM_400000_NS6detail17trampoline_kernelINS0_14default_configENS1_20scan_config_selectorIN3c107complexIdEEEEZZNS1_9scan_implILNS1_25lookback_scan_determinismE0ELb0ELb0ES3_PKS7_PS7_S7_ZZZN2at6native31launch_logcumsumexp_cuda_kernelERKNSE_10TensorBaseESI_lENKUlvE_clEvENKUlvE1_clEvEUlS7_S7_E_S7_EEDaPvRmT3_T4_T5_mT6_P12ihipStream_tbENKUlT_T0_E_clISt17integral_constantIbLb0EESY_IbLb1EEEEDaSU_SV_EUlSU_E_NS1_11comp_targetILNS1_3genE10ELNS1_11target_archE1200ELNS1_3gpuE4ELNS1_3repE0EEENS1_30default_config_static_selectorELNS0_4arch9wavefront6targetE1EEEvT1_
	.p2align	8
	.type	_ZN7rocprim17ROCPRIM_400000_NS6detail17trampoline_kernelINS0_14default_configENS1_20scan_config_selectorIN3c107complexIdEEEEZZNS1_9scan_implILNS1_25lookback_scan_determinismE0ELb0ELb0ES3_PKS7_PS7_S7_ZZZN2at6native31launch_logcumsumexp_cuda_kernelERKNSE_10TensorBaseESI_lENKUlvE_clEvENKUlvE1_clEvEUlS7_S7_E_S7_EEDaPvRmT3_T4_T5_mT6_P12ihipStream_tbENKUlT_T0_E_clISt17integral_constantIbLb0EESY_IbLb1EEEEDaSU_SV_EUlSU_E_NS1_11comp_targetILNS1_3genE10ELNS1_11target_archE1200ELNS1_3gpuE4ELNS1_3repE0EEENS1_30default_config_static_selectorELNS0_4arch9wavefront6targetE1EEEvT1_,@function
_ZN7rocprim17ROCPRIM_400000_NS6detail17trampoline_kernelINS0_14default_configENS1_20scan_config_selectorIN3c107complexIdEEEEZZNS1_9scan_implILNS1_25lookback_scan_determinismE0ELb0ELb0ES3_PKS7_PS7_S7_ZZZN2at6native31launch_logcumsumexp_cuda_kernelERKNSE_10TensorBaseESI_lENKUlvE_clEvENKUlvE1_clEvEUlS7_S7_E_S7_EEDaPvRmT3_T4_T5_mT6_P12ihipStream_tbENKUlT_T0_E_clISt17integral_constantIbLb0EESY_IbLb1EEEEDaSU_SV_EUlSU_E_NS1_11comp_targetILNS1_3genE10ELNS1_11target_archE1200ELNS1_3gpuE4ELNS1_3repE0EEENS1_30default_config_static_selectorELNS0_4arch9wavefront6targetE1EEEvT1_: ; @_ZN7rocprim17ROCPRIM_400000_NS6detail17trampoline_kernelINS0_14default_configENS1_20scan_config_selectorIN3c107complexIdEEEEZZNS1_9scan_implILNS1_25lookback_scan_determinismE0ELb0ELb0ES3_PKS7_PS7_S7_ZZZN2at6native31launch_logcumsumexp_cuda_kernelERKNSE_10TensorBaseESI_lENKUlvE_clEvENKUlvE1_clEvEUlS7_S7_E_S7_EEDaPvRmT3_T4_T5_mT6_P12ihipStream_tbENKUlT_T0_E_clISt17integral_constantIbLb0EESY_IbLb1EEEEDaSU_SV_EUlSU_E_NS1_11comp_targetILNS1_3genE10ELNS1_11target_archE1200ELNS1_3gpuE4ELNS1_3repE0EEENS1_30default_config_static_selectorELNS0_4arch9wavefront6targetE1EEEvT1_
; %bb.0:
	.section	.rodata,"a",@progbits
	.p2align	6, 0x0
	.amdhsa_kernel _ZN7rocprim17ROCPRIM_400000_NS6detail17trampoline_kernelINS0_14default_configENS1_20scan_config_selectorIN3c107complexIdEEEEZZNS1_9scan_implILNS1_25lookback_scan_determinismE0ELb0ELb0ES3_PKS7_PS7_S7_ZZZN2at6native31launch_logcumsumexp_cuda_kernelERKNSE_10TensorBaseESI_lENKUlvE_clEvENKUlvE1_clEvEUlS7_S7_E_S7_EEDaPvRmT3_T4_T5_mT6_P12ihipStream_tbENKUlT_T0_E_clISt17integral_constantIbLb0EESY_IbLb1EEEEDaSU_SV_EUlSU_E_NS1_11comp_targetILNS1_3genE10ELNS1_11target_archE1200ELNS1_3gpuE4ELNS1_3repE0EEENS1_30default_config_static_selectorELNS0_4arch9wavefront6targetE1EEEvT1_
		.amdhsa_group_segment_fixed_size 0
		.amdhsa_private_segment_fixed_size 0
		.amdhsa_kernarg_size 128
		.amdhsa_user_sgpr_count 6
		.amdhsa_user_sgpr_private_segment_buffer 1
		.amdhsa_user_sgpr_dispatch_ptr 0
		.amdhsa_user_sgpr_queue_ptr 0
		.amdhsa_user_sgpr_kernarg_segment_ptr 1
		.amdhsa_user_sgpr_dispatch_id 0
		.amdhsa_user_sgpr_flat_scratch_init 0
		.amdhsa_user_sgpr_private_segment_size 0
		.amdhsa_uses_dynamic_stack 0
		.amdhsa_system_sgpr_private_segment_wavefront_offset 0
		.amdhsa_system_sgpr_workgroup_id_x 1
		.amdhsa_system_sgpr_workgroup_id_y 0
		.amdhsa_system_sgpr_workgroup_id_z 0
		.amdhsa_system_sgpr_workgroup_info 0
		.amdhsa_system_vgpr_workitem_id 0
		.amdhsa_next_free_vgpr 1
		.amdhsa_next_free_sgpr 0
		.amdhsa_reserve_vcc 0
		.amdhsa_reserve_flat_scratch 0
		.amdhsa_float_round_mode_32 0
		.amdhsa_float_round_mode_16_64 0
		.amdhsa_float_denorm_mode_32 3
		.amdhsa_float_denorm_mode_16_64 3
		.amdhsa_dx10_clamp 1
		.amdhsa_ieee_mode 1
		.amdhsa_fp16_overflow 0
		.amdhsa_exception_fp_ieee_invalid_op 0
		.amdhsa_exception_fp_denorm_src 0
		.amdhsa_exception_fp_ieee_div_zero 0
		.amdhsa_exception_fp_ieee_overflow 0
		.amdhsa_exception_fp_ieee_underflow 0
		.amdhsa_exception_fp_ieee_inexact 0
		.amdhsa_exception_int_div_zero 0
	.end_amdhsa_kernel
	.section	.text._ZN7rocprim17ROCPRIM_400000_NS6detail17trampoline_kernelINS0_14default_configENS1_20scan_config_selectorIN3c107complexIdEEEEZZNS1_9scan_implILNS1_25lookback_scan_determinismE0ELb0ELb0ES3_PKS7_PS7_S7_ZZZN2at6native31launch_logcumsumexp_cuda_kernelERKNSE_10TensorBaseESI_lENKUlvE_clEvENKUlvE1_clEvEUlS7_S7_E_S7_EEDaPvRmT3_T4_T5_mT6_P12ihipStream_tbENKUlT_T0_E_clISt17integral_constantIbLb0EESY_IbLb1EEEEDaSU_SV_EUlSU_E_NS1_11comp_targetILNS1_3genE10ELNS1_11target_archE1200ELNS1_3gpuE4ELNS1_3repE0EEENS1_30default_config_static_selectorELNS0_4arch9wavefront6targetE1EEEvT1_,"axG",@progbits,_ZN7rocprim17ROCPRIM_400000_NS6detail17trampoline_kernelINS0_14default_configENS1_20scan_config_selectorIN3c107complexIdEEEEZZNS1_9scan_implILNS1_25lookback_scan_determinismE0ELb0ELb0ES3_PKS7_PS7_S7_ZZZN2at6native31launch_logcumsumexp_cuda_kernelERKNSE_10TensorBaseESI_lENKUlvE_clEvENKUlvE1_clEvEUlS7_S7_E_S7_EEDaPvRmT3_T4_T5_mT6_P12ihipStream_tbENKUlT_T0_E_clISt17integral_constantIbLb0EESY_IbLb1EEEEDaSU_SV_EUlSU_E_NS1_11comp_targetILNS1_3genE10ELNS1_11target_archE1200ELNS1_3gpuE4ELNS1_3repE0EEENS1_30default_config_static_selectorELNS0_4arch9wavefront6targetE1EEEvT1_,comdat
.Lfunc_end247:
	.size	_ZN7rocprim17ROCPRIM_400000_NS6detail17trampoline_kernelINS0_14default_configENS1_20scan_config_selectorIN3c107complexIdEEEEZZNS1_9scan_implILNS1_25lookback_scan_determinismE0ELb0ELb0ES3_PKS7_PS7_S7_ZZZN2at6native31launch_logcumsumexp_cuda_kernelERKNSE_10TensorBaseESI_lENKUlvE_clEvENKUlvE1_clEvEUlS7_S7_E_S7_EEDaPvRmT3_T4_T5_mT6_P12ihipStream_tbENKUlT_T0_E_clISt17integral_constantIbLb0EESY_IbLb1EEEEDaSU_SV_EUlSU_E_NS1_11comp_targetILNS1_3genE10ELNS1_11target_archE1200ELNS1_3gpuE4ELNS1_3repE0EEENS1_30default_config_static_selectorELNS0_4arch9wavefront6targetE1EEEvT1_, .Lfunc_end247-_ZN7rocprim17ROCPRIM_400000_NS6detail17trampoline_kernelINS0_14default_configENS1_20scan_config_selectorIN3c107complexIdEEEEZZNS1_9scan_implILNS1_25lookback_scan_determinismE0ELb0ELb0ES3_PKS7_PS7_S7_ZZZN2at6native31launch_logcumsumexp_cuda_kernelERKNSE_10TensorBaseESI_lENKUlvE_clEvENKUlvE1_clEvEUlS7_S7_E_S7_EEDaPvRmT3_T4_T5_mT6_P12ihipStream_tbENKUlT_T0_E_clISt17integral_constantIbLb0EESY_IbLb1EEEEDaSU_SV_EUlSU_E_NS1_11comp_targetILNS1_3genE10ELNS1_11target_archE1200ELNS1_3gpuE4ELNS1_3repE0EEENS1_30default_config_static_selectorELNS0_4arch9wavefront6targetE1EEEvT1_
                                        ; -- End function
	.set _ZN7rocprim17ROCPRIM_400000_NS6detail17trampoline_kernelINS0_14default_configENS1_20scan_config_selectorIN3c107complexIdEEEEZZNS1_9scan_implILNS1_25lookback_scan_determinismE0ELb0ELb0ES3_PKS7_PS7_S7_ZZZN2at6native31launch_logcumsumexp_cuda_kernelERKNSE_10TensorBaseESI_lENKUlvE_clEvENKUlvE1_clEvEUlS7_S7_E_S7_EEDaPvRmT3_T4_T5_mT6_P12ihipStream_tbENKUlT_T0_E_clISt17integral_constantIbLb0EESY_IbLb1EEEEDaSU_SV_EUlSU_E_NS1_11comp_targetILNS1_3genE10ELNS1_11target_archE1200ELNS1_3gpuE4ELNS1_3repE0EEENS1_30default_config_static_selectorELNS0_4arch9wavefront6targetE1EEEvT1_.num_vgpr, 0
	.set _ZN7rocprim17ROCPRIM_400000_NS6detail17trampoline_kernelINS0_14default_configENS1_20scan_config_selectorIN3c107complexIdEEEEZZNS1_9scan_implILNS1_25lookback_scan_determinismE0ELb0ELb0ES3_PKS7_PS7_S7_ZZZN2at6native31launch_logcumsumexp_cuda_kernelERKNSE_10TensorBaseESI_lENKUlvE_clEvENKUlvE1_clEvEUlS7_S7_E_S7_EEDaPvRmT3_T4_T5_mT6_P12ihipStream_tbENKUlT_T0_E_clISt17integral_constantIbLb0EESY_IbLb1EEEEDaSU_SV_EUlSU_E_NS1_11comp_targetILNS1_3genE10ELNS1_11target_archE1200ELNS1_3gpuE4ELNS1_3repE0EEENS1_30default_config_static_selectorELNS0_4arch9wavefront6targetE1EEEvT1_.num_agpr, 0
	.set _ZN7rocprim17ROCPRIM_400000_NS6detail17trampoline_kernelINS0_14default_configENS1_20scan_config_selectorIN3c107complexIdEEEEZZNS1_9scan_implILNS1_25lookback_scan_determinismE0ELb0ELb0ES3_PKS7_PS7_S7_ZZZN2at6native31launch_logcumsumexp_cuda_kernelERKNSE_10TensorBaseESI_lENKUlvE_clEvENKUlvE1_clEvEUlS7_S7_E_S7_EEDaPvRmT3_T4_T5_mT6_P12ihipStream_tbENKUlT_T0_E_clISt17integral_constantIbLb0EESY_IbLb1EEEEDaSU_SV_EUlSU_E_NS1_11comp_targetILNS1_3genE10ELNS1_11target_archE1200ELNS1_3gpuE4ELNS1_3repE0EEENS1_30default_config_static_selectorELNS0_4arch9wavefront6targetE1EEEvT1_.numbered_sgpr, 0
	.set _ZN7rocprim17ROCPRIM_400000_NS6detail17trampoline_kernelINS0_14default_configENS1_20scan_config_selectorIN3c107complexIdEEEEZZNS1_9scan_implILNS1_25lookback_scan_determinismE0ELb0ELb0ES3_PKS7_PS7_S7_ZZZN2at6native31launch_logcumsumexp_cuda_kernelERKNSE_10TensorBaseESI_lENKUlvE_clEvENKUlvE1_clEvEUlS7_S7_E_S7_EEDaPvRmT3_T4_T5_mT6_P12ihipStream_tbENKUlT_T0_E_clISt17integral_constantIbLb0EESY_IbLb1EEEEDaSU_SV_EUlSU_E_NS1_11comp_targetILNS1_3genE10ELNS1_11target_archE1200ELNS1_3gpuE4ELNS1_3repE0EEENS1_30default_config_static_selectorELNS0_4arch9wavefront6targetE1EEEvT1_.num_named_barrier, 0
	.set _ZN7rocprim17ROCPRIM_400000_NS6detail17trampoline_kernelINS0_14default_configENS1_20scan_config_selectorIN3c107complexIdEEEEZZNS1_9scan_implILNS1_25lookback_scan_determinismE0ELb0ELb0ES3_PKS7_PS7_S7_ZZZN2at6native31launch_logcumsumexp_cuda_kernelERKNSE_10TensorBaseESI_lENKUlvE_clEvENKUlvE1_clEvEUlS7_S7_E_S7_EEDaPvRmT3_T4_T5_mT6_P12ihipStream_tbENKUlT_T0_E_clISt17integral_constantIbLb0EESY_IbLb1EEEEDaSU_SV_EUlSU_E_NS1_11comp_targetILNS1_3genE10ELNS1_11target_archE1200ELNS1_3gpuE4ELNS1_3repE0EEENS1_30default_config_static_selectorELNS0_4arch9wavefront6targetE1EEEvT1_.private_seg_size, 0
	.set _ZN7rocprim17ROCPRIM_400000_NS6detail17trampoline_kernelINS0_14default_configENS1_20scan_config_selectorIN3c107complexIdEEEEZZNS1_9scan_implILNS1_25lookback_scan_determinismE0ELb0ELb0ES3_PKS7_PS7_S7_ZZZN2at6native31launch_logcumsumexp_cuda_kernelERKNSE_10TensorBaseESI_lENKUlvE_clEvENKUlvE1_clEvEUlS7_S7_E_S7_EEDaPvRmT3_T4_T5_mT6_P12ihipStream_tbENKUlT_T0_E_clISt17integral_constantIbLb0EESY_IbLb1EEEEDaSU_SV_EUlSU_E_NS1_11comp_targetILNS1_3genE10ELNS1_11target_archE1200ELNS1_3gpuE4ELNS1_3repE0EEENS1_30default_config_static_selectorELNS0_4arch9wavefront6targetE1EEEvT1_.uses_vcc, 0
	.set _ZN7rocprim17ROCPRIM_400000_NS6detail17trampoline_kernelINS0_14default_configENS1_20scan_config_selectorIN3c107complexIdEEEEZZNS1_9scan_implILNS1_25lookback_scan_determinismE0ELb0ELb0ES3_PKS7_PS7_S7_ZZZN2at6native31launch_logcumsumexp_cuda_kernelERKNSE_10TensorBaseESI_lENKUlvE_clEvENKUlvE1_clEvEUlS7_S7_E_S7_EEDaPvRmT3_T4_T5_mT6_P12ihipStream_tbENKUlT_T0_E_clISt17integral_constantIbLb0EESY_IbLb1EEEEDaSU_SV_EUlSU_E_NS1_11comp_targetILNS1_3genE10ELNS1_11target_archE1200ELNS1_3gpuE4ELNS1_3repE0EEENS1_30default_config_static_selectorELNS0_4arch9wavefront6targetE1EEEvT1_.uses_flat_scratch, 0
	.set _ZN7rocprim17ROCPRIM_400000_NS6detail17trampoline_kernelINS0_14default_configENS1_20scan_config_selectorIN3c107complexIdEEEEZZNS1_9scan_implILNS1_25lookback_scan_determinismE0ELb0ELb0ES3_PKS7_PS7_S7_ZZZN2at6native31launch_logcumsumexp_cuda_kernelERKNSE_10TensorBaseESI_lENKUlvE_clEvENKUlvE1_clEvEUlS7_S7_E_S7_EEDaPvRmT3_T4_T5_mT6_P12ihipStream_tbENKUlT_T0_E_clISt17integral_constantIbLb0EESY_IbLb1EEEEDaSU_SV_EUlSU_E_NS1_11comp_targetILNS1_3genE10ELNS1_11target_archE1200ELNS1_3gpuE4ELNS1_3repE0EEENS1_30default_config_static_selectorELNS0_4arch9wavefront6targetE1EEEvT1_.has_dyn_sized_stack, 0
	.set _ZN7rocprim17ROCPRIM_400000_NS6detail17trampoline_kernelINS0_14default_configENS1_20scan_config_selectorIN3c107complexIdEEEEZZNS1_9scan_implILNS1_25lookback_scan_determinismE0ELb0ELb0ES3_PKS7_PS7_S7_ZZZN2at6native31launch_logcumsumexp_cuda_kernelERKNSE_10TensorBaseESI_lENKUlvE_clEvENKUlvE1_clEvEUlS7_S7_E_S7_EEDaPvRmT3_T4_T5_mT6_P12ihipStream_tbENKUlT_T0_E_clISt17integral_constantIbLb0EESY_IbLb1EEEEDaSU_SV_EUlSU_E_NS1_11comp_targetILNS1_3genE10ELNS1_11target_archE1200ELNS1_3gpuE4ELNS1_3repE0EEENS1_30default_config_static_selectorELNS0_4arch9wavefront6targetE1EEEvT1_.has_recursion, 0
	.set _ZN7rocprim17ROCPRIM_400000_NS6detail17trampoline_kernelINS0_14default_configENS1_20scan_config_selectorIN3c107complexIdEEEEZZNS1_9scan_implILNS1_25lookback_scan_determinismE0ELb0ELb0ES3_PKS7_PS7_S7_ZZZN2at6native31launch_logcumsumexp_cuda_kernelERKNSE_10TensorBaseESI_lENKUlvE_clEvENKUlvE1_clEvEUlS7_S7_E_S7_EEDaPvRmT3_T4_T5_mT6_P12ihipStream_tbENKUlT_T0_E_clISt17integral_constantIbLb0EESY_IbLb1EEEEDaSU_SV_EUlSU_E_NS1_11comp_targetILNS1_3genE10ELNS1_11target_archE1200ELNS1_3gpuE4ELNS1_3repE0EEENS1_30default_config_static_selectorELNS0_4arch9wavefront6targetE1EEEvT1_.has_indirect_call, 0
	.section	.AMDGPU.csdata,"",@progbits
; Kernel info:
; codeLenInByte = 0
; TotalNumSgprs: 4
; NumVgprs: 0
; ScratchSize: 0
; MemoryBound: 0
; FloatMode: 240
; IeeeMode: 1
; LDSByteSize: 0 bytes/workgroup (compile time only)
; SGPRBlocks: 0
; VGPRBlocks: 0
; NumSGPRsForWavesPerEU: 4
; NumVGPRsForWavesPerEU: 1
; Occupancy: 10
; WaveLimiterHint : 0
; COMPUTE_PGM_RSRC2:SCRATCH_EN: 0
; COMPUTE_PGM_RSRC2:USER_SGPR: 6
; COMPUTE_PGM_RSRC2:TRAP_HANDLER: 0
; COMPUTE_PGM_RSRC2:TGID_X_EN: 1
; COMPUTE_PGM_RSRC2:TGID_Y_EN: 0
; COMPUTE_PGM_RSRC2:TGID_Z_EN: 0
; COMPUTE_PGM_RSRC2:TIDIG_COMP_CNT: 0
	.section	.text._ZN7rocprim17ROCPRIM_400000_NS6detail17trampoline_kernelINS0_14default_configENS1_20scan_config_selectorIN3c107complexIdEEEEZZNS1_9scan_implILNS1_25lookback_scan_determinismE0ELb0ELb0ES3_PKS7_PS7_S7_ZZZN2at6native31launch_logcumsumexp_cuda_kernelERKNSE_10TensorBaseESI_lENKUlvE_clEvENKUlvE1_clEvEUlS7_S7_E_S7_EEDaPvRmT3_T4_T5_mT6_P12ihipStream_tbENKUlT_T0_E_clISt17integral_constantIbLb0EESY_IbLb1EEEEDaSU_SV_EUlSU_E_NS1_11comp_targetILNS1_3genE9ELNS1_11target_archE1100ELNS1_3gpuE3ELNS1_3repE0EEENS1_30default_config_static_selectorELNS0_4arch9wavefront6targetE1EEEvT1_,"axG",@progbits,_ZN7rocprim17ROCPRIM_400000_NS6detail17trampoline_kernelINS0_14default_configENS1_20scan_config_selectorIN3c107complexIdEEEEZZNS1_9scan_implILNS1_25lookback_scan_determinismE0ELb0ELb0ES3_PKS7_PS7_S7_ZZZN2at6native31launch_logcumsumexp_cuda_kernelERKNSE_10TensorBaseESI_lENKUlvE_clEvENKUlvE1_clEvEUlS7_S7_E_S7_EEDaPvRmT3_T4_T5_mT6_P12ihipStream_tbENKUlT_T0_E_clISt17integral_constantIbLb0EESY_IbLb1EEEEDaSU_SV_EUlSU_E_NS1_11comp_targetILNS1_3genE9ELNS1_11target_archE1100ELNS1_3gpuE3ELNS1_3repE0EEENS1_30default_config_static_selectorELNS0_4arch9wavefront6targetE1EEEvT1_,comdat
	.globl	_ZN7rocprim17ROCPRIM_400000_NS6detail17trampoline_kernelINS0_14default_configENS1_20scan_config_selectorIN3c107complexIdEEEEZZNS1_9scan_implILNS1_25lookback_scan_determinismE0ELb0ELb0ES3_PKS7_PS7_S7_ZZZN2at6native31launch_logcumsumexp_cuda_kernelERKNSE_10TensorBaseESI_lENKUlvE_clEvENKUlvE1_clEvEUlS7_S7_E_S7_EEDaPvRmT3_T4_T5_mT6_P12ihipStream_tbENKUlT_T0_E_clISt17integral_constantIbLb0EESY_IbLb1EEEEDaSU_SV_EUlSU_E_NS1_11comp_targetILNS1_3genE9ELNS1_11target_archE1100ELNS1_3gpuE3ELNS1_3repE0EEENS1_30default_config_static_selectorELNS0_4arch9wavefront6targetE1EEEvT1_ ; -- Begin function _ZN7rocprim17ROCPRIM_400000_NS6detail17trampoline_kernelINS0_14default_configENS1_20scan_config_selectorIN3c107complexIdEEEEZZNS1_9scan_implILNS1_25lookback_scan_determinismE0ELb0ELb0ES3_PKS7_PS7_S7_ZZZN2at6native31launch_logcumsumexp_cuda_kernelERKNSE_10TensorBaseESI_lENKUlvE_clEvENKUlvE1_clEvEUlS7_S7_E_S7_EEDaPvRmT3_T4_T5_mT6_P12ihipStream_tbENKUlT_T0_E_clISt17integral_constantIbLb0EESY_IbLb1EEEEDaSU_SV_EUlSU_E_NS1_11comp_targetILNS1_3genE9ELNS1_11target_archE1100ELNS1_3gpuE3ELNS1_3repE0EEENS1_30default_config_static_selectorELNS0_4arch9wavefront6targetE1EEEvT1_
	.p2align	8
	.type	_ZN7rocprim17ROCPRIM_400000_NS6detail17trampoline_kernelINS0_14default_configENS1_20scan_config_selectorIN3c107complexIdEEEEZZNS1_9scan_implILNS1_25lookback_scan_determinismE0ELb0ELb0ES3_PKS7_PS7_S7_ZZZN2at6native31launch_logcumsumexp_cuda_kernelERKNSE_10TensorBaseESI_lENKUlvE_clEvENKUlvE1_clEvEUlS7_S7_E_S7_EEDaPvRmT3_T4_T5_mT6_P12ihipStream_tbENKUlT_T0_E_clISt17integral_constantIbLb0EESY_IbLb1EEEEDaSU_SV_EUlSU_E_NS1_11comp_targetILNS1_3genE9ELNS1_11target_archE1100ELNS1_3gpuE3ELNS1_3repE0EEENS1_30default_config_static_selectorELNS0_4arch9wavefront6targetE1EEEvT1_,@function
_ZN7rocprim17ROCPRIM_400000_NS6detail17trampoline_kernelINS0_14default_configENS1_20scan_config_selectorIN3c107complexIdEEEEZZNS1_9scan_implILNS1_25lookback_scan_determinismE0ELb0ELb0ES3_PKS7_PS7_S7_ZZZN2at6native31launch_logcumsumexp_cuda_kernelERKNSE_10TensorBaseESI_lENKUlvE_clEvENKUlvE1_clEvEUlS7_S7_E_S7_EEDaPvRmT3_T4_T5_mT6_P12ihipStream_tbENKUlT_T0_E_clISt17integral_constantIbLb0EESY_IbLb1EEEEDaSU_SV_EUlSU_E_NS1_11comp_targetILNS1_3genE9ELNS1_11target_archE1100ELNS1_3gpuE3ELNS1_3repE0EEENS1_30default_config_static_selectorELNS0_4arch9wavefront6targetE1EEEvT1_: ; @_ZN7rocprim17ROCPRIM_400000_NS6detail17trampoline_kernelINS0_14default_configENS1_20scan_config_selectorIN3c107complexIdEEEEZZNS1_9scan_implILNS1_25lookback_scan_determinismE0ELb0ELb0ES3_PKS7_PS7_S7_ZZZN2at6native31launch_logcumsumexp_cuda_kernelERKNSE_10TensorBaseESI_lENKUlvE_clEvENKUlvE1_clEvEUlS7_S7_E_S7_EEDaPvRmT3_T4_T5_mT6_P12ihipStream_tbENKUlT_T0_E_clISt17integral_constantIbLb0EESY_IbLb1EEEEDaSU_SV_EUlSU_E_NS1_11comp_targetILNS1_3genE9ELNS1_11target_archE1100ELNS1_3gpuE3ELNS1_3repE0EEENS1_30default_config_static_selectorELNS0_4arch9wavefront6targetE1EEEvT1_
; %bb.0:
	.section	.rodata,"a",@progbits
	.p2align	6, 0x0
	.amdhsa_kernel _ZN7rocprim17ROCPRIM_400000_NS6detail17trampoline_kernelINS0_14default_configENS1_20scan_config_selectorIN3c107complexIdEEEEZZNS1_9scan_implILNS1_25lookback_scan_determinismE0ELb0ELb0ES3_PKS7_PS7_S7_ZZZN2at6native31launch_logcumsumexp_cuda_kernelERKNSE_10TensorBaseESI_lENKUlvE_clEvENKUlvE1_clEvEUlS7_S7_E_S7_EEDaPvRmT3_T4_T5_mT6_P12ihipStream_tbENKUlT_T0_E_clISt17integral_constantIbLb0EESY_IbLb1EEEEDaSU_SV_EUlSU_E_NS1_11comp_targetILNS1_3genE9ELNS1_11target_archE1100ELNS1_3gpuE3ELNS1_3repE0EEENS1_30default_config_static_selectorELNS0_4arch9wavefront6targetE1EEEvT1_
		.amdhsa_group_segment_fixed_size 0
		.amdhsa_private_segment_fixed_size 0
		.amdhsa_kernarg_size 128
		.amdhsa_user_sgpr_count 6
		.amdhsa_user_sgpr_private_segment_buffer 1
		.amdhsa_user_sgpr_dispatch_ptr 0
		.amdhsa_user_sgpr_queue_ptr 0
		.amdhsa_user_sgpr_kernarg_segment_ptr 1
		.amdhsa_user_sgpr_dispatch_id 0
		.amdhsa_user_sgpr_flat_scratch_init 0
		.amdhsa_user_sgpr_private_segment_size 0
		.amdhsa_uses_dynamic_stack 0
		.amdhsa_system_sgpr_private_segment_wavefront_offset 0
		.amdhsa_system_sgpr_workgroup_id_x 1
		.amdhsa_system_sgpr_workgroup_id_y 0
		.amdhsa_system_sgpr_workgroup_id_z 0
		.amdhsa_system_sgpr_workgroup_info 0
		.amdhsa_system_vgpr_workitem_id 0
		.amdhsa_next_free_vgpr 1
		.amdhsa_next_free_sgpr 0
		.amdhsa_reserve_vcc 0
		.amdhsa_reserve_flat_scratch 0
		.amdhsa_float_round_mode_32 0
		.amdhsa_float_round_mode_16_64 0
		.amdhsa_float_denorm_mode_32 3
		.amdhsa_float_denorm_mode_16_64 3
		.amdhsa_dx10_clamp 1
		.amdhsa_ieee_mode 1
		.amdhsa_fp16_overflow 0
		.amdhsa_exception_fp_ieee_invalid_op 0
		.amdhsa_exception_fp_denorm_src 0
		.amdhsa_exception_fp_ieee_div_zero 0
		.amdhsa_exception_fp_ieee_overflow 0
		.amdhsa_exception_fp_ieee_underflow 0
		.amdhsa_exception_fp_ieee_inexact 0
		.amdhsa_exception_int_div_zero 0
	.end_amdhsa_kernel
	.section	.text._ZN7rocprim17ROCPRIM_400000_NS6detail17trampoline_kernelINS0_14default_configENS1_20scan_config_selectorIN3c107complexIdEEEEZZNS1_9scan_implILNS1_25lookback_scan_determinismE0ELb0ELb0ES3_PKS7_PS7_S7_ZZZN2at6native31launch_logcumsumexp_cuda_kernelERKNSE_10TensorBaseESI_lENKUlvE_clEvENKUlvE1_clEvEUlS7_S7_E_S7_EEDaPvRmT3_T4_T5_mT6_P12ihipStream_tbENKUlT_T0_E_clISt17integral_constantIbLb0EESY_IbLb1EEEEDaSU_SV_EUlSU_E_NS1_11comp_targetILNS1_3genE9ELNS1_11target_archE1100ELNS1_3gpuE3ELNS1_3repE0EEENS1_30default_config_static_selectorELNS0_4arch9wavefront6targetE1EEEvT1_,"axG",@progbits,_ZN7rocprim17ROCPRIM_400000_NS6detail17trampoline_kernelINS0_14default_configENS1_20scan_config_selectorIN3c107complexIdEEEEZZNS1_9scan_implILNS1_25lookback_scan_determinismE0ELb0ELb0ES3_PKS7_PS7_S7_ZZZN2at6native31launch_logcumsumexp_cuda_kernelERKNSE_10TensorBaseESI_lENKUlvE_clEvENKUlvE1_clEvEUlS7_S7_E_S7_EEDaPvRmT3_T4_T5_mT6_P12ihipStream_tbENKUlT_T0_E_clISt17integral_constantIbLb0EESY_IbLb1EEEEDaSU_SV_EUlSU_E_NS1_11comp_targetILNS1_3genE9ELNS1_11target_archE1100ELNS1_3gpuE3ELNS1_3repE0EEENS1_30default_config_static_selectorELNS0_4arch9wavefront6targetE1EEEvT1_,comdat
.Lfunc_end248:
	.size	_ZN7rocprim17ROCPRIM_400000_NS6detail17trampoline_kernelINS0_14default_configENS1_20scan_config_selectorIN3c107complexIdEEEEZZNS1_9scan_implILNS1_25lookback_scan_determinismE0ELb0ELb0ES3_PKS7_PS7_S7_ZZZN2at6native31launch_logcumsumexp_cuda_kernelERKNSE_10TensorBaseESI_lENKUlvE_clEvENKUlvE1_clEvEUlS7_S7_E_S7_EEDaPvRmT3_T4_T5_mT6_P12ihipStream_tbENKUlT_T0_E_clISt17integral_constantIbLb0EESY_IbLb1EEEEDaSU_SV_EUlSU_E_NS1_11comp_targetILNS1_3genE9ELNS1_11target_archE1100ELNS1_3gpuE3ELNS1_3repE0EEENS1_30default_config_static_selectorELNS0_4arch9wavefront6targetE1EEEvT1_, .Lfunc_end248-_ZN7rocprim17ROCPRIM_400000_NS6detail17trampoline_kernelINS0_14default_configENS1_20scan_config_selectorIN3c107complexIdEEEEZZNS1_9scan_implILNS1_25lookback_scan_determinismE0ELb0ELb0ES3_PKS7_PS7_S7_ZZZN2at6native31launch_logcumsumexp_cuda_kernelERKNSE_10TensorBaseESI_lENKUlvE_clEvENKUlvE1_clEvEUlS7_S7_E_S7_EEDaPvRmT3_T4_T5_mT6_P12ihipStream_tbENKUlT_T0_E_clISt17integral_constantIbLb0EESY_IbLb1EEEEDaSU_SV_EUlSU_E_NS1_11comp_targetILNS1_3genE9ELNS1_11target_archE1100ELNS1_3gpuE3ELNS1_3repE0EEENS1_30default_config_static_selectorELNS0_4arch9wavefront6targetE1EEEvT1_
                                        ; -- End function
	.set _ZN7rocprim17ROCPRIM_400000_NS6detail17trampoline_kernelINS0_14default_configENS1_20scan_config_selectorIN3c107complexIdEEEEZZNS1_9scan_implILNS1_25lookback_scan_determinismE0ELb0ELb0ES3_PKS7_PS7_S7_ZZZN2at6native31launch_logcumsumexp_cuda_kernelERKNSE_10TensorBaseESI_lENKUlvE_clEvENKUlvE1_clEvEUlS7_S7_E_S7_EEDaPvRmT3_T4_T5_mT6_P12ihipStream_tbENKUlT_T0_E_clISt17integral_constantIbLb0EESY_IbLb1EEEEDaSU_SV_EUlSU_E_NS1_11comp_targetILNS1_3genE9ELNS1_11target_archE1100ELNS1_3gpuE3ELNS1_3repE0EEENS1_30default_config_static_selectorELNS0_4arch9wavefront6targetE1EEEvT1_.num_vgpr, 0
	.set _ZN7rocprim17ROCPRIM_400000_NS6detail17trampoline_kernelINS0_14default_configENS1_20scan_config_selectorIN3c107complexIdEEEEZZNS1_9scan_implILNS1_25lookback_scan_determinismE0ELb0ELb0ES3_PKS7_PS7_S7_ZZZN2at6native31launch_logcumsumexp_cuda_kernelERKNSE_10TensorBaseESI_lENKUlvE_clEvENKUlvE1_clEvEUlS7_S7_E_S7_EEDaPvRmT3_T4_T5_mT6_P12ihipStream_tbENKUlT_T0_E_clISt17integral_constantIbLb0EESY_IbLb1EEEEDaSU_SV_EUlSU_E_NS1_11comp_targetILNS1_3genE9ELNS1_11target_archE1100ELNS1_3gpuE3ELNS1_3repE0EEENS1_30default_config_static_selectorELNS0_4arch9wavefront6targetE1EEEvT1_.num_agpr, 0
	.set _ZN7rocprim17ROCPRIM_400000_NS6detail17trampoline_kernelINS0_14default_configENS1_20scan_config_selectorIN3c107complexIdEEEEZZNS1_9scan_implILNS1_25lookback_scan_determinismE0ELb0ELb0ES3_PKS7_PS7_S7_ZZZN2at6native31launch_logcumsumexp_cuda_kernelERKNSE_10TensorBaseESI_lENKUlvE_clEvENKUlvE1_clEvEUlS7_S7_E_S7_EEDaPvRmT3_T4_T5_mT6_P12ihipStream_tbENKUlT_T0_E_clISt17integral_constantIbLb0EESY_IbLb1EEEEDaSU_SV_EUlSU_E_NS1_11comp_targetILNS1_3genE9ELNS1_11target_archE1100ELNS1_3gpuE3ELNS1_3repE0EEENS1_30default_config_static_selectorELNS0_4arch9wavefront6targetE1EEEvT1_.numbered_sgpr, 0
	.set _ZN7rocprim17ROCPRIM_400000_NS6detail17trampoline_kernelINS0_14default_configENS1_20scan_config_selectorIN3c107complexIdEEEEZZNS1_9scan_implILNS1_25lookback_scan_determinismE0ELb0ELb0ES3_PKS7_PS7_S7_ZZZN2at6native31launch_logcumsumexp_cuda_kernelERKNSE_10TensorBaseESI_lENKUlvE_clEvENKUlvE1_clEvEUlS7_S7_E_S7_EEDaPvRmT3_T4_T5_mT6_P12ihipStream_tbENKUlT_T0_E_clISt17integral_constantIbLb0EESY_IbLb1EEEEDaSU_SV_EUlSU_E_NS1_11comp_targetILNS1_3genE9ELNS1_11target_archE1100ELNS1_3gpuE3ELNS1_3repE0EEENS1_30default_config_static_selectorELNS0_4arch9wavefront6targetE1EEEvT1_.num_named_barrier, 0
	.set _ZN7rocprim17ROCPRIM_400000_NS6detail17trampoline_kernelINS0_14default_configENS1_20scan_config_selectorIN3c107complexIdEEEEZZNS1_9scan_implILNS1_25lookback_scan_determinismE0ELb0ELb0ES3_PKS7_PS7_S7_ZZZN2at6native31launch_logcumsumexp_cuda_kernelERKNSE_10TensorBaseESI_lENKUlvE_clEvENKUlvE1_clEvEUlS7_S7_E_S7_EEDaPvRmT3_T4_T5_mT6_P12ihipStream_tbENKUlT_T0_E_clISt17integral_constantIbLb0EESY_IbLb1EEEEDaSU_SV_EUlSU_E_NS1_11comp_targetILNS1_3genE9ELNS1_11target_archE1100ELNS1_3gpuE3ELNS1_3repE0EEENS1_30default_config_static_selectorELNS0_4arch9wavefront6targetE1EEEvT1_.private_seg_size, 0
	.set _ZN7rocprim17ROCPRIM_400000_NS6detail17trampoline_kernelINS0_14default_configENS1_20scan_config_selectorIN3c107complexIdEEEEZZNS1_9scan_implILNS1_25lookback_scan_determinismE0ELb0ELb0ES3_PKS7_PS7_S7_ZZZN2at6native31launch_logcumsumexp_cuda_kernelERKNSE_10TensorBaseESI_lENKUlvE_clEvENKUlvE1_clEvEUlS7_S7_E_S7_EEDaPvRmT3_T4_T5_mT6_P12ihipStream_tbENKUlT_T0_E_clISt17integral_constantIbLb0EESY_IbLb1EEEEDaSU_SV_EUlSU_E_NS1_11comp_targetILNS1_3genE9ELNS1_11target_archE1100ELNS1_3gpuE3ELNS1_3repE0EEENS1_30default_config_static_selectorELNS0_4arch9wavefront6targetE1EEEvT1_.uses_vcc, 0
	.set _ZN7rocprim17ROCPRIM_400000_NS6detail17trampoline_kernelINS0_14default_configENS1_20scan_config_selectorIN3c107complexIdEEEEZZNS1_9scan_implILNS1_25lookback_scan_determinismE0ELb0ELb0ES3_PKS7_PS7_S7_ZZZN2at6native31launch_logcumsumexp_cuda_kernelERKNSE_10TensorBaseESI_lENKUlvE_clEvENKUlvE1_clEvEUlS7_S7_E_S7_EEDaPvRmT3_T4_T5_mT6_P12ihipStream_tbENKUlT_T0_E_clISt17integral_constantIbLb0EESY_IbLb1EEEEDaSU_SV_EUlSU_E_NS1_11comp_targetILNS1_3genE9ELNS1_11target_archE1100ELNS1_3gpuE3ELNS1_3repE0EEENS1_30default_config_static_selectorELNS0_4arch9wavefront6targetE1EEEvT1_.uses_flat_scratch, 0
	.set _ZN7rocprim17ROCPRIM_400000_NS6detail17trampoline_kernelINS0_14default_configENS1_20scan_config_selectorIN3c107complexIdEEEEZZNS1_9scan_implILNS1_25lookback_scan_determinismE0ELb0ELb0ES3_PKS7_PS7_S7_ZZZN2at6native31launch_logcumsumexp_cuda_kernelERKNSE_10TensorBaseESI_lENKUlvE_clEvENKUlvE1_clEvEUlS7_S7_E_S7_EEDaPvRmT3_T4_T5_mT6_P12ihipStream_tbENKUlT_T0_E_clISt17integral_constantIbLb0EESY_IbLb1EEEEDaSU_SV_EUlSU_E_NS1_11comp_targetILNS1_3genE9ELNS1_11target_archE1100ELNS1_3gpuE3ELNS1_3repE0EEENS1_30default_config_static_selectorELNS0_4arch9wavefront6targetE1EEEvT1_.has_dyn_sized_stack, 0
	.set _ZN7rocprim17ROCPRIM_400000_NS6detail17trampoline_kernelINS0_14default_configENS1_20scan_config_selectorIN3c107complexIdEEEEZZNS1_9scan_implILNS1_25lookback_scan_determinismE0ELb0ELb0ES3_PKS7_PS7_S7_ZZZN2at6native31launch_logcumsumexp_cuda_kernelERKNSE_10TensorBaseESI_lENKUlvE_clEvENKUlvE1_clEvEUlS7_S7_E_S7_EEDaPvRmT3_T4_T5_mT6_P12ihipStream_tbENKUlT_T0_E_clISt17integral_constantIbLb0EESY_IbLb1EEEEDaSU_SV_EUlSU_E_NS1_11comp_targetILNS1_3genE9ELNS1_11target_archE1100ELNS1_3gpuE3ELNS1_3repE0EEENS1_30default_config_static_selectorELNS0_4arch9wavefront6targetE1EEEvT1_.has_recursion, 0
	.set _ZN7rocprim17ROCPRIM_400000_NS6detail17trampoline_kernelINS0_14default_configENS1_20scan_config_selectorIN3c107complexIdEEEEZZNS1_9scan_implILNS1_25lookback_scan_determinismE0ELb0ELb0ES3_PKS7_PS7_S7_ZZZN2at6native31launch_logcumsumexp_cuda_kernelERKNSE_10TensorBaseESI_lENKUlvE_clEvENKUlvE1_clEvEUlS7_S7_E_S7_EEDaPvRmT3_T4_T5_mT6_P12ihipStream_tbENKUlT_T0_E_clISt17integral_constantIbLb0EESY_IbLb1EEEEDaSU_SV_EUlSU_E_NS1_11comp_targetILNS1_3genE9ELNS1_11target_archE1100ELNS1_3gpuE3ELNS1_3repE0EEENS1_30default_config_static_selectorELNS0_4arch9wavefront6targetE1EEEvT1_.has_indirect_call, 0
	.section	.AMDGPU.csdata,"",@progbits
; Kernel info:
; codeLenInByte = 0
; TotalNumSgprs: 4
; NumVgprs: 0
; ScratchSize: 0
; MemoryBound: 0
; FloatMode: 240
; IeeeMode: 1
; LDSByteSize: 0 bytes/workgroup (compile time only)
; SGPRBlocks: 0
; VGPRBlocks: 0
; NumSGPRsForWavesPerEU: 4
; NumVGPRsForWavesPerEU: 1
; Occupancy: 10
; WaveLimiterHint : 0
; COMPUTE_PGM_RSRC2:SCRATCH_EN: 0
; COMPUTE_PGM_RSRC2:USER_SGPR: 6
; COMPUTE_PGM_RSRC2:TRAP_HANDLER: 0
; COMPUTE_PGM_RSRC2:TGID_X_EN: 1
; COMPUTE_PGM_RSRC2:TGID_Y_EN: 0
; COMPUTE_PGM_RSRC2:TGID_Z_EN: 0
; COMPUTE_PGM_RSRC2:TIDIG_COMP_CNT: 0
	.section	.text._ZN7rocprim17ROCPRIM_400000_NS6detail17trampoline_kernelINS0_14default_configENS1_20scan_config_selectorIN3c107complexIdEEEEZZNS1_9scan_implILNS1_25lookback_scan_determinismE0ELb0ELb0ES3_PKS7_PS7_S7_ZZZN2at6native31launch_logcumsumexp_cuda_kernelERKNSE_10TensorBaseESI_lENKUlvE_clEvENKUlvE1_clEvEUlS7_S7_E_S7_EEDaPvRmT3_T4_T5_mT6_P12ihipStream_tbENKUlT_T0_E_clISt17integral_constantIbLb0EESY_IbLb1EEEEDaSU_SV_EUlSU_E_NS1_11comp_targetILNS1_3genE8ELNS1_11target_archE1030ELNS1_3gpuE2ELNS1_3repE0EEENS1_30default_config_static_selectorELNS0_4arch9wavefront6targetE1EEEvT1_,"axG",@progbits,_ZN7rocprim17ROCPRIM_400000_NS6detail17trampoline_kernelINS0_14default_configENS1_20scan_config_selectorIN3c107complexIdEEEEZZNS1_9scan_implILNS1_25lookback_scan_determinismE0ELb0ELb0ES3_PKS7_PS7_S7_ZZZN2at6native31launch_logcumsumexp_cuda_kernelERKNSE_10TensorBaseESI_lENKUlvE_clEvENKUlvE1_clEvEUlS7_S7_E_S7_EEDaPvRmT3_T4_T5_mT6_P12ihipStream_tbENKUlT_T0_E_clISt17integral_constantIbLb0EESY_IbLb1EEEEDaSU_SV_EUlSU_E_NS1_11comp_targetILNS1_3genE8ELNS1_11target_archE1030ELNS1_3gpuE2ELNS1_3repE0EEENS1_30default_config_static_selectorELNS0_4arch9wavefront6targetE1EEEvT1_,comdat
	.globl	_ZN7rocprim17ROCPRIM_400000_NS6detail17trampoline_kernelINS0_14default_configENS1_20scan_config_selectorIN3c107complexIdEEEEZZNS1_9scan_implILNS1_25lookback_scan_determinismE0ELb0ELb0ES3_PKS7_PS7_S7_ZZZN2at6native31launch_logcumsumexp_cuda_kernelERKNSE_10TensorBaseESI_lENKUlvE_clEvENKUlvE1_clEvEUlS7_S7_E_S7_EEDaPvRmT3_T4_T5_mT6_P12ihipStream_tbENKUlT_T0_E_clISt17integral_constantIbLb0EESY_IbLb1EEEEDaSU_SV_EUlSU_E_NS1_11comp_targetILNS1_3genE8ELNS1_11target_archE1030ELNS1_3gpuE2ELNS1_3repE0EEENS1_30default_config_static_selectorELNS0_4arch9wavefront6targetE1EEEvT1_ ; -- Begin function _ZN7rocprim17ROCPRIM_400000_NS6detail17trampoline_kernelINS0_14default_configENS1_20scan_config_selectorIN3c107complexIdEEEEZZNS1_9scan_implILNS1_25lookback_scan_determinismE0ELb0ELb0ES3_PKS7_PS7_S7_ZZZN2at6native31launch_logcumsumexp_cuda_kernelERKNSE_10TensorBaseESI_lENKUlvE_clEvENKUlvE1_clEvEUlS7_S7_E_S7_EEDaPvRmT3_T4_T5_mT6_P12ihipStream_tbENKUlT_T0_E_clISt17integral_constantIbLb0EESY_IbLb1EEEEDaSU_SV_EUlSU_E_NS1_11comp_targetILNS1_3genE8ELNS1_11target_archE1030ELNS1_3gpuE2ELNS1_3repE0EEENS1_30default_config_static_selectorELNS0_4arch9wavefront6targetE1EEEvT1_
	.p2align	8
	.type	_ZN7rocprim17ROCPRIM_400000_NS6detail17trampoline_kernelINS0_14default_configENS1_20scan_config_selectorIN3c107complexIdEEEEZZNS1_9scan_implILNS1_25lookback_scan_determinismE0ELb0ELb0ES3_PKS7_PS7_S7_ZZZN2at6native31launch_logcumsumexp_cuda_kernelERKNSE_10TensorBaseESI_lENKUlvE_clEvENKUlvE1_clEvEUlS7_S7_E_S7_EEDaPvRmT3_T4_T5_mT6_P12ihipStream_tbENKUlT_T0_E_clISt17integral_constantIbLb0EESY_IbLb1EEEEDaSU_SV_EUlSU_E_NS1_11comp_targetILNS1_3genE8ELNS1_11target_archE1030ELNS1_3gpuE2ELNS1_3repE0EEENS1_30default_config_static_selectorELNS0_4arch9wavefront6targetE1EEEvT1_,@function
_ZN7rocprim17ROCPRIM_400000_NS6detail17trampoline_kernelINS0_14default_configENS1_20scan_config_selectorIN3c107complexIdEEEEZZNS1_9scan_implILNS1_25lookback_scan_determinismE0ELb0ELb0ES3_PKS7_PS7_S7_ZZZN2at6native31launch_logcumsumexp_cuda_kernelERKNSE_10TensorBaseESI_lENKUlvE_clEvENKUlvE1_clEvEUlS7_S7_E_S7_EEDaPvRmT3_T4_T5_mT6_P12ihipStream_tbENKUlT_T0_E_clISt17integral_constantIbLb0EESY_IbLb1EEEEDaSU_SV_EUlSU_E_NS1_11comp_targetILNS1_3genE8ELNS1_11target_archE1030ELNS1_3gpuE2ELNS1_3repE0EEENS1_30default_config_static_selectorELNS0_4arch9wavefront6targetE1EEEvT1_: ; @_ZN7rocprim17ROCPRIM_400000_NS6detail17trampoline_kernelINS0_14default_configENS1_20scan_config_selectorIN3c107complexIdEEEEZZNS1_9scan_implILNS1_25lookback_scan_determinismE0ELb0ELb0ES3_PKS7_PS7_S7_ZZZN2at6native31launch_logcumsumexp_cuda_kernelERKNSE_10TensorBaseESI_lENKUlvE_clEvENKUlvE1_clEvEUlS7_S7_E_S7_EEDaPvRmT3_T4_T5_mT6_P12ihipStream_tbENKUlT_T0_E_clISt17integral_constantIbLb0EESY_IbLb1EEEEDaSU_SV_EUlSU_E_NS1_11comp_targetILNS1_3genE8ELNS1_11target_archE1030ELNS1_3gpuE2ELNS1_3repE0EEENS1_30default_config_static_selectorELNS0_4arch9wavefront6targetE1EEEvT1_
; %bb.0:
	.section	.rodata,"a",@progbits
	.p2align	6, 0x0
	.amdhsa_kernel _ZN7rocprim17ROCPRIM_400000_NS6detail17trampoline_kernelINS0_14default_configENS1_20scan_config_selectorIN3c107complexIdEEEEZZNS1_9scan_implILNS1_25lookback_scan_determinismE0ELb0ELb0ES3_PKS7_PS7_S7_ZZZN2at6native31launch_logcumsumexp_cuda_kernelERKNSE_10TensorBaseESI_lENKUlvE_clEvENKUlvE1_clEvEUlS7_S7_E_S7_EEDaPvRmT3_T4_T5_mT6_P12ihipStream_tbENKUlT_T0_E_clISt17integral_constantIbLb0EESY_IbLb1EEEEDaSU_SV_EUlSU_E_NS1_11comp_targetILNS1_3genE8ELNS1_11target_archE1030ELNS1_3gpuE2ELNS1_3repE0EEENS1_30default_config_static_selectorELNS0_4arch9wavefront6targetE1EEEvT1_
		.amdhsa_group_segment_fixed_size 0
		.amdhsa_private_segment_fixed_size 0
		.amdhsa_kernarg_size 128
		.amdhsa_user_sgpr_count 6
		.amdhsa_user_sgpr_private_segment_buffer 1
		.amdhsa_user_sgpr_dispatch_ptr 0
		.amdhsa_user_sgpr_queue_ptr 0
		.amdhsa_user_sgpr_kernarg_segment_ptr 1
		.amdhsa_user_sgpr_dispatch_id 0
		.amdhsa_user_sgpr_flat_scratch_init 0
		.amdhsa_user_sgpr_private_segment_size 0
		.amdhsa_uses_dynamic_stack 0
		.amdhsa_system_sgpr_private_segment_wavefront_offset 0
		.amdhsa_system_sgpr_workgroup_id_x 1
		.amdhsa_system_sgpr_workgroup_id_y 0
		.amdhsa_system_sgpr_workgroup_id_z 0
		.amdhsa_system_sgpr_workgroup_info 0
		.amdhsa_system_vgpr_workitem_id 0
		.amdhsa_next_free_vgpr 1
		.amdhsa_next_free_sgpr 0
		.amdhsa_reserve_vcc 0
		.amdhsa_reserve_flat_scratch 0
		.amdhsa_float_round_mode_32 0
		.amdhsa_float_round_mode_16_64 0
		.amdhsa_float_denorm_mode_32 3
		.amdhsa_float_denorm_mode_16_64 3
		.amdhsa_dx10_clamp 1
		.amdhsa_ieee_mode 1
		.amdhsa_fp16_overflow 0
		.amdhsa_exception_fp_ieee_invalid_op 0
		.amdhsa_exception_fp_denorm_src 0
		.amdhsa_exception_fp_ieee_div_zero 0
		.amdhsa_exception_fp_ieee_overflow 0
		.amdhsa_exception_fp_ieee_underflow 0
		.amdhsa_exception_fp_ieee_inexact 0
		.amdhsa_exception_int_div_zero 0
	.end_amdhsa_kernel
	.section	.text._ZN7rocprim17ROCPRIM_400000_NS6detail17trampoline_kernelINS0_14default_configENS1_20scan_config_selectorIN3c107complexIdEEEEZZNS1_9scan_implILNS1_25lookback_scan_determinismE0ELb0ELb0ES3_PKS7_PS7_S7_ZZZN2at6native31launch_logcumsumexp_cuda_kernelERKNSE_10TensorBaseESI_lENKUlvE_clEvENKUlvE1_clEvEUlS7_S7_E_S7_EEDaPvRmT3_T4_T5_mT6_P12ihipStream_tbENKUlT_T0_E_clISt17integral_constantIbLb0EESY_IbLb1EEEEDaSU_SV_EUlSU_E_NS1_11comp_targetILNS1_3genE8ELNS1_11target_archE1030ELNS1_3gpuE2ELNS1_3repE0EEENS1_30default_config_static_selectorELNS0_4arch9wavefront6targetE1EEEvT1_,"axG",@progbits,_ZN7rocprim17ROCPRIM_400000_NS6detail17trampoline_kernelINS0_14default_configENS1_20scan_config_selectorIN3c107complexIdEEEEZZNS1_9scan_implILNS1_25lookback_scan_determinismE0ELb0ELb0ES3_PKS7_PS7_S7_ZZZN2at6native31launch_logcumsumexp_cuda_kernelERKNSE_10TensorBaseESI_lENKUlvE_clEvENKUlvE1_clEvEUlS7_S7_E_S7_EEDaPvRmT3_T4_T5_mT6_P12ihipStream_tbENKUlT_T0_E_clISt17integral_constantIbLb0EESY_IbLb1EEEEDaSU_SV_EUlSU_E_NS1_11comp_targetILNS1_3genE8ELNS1_11target_archE1030ELNS1_3gpuE2ELNS1_3repE0EEENS1_30default_config_static_selectorELNS0_4arch9wavefront6targetE1EEEvT1_,comdat
.Lfunc_end249:
	.size	_ZN7rocprim17ROCPRIM_400000_NS6detail17trampoline_kernelINS0_14default_configENS1_20scan_config_selectorIN3c107complexIdEEEEZZNS1_9scan_implILNS1_25lookback_scan_determinismE0ELb0ELb0ES3_PKS7_PS7_S7_ZZZN2at6native31launch_logcumsumexp_cuda_kernelERKNSE_10TensorBaseESI_lENKUlvE_clEvENKUlvE1_clEvEUlS7_S7_E_S7_EEDaPvRmT3_T4_T5_mT6_P12ihipStream_tbENKUlT_T0_E_clISt17integral_constantIbLb0EESY_IbLb1EEEEDaSU_SV_EUlSU_E_NS1_11comp_targetILNS1_3genE8ELNS1_11target_archE1030ELNS1_3gpuE2ELNS1_3repE0EEENS1_30default_config_static_selectorELNS0_4arch9wavefront6targetE1EEEvT1_, .Lfunc_end249-_ZN7rocprim17ROCPRIM_400000_NS6detail17trampoline_kernelINS0_14default_configENS1_20scan_config_selectorIN3c107complexIdEEEEZZNS1_9scan_implILNS1_25lookback_scan_determinismE0ELb0ELb0ES3_PKS7_PS7_S7_ZZZN2at6native31launch_logcumsumexp_cuda_kernelERKNSE_10TensorBaseESI_lENKUlvE_clEvENKUlvE1_clEvEUlS7_S7_E_S7_EEDaPvRmT3_T4_T5_mT6_P12ihipStream_tbENKUlT_T0_E_clISt17integral_constantIbLb0EESY_IbLb1EEEEDaSU_SV_EUlSU_E_NS1_11comp_targetILNS1_3genE8ELNS1_11target_archE1030ELNS1_3gpuE2ELNS1_3repE0EEENS1_30default_config_static_selectorELNS0_4arch9wavefront6targetE1EEEvT1_
                                        ; -- End function
	.set _ZN7rocprim17ROCPRIM_400000_NS6detail17trampoline_kernelINS0_14default_configENS1_20scan_config_selectorIN3c107complexIdEEEEZZNS1_9scan_implILNS1_25lookback_scan_determinismE0ELb0ELb0ES3_PKS7_PS7_S7_ZZZN2at6native31launch_logcumsumexp_cuda_kernelERKNSE_10TensorBaseESI_lENKUlvE_clEvENKUlvE1_clEvEUlS7_S7_E_S7_EEDaPvRmT3_T4_T5_mT6_P12ihipStream_tbENKUlT_T0_E_clISt17integral_constantIbLb0EESY_IbLb1EEEEDaSU_SV_EUlSU_E_NS1_11comp_targetILNS1_3genE8ELNS1_11target_archE1030ELNS1_3gpuE2ELNS1_3repE0EEENS1_30default_config_static_selectorELNS0_4arch9wavefront6targetE1EEEvT1_.num_vgpr, 0
	.set _ZN7rocprim17ROCPRIM_400000_NS6detail17trampoline_kernelINS0_14default_configENS1_20scan_config_selectorIN3c107complexIdEEEEZZNS1_9scan_implILNS1_25lookback_scan_determinismE0ELb0ELb0ES3_PKS7_PS7_S7_ZZZN2at6native31launch_logcumsumexp_cuda_kernelERKNSE_10TensorBaseESI_lENKUlvE_clEvENKUlvE1_clEvEUlS7_S7_E_S7_EEDaPvRmT3_T4_T5_mT6_P12ihipStream_tbENKUlT_T0_E_clISt17integral_constantIbLb0EESY_IbLb1EEEEDaSU_SV_EUlSU_E_NS1_11comp_targetILNS1_3genE8ELNS1_11target_archE1030ELNS1_3gpuE2ELNS1_3repE0EEENS1_30default_config_static_selectorELNS0_4arch9wavefront6targetE1EEEvT1_.num_agpr, 0
	.set _ZN7rocprim17ROCPRIM_400000_NS6detail17trampoline_kernelINS0_14default_configENS1_20scan_config_selectorIN3c107complexIdEEEEZZNS1_9scan_implILNS1_25lookback_scan_determinismE0ELb0ELb0ES3_PKS7_PS7_S7_ZZZN2at6native31launch_logcumsumexp_cuda_kernelERKNSE_10TensorBaseESI_lENKUlvE_clEvENKUlvE1_clEvEUlS7_S7_E_S7_EEDaPvRmT3_T4_T5_mT6_P12ihipStream_tbENKUlT_T0_E_clISt17integral_constantIbLb0EESY_IbLb1EEEEDaSU_SV_EUlSU_E_NS1_11comp_targetILNS1_3genE8ELNS1_11target_archE1030ELNS1_3gpuE2ELNS1_3repE0EEENS1_30default_config_static_selectorELNS0_4arch9wavefront6targetE1EEEvT1_.numbered_sgpr, 0
	.set _ZN7rocprim17ROCPRIM_400000_NS6detail17trampoline_kernelINS0_14default_configENS1_20scan_config_selectorIN3c107complexIdEEEEZZNS1_9scan_implILNS1_25lookback_scan_determinismE0ELb0ELb0ES3_PKS7_PS7_S7_ZZZN2at6native31launch_logcumsumexp_cuda_kernelERKNSE_10TensorBaseESI_lENKUlvE_clEvENKUlvE1_clEvEUlS7_S7_E_S7_EEDaPvRmT3_T4_T5_mT6_P12ihipStream_tbENKUlT_T0_E_clISt17integral_constantIbLb0EESY_IbLb1EEEEDaSU_SV_EUlSU_E_NS1_11comp_targetILNS1_3genE8ELNS1_11target_archE1030ELNS1_3gpuE2ELNS1_3repE0EEENS1_30default_config_static_selectorELNS0_4arch9wavefront6targetE1EEEvT1_.num_named_barrier, 0
	.set _ZN7rocprim17ROCPRIM_400000_NS6detail17trampoline_kernelINS0_14default_configENS1_20scan_config_selectorIN3c107complexIdEEEEZZNS1_9scan_implILNS1_25lookback_scan_determinismE0ELb0ELb0ES3_PKS7_PS7_S7_ZZZN2at6native31launch_logcumsumexp_cuda_kernelERKNSE_10TensorBaseESI_lENKUlvE_clEvENKUlvE1_clEvEUlS7_S7_E_S7_EEDaPvRmT3_T4_T5_mT6_P12ihipStream_tbENKUlT_T0_E_clISt17integral_constantIbLb0EESY_IbLb1EEEEDaSU_SV_EUlSU_E_NS1_11comp_targetILNS1_3genE8ELNS1_11target_archE1030ELNS1_3gpuE2ELNS1_3repE0EEENS1_30default_config_static_selectorELNS0_4arch9wavefront6targetE1EEEvT1_.private_seg_size, 0
	.set _ZN7rocprim17ROCPRIM_400000_NS6detail17trampoline_kernelINS0_14default_configENS1_20scan_config_selectorIN3c107complexIdEEEEZZNS1_9scan_implILNS1_25lookback_scan_determinismE0ELb0ELb0ES3_PKS7_PS7_S7_ZZZN2at6native31launch_logcumsumexp_cuda_kernelERKNSE_10TensorBaseESI_lENKUlvE_clEvENKUlvE1_clEvEUlS7_S7_E_S7_EEDaPvRmT3_T4_T5_mT6_P12ihipStream_tbENKUlT_T0_E_clISt17integral_constantIbLb0EESY_IbLb1EEEEDaSU_SV_EUlSU_E_NS1_11comp_targetILNS1_3genE8ELNS1_11target_archE1030ELNS1_3gpuE2ELNS1_3repE0EEENS1_30default_config_static_selectorELNS0_4arch9wavefront6targetE1EEEvT1_.uses_vcc, 0
	.set _ZN7rocprim17ROCPRIM_400000_NS6detail17trampoline_kernelINS0_14default_configENS1_20scan_config_selectorIN3c107complexIdEEEEZZNS1_9scan_implILNS1_25lookback_scan_determinismE0ELb0ELb0ES3_PKS7_PS7_S7_ZZZN2at6native31launch_logcumsumexp_cuda_kernelERKNSE_10TensorBaseESI_lENKUlvE_clEvENKUlvE1_clEvEUlS7_S7_E_S7_EEDaPvRmT3_T4_T5_mT6_P12ihipStream_tbENKUlT_T0_E_clISt17integral_constantIbLb0EESY_IbLb1EEEEDaSU_SV_EUlSU_E_NS1_11comp_targetILNS1_3genE8ELNS1_11target_archE1030ELNS1_3gpuE2ELNS1_3repE0EEENS1_30default_config_static_selectorELNS0_4arch9wavefront6targetE1EEEvT1_.uses_flat_scratch, 0
	.set _ZN7rocprim17ROCPRIM_400000_NS6detail17trampoline_kernelINS0_14default_configENS1_20scan_config_selectorIN3c107complexIdEEEEZZNS1_9scan_implILNS1_25lookback_scan_determinismE0ELb0ELb0ES3_PKS7_PS7_S7_ZZZN2at6native31launch_logcumsumexp_cuda_kernelERKNSE_10TensorBaseESI_lENKUlvE_clEvENKUlvE1_clEvEUlS7_S7_E_S7_EEDaPvRmT3_T4_T5_mT6_P12ihipStream_tbENKUlT_T0_E_clISt17integral_constantIbLb0EESY_IbLb1EEEEDaSU_SV_EUlSU_E_NS1_11comp_targetILNS1_3genE8ELNS1_11target_archE1030ELNS1_3gpuE2ELNS1_3repE0EEENS1_30default_config_static_selectorELNS0_4arch9wavefront6targetE1EEEvT1_.has_dyn_sized_stack, 0
	.set _ZN7rocprim17ROCPRIM_400000_NS6detail17trampoline_kernelINS0_14default_configENS1_20scan_config_selectorIN3c107complexIdEEEEZZNS1_9scan_implILNS1_25lookback_scan_determinismE0ELb0ELb0ES3_PKS7_PS7_S7_ZZZN2at6native31launch_logcumsumexp_cuda_kernelERKNSE_10TensorBaseESI_lENKUlvE_clEvENKUlvE1_clEvEUlS7_S7_E_S7_EEDaPvRmT3_T4_T5_mT6_P12ihipStream_tbENKUlT_T0_E_clISt17integral_constantIbLb0EESY_IbLb1EEEEDaSU_SV_EUlSU_E_NS1_11comp_targetILNS1_3genE8ELNS1_11target_archE1030ELNS1_3gpuE2ELNS1_3repE0EEENS1_30default_config_static_selectorELNS0_4arch9wavefront6targetE1EEEvT1_.has_recursion, 0
	.set _ZN7rocprim17ROCPRIM_400000_NS6detail17trampoline_kernelINS0_14default_configENS1_20scan_config_selectorIN3c107complexIdEEEEZZNS1_9scan_implILNS1_25lookback_scan_determinismE0ELb0ELb0ES3_PKS7_PS7_S7_ZZZN2at6native31launch_logcumsumexp_cuda_kernelERKNSE_10TensorBaseESI_lENKUlvE_clEvENKUlvE1_clEvEUlS7_S7_E_S7_EEDaPvRmT3_T4_T5_mT6_P12ihipStream_tbENKUlT_T0_E_clISt17integral_constantIbLb0EESY_IbLb1EEEEDaSU_SV_EUlSU_E_NS1_11comp_targetILNS1_3genE8ELNS1_11target_archE1030ELNS1_3gpuE2ELNS1_3repE0EEENS1_30default_config_static_selectorELNS0_4arch9wavefront6targetE1EEEvT1_.has_indirect_call, 0
	.section	.AMDGPU.csdata,"",@progbits
; Kernel info:
; codeLenInByte = 0
; TotalNumSgprs: 4
; NumVgprs: 0
; ScratchSize: 0
; MemoryBound: 0
; FloatMode: 240
; IeeeMode: 1
; LDSByteSize: 0 bytes/workgroup (compile time only)
; SGPRBlocks: 0
; VGPRBlocks: 0
; NumSGPRsForWavesPerEU: 4
; NumVGPRsForWavesPerEU: 1
; Occupancy: 10
; WaveLimiterHint : 0
; COMPUTE_PGM_RSRC2:SCRATCH_EN: 0
; COMPUTE_PGM_RSRC2:USER_SGPR: 6
; COMPUTE_PGM_RSRC2:TRAP_HANDLER: 0
; COMPUTE_PGM_RSRC2:TGID_X_EN: 1
; COMPUTE_PGM_RSRC2:TGID_Y_EN: 0
; COMPUTE_PGM_RSRC2:TGID_Z_EN: 0
; COMPUTE_PGM_RSRC2:TIDIG_COMP_CNT: 0
	.section	.text._ZN7rocprim17ROCPRIM_400000_NS6detail17trampoline_kernelINS0_14default_configENS1_20scan_config_selectorIN3c107complexIdEEEEZZNS1_9scan_implILNS1_25lookback_scan_determinismE0ELb0ELb0ES3_PKS7_PS7_S7_ZZZN2at6native31launch_logcumsumexp_cuda_kernelERKNSE_10TensorBaseESI_lENKUlvE_clEvENKUlvE1_clEvEUlS7_S7_E_S7_EEDaPvRmT3_T4_T5_mT6_P12ihipStream_tbENKUlT_T0_E_clISt17integral_constantIbLb0EESY_IbLb1EEEEDaSU_SV_EUlSU_E0_NS1_11comp_targetILNS1_3genE0ELNS1_11target_archE4294967295ELNS1_3gpuE0ELNS1_3repE0EEENS1_30default_config_static_selectorELNS0_4arch9wavefront6targetE1EEEvT1_,"axG",@progbits,_ZN7rocprim17ROCPRIM_400000_NS6detail17trampoline_kernelINS0_14default_configENS1_20scan_config_selectorIN3c107complexIdEEEEZZNS1_9scan_implILNS1_25lookback_scan_determinismE0ELb0ELb0ES3_PKS7_PS7_S7_ZZZN2at6native31launch_logcumsumexp_cuda_kernelERKNSE_10TensorBaseESI_lENKUlvE_clEvENKUlvE1_clEvEUlS7_S7_E_S7_EEDaPvRmT3_T4_T5_mT6_P12ihipStream_tbENKUlT_T0_E_clISt17integral_constantIbLb0EESY_IbLb1EEEEDaSU_SV_EUlSU_E0_NS1_11comp_targetILNS1_3genE0ELNS1_11target_archE4294967295ELNS1_3gpuE0ELNS1_3repE0EEENS1_30default_config_static_selectorELNS0_4arch9wavefront6targetE1EEEvT1_,comdat
	.globl	_ZN7rocprim17ROCPRIM_400000_NS6detail17trampoline_kernelINS0_14default_configENS1_20scan_config_selectorIN3c107complexIdEEEEZZNS1_9scan_implILNS1_25lookback_scan_determinismE0ELb0ELb0ES3_PKS7_PS7_S7_ZZZN2at6native31launch_logcumsumexp_cuda_kernelERKNSE_10TensorBaseESI_lENKUlvE_clEvENKUlvE1_clEvEUlS7_S7_E_S7_EEDaPvRmT3_T4_T5_mT6_P12ihipStream_tbENKUlT_T0_E_clISt17integral_constantIbLb0EESY_IbLb1EEEEDaSU_SV_EUlSU_E0_NS1_11comp_targetILNS1_3genE0ELNS1_11target_archE4294967295ELNS1_3gpuE0ELNS1_3repE0EEENS1_30default_config_static_selectorELNS0_4arch9wavefront6targetE1EEEvT1_ ; -- Begin function _ZN7rocprim17ROCPRIM_400000_NS6detail17trampoline_kernelINS0_14default_configENS1_20scan_config_selectorIN3c107complexIdEEEEZZNS1_9scan_implILNS1_25lookback_scan_determinismE0ELb0ELb0ES3_PKS7_PS7_S7_ZZZN2at6native31launch_logcumsumexp_cuda_kernelERKNSE_10TensorBaseESI_lENKUlvE_clEvENKUlvE1_clEvEUlS7_S7_E_S7_EEDaPvRmT3_T4_T5_mT6_P12ihipStream_tbENKUlT_T0_E_clISt17integral_constantIbLb0EESY_IbLb1EEEEDaSU_SV_EUlSU_E0_NS1_11comp_targetILNS1_3genE0ELNS1_11target_archE4294967295ELNS1_3gpuE0ELNS1_3repE0EEENS1_30default_config_static_selectorELNS0_4arch9wavefront6targetE1EEEvT1_
	.p2align	8
	.type	_ZN7rocprim17ROCPRIM_400000_NS6detail17trampoline_kernelINS0_14default_configENS1_20scan_config_selectorIN3c107complexIdEEEEZZNS1_9scan_implILNS1_25lookback_scan_determinismE0ELb0ELb0ES3_PKS7_PS7_S7_ZZZN2at6native31launch_logcumsumexp_cuda_kernelERKNSE_10TensorBaseESI_lENKUlvE_clEvENKUlvE1_clEvEUlS7_S7_E_S7_EEDaPvRmT3_T4_T5_mT6_P12ihipStream_tbENKUlT_T0_E_clISt17integral_constantIbLb0EESY_IbLb1EEEEDaSU_SV_EUlSU_E0_NS1_11comp_targetILNS1_3genE0ELNS1_11target_archE4294967295ELNS1_3gpuE0ELNS1_3repE0EEENS1_30default_config_static_selectorELNS0_4arch9wavefront6targetE1EEEvT1_,@function
_ZN7rocprim17ROCPRIM_400000_NS6detail17trampoline_kernelINS0_14default_configENS1_20scan_config_selectorIN3c107complexIdEEEEZZNS1_9scan_implILNS1_25lookback_scan_determinismE0ELb0ELb0ES3_PKS7_PS7_S7_ZZZN2at6native31launch_logcumsumexp_cuda_kernelERKNSE_10TensorBaseESI_lENKUlvE_clEvENKUlvE1_clEvEUlS7_S7_E_S7_EEDaPvRmT3_T4_T5_mT6_P12ihipStream_tbENKUlT_T0_E_clISt17integral_constantIbLb0EESY_IbLb1EEEEDaSU_SV_EUlSU_E0_NS1_11comp_targetILNS1_3genE0ELNS1_11target_archE4294967295ELNS1_3gpuE0ELNS1_3repE0EEENS1_30default_config_static_selectorELNS0_4arch9wavefront6targetE1EEEvT1_: ; @_ZN7rocprim17ROCPRIM_400000_NS6detail17trampoline_kernelINS0_14default_configENS1_20scan_config_selectorIN3c107complexIdEEEEZZNS1_9scan_implILNS1_25lookback_scan_determinismE0ELb0ELb0ES3_PKS7_PS7_S7_ZZZN2at6native31launch_logcumsumexp_cuda_kernelERKNSE_10TensorBaseESI_lENKUlvE_clEvENKUlvE1_clEvEUlS7_S7_E_S7_EEDaPvRmT3_T4_T5_mT6_P12ihipStream_tbENKUlT_T0_E_clISt17integral_constantIbLb0EESY_IbLb1EEEEDaSU_SV_EUlSU_E0_NS1_11comp_targetILNS1_3genE0ELNS1_11target_archE4294967295ELNS1_3gpuE0ELNS1_3repE0EEENS1_30default_config_static_selectorELNS0_4arch9wavefront6targetE1EEEvT1_
; %bb.0:
	.section	.rodata,"a",@progbits
	.p2align	6, 0x0
	.amdhsa_kernel _ZN7rocprim17ROCPRIM_400000_NS6detail17trampoline_kernelINS0_14default_configENS1_20scan_config_selectorIN3c107complexIdEEEEZZNS1_9scan_implILNS1_25lookback_scan_determinismE0ELb0ELb0ES3_PKS7_PS7_S7_ZZZN2at6native31launch_logcumsumexp_cuda_kernelERKNSE_10TensorBaseESI_lENKUlvE_clEvENKUlvE1_clEvEUlS7_S7_E_S7_EEDaPvRmT3_T4_T5_mT6_P12ihipStream_tbENKUlT_T0_E_clISt17integral_constantIbLb0EESY_IbLb1EEEEDaSU_SV_EUlSU_E0_NS1_11comp_targetILNS1_3genE0ELNS1_11target_archE4294967295ELNS1_3gpuE0ELNS1_3repE0EEENS1_30default_config_static_selectorELNS0_4arch9wavefront6targetE1EEEvT1_
		.amdhsa_group_segment_fixed_size 0
		.amdhsa_private_segment_fixed_size 0
		.amdhsa_kernarg_size 48
		.amdhsa_user_sgpr_count 6
		.amdhsa_user_sgpr_private_segment_buffer 1
		.amdhsa_user_sgpr_dispatch_ptr 0
		.amdhsa_user_sgpr_queue_ptr 0
		.amdhsa_user_sgpr_kernarg_segment_ptr 1
		.amdhsa_user_sgpr_dispatch_id 0
		.amdhsa_user_sgpr_flat_scratch_init 0
		.amdhsa_user_sgpr_private_segment_size 0
		.amdhsa_uses_dynamic_stack 0
		.amdhsa_system_sgpr_private_segment_wavefront_offset 0
		.amdhsa_system_sgpr_workgroup_id_x 1
		.amdhsa_system_sgpr_workgroup_id_y 0
		.amdhsa_system_sgpr_workgroup_id_z 0
		.amdhsa_system_sgpr_workgroup_info 0
		.amdhsa_system_vgpr_workitem_id 0
		.amdhsa_next_free_vgpr 1
		.amdhsa_next_free_sgpr 0
		.amdhsa_reserve_vcc 0
		.amdhsa_reserve_flat_scratch 0
		.amdhsa_float_round_mode_32 0
		.amdhsa_float_round_mode_16_64 0
		.amdhsa_float_denorm_mode_32 3
		.amdhsa_float_denorm_mode_16_64 3
		.amdhsa_dx10_clamp 1
		.amdhsa_ieee_mode 1
		.amdhsa_fp16_overflow 0
		.amdhsa_exception_fp_ieee_invalid_op 0
		.amdhsa_exception_fp_denorm_src 0
		.amdhsa_exception_fp_ieee_div_zero 0
		.amdhsa_exception_fp_ieee_overflow 0
		.amdhsa_exception_fp_ieee_underflow 0
		.amdhsa_exception_fp_ieee_inexact 0
		.amdhsa_exception_int_div_zero 0
	.end_amdhsa_kernel
	.section	.text._ZN7rocprim17ROCPRIM_400000_NS6detail17trampoline_kernelINS0_14default_configENS1_20scan_config_selectorIN3c107complexIdEEEEZZNS1_9scan_implILNS1_25lookback_scan_determinismE0ELb0ELb0ES3_PKS7_PS7_S7_ZZZN2at6native31launch_logcumsumexp_cuda_kernelERKNSE_10TensorBaseESI_lENKUlvE_clEvENKUlvE1_clEvEUlS7_S7_E_S7_EEDaPvRmT3_T4_T5_mT6_P12ihipStream_tbENKUlT_T0_E_clISt17integral_constantIbLb0EESY_IbLb1EEEEDaSU_SV_EUlSU_E0_NS1_11comp_targetILNS1_3genE0ELNS1_11target_archE4294967295ELNS1_3gpuE0ELNS1_3repE0EEENS1_30default_config_static_selectorELNS0_4arch9wavefront6targetE1EEEvT1_,"axG",@progbits,_ZN7rocprim17ROCPRIM_400000_NS6detail17trampoline_kernelINS0_14default_configENS1_20scan_config_selectorIN3c107complexIdEEEEZZNS1_9scan_implILNS1_25lookback_scan_determinismE0ELb0ELb0ES3_PKS7_PS7_S7_ZZZN2at6native31launch_logcumsumexp_cuda_kernelERKNSE_10TensorBaseESI_lENKUlvE_clEvENKUlvE1_clEvEUlS7_S7_E_S7_EEDaPvRmT3_T4_T5_mT6_P12ihipStream_tbENKUlT_T0_E_clISt17integral_constantIbLb0EESY_IbLb1EEEEDaSU_SV_EUlSU_E0_NS1_11comp_targetILNS1_3genE0ELNS1_11target_archE4294967295ELNS1_3gpuE0ELNS1_3repE0EEENS1_30default_config_static_selectorELNS0_4arch9wavefront6targetE1EEEvT1_,comdat
.Lfunc_end250:
	.size	_ZN7rocprim17ROCPRIM_400000_NS6detail17trampoline_kernelINS0_14default_configENS1_20scan_config_selectorIN3c107complexIdEEEEZZNS1_9scan_implILNS1_25lookback_scan_determinismE0ELb0ELb0ES3_PKS7_PS7_S7_ZZZN2at6native31launch_logcumsumexp_cuda_kernelERKNSE_10TensorBaseESI_lENKUlvE_clEvENKUlvE1_clEvEUlS7_S7_E_S7_EEDaPvRmT3_T4_T5_mT6_P12ihipStream_tbENKUlT_T0_E_clISt17integral_constantIbLb0EESY_IbLb1EEEEDaSU_SV_EUlSU_E0_NS1_11comp_targetILNS1_3genE0ELNS1_11target_archE4294967295ELNS1_3gpuE0ELNS1_3repE0EEENS1_30default_config_static_selectorELNS0_4arch9wavefront6targetE1EEEvT1_, .Lfunc_end250-_ZN7rocprim17ROCPRIM_400000_NS6detail17trampoline_kernelINS0_14default_configENS1_20scan_config_selectorIN3c107complexIdEEEEZZNS1_9scan_implILNS1_25lookback_scan_determinismE0ELb0ELb0ES3_PKS7_PS7_S7_ZZZN2at6native31launch_logcumsumexp_cuda_kernelERKNSE_10TensorBaseESI_lENKUlvE_clEvENKUlvE1_clEvEUlS7_S7_E_S7_EEDaPvRmT3_T4_T5_mT6_P12ihipStream_tbENKUlT_T0_E_clISt17integral_constantIbLb0EESY_IbLb1EEEEDaSU_SV_EUlSU_E0_NS1_11comp_targetILNS1_3genE0ELNS1_11target_archE4294967295ELNS1_3gpuE0ELNS1_3repE0EEENS1_30default_config_static_selectorELNS0_4arch9wavefront6targetE1EEEvT1_
                                        ; -- End function
	.set _ZN7rocprim17ROCPRIM_400000_NS6detail17trampoline_kernelINS0_14default_configENS1_20scan_config_selectorIN3c107complexIdEEEEZZNS1_9scan_implILNS1_25lookback_scan_determinismE0ELb0ELb0ES3_PKS7_PS7_S7_ZZZN2at6native31launch_logcumsumexp_cuda_kernelERKNSE_10TensorBaseESI_lENKUlvE_clEvENKUlvE1_clEvEUlS7_S7_E_S7_EEDaPvRmT3_T4_T5_mT6_P12ihipStream_tbENKUlT_T0_E_clISt17integral_constantIbLb0EESY_IbLb1EEEEDaSU_SV_EUlSU_E0_NS1_11comp_targetILNS1_3genE0ELNS1_11target_archE4294967295ELNS1_3gpuE0ELNS1_3repE0EEENS1_30default_config_static_selectorELNS0_4arch9wavefront6targetE1EEEvT1_.num_vgpr, 0
	.set _ZN7rocprim17ROCPRIM_400000_NS6detail17trampoline_kernelINS0_14default_configENS1_20scan_config_selectorIN3c107complexIdEEEEZZNS1_9scan_implILNS1_25lookback_scan_determinismE0ELb0ELb0ES3_PKS7_PS7_S7_ZZZN2at6native31launch_logcumsumexp_cuda_kernelERKNSE_10TensorBaseESI_lENKUlvE_clEvENKUlvE1_clEvEUlS7_S7_E_S7_EEDaPvRmT3_T4_T5_mT6_P12ihipStream_tbENKUlT_T0_E_clISt17integral_constantIbLb0EESY_IbLb1EEEEDaSU_SV_EUlSU_E0_NS1_11comp_targetILNS1_3genE0ELNS1_11target_archE4294967295ELNS1_3gpuE0ELNS1_3repE0EEENS1_30default_config_static_selectorELNS0_4arch9wavefront6targetE1EEEvT1_.num_agpr, 0
	.set _ZN7rocprim17ROCPRIM_400000_NS6detail17trampoline_kernelINS0_14default_configENS1_20scan_config_selectorIN3c107complexIdEEEEZZNS1_9scan_implILNS1_25lookback_scan_determinismE0ELb0ELb0ES3_PKS7_PS7_S7_ZZZN2at6native31launch_logcumsumexp_cuda_kernelERKNSE_10TensorBaseESI_lENKUlvE_clEvENKUlvE1_clEvEUlS7_S7_E_S7_EEDaPvRmT3_T4_T5_mT6_P12ihipStream_tbENKUlT_T0_E_clISt17integral_constantIbLb0EESY_IbLb1EEEEDaSU_SV_EUlSU_E0_NS1_11comp_targetILNS1_3genE0ELNS1_11target_archE4294967295ELNS1_3gpuE0ELNS1_3repE0EEENS1_30default_config_static_selectorELNS0_4arch9wavefront6targetE1EEEvT1_.numbered_sgpr, 0
	.set _ZN7rocprim17ROCPRIM_400000_NS6detail17trampoline_kernelINS0_14default_configENS1_20scan_config_selectorIN3c107complexIdEEEEZZNS1_9scan_implILNS1_25lookback_scan_determinismE0ELb0ELb0ES3_PKS7_PS7_S7_ZZZN2at6native31launch_logcumsumexp_cuda_kernelERKNSE_10TensorBaseESI_lENKUlvE_clEvENKUlvE1_clEvEUlS7_S7_E_S7_EEDaPvRmT3_T4_T5_mT6_P12ihipStream_tbENKUlT_T0_E_clISt17integral_constantIbLb0EESY_IbLb1EEEEDaSU_SV_EUlSU_E0_NS1_11comp_targetILNS1_3genE0ELNS1_11target_archE4294967295ELNS1_3gpuE0ELNS1_3repE0EEENS1_30default_config_static_selectorELNS0_4arch9wavefront6targetE1EEEvT1_.num_named_barrier, 0
	.set _ZN7rocprim17ROCPRIM_400000_NS6detail17trampoline_kernelINS0_14default_configENS1_20scan_config_selectorIN3c107complexIdEEEEZZNS1_9scan_implILNS1_25lookback_scan_determinismE0ELb0ELb0ES3_PKS7_PS7_S7_ZZZN2at6native31launch_logcumsumexp_cuda_kernelERKNSE_10TensorBaseESI_lENKUlvE_clEvENKUlvE1_clEvEUlS7_S7_E_S7_EEDaPvRmT3_T4_T5_mT6_P12ihipStream_tbENKUlT_T0_E_clISt17integral_constantIbLb0EESY_IbLb1EEEEDaSU_SV_EUlSU_E0_NS1_11comp_targetILNS1_3genE0ELNS1_11target_archE4294967295ELNS1_3gpuE0ELNS1_3repE0EEENS1_30default_config_static_selectorELNS0_4arch9wavefront6targetE1EEEvT1_.private_seg_size, 0
	.set _ZN7rocprim17ROCPRIM_400000_NS6detail17trampoline_kernelINS0_14default_configENS1_20scan_config_selectorIN3c107complexIdEEEEZZNS1_9scan_implILNS1_25lookback_scan_determinismE0ELb0ELb0ES3_PKS7_PS7_S7_ZZZN2at6native31launch_logcumsumexp_cuda_kernelERKNSE_10TensorBaseESI_lENKUlvE_clEvENKUlvE1_clEvEUlS7_S7_E_S7_EEDaPvRmT3_T4_T5_mT6_P12ihipStream_tbENKUlT_T0_E_clISt17integral_constantIbLb0EESY_IbLb1EEEEDaSU_SV_EUlSU_E0_NS1_11comp_targetILNS1_3genE0ELNS1_11target_archE4294967295ELNS1_3gpuE0ELNS1_3repE0EEENS1_30default_config_static_selectorELNS0_4arch9wavefront6targetE1EEEvT1_.uses_vcc, 0
	.set _ZN7rocprim17ROCPRIM_400000_NS6detail17trampoline_kernelINS0_14default_configENS1_20scan_config_selectorIN3c107complexIdEEEEZZNS1_9scan_implILNS1_25lookback_scan_determinismE0ELb0ELb0ES3_PKS7_PS7_S7_ZZZN2at6native31launch_logcumsumexp_cuda_kernelERKNSE_10TensorBaseESI_lENKUlvE_clEvENKUlvE1_clEvEUlS7_S7_E_S7_EEDaPvRmT3_T4_T5_mT6_P12ihipStream_tbENKUlT_T0_E_clISt17integral_constantIbLb0EESY_IbLb1EEEEDaSU_SV_EUlSU_E0_NS1_11comp_targetILNS1_3genE0ELNS1_11target_archE4294967295ELNS1_3gpuE0ELNS1_3repE0EEENS1_30default_config_static_selectorELNS0_4arch9wavefront6targetE1EEEvT1_.uses_flat_scratch, 0
	.set _ZN7rocprim17ROCPRIM_400000_NS6detail17trampoline_kernelINS0_14default_configENS1_20scan_config_selectorIN3c107complexIdEEEEZZNS1_9scan_implILNS1_25lookback_scan_determinismE0ELb0ELb0ES3_PKS7_PS7_S7_ZZZN2at6native31launch_logcumsumexp_cuda_kernelERKNSE_10TensorBaseESI_lENKUlvE_clEvENKUlvE1_clEvEUlS7_S7_E_S7_EEDaPvRmT3_T4_T5_mT6_P12ihipStream_tbENKUlT_T0_E_clISt17integral_constantIbLb0EESY_IbLb1EEEEDaSU_SV_EUlSU_E0_NS1_11comp_targetILNS1_3genE0ELNS1_11target_archE4294967295ELNS1_3gpuE0ELNS1_3repE0EEENS1_30default_config_static_selectorELNS0_4arch9wavefront6targetE1EEEvT1_.has_dyn_sized_stack, 0
	.set _ZN7rocprim17ROCPRIM_400000_NS6detail17trampoline_kernelINS0_14default_configENS1_20scan_config_selectorIN3c107complexIdEEEEZZNS1_9scan_implILNS1_25lookback_scan_determinismE0ELb0ELb0ES3_PKS7_PS7_S7_ZZZN2at6native31launch_logcumsumexp_cuda_kernelERKNSE_10TensorBaseESI_lENKUlvE_clEvENKUlvE1_clEvEUlS7_S7_E_S7_EEDaPvRmT3_T4_T5_mT6_P12ihipStream_tbENKUlT_T0_E_clISt17integral_constantIbLb0EESY_IbLb1EEEEDaSU_SV_EUlSU_E0_NS1_11comp_targetILNS1_3genE0ELNS1_11target_archE4294967295ELNS1_3gpuE0ELNS1_3repE0EEENS1_30default_config_static_selectorELNS0_4arch9wavefront6targetE1EEEvT1_.has_recursion, 0
	.set _ZN7rocprim17ROCPRIM_400000_NS6detail17trampoline_kernelINS0_14default_configENS1_20scan_config_selectorIN3c107complexIdEEEEZZNS1_9scan_implILNS1_25lookback_scan_determinismE0ELb0ELb0ES3_PKS7_PS7_S7_ZZZN2at6native31launch_logcumsumexp_cuda_kernelERKNSE_10TensorBaseESI_lENKUlvE_clEvENKUlvE1_clEvEUlS7_S7_E_S7_EEDaPvRmT3_T4_T5_mT6_P12ihipStream_tbENKUlT_T0_E_clISt17integral_constantIbLb0EESY_IbLb1EEEEDaSU_SV_EUlSU_E0_NS1_11comp_targetILNS1_3genE0ELNS1_11target_archE4294967295ELNS1_3gpuE0ELNS1_3repE0EEENS1_30default_config_static_selectorELNS0_4arch9wavefront6targetE1EEEvT1_.has_indirect_call, 0
	.section	.AMDGPU.csdata,"",@progbits
; Kernel info:
; codeLenInByte = 0
; TotalNumSgprs: 4
; NumVgprs: 0
; ScratchSize: 0
; MemoryBound: 0
; FloatMode: 240
; IeeeMode: 1
; LDSByteSize: 0 bytes/workgroup (compile time only)
; SGPRBlocks: 0
; VGPRBlocks: 0
; NumSGPRsForWavesPerEU: 4
; NumVGPRsForWavesPerEU: 1
; Occupancy: 10
; WaveLimiterHint : 0
; COMPUTE_PGM_RSRC2:SCRATCH_EN: 0
; COMPUTE_PGM_RSRC2:USER_SGPR: 6
; COMPUTE_PGM_RSRC2:TRAP_HANDLER: 0
; COMPUTE_PGM_RSRC2:TGID_X_EN: 1
; COMPUTE_PGM_RSRC2:TGID_Y_EN: 0
; COMPUTE_PGM_RSRC2:TGID_Z_EN: 0
; COMPUTE_PGM_RSRC2:TIDIG_COMP_CNT: 0
	.section	.text._ZN7rocprim17ROCPRIM_400000_NS6detail17trampoline_kernelINS0_14default_configENS1_20scan_config_selectorIN3c107complexIdEEEEZZNS1_9scan_implILNS1_25lookback_scan_determinismE0ELb0ELb0ES3_PKS7_PS7_S7_ZZZN2at6native31launch_logcumsumexp_cuda_kernelERKNSE_10TensorBaseESI_lENKUlvE_clEvENKUlvE1_clEvEUlS7_S7_E_S7_EEDaPvRmT3_T4_T5_mT6_P12ihipStream_tbENKUlT_T0_E_clISt17integral_constantIbLb0EESY_IbLb1EEEEDaSU_SV_EUlSU_E0_NS1_11comp_targetILNS1_3genE5ELNS1_11target_archE942ELNS1_3gpuE9ELNS1_3repE0EEENS1_30default_config_static_selectorELNS0_4arch9wavefront6targetE1EEEvT1_,"axG",@progbits,_ZN7rocprim17ROCPRIM_400000_NS6detail17trampoline_kernelINS0_14default_configENS1_20scan_config_selectorIN3c107complexIdEEEEZZNS1_9scan_implILNS1_25lookback_scan_determinismE0ELb0ELb0ES3_PKS7_PS7_S7_ZZZN2at6native31launch_logcumsumexp_cuda_kernelERKNSE_10TensorBaseESI_lENKUlvE_clEvENKUlvE1_clEvEUlS7_S7_E_S7_EEDaPvRmT3_T4_T5_mT6_P12ihipStream_tbENKUlT_T0_E_clISt17integral_constantIbLb0EESY_IbLb1EEEEDaSU_SV_EUlSU_E0_NS1_11comp_targetILNS1_3genE5ELNS1_11target_archE942ELNS1_3gpuE9ELNS1_3repE0EEENS1_30default_config_static_selectorELNS0_4arch9wavefront6targetE1EEEvT1_,comdat
	.globl	_ZN7rocprim17ROCPRIM_400000_NS6detail17trampoline_kernelINS0_14default_configENS1_20scan_config_selectorIN3c107complexIdEEEEZZNS1_9scan_implILNS1_25lookback_scan_determinismE0ELb0ELb0ES3_PKS7_PS7_S7_ZZZN2at6native31launch_logcumsumexp_cuda_kernelERKNSE_10TensorBaseESI_lENKUlvE_clEvENKUlvE1_clEvEUlS7_S7_E_S7_EEDaPvRmT3_T4_T5_mT6_P12ihipStream_tbENKUlT_T0_E_clISt17integral_constantIbLb0EESY_IbLb1EEEEDaSU_SV_EUlSU_E0_NS1_11comp_targetILNS1_3genE5ELNS1_11target_archE942ELNS1_3gpuE9ELNS1_3repE0EEENS1_30default_config_static_selectorELNS0_4arch9wavefront6targetE1EEEvT1_ ; -- Begin function _ZN7rocprim17ROCPRIM_400000_NS6detail17trampoline_kernelINS0_14default_configENS1_20scan_config_selectorIN3c107complexIdEEEEZZNS1_9scan_implILNS1_25lookback_scan_determinismE0ELb0ELb0ES3_PKS7_PS7_S7_ZZZN2at6native31launch_logcumsumexp_cuda_kernelERKNSE_10TensorBaseESI_lENKUlvE_clEvENKUlvE1_clEvEUlS7_S7_E_S7_EEDaPvRmT3_T4_T5_mT6_P12ihipStream_tbENKUlT_T0_E_clISt17integral_constantIbLb0EESY_IbLb1EEEEDaSU_SV_EUlSU_E0_NS1_11comp_targetILNS1_3genE5ELNS1_11target_archE942ELNS1_3gpuE9ELNS1_3repE0EEENS1_30default_config_static_selectorELNS0_4arch9wavefront6targetE1EEEvT1_
	.p2align	8
	.type	_ZN7rocprim17ROCPRIM_400000_NS6detail17trampoline_kernelINS0_14default_configENS1_20scan_config_selectorIN3c107complexIdEEEEZZNS1_9scan_implILNS1_25lookback_scan_determinismE0ELb0ELb0ES3_PKS7_PS7_S7_ZZZN2at6native31launch_logcumsumexp_cuda_kernelERKNSE_10TensorBaseESI_lENKUlvE_clEvENKUlvE1_clEvEUlS7_S7_E_S7_EEDaPvRmT3_T4_T5_mT6_P12ihipStream_tbENKUlT_T0_E_clISt17integral_constantIbLb0EESY_IbLb1EEEEDaSU_SV_EUlSU_E0_NS1_11comp_targetILNS1_3genE5ELNS1_11target_archE942ELNS1_3gpuE9ELNS1_3repE0EEENS1_30default_config_static_selectorELNS0_4arch9wavefront6targetE1EEEvT1_,@function
_ZN7rocprim17ROCPRIM_400000_NS6detail17trampoline_kernelINS0_14default_configENS1_20scan_config_selectorIN3c107complexIdEEEEZZNS1_9scan_implILNS1_25lookback_scan_determinismE0ELb0ELb0ES3_PKS7_PS7_S7_ZZZN2at6native31launch_logcumsumexp_cuda_kernelERKNSE_10TensorBaseESI_lENKUlvE_clEvENKUlvE1_clEvEUlS7_S7_E_S7_EEDaPvRmT3_T4_T5_mT6_P12ihipStream_tbENKUlT_T0_E_clISt17integral_constantIbLb0EESY_IbLb1EEEEDaSU_SV_EUlSU_E0_NS1_11comp_targetILNS1_3genE5ELNS1_11target_archE942ELNS1_3gpuE9ELNS1_3repE0EEENS1_30default_config_static_selectorELNS0_4arch9wavefront6targetE1EEEvT1_: ; @_ZN7rocprim17ROCPRIM_400000_NS6detail17trampoline_kernelINS0_14default_configENS1_20scan_config_selectorIN3c107complexIdEEEEZZNS1_9scan_implILNS1_25lookback_scan_determinismE0ELb0ELb0ES3_PKS7_PS7_S7_ZZZN2at6native31launch_logcumsumexp_cuda_kernelERKNSE_10TensorBaseESI_lENKUlvE_clEvENKUlvE1_clEvEUlS7_S7_E_S7_EEDaPvRmT3_T4_T5_mT6_P12ihipStream_tbENKUlT_T0_E_clISt17integral_constantIbLb0EESY_IbLb1EEEEDaSU_SV_EUlSU_E0_NS1_11comp_targetILNS1_3genE5ELNS1_11target_archE942ELNS1_3gpuE9ELNS1_3repE0EEENS1_30default_config_static_selectorELNS0_4arch9wavefront6targetE1EEEvT1_
; %bb.0:
	.section	.rodata,"a",@progbits
	.p2align	6, 0x0
	.amdhsa_kernel _ZN7rocprim17ROCPRIM_400000_NS6detail17trampoline_kernelINS0_14default_configENS1_20scan_config_selectorIN3c107complexIdEEEEZZNS1_9scan_implILNS1_25lookback_scan_determinismE0ELb0ELb0ES3_PKS7_PS7_S7_ZZZN2at6native31launch_logcumsumexp_cuda_kernelERKNSE_10TensorBaseESI_lENKUlvE_clEvENKUlvE1_clEvEUlS7_S7_E_S7_EEDaPvRmT3_T4_T5_mT6_P12ihipStream_tbENKUlT_T0_E_clISt17integral_constantIbLb0EESY_IbLb1EEEEDaSU_SV_EUlSU_E0_NS1_11comp_targetILNS1_3genE5ELNS1_11target_archE942ELNS1_3gpuE9ELNS1_3repE0EEENS1_30default_config_static_selectorELNS0_4arch9wavefront6targetE1EEEvT1_
		.amdhsa_group_segment_fixed_size 0
		.amdhsa_private_segment_fixed_size 0
		.amdhsa_kernarg_size 48
		.amdhsa_user_sgpr_count 6
		.amdhsa_user_sgpr_private_segment_buffer 1
		.amdhsa_user_sgpr_dispatch_ptr 0
		.amdhsa_user_sgpr_queue_ptr 0
		.amdhsa_user_sgpr_kernarg_segment_ptr 1
		.amdhsa_user_sgpr_dispatch_id 0
		.amdhsa_user_sgpr_flat_scratch_init 0
		.amdhsa_user_sgpr_private_segment_size 0
		.amdhsa_uses_dynamic_stack 0
		.amdhsa_system_sgpr_private_segment_wavefront_offset 0
		.amdhsa_system_sgpr_workgroup_id_x 1
		.amdhsa_system_sgpr_workgroup_id_y 0
		.amdhsa_system_sgpr_workgroup_id_z 0
		.amdhsa_system_sgpr_workgroup_info 0
		.amdhsa_system_vgpr_workitem_id 0
		.amdhsa_next_free_vgpr 1
		.amdhsa_next_free_sgpr 0
		.amdhsa_reserve_vcc 0
		.amdhsa_reserve_flat_scratch 0
		.amdhsa_float_round_mode_32 0
		.amdhsa_float_round_mode_16_64 0
		.amdhsa_float_denorm_mode_32 3
		.amdhsa_float_denorm_mode_16_64 3
		.amdhsa_dx10_clamp 1
		.amdhsa_ieee_mode 1
		.amdhsa_fp16_overflow 0
		.amdhsa_exception_fp_ieee_invalid_op 0
		.amdhsa_exception_fp_denorm_src 0
		.amdhsa_exception_fp_ieee_div_zero 0
		.amdhsa_exception_fp_ieee_overflow 0
		.amdhsa_exception_fp_ieee_underflow 0
		.amdhsa_exception_fp_ieee_inexact 0
		.amdhsa_exception_int_div_zero 0
	.end_amdhsa_kernel
	.section	.text._ZN7rocprim17ROCPRIM_400000_NS6detail17trampoline_kernelINS0_14default_configENS1_20scan_config_selectorIN3c107complexIdEEEEZZNS1_9scan_implILNS1_25lookback_scan_determinismE0ELb0ELb0ES3_PKS7_PS7_S7_ZZZN2at6native31launch_logcumsumexp_cuda_kernelERKNSE_10TensorBaseESI_lENKUlvE_clEvENKUlvE1_clEvEUlS7_S7_E_S7_EEDaPvRmT3_T4_T5_mT6_P12ihipStream_tbENKUlT_T0_E_clISt17integral_constantIbLb0EESY_IbLb1EEEEDaSU_SV_EUlSU_E0_NS1_11comp_targetILNS1_3genE5ELNS1_11target_archE942ELNS1_3gpuE9ELNS1_3repE0EEENS1_30default_config_static_selectorELNS0_4arch9wavefront6targetE1EEEvT1_,"axG",@progbits,_ZN7rocprim17ROCPRIM_400000_NS6detail17trampoline_kernelINS0_14default_configENS1_20scan_config_selectorIN3c107complexIdEEEEZZNS1_9scan_implILNS1_25lookback_scan_determinismE0ELb0ELb0ES3_PKS7_PS7_S7_ZZZN2at6native31launch_logcumsumexp_cuda_kernelERKNSE_10TensorBaseESI_lENKUlvE_clEvENKUlvE1_clEvEUlS7_S7_E_S7_EEDaPvRmT3_T4_T5_mT6_P12ihipStream_tbENKUlT_T0_E_clISt17integral_constantIbLb0EESY_IbLb1EEEEDaSU_SV_EUlSU_E0_NS1_11comp_targetILNS1_3genE5ELNS1_11target_archE942ELNS1_3gpuE9ELNS1_3repE0EEENS1_30default_config_static_selectorELNS0_4arch9wavefront6targetE1EEEvT1_,comdat
.Lfunc_end251:
	.size	_ZN7rocprim17ROCPRIM_400000_NS6detail17trampoline_kernelINS0_14default_configENS1_20scan_config_selectorIN3c107complexIdEEEEZZNS1_9scan_implILNS1_25lookback_scan_determinismE0ELb0ELb0ES3_PKS7_PS7_S7_ZZZN2at6native31launch_logcumsumexp_cuda_kernelERKNSE_10TensorBaseESI_lENKUlvE_clEvENKUlvE1_clEvEUlS7_S7_E_S7_EEDaPvRmT3_T4_T5_mT6_P12ihipStream_tbENKUlT_T0_E_clISt17integral_constantIbLb0EESY_IbLb1EEEEDaSU_SV_EUlSU_E0_NS1_11comp_targetILNS1_3genE5ELNS1_11target_archE942ELNS1_3gpuE9ELNS1_3repE0EEENS1_30default_config_static_selectorELNS0_4arch9wavefront6targetE1EEEvT1_, .Lfunc_end251-_ZN7rocprim17ROCPRIM_400000_NS6detail17trampoline_kernelINS0_14default_configENS1_20scan_config_selectorIN3c107complexIdEEEEZZNS1_9scan_implILNS1_25lookback_scan_determinismE0ELb0ELb0ES3_PKS7_PS7_S7_ZZZN2at6native31launch_logcumsumexp_cuda_kernelERKNSE_10TensorBaseESI_lENKUlvE_clEvENKUlvE1_clEvEUlS7_S7_E_S7_EEDaPvRmT3_T4_T5_mT6_P12ihipStream_tbENKUlT_T0_E_clISt17integral_constantIbLb0EESY_IbLb1EEEEDaSU_SV_EUlSU_E0_NS1_11comp_targetILNS1_3genE5ELNS1_11target_archE942ELNS1_3gpuE9ELNS1_3repE0EEENS1_30default_config_static_selectorELNS0_4arch9wavefront6targetE1EEEvT1_
                                        ; -- End function
	.set _ZN7rocprim17ROCPRIM_400000_NS6detail17trampoline_kernelINS0_14default_configENS1_20scan_config_selectorIN3c107complexIdEEEEZZNS1_9scan_implILNS1_25lookback_scan_determinismE0ELb0ELb0ES3_PKS7_PS7_S7_ZZZN2at6native31launch_logcumsumexp_cuda_kernelERKNSE_10TensorBaseESI_lENKUlvE_clEvENKUlvE1_clEvEUlS7_S7_E_S7_EEDaPvRmT3_T4_T5_mT6_P12ihipStream_tbENKUlT_T0_E_clISt17integral_constantIbLb0EESY_IbLb1EEEEDaSU_SV_EUlSU_E0_NS1_11comp_targetILNS1_3genE5ELNS1_11target_archE942ELNS1_3gpuE9ELNS1_3repE0EEENS1_30default_config_static_selectorELNS0_4arch9wavefront6targetE1EEEvT1_.num_vgpr, 0
	.set _ZN7rocprim17ROCPRIM_400000_NS6detail17trampoline_kernelINS0_14default_configENS1_20scan_config_selectorIN3c107complexIdEEEEZZNS1_9scan_implILNS1_25lookback_scan_determinismE0ELb0ELb0ES3_PKS7_PS7_S7_ZZZN2at6native31launch_logcumsumexp_cuda_kernelERKNSE_10TensorBaseESI_lENKUlvE_clEvENKUlvE1_clEvEUlS7_S7_E_S7_EEDaPvRmT3_T4_T5_mT6_P12ihipStream_tbENKUlT_T0_E_clISt17integral_constantIbLb0EESY_IbLb1EEEEDaSU_SV_EUlSU_E0_NS1_11comp_targetILNS1_3genE5ELNS1_11target_archE942ELNS1_3gpuE9ELNS1_3repE0EEENS1_30default_config_static_selectorELNS0_4arch9wavefront6targetE1EEEvT1_.num_agpr, 0
	.set _ZN7rocprim17ROCPRIM_400000_NS6detail17trampoline_kernelINS0_14default_configENS1_20scan_config_selectorIN3c107complexIdEEEEZZNS1_9scan_implILNS1_25lookback_scan_determinismE0ELb0ELb0ES3_PKS7_PS7_S7_ZZZN2at6native31launch_logcumsumexp_cuda_kernelERKNSE_10TensorBaseESI_lENKUlvE_clEvENKUlvE1_clEvEUlS7_S7_E_S7_EEDaPvRmT3_T4_T5_mT6_P12ihipStream_tbENKUlT_T0_E_clISt17integral_constantIbLb0EESY_IbLb1EEEEDaSU_SV_EUlSU_E0_NS1_11comp_targetILNS1_3genE5ELNS1_11target_archE942ELNS1_3gpuE9ELNS1_3repE0EEENS1_30default_config_static_selectorELNS0_4arch9wavefront6targetE1EEEvT1_.numbered_sgpr, 0
	.set _ZN7rocprim17ROCPRIM_400000_NS6detail17trampoline_kernelINS0_14default_configENS1_20scan_config_selectorIN3c107complexIdEEEEZZNS1_9scan_implILNS1_25lookback_scan_determinismE0ELb0ELb0ES3_PKS7_PS7_S7_ZZZN2at6native31launch_logcumsumexp_cuda_kernelERKNSE_10TensorBaseESI_lENKUlvE_clEvENKUlvE1_clEvEUlS7_S7_E_S7_EEDaPvRmT3_T4_T5_mT6_P12ihipStream_tbENKUlT_T0_E_clISt17integral_constantIbLb0EESY_IbLb1EEEEDaSU_SV_EUlSU_E0_NS1_11comp_targetILNS1_3genE5ELNS1_11target_archE942ELNS1_3gpuE9ELNS1_3repE0EEENS1_30default_config_static_selectorELNS0_4arch9wavefront6targetE1EEEvT1_.num_named_barrier, 0
	.set _ZN7rocprim17ROCPRIM_400000_NS6detail17trampoline_kernelINS0_14default_configENS1_20scan_config_selectorIN3c107complexIdEEEEZZNS1_9scan_implILNS1_25lookback_scan_determinismE0ELb0ELb0ES3_PKS7_PS7_S7_ZZZN2at6native31launch_logcumsumexp_cuda_kernelERKNSE_10TensorBaseESI_lENKUlvE_clEvENKUlvE1_clEvEUlS7_S7_E_S7_EEDaPvRmT3_T4_T5_mT6_P12ihipStream_tbENKUlT_T0_E_clISt17integral_constantIbLb0EESY_IbLb1EEEEDaSU_SV_EUlSU_E0_NS1_11comp_targetILNS1_3genE5ELNS1_11target_archE942ELNS1_3gpuE9ELNS1_3repE0EEENS1_30default_config_static_selectorELNS0_4arch9wavefront6targetE1EEEvT1_.private_seg_size, 0
	.set _ZN7rocprim17ROCPRIM_400000_NS6detail17trampoline_kernelINS0_14default_configENS1_20scan_config_selectorIN3c107complexIdEEEEZZNS1_9scan_implILNS1_25lookback_scan_determinismE0ELb0ELb0ES3_PKS7_PS7_S7_ZZZN2at6native31launch_logcumsumexp_cuda_kernelERKNSE_10TensorBaseESI_lENKUlvE_clEvENKUlvE1_clEvEUlS7_S7_E_S7_EEDaPvRmT3_T4_T5_mT6_P12ihipStream_tbENKUlT_T0_E_clISt17integral_constantIbLb0EESY_IbLb1EEEEDaSU_SV_EUlSU_E0_NS1_11comp_targetILNS1_3genE5ELNS1_11target_archE942ELNS1_3gpuE9ELNS1_3repE0EEENS1_30default_config_static_selectorELNS0_4arch9wavefront6targetE1EEEvT1_.uses_vcc, 0
	.set _ZN7rocprim17ROCPRIM_400000_NS6detail17trampoline_kernelINS0_14default_configENS1_20scan_config_selectorIN3c107complexIdEEEEZZNS1_9scan_implILNS1_25lookback_scan_determinismE0ELb0ELb0ES3_PKS7_PS7_S7_ZZZN2at6native31launch_logcumsumexp_cuda_kernelERKNSE_10TensorBaseESI_lENKUlvE_clEvENKUlvE1_clEvEUlS7_S7_E_S7_EEDaPvRmT3_T4_T5_mT6_P12ihipStream_tbENKUlT_T0_E_clISt17integral_constantIbLb0EESY_IbLb1EEEEDaSU_SV_EUlSU_E0_NS1_11comp_targetILNS1_3genE5ELNS1_11target_archE942ELNS1_3gpuE9ELNS1_3repE0EEENS1_30default_config_static_selectorELNS0_4arch9wavefront6targetE1EEEvT1_.uses_flat_scratch, 0
	.set _ZN7rocprim17ROCPRIM_400000_NS6detail17trampoline_kernelINS0_14default_configENS1_20scan_config_selectorIN3c107complexIdEEEEZZNS1_9scan_implILNS1_25lookback_scan_determinismE0ELb0ELb0ES3_PKS7_PS7_S7_ZZZN2at6native31launch_logcumsumexp_cuda_kernelERKNSE_10TensorBaseESI_lENKUlvE_clEvENKUlvE1_clEvEUlS7_S7_E_S7_EEDaPvRmT3_T4_T5_mT6_P12ihipStream_tbENKUlT_T0_E_clISt17integral_constantIbLb0EESY_IbLb1EEEEDaSU_SV_EUlSU_E0_NS1_11comp_targetILNS1_3genE5ELNS1_11target_archE942ELNS1_3gpuE9ELNS1_3repE0EEENS1_30default_config_static_selectorELNS0_4arch9wavefront6targetE1EEEvT1_.has_dyn_sized_stack, 0
	.set _ZN7rocprim17ROCPRIM_400000_NS6detail17trampoline_kernelINS0_14default_configENS1_20scan_config_selectorIN3c107complexIdEEEEZZNS1_9scan_implILNS1_25lookback_scan_determinismE0ELb0ELb0ES3_PKS7_PS7_S7_ZZZN2at6native31launch_logcumsumexp_cuda_kernelERKNSE_10TensorBaseESI_lENKUlvE_clEvENKUlvE1_clEvEUlS7_S7_E_S7_EEDaPvRmT3_T4_T5_mT6_P12ihipStream_tbENKUlT_T0_E_clISt17integral_constantIbLb0EESY_IbLb1EEEEDaSU_SV_EUlSU_E0_NS1_11comp_targetILNS1_3genE5ELNS1_11target_archE942ELNS1_3gpuE9ELNS1_3repE0EEENS1_30default_config_static_selectorELNS0_4arch9wavefront6targetE1EEEvT1_.has_recursion, 0
	.set _ZN7rocprim17ROCPRIM_400000_NS6detail17trampoline_kernelINS0_14default_configENS1_20scan_config_selectorIN3c107complexIdEEEEZZNS1_9scan_implILNS1_25lookback_scan_determinismE0ELb0ELb0ES3_PKS7_PS7_S7_ZZZN2at6native31launch_logcumsumexp_cuda_kernelERKNSE_10TensorBaseESI_lENKUlvE_clEvENKUlvE1_clEvEUlS7_S7_E_S7_EEDaPvRmT3_T4_T5_mT6_P12ihipStream_tbENKUlT_T0_E_clISt17integral_constantIbLb0EESY_IbLb1EEEEDaSU_SV_EUlSU_E0_NS1_11comp_targetILNS1_3genE5ELNS1_11target_archE942ELNS1_3gpuE9ELNS1_3repE0EEENS1_30default_config_static_selectorELNS0_4arch9wavefront6targetE1EEEvT1_.has_indirect_call, 0
	.section	.AMDGPU.csdata,"",@progbits
; Kernel info:
; codeLenInByte = 0
; TotalNumSgprs: 4
; NumVgprs: 0
; ScratchSize: 0
; MemoryBound: 0
; FloatMode: 240
; IeeeMode: 1
; LDSByteSize: 0 bytes/workgroup (compile time only)
; SGPRBlocks: 0
; VGPRBlocks: 0
; NumSGPRsForWavesPerEU: 4
; NumVGPRsForWavesPerEU: 1
; Occupancy: 10
; WaveLimiterHint : 0
; COMPUTE_PGM_RSRC2:SCRATCH_EN: 0
; COMPUTE_PGM_RSRC2:USER_SGPR: 6
; COMPUTE_PGM_RSRC2:TRAP_HANDLER: 0
; COMPUTE_PGM_RSRC2:TGID_X_EN: 1
; COMPUTE_PGM_RSRC2:TGID_Y_EN: 0
; COMPUTE_PGM_RSRC2:TGID_Z_EN: 0
; COMPUTE_PGM_RSRC2:TIDIG_COMP_CNT: 0
	.section	.text._ZN7rocprim17ROCPRIM_400000_NS6detail17trampoline_kernelINS0_14default_configENS1_20scan_config_selectorIN3c107complexIdEEEEZZNS1_9scan_implILNS1_25lookback_scan_determinismE0ELb0ELb0ES3_PKS7_PS7_S7_ZZZN2at6native31launch_logcumsumexp_cuda_kernelERKNSE_10TensorBaseESI_lENKUlvE_clEvENKUlvE1_clEvEUlS7_S7_E_S7_EEDaPvRmT3_T4_T5_mT6_P12ihipStream_tbENKUlT_T0_E_clISt17integral_constantIbLb0EESY_IbLb1EEEEDaSU_SV_EUlSU_E0_NS1_11comp_targetILNS1_3genE4ELNS1_11target_archE910ELNS1_3gpuE8ELNS1_3repE0EEENS1_30default_config_static_selectorELNS0_4arch9wavefront6targetE1EEEvT1_,"axG",@progbits,_ZN7rocprim17ROCPRIM_400000_NS6detail17trampoline_kernelINS0_14default_configENS1_20scan_config_selectorIN3c107complexIdEEEEZZNS1_9scan_implILNS1_25lookback_scan_determinismE0ELb0ELb0ES3_PKS7_PS7_S7_ZZZN2at6native31launch_logcumsumexp_cuda_kernelERKNSE_10TensorBaseESI_lENKUlvE_clEvENKUlvE1_clEvEUlS7_S7_E_S7_EEDaPvRmT3_T4_T5_mT6_P12ihipStream_tbENKUlT_T0_E_clISt17integral_constantIbLb0EESY_IbLb1EEEEDaSU_SV_EUlSU_E0_NS1_11comp_targetILNS1_3genE4ELNS1_11target_archE910ELNS1_3gpuE8ELNS1_3repE0EEENS1_30default_config_static_selectorELNS0_4arch9wavefront6targetE1EEEvT1_,comdat
	.globl	_ZN7rocprim17ROCPRIM_400000_NS6detail17trampoline_kernelINS0_14default_configENS1_20scan_config_selectorIN3c107complexIdEEEEZZNS1_9scan_implILNS1_25lookback_scan_determinismE0ELb0ELb0ES3_PKS7_PS7_S7_ZZZN2at6native31launch_logcumsumexp_cuda_kernelERKNSE_10TensorBaseESI_lENKUlvE_clEvENKUlvE1_clEvEUlS7_S7_E_S7_EEDaPvRmT3_T4_T5_mT6_P12ihipStream_tbENKUlT_T0_E_clISt17integral_constantIbLb0EESY_IbLb1EEEEDaSU_SV_EUlSU_E0_NS1_11comp_targetILNS1_3genE4ELNS1_11target_archE910ELNS1_3gpuE8ELNS1_3repE0EEENS1_30default_config_static_selectorELNS0_4arch9wavefront6targetE1EEEvT1_ ; -- Begin function _ZN7rocprim17ROCPRIM_400000_NS6detail17trampoline_kernelINS0_14default_configENS1_20scan_config_selectorIN3c107complexIdEEEEZZNS1_9scan_implILNS1_25lookback_scan_determinismE0ELb0ELb0ES3_PKS7_PS7_S7_ZZZN2at6native31launch_logcumsumexp_cuda_kernelERKNSE_10TensorBaseESI_lENKUlvE_clEvENKUlvE1_clEvEUlS7_S7_E_S7_EEDaPvRmT3_T4_T5_mT6_P12ihipStream_tbENKUlT_T0_E_clISt17integral_constantIbLb0EESY_IbLb1EEEEDaSU_SV_EUlSU_E0_NS1_11comp_targetILNS1_3genE4ELNS1_11target_archE910ELNS1_3gpuE8ELNS1_3repE0EEENS1_30default_config_static_selectorELNS0_4arch9wavefront6targetE1EEEvT1_
	.p2align	8
	.type	_ZN7rocprim17ROCPRIM_400000_NS6detail17trampoline_kernelINS0_14default_configENS1_20scan_config_selectorIN3c107complexIdEEEEZZNS1_9scan_implILNS1_25lookback_scan_determinismE0ELb0ELb0ES3_PKS7_PS7_S7_ZZZN2at6native31launch_logcumsumexp_cuda_kernelERKNSE_10TensorBaseESI_lENKUlvE_clEvENKUlvE1_clEvEUlS7_S7_E_S7_EEDaPvRmT3_T4_T5_mT6_P12ihipStream_tbENKUlT_T0_E_clISt17integral_constantIbLb0EESY_IbLb1EEEEDaSU_SV_EUlSU_E0_NS1_11comp_targetILNS1_3genE4ELNS1_11target_archE910ELNS1_3gpuE8ELNS1_3repE0EEENS1_30default_config_static_selectorELNS0_4arch9wavefront6targetE1EEEvT1_,@function
_ZN7rocprim17ROCPRIM_400000_NS6detail17trampoline_kernelINS0_14default_configENS1_20scan_config_selectorIN3c107complexIdEEEEZZNS1_9scan_implILNS1_25lookback_scan_determinismE0ELb0ELb0ES3_PKS7_PS7_S7_ZZZN2at6native31launch_logcumsumexp_cuda_kernelERKNSE_10TensorBaseESI_lENKUlvE_clEvENKUlvE1_clEvEUlS7_S7_E_S7_EEDaPvRmT3_T4_T5_mT6_P12ihipStream_tbENKUlT_T0_E_clISt17integral_constantIbLb0EESY_IbLb1EEEEDaSU_SV_EUlSU_E0_NS1_11comp_targetILNS1_3genE4ELNS1_11target_archE910ELNS1_3gpuE8ELNS1_3repE0EEENS1_30default_config_static_selectorELNS0_4arch9wavefront6targetE1EEEvT1_: ; @_ZN7rocprim17ROCPRIM_400000_NS6detail17trampoline_kernelINS0_14default_configENS1_20scan_config_selectorIN3c107complexIdEEEEZZNS1_9scan_implILNS1_25lookback_scan_determinismE0ELb0ELb0ES3_PKS7_PS7_S7_ZZZN2at6native31launch_logcumsumexp_cuda_kernelERKNSE_10TensorBaseESI_lENKUlvE_clEvENKUlvE1_clEvEUlS7_S7_E_S7_EEDaPvRmT3_T4_T5_mT6_P12ihipStream_tbENKUlT_T0_E_clISt17integral_constantIbLb0EESY_IbLb1EEEEDaSU_SV_EUlSU_E0_NS1_11comp_targetILNS1_3genE4ELNS1_11target_archE910ELNS1_3gpuE8ELNS1_3repE0EEENS1_30default_config_static_selectorELNS0_4arch9wavefront6targetE1EEEvT1_
; %bb.0:
	.section	.rodata,"a",@progbits
	.p2align	6, 0x0
	.amdhsa_kernel _ZN7rocprim17ROCPRIM_400000_NS6detail17trampoline_kernelINS0_14default_configENS1_20scan_config_selectorIN3c107complexIdEEEEZZNS1_9scan_implILNS1_25lookback_scan_determinismE0ELb0ELb0ES3_PKS7_PS7_S7_ZZZN2at6native31launch_logcumsumexp_cuda_kernelERKNSE_10TensorBaseESI_lENKUlvE_clEvENKUlvE1_clEvEUlS7_S7_E_S7_EEDaPvRmT3_T4_T5_mT6_P12ihipStream_tbENKUlT_T0_E_clISt17integral_constantIbLb0EESY_IbLb1EEEEDaSU_SV_EUlSU_E0_NS1_11comp_targetILNS1_3genE4ELNS1_11target_archE910ELNS1_3gpuE8ELNS1_3repE0EEENS1_30default_config_static_selectorELNS0_4arch9wavefront6targetE1EEEvT1_
		.amdhsa_group_segment_fixed_size 0
		.amdhsa_private_segment_fixed_size 0
		.amdhsa_kernarg_size 48
		.amdhsa_user_sgpr_count 6
		.amdhsa_user_sgpr_private_segment_buffer 1
		.amdhsa_user_sgpr_dispatch_ptr 0
		.amdhsa_user_sgpr_queue_ptr 0
		.amdhsa_user_sgpr_kernarg_segment_ptr 1
		.amdhsa_user_sgpr_dispatch_id 0
		.amdhsa_user_sgpr_flat_scratch_init 0
		.amdhsa_user_sgpr_private_segment_size 0
		.amdhsa_uses_dynamic_stack 0
		.amdhsa_system_sgpr_private_segment_wavefront_offset 0
		.amdhsa_system_sgpr_workgroup_id_x 1
		.amdhsa_system_sgpr_workgroup_id_y 0
		.amdhsa_system_sgpr_workgroup_id_z 0
		.amdhsa_system_sgpr_workgroup_info 0
		.amdhsa_system_vgpr_workitem_id 0
		.amdhsa_next_free_vgpr 1
		.amdhsa_next_free_sgpr 0
		.amdhsa_reserve_vcc 0
		.amdhsa_reserve_flat_scratch 0
		.amdhsa_float_round_mode_32 0
		.amdhsa_float_round_mode_16_64 0
		.amdhsa_float_denorm_mode_32 3
		.amdhsa_float_denorm_mode_16_64 3
		.amdhsa_dx10_clamp 1
		.amdhsa_ieee_mode 1
		.amdhsa_fp16_overflow 0
		.amdhsa_exception_fp_ieee_invalid_op 0
		.amdhsa_exception_fp_denorm_src 0
		.amdhsa_exception_fp_ieee_div_zero 0
		.amdhsa_exception_fp_ieee_overflow 0
		.amdhsa_exception_fp_ieee_underflow 0
		.amdhsa_exception_fp_ieee_inexact 0
		.amdhsa_exception_int_div_zero 0
	.end_amdhsa_kernel
	.section	.text._ZN7rocprim17ROCPRIM_400000_NS6detail17trampoline_kernelINS0_14default_configENS1_20scan_config_selectorIN3c107complexIdEEEEZZNS1_9scan_implILNS1_25lookback_scan_determinismE0ELb0ELb0ES3_PKS7_PS7_S7_ZZZN2at6native31launch_logcumsumexp_cuda_kernelERKNSE_10TensorBaseESI_lENKUlvE_clEvENKUlvE1_clEvEUlS7_S7_E_S7_EEDaPvRmT3_T4_T5_mT6_P12ihipStream_tbENKUlT_T0_E_clISt17integral_constantIbLb0EESY_IbLb1EEEEDaSU_SV_EUlSU_E0_NS1_11comp_targetILNS1_3genE4ELNS1_11target_archE910ELNS1_3gpuE8ELNS1_3repE0EEENS1_30default_config_static_selectorELNS0_4arch9wavefront6targetE1EEEvT1_,"axG",@progbits,_ZN7rocprim17ROCPRIM_400000_NS6detail17trampoline_kernelINS0_14default_configENS1_20scan_config_selectorIN3c107complexIdEEEEZZNS1_9scan_implILNS1_25lookback_scan_determinismE0ELb0ELb0ES3_PKS7_PS7_S7_ZZZN2at6native31launch_logcumsumexp_cuda_kernelERKNSE_10TensorBaseESI_lENKUlvE_clEvENKUlvE1_clEvEUlS7_S7_E_S7_EEDaPvRmT3_T4_T5_mT6_P12ihipStream_tbENKUlT_T0_E_clISt17integral_constantIbLb0EESY_IbLb1EEEEDaSU_SV_EUlSU_E0_NS1_11comp_targetILNS1_3genE4ELNS1_11target_archE910ELNS1_3gpuE8ELNS1_3repE0EEENS1_30default_config_static_selectorELNS0_4arch9wavefront6targetE1EEEvT1_,comdat
.Lfunc_end252:
	.size	_ZN7rocprim17ROCPRIM_400000_NS6detail17trampoline_kernelINS0_14default_configENS1_20scan_config_selectorIN3c107complexIdEEEEZZNS1_9scan_implILNS1_25lookback_scan_determinismE0ELb0ELb0ES3_PKS7_PS7_S7_ZZZN2at6native31launch_logcumsumexp_cuda_kernelERKNSE_10TensorBaseESI_lENKUlvE_clEvENKUlvE1_clEvEUlS7_S7_E_S7_EEDaPvRmT3_T4_T5_mT6_P12ihipStream_tbENKUlT_T0_E_clISt17integral_constantIbLb0EESY_IbLb1EEEEDaSU_SV_EUlSU_E0_NS1_11comp_targetILNS1_3genE4ELNS1_11target_archE910ELNS1_3gpuE8ELNS1_3repE0EEENS1_30default_config_static_selectorELNS0_4arch9wavefront6targetE1EEEvT1_, .Lfunc_end252-_ZN7rocprim17ROCPRIM_400000_NS6detail17trampoline_kernelINS0_14default_configENS1_20scan_config_selectorIN3c107complexIdEEEEZZNS1_9scan_implILNS1_25lookback_scan_determinismE0ELb0ELb0ES3_PKS7_PS7_S7_ZZZN2at6native31launch_logcumsumexp_cuda_kernelERKNSE_10TensorBaseESI_lENKUlvE_clEvENKUlvE1_clEvEUlS7_S7_E_S7_EEDaPvRmT3_T4_T5_mT6_P12ihipStream_tbENKUlT_T0_E_clISt17integral_constantIbLb0EESY_IbLb1EEEEDaSU_SV_EUlSU_E0_NS1_11comp_targetILNS1_3genE4ELNS1_11target_archE910ELNS1_3gpuE8ELNS1_3repE0EEENS1_30default_config_static_selectorELNS0_4arch9wavefront6targetE1EEEvT1_
                                        ; -- End function
	.set _ZN7rocprim17ROCPRIM_400000_NS6detail17trampoline_kernelINS0_14default_configENS1_20scan_config_selectorIN3c107complexIdEEEEZZNS1_9scan_implILNS1_25lookback_scan_determinismE0ELb0ELb0ES3_PKS7_PS7_S7_ZZZN2at6native31launch_logcumsumexp_cuda_kernelERKNSE_10TensorBaseESI_lENKUlvE_clEvENKUlvE1_clEvEUlS7_S7_E_S7_EEDaPvRmT3_T4_T5_mT6_P12ihipStream_tbENKUlT_T0_E_clISt17integral_constantIbLb0EESY_IbLb1EEEEDaSU_SV_EUlSU_E0_NS1_11comp_targetILNS1_3genE4ELNS1_11target_archE910ELNS1_3gpuE8ELNS1_3repE0EEENS1_30default_config_static_selectorELNS0_4arch9wavefront6targetE1EEEvT1_.num_vgpr, 0
	.set _ZN7rocprim17ROCPRIM_400000_NS6detail17trampoline_kernelINS0_14default_configENS1_20scan_config_selectorIN3c107complexIdEEEEZZNS1_9scan_implILNS1_25lookback_scan_determinismE0ELb0ELb0ES3_PKS7_PS7_S7_ZZZN2at6native31launch_logcumsumexp_cuda_kernelERKNSE_10TensorBaseESI_lENKUlvE_clEvENKUlvE1_clEvEUlS7_S7_E_S7_EEDaPvRmT3_T4_T5_mT6_P12ihipStream_tbENKUlT_T0_E_clISt17integral_constantIbLb0EESY_IbLb1EEEEDaSU_SV_EUlSU_E0_NS1_11comp_targetILNS1_3genE4ELNS1_11target_archE910ELNS1_3gpuE8ELNS1_3repE0EEENS1_30default_config_static_selectorELNS0_4arch9wavefront6targetE1EEEvT1_.num_agpr, 0
	.set _ZN7rocprim17ROCPRIM_400000_NS6detail17trampoline_kernelINS0_14default_configENS1_20scan_config_selectorIN3c107complexIdEEEEZZNS1_9scan_implILNS1_25lookback_scan_determinismE0ELb0ELb0ES3_PKS7_PS7_S7_ZZZN2at6native31launch_logcumsumexp_cuda_kernelERKNSE_10TensorBaseESI_lENKUlvE_clEvENKUlvE1_clEvEUlS7_S7_E_S7_EEDaPvRmT3_T4_T5_mT6_P12ihipStream_tbENKUlT_T0_E_clISt17integral_constantIbLb0EESY_IbLb1EEEEDaSU_SV_EUlSU_E0_NS1_11comp_targetILNS1_3genE4ELNS1_11target_archE910ELNS1_3gpuE8ELNS1_3repE0EEENS1_30default_config_static_selectorELNS0_4arch9wavefront6targetE1EEEvT1_.numbered_sgpr, 0
	.set _ZN7rocprim17ROCPRIM_400000_NS6detail17trampoline_kernelINS0_14default_configENS1_20scan_config_selectorIN3c107complexIdEEEEZZNS1_9scan_implILNS1_25lookback_scan_determinismE0ELb0ELb0ES3_PKS7_PS7_S7_ZZZN2at6native31launch_logcumsumexp_cuda_kernelERKNSE_10TensorBaseESI_lENKUlvE_clEvENKUlvE1_clEvEUlS7_S7_E_S7_EEDaPvRmT3_T4_T5_mT6_P12ihipStream_tbENKUlT_T0_E_clISt17integral_constantIbLb0EESY_IbLb1EEEEDaSU_SV_EUlSU_E0_NS1_11comp_targetILNS1_3genE4ELNS1_11target_archE910ELNS1_3gpuE8ELNS1_3repE0EEENS1_30default_config_static_selectorELNS0_4arch9wavefront6targetE1EEEvT1_.num_named_barrier, 0
	.set _ZN7rocprim17ROCPRIM_400000_NS6detail17trampoline_kernelINS0_14default_configENS1_20scan_config_selectorIN3c107complexIdEEEEZZNS1_9scan_implILNS1_25lookback_scan_determinismE0ELb0ELb0ES3_PKS7_PS7_S7_ZZZN2at6native31launch_logcumsumexp_cuda_kernelERKNSE_10TensorBaseESI_lENKUlvE_clEvENKUlvE1_clEvEUlS7_S7_E_S7_EEDaPvRmT3_T4_T5_mT6_P12ihipStream_tbENKUlT_T0_E_clISt17integral_constantIbLb0EESY_IbLb1EEEEDaSU_SV_EUlSU_E0_NS1_11comp_targetILNS1_3genE4ELNS1_11target_archE910ELNS1_3gpuE8ELNS1_3repE0EEENS1_30default_config_static_selectorELNS0_4arch9wavefront6targetE1EEEvT1_.private_seg_size, 0
	.set _ZN7rocprim17ROCPRIM_400000_NS6detail17trampoline_kernelINS0_14default_configENS1_20scan_config_selectorIN3c107complexIdEEEEZZNS1_9scan_implILNS1_25lookback_scan_determinismE0ELb0ELb0ES3_PKS7_PS7_S7_ZZZN2at6native31launch_logcumsumexp_cuda_kernelERKNSE_10TensorBaseESI_lENKUlvE_clEvENKUlvE1_clEvEUlS7_S7_E_S7_EEDaPvRmT3_T4_T5_mT6_P12ihipStream_tbENKUlT_T0_E_clISt17integral_constantIbLb0EESY_IbLb1EEEEDaSU_SV_EUlSU_E0_NS1_11comp_targetILNS1_3genE4ELNS1_11target_archE910ELNS1_3gpuE8ELNS1_3repE0EEENS1_30default_config_static_selectorELNS0_4arch9wavefront6targetE1EEEvT1_.uses_vcc, 0
	.set _ZN7rocprim17ROCPRIM_400000_NS6detail17trampoline_kernelINS0_14default_configENS1_20scan_config_selectorIN3c107complexIdEEEEZZNS1_9scan_implILNS1_25lookback_scan_determinismE0ELb0ELb0ES3_PKS7_PS7_S7_ZZZN2at6native31launch_logcumsumexp_cuda_kernelERKNSE_10TensorBaseESI_lENKUlvE_clEvENKUlvE1_clEvEUlS7_S7_E_S7_EEDaPvRmT3_T4_T5_mT6_P12ihipStream_tbENKUlT_T0_E_clISt17integral_constantIbLb0EESY_IbLb1EEEEDaSU_SV_EUlSU_E0_NS1_11comp_targetILNS1_3genE4ELNS1_11target_archE910ELNS1_3gpuE8ELNS1_3repE0EEENS1_30default_config_static_selectorELNS0_4arch9wavefront6targetE1EEEvT1_.uses_flat_scratch, 0
	.set _ZN7rocprim17ROCPRIM_400000_NS6detail17trampoline_kernelINS0_14default_configENS1_20scan_config_selectorIN3c107complexIdEEEEZZNS1_9scan_implILNS1_25lookback_scan_determinismE0ELb0ELb0ES3_PKS7_PS7_S7_ZZZN2at6native31launch_logcumsumexp_cuda_kernelERKNSE_10TensorBaseESI_lENKUlvE_clEvENKUlvE1_clEvEUlS7_S7_E_S7_EEDaPvRmT3_T4_T5_mT6_P12ihipStream_tbENKUlT_T0_E_clISt17integral_constantIbLb0EESY_IbLb1EEEEDaSU_SV_EUlSU_E0_NS1_11comp_targetILNS1_3genE4ELNS1_11target_archE910ELNS1_3gpuE8ELNS1_3repE0EEENS1_30default_config_static_selectorELNS0_4arch9wavefront6targetE1EEEvT1_.has_dyn_sized_stack, 0
	.set _ZN7rocprim17ROCPRIM_400000_NS6detail17trampoline_kernelINS0_14default_configENS1_20scan_config_selectorIN3c107complexIdEEEEZZNS1_9scan_implILNS1_25lookback_scan_determinismE0ELb0ELb0ES3_PKS7_PS7_S7_ZZZN2at6native31launch_logcumsumexp_cuda_kernelERKNSE_10TensorBaseESI_lENKUlvE_clEvENKUlvE1_clEvEUlS7_S7_E_S7_EEDaPvRmT3_T4_T5_mT6_P12ihipStream_tbENKUlT_T0_E_clISt17integral_constantIbLb0EESY_IbLb1EEEEDaSU_SV_EUlSU_E0_NS1_11comp_targetILNS1_3genE4ELNS1_11target_archE910ELNS1_3gpuE8ELNS1_3repE0EEENS1_30default_config_static_selectorELNS0_4arch9wavefront6targetE1EEEvT1_.has_recursion, 0
	.set _ZN7rocprim17ROCPRIM_400000_NS6detail17trampoline_kernelINS0_14default_configENS1_20scan_config_selectorIN3c107complexIdEEEEZZNS1_9scan_implILNS1_25lookback_scan_determinismE0ELb0ELb0ES3_PKS7_PS7_S7_ZZZN2at6native31launch_logcumsumexp_cuda_kernelERKNSE_10TensorBaseESI_lENKUlvE_clEvENKUlvE1_clEvEUlS7_S7_E_S7_EEDaPvRmT3_T4_T5_mT6_P12ihipStream_tbENKUlT_T0_E_clISt17integral_constantIbLb0EESY_IbLb1EEEEDaSU_SV_EUlSU_E0_NS1_11comp_targetILNS1_3genE4ELNS1_11target_archE910ELNS1_3gpuE8ELNS1_3repE0EEENS1_30default_config_static_selectorELNS0_4arch9wavefront6targetE1EEEvT1_.has_indirect_call, 0
	.section	.AMDGPU.csdata,"",@progbits
; Kernel info:
; codeLenInByte = 0
; TotalNumSgprs: 4
; NumVgprs: 0
; ScratchSize: 0
; MemoryBound: 0
; FloatMode: 240
; IeeeMode: 1
; LDSByteSize: 0 bytes/workgroup (compile time only)
; SGPRBlocks: 0
; VGPRBlocks: 0
; NumSGPRsForWavesPerEU: 4
; NumVGPRsForWavesPerEU: 1
; Occupancy: 10
; WaveLimiterHint : 0
; COMPUTE_PGM_RSRC2:SCRATCH_EN: 0
; COMPUTE_PGM_RSRC2:USER_SGPR: 6
; COMPUTE_PGM_RSRC2:TRAP_HANDLER: 0
; COMPUTE_PGM_RSRC2:TGID_X_EN: 1
; COMPUTE_PGM_RSRC2:TGID_Y_EN: 0
; COMPUTE_PGM_RSRC2:TGID_Z_EN: 0
; COMPUTE_PGM_RSRC2:TIDIG_COMP_CNT: 0
	.section	.text._ZN7rocprim17ROCPRIM_400000_NS6detail17trampoline_kernelINS0_14default_configENS1_20scan_config_selectorIN3c107complexIdEEEEZZNS1_9scan_implILNS1_25lookback_scan_determinismE0ELb0ELb0ES3_PKS7_PS7_S7_ZZZN2at6native31launch_logcumsumexp_cuda_kernelERKNSE_10TensorBaseESI_lENKUlvE_clEvENKUlvE1_clEvEUlS7_S7_E_S7_EEDaPvRmT3_T4_T5_mT6_P12ihipStream_tbENKUlT_T0_E_clISt17integral_constantIbLb0EESY_IbLb1EEEEDaSU_SV_EUlSU_E0_NS1_11comp_targetILNS1_3genE3ELNS1_11target_archE908ELNS1_3gpuE7ELNS1_3repE0EEENS1_30default_config_static_selectorELNS0_4arch9wavefront6targetE1EEEvT1_,"axG",@progbits,_ZN7rocprim17ROCPRIM_400000_NS6detail17trampoline_kernelINS0_14default_configENS1_20scan_config_selectorIN3c107complexIdEEEEZZNS1_9scan_implILNS1_25lookback_scan_determinismE0ELb0ELb0ES3_PKS7_PS7_S7_ZZZN2at6native31launch_logcumsumexp_cuda_kernelERKNSE_10TensorBaseESI_lENKUlvE_clEvENKUlvE1_clEvEUlS7_S7_E_S7_EEDaPvRmT3_T4_T5_mT6_P12ihipStream_tbENKUlT_T0_E_clISt17integral_constantIbLb0EESY_IbLb1EEEEDaSU_SV_EUlSU_E0_NS1_11comp_targetILNS1_3genE3ELNS1_11target_archE908ELNS1_3gpuE7ELNS1_3repE0EEENS1_30default_config_static_selectorELNS0_4arch9wavefront6targetE1EEEvT1_,comdat
	.globl	_ZN7rocprim17ROCPRIM_400000_NS6detail17trampoline_kernelINS0_14default_configENS1_20scan_config_selectorIN3c107complexIdEEEEZZNS1_9scan_implILNS1_25lookback_scan_determinismE0ELb0ELb0ES3_PKS7_PS7_S7_ZZZN2at6native31launch_logcumsumexp_cuda_kernelERKNSE_10TensorBaseESI_lENKUlvE_clEvENKUlvE1_clEvEUlS7_S7_E_S7_EEDaPvRmT3_T4_T5_mT6_P12ihipStream_tbENKUlT_T0_E_clISt17integral_constantIbLb0EESY_IbLb1EEEEDaSU_SV_EUlSU_E0_NS1_11comp_targetILNS1_3genE3ELNS1_11target_archE908ELNS1_3gpuE7ELNS1_3repE0EEENS1_30default_config_static_selectorELNS0_4arch9wavefront6targetE1EEEvT1_ ; -- Begin function _ZN7rocprim17ROCPRIM_400000_NS6detail17trampoline_kernelINS0_14default_configENS1_20scan_config_selectorIN3c107complexIdEEEEZZNS1_9scan_implILNS1_25lookback_scan_determinismE0ELb0ELb0ES3_PKS7_PS7_S7_ZZZN2at6native31launch_logcumsumexp_cuda_kernelERKNSE_10TensorBaseESI_lENKUlvE_clEvENKUlvE1_clEvEUlS7_S7_E_S7_EEDaPvRmT3_T4_T5_mT6_P12ihipStream_tbENKUlT_T0_E_clISt17integral_constantIbLb0EESY_IbLb1EEEEDaSU_SV_EUlSU_E0_NS1_11comp_targetILNS1_3genE3ELNS1_11target_archE908ELNS1_3gpuE7ELNS1_3repE0EEENS1_30default_config_static_selectorELNS0_4arch9wavefront6targetE1EEEvT1_
	.p2align	8
	.type	_ZN7rocprim17ROCPRIM_400000_NS6detail17trampoline_kernelINS0_14default_configENS1_20scan_config_selectorIN3c107complexIdEEEEZZNS1_9scan_implILNS1_25lookback_scan_determinismE0ELb0ELb0ES3_PKS7_PS7_S7_ZZZN2at6native31launch_logcumsumexp_cuda_kernelERKNSE_10TensorBaseESI_lENKUlvE_clEvENKUlvE1_clEvEUlS7_S7_E_S7_EEDaPvRmT3_T4_T5_mT6_P12ihipStream_tbENKUlT_T0_E_clISt17integral_constantIbLb0EESY_IbLb1EEEEDaSU_SV_EUlSU_E0_NS1_11comp_targetILNS1_3genE3ELNS1_11target_archE908ELNS1_3gpuE7ELNS1_3repE0EEENS1_30default_config_static_selectorELNS0_4arch9wavefront6targetE1EEEvT1_,@function
_ZN7rocprim17ROCPRIM_400000_NS6detail17trampoline_kernelINS0_14default_configENS1_20scan_config_selectorIN3c107complexIdEEEEZZNS1_9scan_implILNS1_25lookback_scan_determinismE0ELb0ELb0ES3_PKS7_PS7_S7_ZZZN2at6native31launch_logcumsumexp_cuda_kernelERKNSE_10TensorBaseESI_lENKUlvE_clEvENKUlvE1_clEvEUlS7_S7_E_S7_EEDaPvRmT3_T4_T5_mT6_P12ihipStream_tbENKUlT_T0_E_clISt17integral_constantIbLb0EESY_IbLb1EEEEDaSU_SV_EUlSU_E0_NS1_11comp_targetILNS1_3genE3ELNS1_11target_archE908ELNS1_3gpuE7ELNS1_3repE0EEENS1_30default_config_static_selectorELNS0_4arch9wavefront6targetE1EEEvT1_: ; @_ZN7rocprim17ROCPRIM_400000_NS6detail17trampoline_kernelINS0_14default_configENS1_20scan_config_selectorIN3c107complexIdEEEEZZNS1_9scan_implILNS1_25lookback_scan_determinismE0ELb0ELb0ES3_PKS7_PS7_S7_ZZZN2at6native31launch_logcumsumexp_cuda_kernelERKNSE_10TensorBaseESI_lENKUlvE_clEvENKUlvE1_clEvEUlS7_S7_E_S7_EEDaPvRmT3_T4_T5_mT6_P12ihipStream_tbENKUlT_T0_E_clISt17integral_constantIbLb0EESY_IbLb1EEEEDaSU_SV_EUlSU_E0_NS1_11comp_targetILNS1_3genE3ELNS1_11target_archE908ELNS1_3gpuE7ELNS1_3repE0EEENS1_30default_config_static_selectorELNS0_4arch9wavefront6targetE1EEEvT1_
; %bb.0:
	.section	.rodata,"a",@progbits
	.p2align	6, 0x0
	.amdhsa_kernel _ZN7rocprim17ROCPRIM_400000_NS6detail17trampoline_kernelINS0_14default_configENS1_20scan_config_selectorIN3c107complexIdEEEEZZNS1_9scan_implILNS1_25lookback_scan_determinismE0ELb0ELb0ES3_PKS7_PS7_S7_ZZZN2at6native31launch_logcumsumexp_cuda_kernelERKNSE_10TensorBaseESI_lENKUlvE_clEvENKUlvE1_clEvEUlS7_S7_E_S7_EEDaPvRmT3_T4_T5_mT6_P12ihipStream_tbENKUlT_T0_E_clISt17integral_constantIbLb0EESY_IbLb1EEEEDaSU_SV_EUlSU_E0_NS1_11comp_targetILNS1_3genE3ELNS1_11target_archE908ELNS1_3gpuE7ELNS1_3repE0EEENS1_30default_config_static_selectorELNS0_4arch9wavefront6targetE1EEEvT1_
		.amdhsa_group_segment_fixed_size 0
		.amdhsa_private_segment_fixed_size 0
		.amdhsa_kernarg_size 48
		.amdhsa_user_sgpr_count 6
		.amdhsa_user_sgpr_private_segment_buffer 1
		.amdhsa_user_sgpr_dispatch_ptr 0
		.amdhsa_user_sgpr_queue_ptr 0
		.amdhsa_user_sgpr_kernarg_segment_ptr 1
		.amdhsa_user_sgpr_dispatch_id 0
		.amdhsa_user_sgpr_flat_scratch_init 0
		.amdhsa_user_sgpr_private_segment_size 0
		.amdhsa_uses_dynamic_stack 0
		.amdhsa_system_sgpr_private_segment_wavefront_offset 0
		.amdhsa_system_sgpr_workgroup_id_x 1
		.amdhsa_system_sgpr_workgroup_id_y 0
		.amdhsa_system_sgpr_workgroup_id_z 0
		.amdhsa_system_sgpr_workgroup_info 0
		.amdhsa_system_vgpr_workitem_id 0
		.amdhsa_next_free_vgpr 1
		.amdhsa_next_free_sgpr 0
		.amdhsa_reserve_vcc 0
		.amdhsa_reserve_flat_scratch 0
		.amdhsa_float_round_mode_32 0
		.amdhsa_float_round_mode_16_64 0
		.amdhsa_float_denorm_mode_32 3
		.amdhsa_float_denorm_mode_16_64 3
		.amdhsa_dx10_clamp 1
		.amdhsa_ieee_mode 1
		.amdhsa_fp16_overflow 0
		.amdhsa_exception_fp_ieee_invalid_op 0
		.amdhsa_exception_fp_denorm_src 0
		.amdhsa_exception_fp_ieee_div_zero 0
		.amdhsa_exception_fp_ieee_overflow 0
		.amdhsa_exception_fp_ieee_underflow 0
		.amdhsa_exception_fp_ieee_inexact 0
		.amdhsa_exception_int_div_zero 0
	.end_amdhsa_kernel
	.section	.text._ZN7rocprim17ROCPRIM_400000_NS6detail17trampoline_kernelINS0_14default_configENS1_20scan_config_selectorIN3c107complexIdEEEEZZNS1_9scan_implILNS1_25lookback_scan_determinismE0ELb0ELb0ES3_PKS7_PS7_S7_ZZZN2at6native31launch_logcumsumexp_cuda_kernelERKNSE_10TensorBaseESI_lENKUlvE_clEvENKUlvE1_clEvEUlS7_S7_E_S7_EEDaPvRmT3_T4_T5_mT6_P12ihipStream_tbENKUlT_T0_E_clISt17integral_constantIbLb0EESY_IbLb1EEEEDaSU_SV_EUlSU_E0_NS1_11comp_targetILNS1_3genE3ELNS1_11target_archE908ELNS1_3gpuE7ELNS1_3repE0EEENS1_30default_config_static_selectorELNS0_4arch9wavefront6targetE1EEEvT1_,"axG",@progbits,_ZN7rocprim17ROCPRIM_400000_NS6detail17trampoline_kernelINS0_14default_configENS1_20scan_config_selectorIN3c107complexIdEEEEZZNS1_9scan_implILNS1_25lookback_scan_determinismE0ELb0ELb0ES3_PKS7_PS7_S7_ZZZN2at6native31launch_logcumsumexp_cuda_kernelERKNSE_10TensorBaseESI_lENKUlvE_clEvENKUlvE1_clEvEUlS7_S7_E_S7_EEDaPvRmT3_T4_T5_mT6_P12ihipStream_tbENKUlT_T0_E_clISt17integral_constantIbLb0EESY_IbLb1EEEEDaSU_SV_EUlSU_E0_NS1_11comp_targetILNS1_3genE3ELNS1_11target_archE908ELNS1_3gpuE7ELNS1_3repE0EEENS1_30default_config_static_selectorELNS0_4arch9wavefront6targetE1EEEvT1_,comdat
.Lfunc_end253:
	.size	_ZN7rocprim17ROCPRIM_400000_NS6detail17trampoline_kernelINS0_14default_configENS1_20scan_config_selectorIN3c107complexIdEEEEZZNS1_9scan_implILNS1_25lookback_scan_determinismE0ELb0ELb0ES3_PKS7_PS7_S7_ZZZN2at6native31launch_logcumsumexp_cuda_kernelERKNSE_10TensorBaseESI_lENKUlvE_clEvENKUlvE1_clEvEUlS7_S7_E_S7_EEDaPvRmT3_T4_T5_mT6_P12ihipStream_tbENKUlT_T0_E_clISt17integral_constantIbLb0EESY_IbLb1EEEEDaSU_SV_EUlSU_E0_NS1_11comp_targetILNS1_3genE3ELNS1_11target_archE908ELNS1_3gpuE7ELNS1_3repE0EEENS1_30default_config_static_selectorELNS0_4arch9wavefront6targetE1EEEvT1_, .Lfunc_end253-_ZN7rocprim17ROCPRIM_400000_NS6detail17trampoline_kernelINS0_14default_configENS1_20scan_config_selectorIN3c107complexIdEEEEZZNS1_9scan_implILNS1_25lookback_scan_determinismE0ELb0ELb0ES3_PKS7_PS7_S7_ZZZN2at6native31launch_logcumsumexp_cuda_kernelERKNSE_10TensorBaseESI_lENKUlvE_clEvENKUlvE1_clEvEUlS7_S7_E_S7_EEDaPvRmT3_T4_T5_mT6_P12ihipStream_tbENKUlT_T0_E_clISt17integral_constantIbLb0EESY_IbLb1EEEEDaSU_SV_EUlSU_E0_NS1_11comp_targetILNS1_3genE3ELNS1_11target_archE908ELNS1_3gpuE7ELNS1_3repE0EEENS1_30default_config_static_selectorELNS0_4arch9wavefront6targetE1EEEvT1_
                                        ; -- End function
	.set _ZN7rocprim17ROCPRIM_400000_NS6detail17trampoline_kernelINS0_14default_configENS1_20scan_config_selectorIN3c107complexIdEEEEZZNS1_9scan_implILNS1_25lookback_scan_determinismE0ELb0ELb0ES3_PKS7_PS7_S7_ZZZN2at6native31launch_logcumsumexp_cuda_kernelERKNSE_10TensorBaseESI_lENKUlvE_clEvENKUlvE1_clEvEUlS7_S7_E_S7_EEDaPvRmT3_T4_T5_mT6_P12ihipStream_tbENKUlT_T0_E_clISt17integral_constantIbLb0EESY_IbLb1EEEEDaSU_SV_EUlSU_E0_NS1_11comp_targetILNS1_3genE3ELNS1_11target_archE908ELNS1_3gpuE7ELNS1_3repE0EEENS1_30default_config_static_selectorELNS0_4arch9wavefront6targetE1EEEvT1_.num_vgpr, 0
	.set _ZN7rocprim17ROCPRIM_400000_NS6detail17trampoline_kernelINS0_14default_configENS1_20scan_config_selectorIN3c107complexIdEEEEZZNS1_9scan_implILNS1_25lookback_scan_determinismE0ELb0ELb0ES3_PKS7_PS7_S7_ZZZN2at6native31launch_logcumsumexp_cuda_kernelERKNSE_10TensorBaseESI_lENKUlvE_clEvENKUlvE1_clEvEUlS7_S7_E_S7_EEDaPvRmT3_T4_T5_mT6_P12ihipStream_tbENKUlT_T0_E_clISt17integral_constantIbLb0EESY_IbLb1EEEEDaSU_SV_EUlSU_E0_NS1_11comp_targetILNS1_3genE3ELNS1_11target_archE908ELNS1_3gpuE7ELNS1_3repE0EEENS1_30default_config_static_selectorELNS0_4arch9wavefront6targetE1EEEvT1_.num_agpr, 0
	.set _ZN7rocprim17ROCPRIM_400000_NS6detail17trampoline_kernelINS0_14default_configENS1_20scan_config_selectorIN3c107complexIdEEEEZZNS1_9scan_implILNS1_25lookback_scan_determinismE0ELb0ELb0ES3_PKS7_PS7_S7_ZZZN2at6native31launch_logcumsumexp_cuda_kernelERKNSE_10TensorBaseESI_lENKUlvE_clEvENKUlvE1_clEvEUlS7_S7_E_S7_EEDaPvRmT3_T4_T5_mT6_P12ihipStream_tbENKUlT_T0_E_clISt17integral_constantIbLb0EESY_IbLb1EEEEDaSU_SV_EUlSU_E0_NS1_11comp_targetILNS1_3genE3ELNS1_11target_archE908ELNS1_3gpuE7ELNS1_3repE0EEENS1_30default_config_static_selectorELNS0_4arch9wavefront6targetE1EEEvT1_.numbered_sgpr, 0
	.set _ZN7rocprim17ROCPRIM_400000_NS6detail17trampoline_kernelINS0_14default_configENS1_20scan_config_selectorIN3c107complexIdEEEEZZNS1_9scan_implILNS1_25lookback_scan_determinismE0ELb0ELb0ES3_PKS7_PS7_S7_ZZZN2at6native31launch_logcumsumexp_cuda_kernelERKNSE_10TensorBaseESI_lENKUlvE_clEvENKUlvE1_clEvEUlS7_S7_E_S7_EEDaPvRmT3_T4_T5_mT6_P12ihipStream_tbENKUlT_T0_E_clISt17integral_constantIbLb0EESY_IbLb1EEEEDaSU_SV_EUlSU_E0_NS1_11comp_targetILNS1_3genE3ELNS1_11target_archE908ELNS1_3gpuE7ELNS1_3repE0EEENS1_30default_config_static_selectorELNS0_4arch9wavefront6targetE1EEEvT1_.num_named_barrier, 0
	.set _ZN7rocprim17ROCPRIM_400000_NS6detail17trampoline_kernelINS0_14default_configENS1_20scan_config_selectorIN3c107complexIdEEEEZZNS1_9scan_implILNS1_25lookback_scan_determinismE0ELb0ELb0ES3_PKS7_PS7_S7_ZZZN2at6native31launch_logcumsumexp_cuda_kernelERKNSE_10TensorBaseESI_lENKUlvE_clEvENKUlvE1_clEvEUlS7_S7_E_S7_EEDaPvRmT3_T4_T5_mT6_P12ihipStream_tbENKUlT_T0_E_clISt17integral_constantIbLb0EESY_IbLb1EEEEDaSU_SV_EUlSU_E0_NS1_11comp_targetILNS1_3genE3ELNS1_11target_archE908ELNS1_3gpuE7ELNS1_3repE0EEENS1_30default_config_static_selectorELNS0_4arch9wavefront6targetE1EEEvT1_.private_seg_size, 0
	.set _ZN7rocprim17ROCPRIM_400000_NS6detail17trampoline_kernelINS0_14default_configENS1_20scan_config_selectorIN3c107complexIdEEEEZZNS1_9scan_implILNS1_25lookback_scan_determinismE0ELb0ELb0ES3_PKS7_PS7_S7_ZZZN2at6native31launch_logcumsumexp_cuda_kernelERKNSE_10TensorBaseESI_lENKUlvE_clEvENKUlvE1_clEvEUlS7_S7_E_S7_EEDaPvRmT3_T4_T5_mT6_P12ihipStream_tbENKUlT_T0_E_clISt17integral_constantIbLb0EESY_IbLb1EEEEDaSU_SV_EUlSU_E0_NS1_11comp_targetILNS1_3genE3ELNS1_11target_archE908ELNS1_3gpuE7ELNS1_3repE0EEENS1_30default_config_static_selectorELNS0_4arch9wavefront6targetE1EEEvT1_.uses_vcc, 0
	.set _ZN7rocprim17ROCPRIM_400000_NS6detail17trampoline_kernelINS0_14default_configENS1_20scan_config_selectorIN3c107complexIdEEEEZZNS1_9scan_implILNS1_25lookback_scan_determinismE0ELb0ELb0ES3_PKS7_PS7_S7_ZZZN2at6native31launch_logcumsumexp_cuda_kernelERKNSE_10TensorBaseESI_lENKUlvE_clEvENKUlvE1_clEvEUlS7_S7_E_S7_EEDaPvRmT3_T4_T5_mT6_P12ihipStream_tbENKUlT_T0_E_clISt17integral_constantIbLb0EESY_IbLb1EEEEDaSU_SV_EUlSU_E0_NS1_11comp_targetILNS1_3genE3ELNS1_11target_archE908ELNS1_3gpuE7ELNS1_3repE0EEENS1_30default_config_static_selectorELNS0_4arch9wavefront6targetE1EEEvT1_.uses_flat_scratch, 0
	.set _ZN7rocprim17ROCPRIM_400000_NS6detail17trampoline_kernelINS0_14default_configENS1_20scan_config_selectorIN3c107complexIdEEEEZZNS1_9scan_implILNS1_25lookback_scan_determinismE0ELb0ELb0ES3_PKS7_PS7_S7_ZZZN2at6native31launch_logcumsumexp_cuda_kernelERKNSE_10TensorBaseESI_lENKUlvE_clEvENKUlvE1_clEvEUlS7_S7_E_S7_EEDaPvRmT3_T4_T5_mT6_P12ihipStream_tbENKUlT_T0_E_clISt17integral_constantIbLb0EESY_IbLb1EEEEDaSU_SV_EUlSU_E0_NS1_11comp_targetILNS1_3genE3ELNS1_11target_archE908ELNS1_3gpuE7ELNS1_3repE0EEENS1_30default_config_static_selectorELNS0_4arch9wavefront6targetE1EEEvT1_.has_dyn_sized_stack, 0
	.set _ZN7rocprim17ROCPRIM_400000_NS6detail17trampoline_kernelINS0_14default_configENS1_20scan_config_selectorIN3c107complexIdEEEEZZNS1_9scan_implILNS1_25lookback_scan_determinismE0ELb0ELb0ES3_PKS7_PS7_S7_ZZZN2at6native31launch_logcumsumexp_cuda_kernelERKNSE_10TensorBaseESI_lENKUlvE_clEvENKUlvE1_clEvEUlS7_S7_E_S7_EEDaPvRmT3_T4_T5_mT6_P12ihipStream_tbENKUlT_T0_E_clISt17integral_constantIbLb0EESY_IbLb1EEEEDaSU_SV_EUlSU_E0_NS1_11comp_targetILNS1_3genE3ELNS1_11target_archE908ELNS1_3gpuE7ELNS1_3repE0EEENS1_30default_config_static_selectorELNS0_4arch9wavefront6targetE1EEEvT1_.has_recursion, 0
	.set _ZN7rocprim17ROCPRIM_400000_NS6detail17trampoline_kernelINS0_14default_configENS1_20scan_config_selectorIN3c107complexIdEEEEZZNS1_9scan_implILNS1_25lookback_scan_determinismE0ELb0ELb0ES3_PKS7_PS7_S7_ZZZN2at6native31launch_logcumsumexp_cuda_kernelERKNSE_10TensorBaseESI_lENKUlvE_clEvENKUlvE1_clEvEUlS7_S7_E_S7_EEDaPvRmT3_T4_T5_mT6_P12ihipStream_tbENKUlT_T0_E_clISt17integral_constantIbLb0EESY_IbLb1EEEEDaSU_SV_EUlSU_E0_NS1_11comp_targetILNS1_3genE3ELNS1_11target_archE908ELNS1_3gpuE7ELNS1_3repE0EEENS1_30default_config_static_selectorELNS0_4arch9wavefront6targetE1EEEvT1_.has_indirect_call, 0
	.section	.AMDGPU.csdata,"",@progbits
; Kernel info:
; codeLenInByte = 0
; TotalNumSgprs: 4
; NumVgprs: 0
; ScratchSize: 0
; MemoryBound: 0
; FloatMode: 240
; IeeeMode: 1
; LDSByteSize: 0 bytes/workgroup (compile time only)
; SGPRBlocks: 0
; VGPRBlocks: 0
; NumSGPRsForWavesPerEU: 4
; NumVGPRsForWavesPerEU: 1
; Occupancy: 10
; WaveLimiterHint : 0
; COMPUTE_PGM_RSRC2:SCRATCH_EN: 0
; COMPUTE_PGM_RSRC2:USER_SGPR: 6
; COMPUTE_PGM_RSRC2:TRAP_HANDLER: 0
; COMPUTE_PGM_RSRC2:TGID_X_EN: 1
; COMPUTE_PGM_RSRC2:TGID_Y_EN: 0
; COMPUTE_PGM_RSRC2:TGID_Z_EN: 0
; COMPUTE_PGM_RSRC2:TIDIG_COMP_CNT: 0
	.section	.text._ZN7rocprim17ROCPRIM_400000_NS6detail17trampoline_kernelINS0_14default_configENS1_20scan_config_selectorIN3c107complexIdEEEEZZNS1_9scan_implILNS1_25lookback_scan_determinismE0ELb0ELb0ES3_PKS7_PS7_S7_ZZZN2at6native31launch_logcumsumexp_cuda_kernelERKNSE_10TensorBaseESI_lENKUlvE_clEvENKUlvE1_clEvEUlS7_S7_E_S7_EEDaPvRmT3_T4_T5_mT6_P12ihipStream_tbENKUlT_T0_E_clISt17integral_constantIbLb0EESY_IbLb1EEEEDaSU_SV_EUlSU_E0_NS1_11comp_targetILNS1_3genE2ELNS1_11target_archE906ELNS1_3gpuE6ELNS1_3repE0EEENS1_30default_config_static_selectorELNS0_4arch9wavefront6targetE1EEEvT1_,"axG",@progbits,_ZN7rocprim17ROCPRIM_400000_NS6detail17trampoline_kernelINS0_14default_configENS1_20scan_config_selectorIN3c107complexIdEEEEZZNS1_9scan_implILNS1_25lookback_scan_determinismE0ELb0ELb0ES3_PKS7_PS7_S7_ZZZN2at6native31launch_logcumsumexp_cuda_kernelERKNSE_10TensorBaseESI_lENKUlvE_clEvENKUlvE1_clEvEUlS7_S7_E_S7_EEDaPvRmT3_T4_T5_mT6_P12ihipStream_tbENKUlT_T0_E_clISt17integral_constantIbLb0EESY_IbLb1EEEEDaSU_SV_EUlSU_E0_NS1_11comp_targetILNS1_3genE2ELNS1_11target_archE906ELNS1_3gpuE6ELNS1_3repE0EEENS1_30default_config_static_selectorELNS0_4arch9wavefront6targetE1EEEvT1_,comdat
	.globl	_ZN7rocprim17ROCPRIM_400000_NS6detail17trampoline_kernelINS0_14default_configENS1_20scan_config_selectorIN3c107complexIdEEEEZZNS1_9scan_implILNS1_25lookback_scan_determinismE0ELb0ELb0ES3_PKS7_PS7_S7_ZZZN2at6native31launch_logcumsumexp_cuda_kernelERKNSE_10TensorBaseESI_lENKUlvE_clEvENKUlvE1_clEvEUlS7_S7_E_S7_EEDaPvRmT3_T4_T5_mT6_P12ihipStream_tbENKUlT_T0_E_clISt17integral_constantIbLb0EESY_IbLb1EEEEDaSU_SV_EUlSU_E0_NS1_11comp_targetILNS1_3genE2ELNS1_11target_archE906ELNS1_3gpuE6ELNS1_3repE0EEENS1_30default_config_static_selectorELNS0_4arch9wavefront6targetE1EEEvT1_ ; -- Begin function _ZN7rocprim17ROCPRIM_400000_NS6detail17trampoline_kernelINS0_14default_configENS1_20scan_config_selectorIN3c107complexIdEEEEZZNS1_9scan_implILNS1_25lookback_scan_determinismE0ELb0ELb0ES3_PKS7_PS7_S7_ZZZN2at6native31launch_logcumsumexp_cuda_kernelERKNSE_10TensorBaseESI_lENKUlvE_clEvENKUlvE1_clEvEUlS7_S7_E_S7_EEDaPvRmT3_T4_T5_mT6_P12ihipStream_tbENKUlT_T0_E_clISt17integral_constantIbLb0EESY_IbLb1EEEEDaSU_SV_EUlSU_E0_NS1_11comp_targetILNS1_3genE2ELNS1_11target_archE906ELNS1_3gpuE6ELNS1_3repE0EEENS1_30default_config_static_selectorELNS0_4arch9wavefront6targetE1EEEvT1_
	.p2align	8
	.type	_ZN7rocprim17ROCPRIM_400000_NS6detail17trampoline_kernelINS0_14default_configENS1_20scan_config_selectorIN3c107complexIdEEEEZZNS1_9scan_implILNS1_25lookback_scan_determinismE0ELb0ELb0ES3_PKS7_PS7_S7_ZZZN2at6native31launch_logcumsumexp_cuda_kernelERKNSE_10TensorBaseESI_lENKUlvE_clEvENKUlvE1_clEvEUlS7_S7_E_S7_EEDaPvRmT3_T4_T5_mT6_P12ihipStream_tbENKUlT_T0_E_clISt17integral_constantIbLb0EESY_IbLb1EEEEDaSU_SV_EUlSU_E0_NS1_11comp_targetILNS1_3genE2ELNS1_11target_archE906ELNS1_3gpuE6ELNS1_3repE0EEENS1_30default_config_static_selectorELNS0_4arch9wavefront6targetE1EEEvT1_,@function
_ZN7rocprim17ROCPRIM_400000_NS6detail17trampoline_kernelINS0_14default_configENS1_20scan_config_selectorIN3c107complexIdEEEEZZNS1_9scan_implILNS1_25lookback_scan_determinismE0ELb0ELb0ES3_PKS7_PS7_S7_ZZZN2at6native31launch_logcumsumexp_cuda_kernelERKNSE_10TensorBaseESI_lENKUlvE_clEvENKUlvE1_clEvEUlS7_S7_E_S7_EEDaPvRmT3_T4_T5_mT6_P12ihipStream_tbENKUlT_T0_E_clISt17integral_constantIbLb0EESY_IbLb1EEEEDaSU_SV_EUlSU_E0_NS1_11comp_targetILNS1_3genE2ELNS1_11target_archE906ELNS1_3gpuE6ELNS1_3repE0EEENS1_30default_config_static_selectorELNS0_4arch9wavefront6targetE1EEEvT1_: ; @_ZN7rocprim17ROCPRIM_400000_NS6detail17trampoline_kernelINS0_14default_configENS1_20scan_config_selectorIN3c107complexIdEEEEZZNS1_9scan_implILNS1_25lookback_scan_determinismE0ELb0ELb0ES3_PKS7_PS7_S7_ZZZN2at6native31launch_logcumsumexp_cuda_kernelERKNSE_10TensorBaseESI_lENKUlvE_clEvENKUlvE1_clEvEUlS7_S7_E_S7_EEDaPvRmT3_T4_T5_mT6_P12ihipStream_tbENKUlT_T0_E_clISt17integral_constantIbLb0EESY_IbLb1EEEEDaSU_SV_EUlSU_E0_NS1_11comp_targetILNS1_3genE2ELNS1_11target_archE906ELNS1_3gpuE6ELNS1_3repE0EEENS1_30default_config_static_selectorELNS0_4arch9wavefront6targetE1EEEvT1_
; %bb.0:
	s_add_u32 s0, s0, s7
	s_mov_b64 s[66:67], s[4:5]
	s_load_dwordx4 s[4:7], s[4:5], 0x0
	v_mov_b32_e32 v163, v0
	s_addc_u32 s1, s1, 0
	v_lshlrev_b32_e32 v164, 4, v163
	s_mov_b32 s32, 0
	s_waitcnt lgkmcnt(0)
	s_load_dwordx4 s[8:11], s[4:5], 0x0
	v_cmp_gt_u32_e64 s[34:35], s6, v163
	s_waitcnt lgkmcnt(0)
	v_mov_b32_e32 v2, s10
	v_mov_b32_e32 v0, s8
	;; [unrolled: 1-line block ×4, first 2 shown]
	s_and_saveexec_b64 s[12:13], s[34:35]
	s_cbranch_execz .LBB254_2
; %bb.1:
	global_load_dwordx4 v[0:3], v164, s[4:5]
.LBB254_2:
	s_or_b64 exec, exec, s[12:13]
	v_or_b32_e32 v4, 64, v163
	v_cmp_gt_u32_e64 s[36:37], s6, v4
	v_mov_b32_e32 v6, s10
	v_mov_b32_e32 v4, s8
	v_mov_b32_e32 v7, s11
	v_mov_b32_e32 v5, s9
	s_and_saveexec_b64 s[12:13], s[36:37]
	s_cbranch_execz .LBB254_4
; %bb.3:
	global_load_dwordx4 v[4:7], v164, s[4:5] offset:1024
.LBB254_4:
	s_or_b64 exec, exec, s[12:13]
	v_or_b32_e32 v8, 0x80, v163
	v_cmp_gt_u32_e64 s[38:39], s6, v8
	v_mov_b32_e32 v10, s10
	v_mov_b32_e32 v8, s8
	v_mov_b32_e32 v11, s11
	v_mov_b32_e32 v9, s9
	s_and_saveexec_b64 s[12:13], s[38:39]
	s_cbranch_execz .LBB254_6
; %bb.5:
	global_load_dwordx4 v[8:11], v164, s[4:5] offset:2048
.LBB254_6:
	;; [unrolled: 12-line block ×3, first 2 shown]
	s_or_b64 exec, exec, s[12:13]
	v_or_b32_e32 v20, 0x100, v163
	v_mov_b32_e32 v19, s11
	v_mov_b32_e32 v17, s9
	v_cmp_gt_u32_e64 s[44:45], s6, v20
	v_mov_b32_e32 v18, s10
	v_mov_b32_e32 v16, s8
	s_and_saveexec_b64 s[12:13], s[44:45]
	s_cbranch_execz .LBB254_10
; %bb.9:
	v_lshlrev_b32_e32 v16, 4, v20
	global_load_dwordx4 v[16:19], v16, s[4:5]
.LBB254_10:
	s_or_b64 exec, exec, s[12:13]
	v_or_b32_e32 v24, 0x140, v163
	v_mov_b32_e32 v23, s11
	v_mov_b32_e32 v21, s9
	v_cmp_gt_u32_e64 s[46:47], s6, v24
	v_mov_b32_e32 v22, s10
	v_mov_b32_e32 v20, s8
	s_and_saveexec_b64 s[12:13], s[46:47]
	s_cbranch_execz .LBB254_12
; %bb.11:
	v_lshlrev_b32_e32 v20, 4, v24
	global_load_dwordx4 v[20:23], v20, s[4:5]
.LBB254_12:
	;; [unrolled: 13-line block ×11, first 2 shown]
	s_or_b64 exec, exec, s[6:7]
	s_movk_i32 s4, 0xe0
	s_waitcnt vmcnt(0)
	ds_write_b128 v164, v[0:3]
	ds_write_b128 v164, v[4:7] offset:1024
	ds_write_b128 v164, v[8:11] offset:2048
	;; [unrolled: 1-line block ×14, first 2 shown]
	v_mad_u32_u24 v0, v163, s4, v164
	s_waitcnt lgkmcnt(0)
	; wave barrier
	ds_read_b128 v[40:43], v0
	ds_read_b128 v[131:134], v0 offset:16
	ds_read_b128 v[127:130], v0 offset:32
	;; [unrolled: 1-line block ×14, first 2 shown]
	s_getpc_b64 s[68:69]
	s_add_u32 s68, s68, _ZZZZN2at6native31launch_logcumsumexp_cuda_kernelERKNS_10TensorBaseES3_lENKUlvE_clEvENKUlvE1_clEvENKUlN3c107complexIdEES8_E_clES8_S8_@rel32@lo+4
	s_addc_u32 s69, s69, _ZZZZN2at6native31launch_logcumsumexp_cuda_kernelERKNS_10TensorBaseES3_lENKUlvE_clEvENKUlvE1_clEvENKUlN3c107complexIdEES8_E_clES8_S8_@rel32@hi+12
	s_waitcnt lgkmcnt(14)
	v_mov_b32_e32 v0, v40
	v_mov_b32_e32 v1, v41
	;; [unrolled: 1-line block ×4, first 2 shown]
	s_waitcnt lgkmcnt(13)
	v_mov_b32_e32 v4, v131
	v_mov_b32_e32 v5, v132
	;; [unrolled: 1-line block ×4, first 2 shown]
	s_waitcnt lgkmcnt(0)
	; wave barrier
	s_swappc_b64 s[30:31], s[68:69]
	v_mov_b32_e32 v4, v127
	v_mov_b32_e32 v5, v128
	v_mov_b32_e32 v6, v129
	v_mov_b32_e32 v7, v130
	v_mov_b32_e32 v44, v0
	v_mov_b32_e32 v45, v1
	v_mov_b32_e32 v46, v2
	v_mov_b32_e32 v47, v3
	s_swappc_b64 s[30:31], s[68:69]
	v_mov_b32_e32 v4, v119
	v_mov_b32_e32 v5, v120
	v_mov_b32_e32 v6, v121
	v_mov_b32_e32 v7, v122
	v_mov_b32_e32 v63, v0
	v_mov_b32_e32 v64, v1
	v_mov_b32_e32 v65, v2
	v_mov_b32_e32 v66, v3
	;; [unrolled: 9-line block ×13, first 2 shown]
	s_swappc_b64 s[30:31], s[68:69]
	v_mov_b32_e32 v159, v0
	v_mbcnt_lo_u32_b32 v0, -1, 0
	v_mov_b32_e32 v161, v2
	v_mbcnt_hi_u32_b32 v165, -1, v0
	v_mov_b32_e32 v160, v1
	v_mov_b32_e32 v162, v3
	v_and_b32_e32 v166, 15, v165
	v_mov_b32_e32 v4, v159
	v_mov_b32_e32 v6, v161
	v_mov_b32_dpp v8, v159 row_shr:1 row_mask:0xf bank_mask:0xf
	v_mov_b32_dpp v9, v160 row_shr:1 row_mask:0xf bank_mask:0xf
	;; [unrolled: 1-line block ×4, first 2 shown]
	v_cmp_ne_u32_e32 vcc, 0, v166
	v_mov_b32_e32 v5, v160
	v_mov_b32_e32 v7, v162
	;; [unrolled: 1-line block ×3, first 2 shown]
	s_and_saveexec_b64 s[70:71], vcc
	s_cbranch_execz .LBB254_32
; %bb.31:
	v_mov_b32_e32 v0, v8
	v_mov_b32_e32 v1, v9
	v_mov_b32_e32 v2, v10
	v_mov_b32_e32 v3, v11
	v_mov_b32_e32 v4, v159
	v_mov_b32_e32 v5, v160
	v_mov_b32_e32 v6, v161
	v_mov_b32_e32 v7, v162
	s_swappc_b64 s[30:31], s[68:69]
	v_mov_b32_e32 v4, v0
	v_mov_b32_e32 v5, v1
	;; [unrolled: 1-line block ×4, first 2 shown]
.LBB254_32:
	s_or_b64 exec, exec, s[70:71]
	v_mov_b32_dpp v8, v0 row_shr:2 row_mask:0xf bank_mask:0xf
	v_mov_b32_dpp v9, v1 row_shr:2 row_mask:0xf bank_mask:0xf
	v_mov_b32_dpp v10, v2 row_shr:2 row_mask:0xf bank_mask:0xf
	v_mov_b32_dpp v11, v3 row_shr:2 row_mask:0xf bank_mask:0xf
	v_cmp_lt_u32_e32 vcc, 1, v166
	s_and_saveexec_b64 s[68:69], vcc
	s_cbranch_execz .LBB254_34
; %bb.33:
	s_getpc_b64 s[4:5]
	s_add_u32 s4, s4, _ZZZZN2at6native31launch_logcumsumexp_cuda_kernelERKNS_10TensorBaseES3_lENKUlvE_clEvENKUlvE1_clEvENKUlN3c107complexIdEES8_E_clES8_S8_@rel32@lo+4
	s_addc_u32 s5, s5, _ZZZZN2at6native31launch_logcumsumexp_cuda_kernelERKNS_10TensorBaseES3_lENKUlvE_clEvENKUlvE1_clEvENKUlN3c107complexIdEES8_E_clES8_S8_@rel32@hi+12
	v_mov_b32_e32 v0, v8
	v_mov_b32_e32 v1, v9
	v_mov_b32_e32 v2, v10
	v_mov_b32_e32 v3, v11
	s_swappc_b64 s[30:31], s[4:5]
	v_mov_b32_e32 v7, v3
	v_mov_b32_e32 v5, v1
	v_mov_b32_e32 v6, v2
	v_mov_b32_e32 v4, v0
.LBB254_34:
	s_or_b64 exec, exec, s[68:69]
	v_mov_b32_dpp v8, v0 row_shr:4 row_mask:0xf bank_mask:0xf
	v_mov_b32_dpp v9, v1 row_shr:4 row_mask:0xf bank_mask:0xf
	v_mov_b32_dpp v10, v2 row_shr:4 row_mask:0xf bank_mask:0xf
	v_mov_b32_dpp v11, v3 row_shr:4 row_mask:0xf bank_mask:0xf
	v_cmp_lt_u32_e32 vcc, 3, v166
	s_and_saveexec_b64 s[68:69], vcc
	s_cbranch_execz .LBB254_36
; %bb.35:
	s_getpc_b64 s[4:5]
	s_add_u32 s4, s4, _ZZZZN2at6native31launch_logcumsumexp_cuda_kernelERKNS_10TensorBaseES3_lENKUlvE_clEvENKUlvE1_clEvENKUlN3c107complexIdEES8_E_clES8_S8_@rel32@lo+4
	s_addc_u32 s5, s5, _ZZZZN2at6native31launch_logcumsumexp_cuda_kernelERKNS_10TensorBaseES3_lENKUlvE_clEvENKUlvE1_clEvENKUlN3c107complexIdEES8_E_clES8_S8_@rel32@hi+12
	v_mov_b32_e32 v0, v8
	v_mov_b32_e32 v1, v9
	v_mov_b32_e32 v2, v10
	v_mov_b32_e32 v3, v11
	s_swappc_b64 s[30:31], s[4:5]
	v_mov_b32_e32 v7, v3
	v_mov_b32_e32 v5, v1
	v_mov_b32_e32 v6, v2
	v_mov_b32_e32 v4, v0
.LBB254_36:
	;; [unrolled: 22-line block ×3, first 2 shown]
	s_or_b64 exec, exec, s[68:69]
	v_and_b32_e32 v12, 16, v165
	v_mov_b32_dpp v8, v0 row_bcast:15 row_mask:0xf bank_mask:0xf
	v_mov_b32_dpp v9, v1 row_bcast:15 row_mask:0xf bank_mask:0xf
	;; [unrolled: 1-line block ×4, first 2 shown]
	v_cmp_ne_u32_e32 vcc, 0, v12
	s_and_saveexec_b64 s[68:69], vcc
	s_cbranch_execz .LBB254_40
; %bb.39:
	s_getpc_b64 s[4:5]
	s_add_u32 s4, s4, _ZZZZN2at6native31launch_logcumsumexp_cuda_kernelERKNS_10TensorBaseES3_lENKUlvE_clEvENKUlvE1_clEvENKUlN3c107complexIdEES8_E_clES8_S8_@rel32@lo+4
	s_addc_u32 s5, s5, _ZZZZN2at6native31launch_logcumsumexp_cuda_kernelERKNS_10TensorBaseES3_lENKUlvE_clEvENKUlvE1_clEvENKUlN3c107complexIdEES8_E_clES8_S8_@rel32@hi+12
	v_mov_b32_e32 v0, v8
	v_mov_b32_e32 v1, v9
	;; [unrolled: 1-line block ×4, first 2 shown]
	s_swappc_b64 s[30:31], s[4:5]
	v_mov_b32_e32 v4, v0
	v_mov_b32_e32 v5, v1
	;; [unrolled: 1-line block ×4, first 2 shown]
.LBB254_40:
	s_or_b64 exec, exec, s[68:69]
	v_mov_b32_dpp v0, v0 row_bcast:31 row_mask:0xf bank_mask:0xf
	v_mov_b32_dpp v1, v1 row_bcast:31 row_mask:0xf bank_mask:0xf
	;; [unrolled: 1-line block ×4, first 2 shown]
	v_cmp_lt_u32_e32 vcc, 31, v165
	s_and_saveexec_b64 s[68:69], vcc
	s_cbranch_execz .LBB254_42
; %bb.41:
	s_getpc_b64 s[4:5]
	s_add_u32 s4, s4, _ZZZZN2at6native31launch_logcumsumexp_cuda_kernelERKNS_10TensorBaseES3_lENKUlvE_clEvENKUlvE1_clEvENKUlN3c107complexIdEES8_E_clES8_S8_@rel32@lo+4
	s_addc_u32 s5, s5, _ZZZZN2at6native31launch_logcumsumexp_cuda_kernelERKNS_10TensorBaseES3_lENKUlvE_clEvENKUlvE1_clEvENKUlN3c107complexIdEES8_E_clES8_S8_@rel32@hi+12
	s_swappc_b64 s[30:31], s[4:5]
	v_mov_b32_e32 v4, v0
	v_mov_b32_e32 v5, v1
	;; [unrolled: 1-line block ×4, first 2 shown]
.LBB254_42:
	s_or_b64 exec, exec, s[68:69]
	s_load_dwordx2 s[66:67], s[66:67], 0x28
	v_cmp_eq_u32_e32 vcc, 63, v163
	s_and_saveexec_b64 s[4:5], vcc
; %bb.43:
	v_mov_b32_e32 v0, 0
	ds_write_b128 v0, v[4:7]
; %bb.44:
	s_or_b64 exec, exec, s[4:5]
	v_add_u32_e32 v0, -1, v165
	v_and_b32_e32 v1, 64, v165
	v_cmp_lt_i32_e32 vcc, v0, v1
	v_cndmask_b32_e32 v0, v0, v165, vcc
	v_lshlrev_b32_e32 v3, 2, v0
	ds_bpermute_b32 v0, v3, v4
	ds_bpermute_b32 v1, v3, v5
	;; [unrolled: 1-line block ×4, first 2 shown]
	v_mul_u32_u24_e32 v165, 0xe0, v163
	v_cmp_ne_u32_e32 vcc, 0, v163
	s_waitcnt lgkmcnt(0)
	; wave barrier
	s_and_saveexec_b64 s[68:69], vcc
	s_cbranch_execz .LBB254_46
; %bb.45:
	s_getpc_b64 s[70:71]
	s_add_u32 s70, s70, _ZZZZN2at6native31launch_logcumsumexp_cuda_kernelERKNS_10TensorBaseES3_lENKUlvE_clEvENKUlvE1_clEvENKUlN3c107complexIdEES8_E_clES8_S8_@rel32@lo+4
	s_addc_u32 s71, s71, _ZZZZN2at6native31launch_logcumsumexp_cuda_kernelERKNS_10TensorBaseES3_lENKUlvE_clEvENKUlvE1_clEvENKUlN3c107complexIdEES8_E_clES8_S8_@rel32@hi+12
	v_mov_b32_e32 v4, v40
	v_mov_b32_e32 v5, v41
	;; [unrolled: 1-line block ×4, first 2 shown]
	s_swappc_b64 s[30:31], s[70:71]
	v_mov_b32_e32 v4, v131
	v_mov_b32_e32 v5, v132
	;; [unrolled: 1-line block ×8, first 2 shown]
	;;#ASMSTART
	;;#ASMEND
	s_swappc_b64 s[30:31], s[70:71]
	v_mov_b32_e32 v4, v127
	v_mov_b32_e32 v5, v128
	v_mov_b32_e32 v6, v129
	v_mov_b32_e32 v7, v130
	v_mov_b32_e32 v44, v0
	v_mov_b32_e32 v45, v1
	v_mov_b32_e32 v46, v2
	v_mov_b32_e32 v47, v3
	s_swappc_b64 s[30:31], s[70:71]
	v_mov_b32_e32 v4, v119
	v_mov_b32_e32 v5, v120
	v_mov_b32_e32 v6, v121
	v_mov_b32_e32 v7, v122
	v_mov_b32_e32 v63, v0
	v_mov_b32_e32 v64, v1
	v_mov_b32_e32 v65, v2
	v_mov_b32_e32 v66, v3
	;; [unrolled: 9-line block ×13, first 2 shown]
	s_swappc_b64 s[30:31], s[70:71]
	v_mov_b32_e32 v159, v0
	v_mov_b32_e32 v160, v1
	;; [unrolled: 1-line block ×4, first 2 shown]
.LBB254_46:
	s_or_b64 exec, exec, s[68:69]
	v_add_u32_e32 v0, v164, v165
	; wave barrier
	ds_write_b128 v0, v[40:43]
	ds_write_b128 v0, v[44:47] offset:16
	ds_write_b128 v0, v[63:66] offset:32
	;; [unrolled: 1-line block ×14, first 2 shown]
	s_waitcnt lgkmcnt(0)
	; wave barrier
	ds_read_b128 v[52:55], v164 offset:1024
	ds_read_b128 v[48:51], v164 offset:2048
	;; [unrolled: 1-line block ×14, first 2 shown]
	v_mov_b32_e32 v57, s67
	v_add_co_u32_e32 v56, vcc, s66, v164
	v_addc_co_u32_e32 v57, vcc, 0, v57, vcc
	s_and_saveexec_b64 s[4:5], s[34:35]
	s_cbranch_execnz .LBB254_62
; %bb.47:
	s_or_b64 exec, exec, s[4:5]
	s_and_saveexec_b64 s[4:5], s[36:37]
	s_cbranch_execnz .LBB254_63
.LBB254_48:
	s_or_b64 exec, exec, s[4:5]
	s_and_saveexec_b64 s[4:5], s[38:39]
	s_cbranch_execnz .LBB254_64
.LBB254_49:
	s_or_b64 exec, exec, s[4:5]
	s_and_saveexec_b64 s[4:5], s[42:43]
	s_cbranch_execnz .LBB254_65
.LBB254_50:
	s_or_b64 exec, exec, s[4:5]
	s_and_saveexec_b64 s[4:5], s[44:45]
	s_cbranch_execnz .LBB254_66
.LBB254_51:
	s_or_b64 exec, exec, s[4:5]
	s_and_saveexec_b64 s[4:5], s[46:47]
	s_cbranch_execnz .LBB254_67
.LBB254_52:
	s_or_b64 exec, exec, s[4:5]
	s_and_saveexec_b64 s[4:5], s[48:49]
	s_cbranch_execnz .LBB254_68
.LBB254_53:
	s_or_b64 exec, exec, s[4:5]
	s_and_saveexec_b64 s[4:5], s[50:51]
	s_cbranch_execnz .LBB254_69
.LBB254_54:
	s_or_b64 exec, exec, s[4:5]
	s_and_saveexec_b64 s[4:5], s[52:53]
	s_cbranch_execnz .LBB254_70
.LBB254_55:
	s_or_b64 exec, exec, s[4:5]
	s_and_saveexec_b64 s[4:5], s[54:55]
	s_cbranch_execnz .LBB254_71
.LBB254_56:
	s_or_b64 exec, exec, s[4:5]
	s_and_saveexec_b64 s[4:5], s[56:57]
	s_cbranch_execnz .LBB254_72
.LBB254_57:
	s_or_b64 exec, exec, s[4:5]
	s_and_saveexec_b64 s[4:5], s[58:59]
	s_cbranch_execnz .LBB254_73
.LBB254_58:
	s_or_b64 exec, exec, s[4:5]
	s_and_saveexec_b64 s[4:5], s[60:61]
	s_cbranch_execnz .LBB254_74
.LBB254_59:
	s_or_b64 exec, exec, s[4:5]
	s_and_saveexec_b64 s[4:5], s[62:63]
	s_cbranch_execnz .LBB254_75
.LBB254_60:
	s_or_b64 exec, exec, s[4:5]
	s_and_saveexec_b64 s[4:5], s[64:65]
	s_cbranch_execnz .LBB254_76
.LBB254_61:
	s_endpgm
.LBB254_62:
	ds_read_b128 v[58:61], v164
	s_waitcnt lgkmcnt(0)
	global_store_dwordx4 v[56:57], v[58:61], off
	s_or_b64 exec, exec, s[4:5]
	s_and_saveexec_b64 s[4:5], s[36:37]
	s_cbranch_execz .LBB254_48
.LBB254_63:
	s_waitcnt lgkmcnt(13)
	global_store_dwordx4 v[56:57], v[52:55], off offset:1024
	s_or_b64 exec, exec, s[4:5]
	s_and_saveexec_b64 s[4:5], s[38:39]
	s_cbranch_execz .LBB254_49
.LBB254_64:
	s_waitcnt lgkmcnt(12)
	global_store_dwordx4 v[56:57], v[48:51], off offset:2048
	s_or_b64 exec, exec, s[4:5]
	s_and_saveexec_b64 s[4:5], s[42:43]
	s_cbranch_execz .LBB254_50
.LBB254_65:
	s_waitcnt lgkmcnt(11)
	global_store_dwordx4 v[56:57], v[44:47], off offset:3072
	s_or_b64 exec, exec, s[4:5]
	s_and_saveexec_b64 s[4:5], s[44:45]
	s_cbranch_execz .LBB254_51
.LBB254_66:
	s_waitcnt lgkmcnt(11)
	v_add_co_u32_e32 v44, vcc, 0x1000, v56
	v_addc_co_u32_e32 v45, vcc, 0, v57, vcc
	s_waitcnt lgkmcnt(10)
	global_store_dwordx4 v[44:45], v[40:43], off
	s_or_b64 exec, exec, s[4:5]
	s_and_saveexec_b64 s[4:5], s[46:47]
	s_cbranch_execz .LBB254_52
.LBB254_67:
	s_waitcnt lgkmcnt(10)
	v_add_co_u32_e32 v40, vcc, 0x1000, v56
	v_addc_co_u32_e32 v41, vcc, 0, v57, vcc
	s_waitcnt lgkmcnt(9)
	global_store_dwordx4 v[40:41], v[36:39], off offset:1024
	s_or_b64 exec, exec, s[4:5]
	s_and_saveexec_b64 s[4:5], s[48:49]
	s_cbranch_execz .LBB254_53
.LBB254_68:
	s_waitcnt lgkmcnt(9)
	v_add_co_u32_e32 v36, vcc, 0x1000, v56
	v_addc_co_u32_e32 v37, vcc, 0, v57, vcc
	s_waitcnt lgkmcnt(8)
	global_store_dwordx4 v[36:37], v[32:35], off offset:2048
	s_or_b64 exec, exec, s[4:5]
	s_and_saveexec_b64 s[4:5], s[50:51]
	s_cbranch_execz .LBB254_54
.LBB254_69:
	s_waitcnt lgkmcnt(8)
	v_add_co_u32_e32 v32, vcc, 0x1000, v56
	v_addc_co_u32_e32 v33, vcc, 0, v57, vcc
	s_waitcnt lgkmcnt(7)
	global_store_dwordx4 v[32:33], v[28:31], off offset:3072
	s_or_b64 exec, exec, s[4:5]
	s_and_saveexec_b64 s[4:5], s[52:53]
	s_cbranch_execz .LBB254_55
.LBB254_70:
	s_waitcnt lgkmcnt(7)
	v_add_co_u32_e32 v28, vcc, 0x2000, v56
	v_addc_co_u32_e32 v29, vcc, 0, v57, vcc
	s_waitcnt lgkmcnt(6)
	global_store_dwordx4 v[28:29], v[24:27], off
	s_or_b64 exec, exec, s[4:5]
	s_and_saveexec_b64 s[4:5], s[54:55]
	s_cbranch_execz .LBB254_56
.LBB254_71:
	s_waitcnt lgkmcnt(6)
	v_add_co_u32_e32 v24, vcc, 0x2000, v56
	v_addc_co_u32_e32 v25, vcc, 0, v57, vcc
	s_waitcnt lgkmcnt(5)
	global_store_dwordx4 v[24:25], v[20:23], off offset:1024
	s_or_b64 exec, exec, s[4:5]
	s_and_saveexec_b64 s[4:5], s[56:57]
	s_cbranch_execz .LBB254_57
.LBB254_72:
	s_waitcnt lgkmcnt(5)
	v_add_co_u32_e32 v20, vcc, 0x2000, v56
	v_addc_co_u32_e32 v21, vcc, 0, v57, vcc
	s_waitcnt lgkmcnt(4)
	global_store_dwordx4 v[20:21], v[16:19], off offset:2048
	s_or_b64 exec, exec, s[4:5]
	s_and_saveexec_b64 s[4:5], s[58:59]
	s_cbranch_execz .LBB254_58
.LBB254_73:
	s_waitcnt lgkmcnt(4)
	v_add_co_u32_e32 v16, vcc, 0x2000, v56
	v_addc_co_u32_e32 v17, vcc, 0, v57, vcc
	s_waitcnt lgkmcnt(3)
	global_store_dwordx4 v[16:17], v[12:15], off offset:3072
	s_or_b64 exec, exec, s[4:5]
	s_and_saveexec_b64 s[4:5], s[60:61]
	s_cbranch_execz .LBB254_59
.LBB254_74:
	s_waitcnt lgkmcnt(3)
	v_add_co_u32_e32 v12, vcc, 0x3000, v56
	v_addc_co_u32_e32 v13, vcc, 0, v57, vcc
	s_waitcnt lgkmcnt(2)
	global_store_dwordx4 v[12:13], v[8:11], off
	s_or_b64 exec, exec, s[4:5]
	s_and_saveexec_b64 s[4:5], s[62:63]
	s_cbranch_execz .LBB254_60
.LBB254_75:
	s_waitcnt lgkmcnt(2)
	v_add_co_u32_e32 v8, vcc, 0x3000, v56
	v_addc_co_u32_e32 v9, vcc, 0, v57, vcc
	s_waitcnt lgkmcnt(1)
	global_store_dwordx4 v[8:9], v[4:7], off offset:1024
	s_or_b64 exec, exec, s[4:5]
	s_and_saveexec_b64 s[4:5], s[64:65]
	s_cbranch_execz .LBB254_61
.LBB254_76:
	s_waitcnt lgkmcnt(1)
	v_add_co_u32_e32 v4, vcc, 0x3000, v56
	v_addc_co_u32_e32 v5, vcc, 0, v57, vcc
	s_waitcnt lgkmcnt(0)
	global_store_dwordx4 v[4:5], v[0:3], off offset:2048
	s_endpgm
	.section	.rodata,"a",@progbits
	.p2align	6, 0x0
	.amdhsa_kernel _ZN7rocprim17ROCPRIM_400000_NS6detail17trampoline_kernelINS0_14default_configENS1_20scan_config_selectorIN3c107complexIdEEEEZZNS1_9scan_implILNS1_25lookback_scan_determinismE0ELb0ELb0ES3_PKS7_PS7_S7_ZZZN2at6native31launch_logcumsumexp_cuda_kernelERKNSE_10TensorBaseESI_lENKUlvE_clEvENKUlvE1_clEvEUlS7_S7_E_S7_EEDaPvRmT3_T4_T5_mT6_P12ihipStream_tbENKUlT_T0_E_clISt17integral_constantIbLb0EESY_IbLb1EEEEDaSU_SV_EUlSU_E0_NS1_11comp_targetILNS1_3genE2ELNS1_11target_archE906ELNS1_3gpuE6ELNS1_3repE0EEENS1_30default_config_static_selectorELNS0_4arch9wavefront6targetE1EEEvT1_
		.amdhsa_group_segment_fixed_size 15360
		.amdhsa_private_segment_fixed_size 0
		.amdhsa_kernarg_size 48
		.amdhsa_user_sgpr_count 6
		.amdhsa_user_sgpr_private_segment_buffer 1
		.amdhsa_user_sgpr_dispatch_ptr 0
		.amdhsa_user_sgpr_queue_ptr 0
		.amdhsa_user_sgpr_kernarg_segment_ptr 1
		.amdhsa_user_sgpr_dispatch_id 0
		.amdhsa_user_sgpr_flat_scratch_init 0
		.amdhsa_user_sgpr_private_segment_size 0
		.amdhsa_uses_dynamic_stack 0
		.amdhsa_system_sgpr_private_segment_wavefront_offset 0
		.amdhsa_system_sgpr_workgroup_id_x 1
		.amdhsa_system_sgpr_workgroup_id_y 0
		.amdhsa_system_sgpr_workgroup_id_z 0
		.amdhsa_system_sgpr_workgroup_info 0
		.amdhsa_system_vgpr_workitem_id 0
		.amdhsa_next_free_vgpr 167
		.amdhsa_next_free_sgpr 98
		.amdhsa_reserve_vcc 1
		.amdhsa_reserve_flat_scratch 0
		.amdhsa_float_round_mode_32 0
		.amdhsa_float_round_mode_16_64 0
		.amdhsa_float_denorm_mode_32 3
		.amdhsa_float_denorm_mode_16_64 3
		.amdhsa_dx10_clamp 1
		.amdhsa_ieee_mode 1
		.amdhsa_fp16_overflow 0
		.amdhsa_exception_fp_ieee_invalid_op 0
		.amdhsa_exception_fp_denorm_src 0
		.amdhsa_exception_fp_ieee_div_zero 0
		.amdhsa_exception_fp_ieee_overflow 0
		.amdhsa_exception_fp_ieee_underflow 0
		.amdhsa_exception_fp_ieee_inexact 0
		.amdhsa_exception_int_div_zero 0
	.end_amdhsa_kernel
	.section	.text._ZN7rocprim17ROCPRIM_400000_NS6detail17trampoline_kernelINS0_14default_configENS1_20scan_config_selectorIN3c107complexIdEEEEZZNS1_9scan_implILNS1_25lookback_scan_determinismE0ELb0ELb0ES3_PKS7_PS7_S7_ZZZN2at6native31launch_logcumsumexp_cuda_kernelERKNSE_10TensorBaseESI_lENKUlvE_clEvENKUlvE1_clEvEUlS7_S7_E_S7_EEDaPvRmT3_T4_T5_mT6_P12ihipStream_tbENKUlT_T0_E_clISt17integral_constantIbLb0EESY_IbLb1EEEEDaSU_SV_EUlSU_E0_NS1_11comp_targetILNS1_3genE2ELNS1_11target_archE906ELNS1_3gpuE6ELNS1_3repE0EEENS1_30default_config_static_selectorELNS0_4arch9wavefront6targetE1EEEvT1_,"axG",@progbits,_ZN7rocprim17ROCPRIM_400000_NS6detail17trampoline_kernelINS0_14default_configENS1_20scan_config_selectorIN3c107complexIdEEEEZZNS1_9scan_implILNS1_25lookback_scan_determinismE0ELb0ELb0ES3_PKS7_PS7_S7_ZZZN2at6native31launch_logcumsumexp_cuda_kernelERKNSE_10TensorBaseESI_lENKUlvE_clEvENKUlvE1_clEvEUlS7_S7_E_S7_EEDaPvRmT3_T4_T5_mT6_P12ihipStream_tbENKUlT_T0_E_clISt17integral_constantIbLb0EESY_IbLb1EEEEDaSU_SV_EUlSU_E0_NS1_11comp_targetILNS1_3genE2ELNS1_11target_archE906ELNS1_3gpuE6ELNS1_3repE0EEENS1_30default_config_static_selectorELNS0_4arch9wavefront6targetE1EEEvT1_,comdat
.Lfunc_end254:
	.size	_ZN7rocprim17ROCPRIM_400000_NS6detail17trampoline_kernelINS0_14default_configENS1_20scan_config_selectorIN3c107complexIdEEEEZZNS1_9scan_implILNS1_25lookback_scan_determinismE0ELb0ELb0ES3_PKS7_PS7_S7_ZZZN2at6native31launch_logcumsumexp_cuda_kernelERKNSE_10TensorBaseESI_lENKUlvE_clEvENKUlvE1_clEvEUlS7_S7_E_S7_EEDaPvRmT3_T4_T5_mT6_P12ihipStream_tbENKUlT_T0_E_clISt17integral_constantIbLb0EESY_IbLb1EEEEDaSU_SV_EUlSU_E0_NS1_11comp_targetILNS1_3genE2ELNS1_11target_archE906ELNS1_3gpuE6ELNS1_3repE0EEENS1_30default_config_static_selectorELNS0_4arch9wavefront6targetE1EEEvT1_, .Lfunc_end254-_ZN7rocprim17ROCPRIM_400000_NS6detail17trampoline_kernelINS0_14default_configENS1_20scan_config_selectorIN3c107complexIdEEEEZZNS1_9scan_implILNS1_25lookback_scan_determinismE0ELb0ELb0ES3_PKS7_PS7_S7_ZZZN2at6native31launch_logcumsumexp_cuda_kernelERKNSE_10TensorBaseESI_lENKUlvE_clEvENKUlvE1_clEvEUlS7_S7_E_S7_EEDaPvRmT3_T4_T5_mT6_P12ihipStream_tbENKUlT_T0_E_clISt17integral_constantIbLb0EESY_IbLb1EEEEDaSU_SV_EUlSU_E0_NS1_11comp_targetILNS1_3genE2ELNS1_11target_archE906ELNS1_3gpuE6ELNS1_3repE0EEENS1_30default_config_static_selectorELNS0_4arch9wavefront6targetE1EEEvT1_
                                        ; -- End function
	.set _ZN7rocprim17ROCPRIM_400000_NS6detail17trampoline_kernelINS0_14default_configENS1_20scan_config_selectorIN3c107complexIdEEEEZZNS1_9scan_implILNS1_25lookback_scan_determinismE0ELb0ELb0ES3_PKS7_PS7_S7_ZZZN2at6native31launch_logcumsumexp_cuda_kernelERKNSE_10TensorBaseESI_lENKUlvE_clEvENKUlvE1_clEvEUlS7_S7_E_S7_EEDaPvRmT3_T4_T5_mT6_P12ihipStream_tbENKUlT_T0_E_clISt17integral_constantIbLb0EESY_IbLb1EEEEDaSU_SV_EUlSU_E0_NS1_11comp_targetILNS1_3genE2ELNS1_11target_archE906ELNS1_3gpuE6ELNS1_3repE0EEENS1_30default_config_static_selectorELNS0_4arch9wavefront6targetE1EEEvT1_.num_vgpr, max(167, .L_ZZZZN2at6native31launch_logcumsumexp_cuda_kernelERKNS_10TensorBaseES3_lENKUlvE_clEvENKUlvE1_clEvENKUlN3c107complexIdEES8_E_clES8_S8_.num_vgpr)
	.set _ZN7rocprim17ROCPRIM_400000_NS6detail17trampoline_kernelINS0_14default_configENS1_20scan_config_selectorIN3c107complexIdEEEEZZNS1_9scan_implILNS1_25lookback_scan_determinismE0ELb0ELb0ES3_PKS7_PS7_S7_ZZZN2at6native31launch_logcumsumexp_cuda_kernelERKNSE_10TensorBaseESI_lENKUlvE_clEvENKUlvE1_clEvEUlS7_S7_E_S7_EEDaPvRmT3_T4_T5_mT6_P12ihipStream_tbENKUlT_T0_E_clISt17integral_constantIbLb0EESY_IbLb1EEEEDaSU_SV_EUlSU_E0_NS1_11comp_targetILNS1_3genE2ELNS1_11target_archE906ELNS1_3gpuE6ELNS1_3repE0EEENS1_30default_config_static_selectorELNS0_4arch9wavefront6targetE1EEEvT1_.num_agpr, max(0, .L_ZZZZN2at6native31launch_logcumsumexp_cuda_kernelERKNS_10TensorBaseES3_lENKUlvE_clEvENKUlvE1_clEvENKUlN3c107complexIdEES8_E_clES8_S8_.num_agpr)
	.set _ZN7rocprim17ROCPRIM_400000_NS6detail17trampoline_kernelINS0_14default_configENS1_20scan_config_selectorIN3c107complexIdEEEEZZNS1_9scan_implILNS1_25lookback_scan_determinismE0ELb0ELb0ES3_PKS7_PS7_S7_ZZZN2at6native31launch_logcumsumexp_cuda_kernelERKNSE_10TensorBaseESI_lENKUlvE_clEvENKUlvE1_clEvEUlS7_S7_E_S7_EEDaPvRmT3_T4_T5_mT6_P12ihipStream_tbENKUlT_T0_E_clISt17integral_constantIbLb0EESY_IbLb1EEEEDaSU_SV_EUlSU_E0_NS1_11comp_targetILNS1_3genE2ELNS1_11target_archE906ELNS1_3gpuE6ELNS1_3repE0EEENS1_30default_config_static_selectorELNS0_4arch9wavefront6targetE1EEEvT1_.numbered_sgpr, max(72, .L_ZZZZN2at6native31launch_logcumsumexp_cuda_kernelERKNS_10TensorBaseES3_lENKUlvE_clEvENKUlvE1_clEvENKUlN3c107complexIdEES8_E_clES8_S8_.numbered_sgpr)
	.set _ZN7rocprim17ROCPRIM_400000_NS6detail17trampoline_kernelINS0_14default_configENS1_20scan_config_selectorIN3c107complexIdEEEEZZNS1_9scan_implILNS1_25lookback_scan_determinismE0ELb0ELb0ES3_PKS7_PS7_S7_ZZZN2at6native31launch_logcumsumexp_cuda_kernelERKNSE_10TensorBaseESI_lENKUlvE_clEvENKUlvE1_clEvEUlS7_S7_E_S7_EEDaPvRmT3_T4_T5_mT6_P12ihipStream_tbENKUlT_T0_E_clISt17integral_constantIbLb0EESY_IbLb1EEEEDaSU_SV_EUlSU_E0_NS1_11comp_targetILNS1_3genE2ELNS1_11target_archE906ELNS1_3gpuE6ELNS1_3repE0EEENS1_30default_config_static_selectorELNS0_4arch9wavefront6targetE1EEEvT1_.num_named_barrier, max(0, .L_ZZZZN2at6native31launch_logcumsumexp_cuda_kernelERKNS_10TensorBaseES3_lENKUlvE_clEvENKUlvE1_clEvENKUlN3c107complexIdEES8_E_clES8_S8_.num_named_barrier)
	.set _ZN7rocprim17ROCPRIM_400000_NS6detail17trampoline_kernelINS0_14default_configENS1_20scan_config_selectorIN3c107complexIdEEEEZZNS1_9scan_implILNS1_25lookback_scan_determinismE0ELb0ELb0ES3_PKS7_PS7_S7_ZZZN2at6native31launch_logcumsumexp_cuda_kernelERKNSE_10TensorBaseESI_lENKUlvE_clEvENKUlvE1_clEvEUlS7_S7_E_S7_EEDaPvRmT3_T4_T5_mT6_P12ihipStream_tbENKUlT_T0_E_clISt17integral_constantIbLb0EESY_IbLb1EEEEDaSU_SV_EUlSU_E0_NS1_11comp_targetILNS1_3genE2ELNS1_11target_archE906ELNS1_3gpuE6ELNS1_3repE0EEENS1_30default_config_static_selectorELNS0_4arch9wavefront6targetE1EEEvT1_.private_seg_size, 0+max(.L_ZZZZN2at6native31launch_logcumsumexp_cuda_kernelERKNS_10TensorBaseES3_lENKUlvE_clEvENKUlvE1_clEvENKUlN3c107complexIdEES8_E_clES8_S8_.private_seg_size)
	.set _ZN7rocprim17ROCPRIM_400000_NS6detail17trampoline_kernelINS0_14default_configENS1_20scan_config_selectorIN3c107complexIdEEEEZZNS1_9scan_implILNS1_25lookback_scan_determinismE0ELb0ELb0ES3_PKS7_PS7_S7_ZZZN2at6native31launch_logcumsumexp_cuda_kernelERKNSE_10TensorBaseESI_lENKUlvE_clEvENKUlvE1_clEvEUlS7_S7_E_S7_EEDaPvRmT3_T4_T5_mT6_P12ihipStream_tbENKUlT_T0_E_clISt17integral_constantIbLb0EESY_IbLb1EEEEDaSU_SV_EUlSU_E0_NS1_11comp_targetILNS1_3genE2ELNS1_11target_archE906ELNS1_3gpuE6ELNS1_3repE0EEENS1_30default_config_static_selectorELNS0_4arch9wavefront6targetE1EEEvT1_.uses_vcc, or(1, .L_ZZZZN2at6native31launch_logcumsumexp_cuda_kernelERKNS_10TensorBaseES3_lENKUlvE_clEvENKUlvE1_clEvENKUlN3c107complexIdEES8_E_clES8_S8_.uses_vcc)
	.set _ZN7rocprim17ROCPRIM_400000_NS6detail17trampoline_kernelINS0_14default_configENS1_20scan_config_selectorIN3c107complexIdEEEEZZNS1_9scan_implILNS1_25lookback_scan_determinismE0ELb0ELb0ES3_PKS7_PS7_S7_ZZZN2at6native31launch_logcumsumexp_cuda_kernelERKNSE_10TensorBaseESI_lENKUlvE_clEvENKUlvE1_clEvEUlS7_S7_E_S7_EEDaPvRmT3_T4_T5_mT6_P12ihipStream_tbENKUlT_T0_E_clISt17integral_constantIbLb0EESY_IbLb1EEEEDaSU_SV_EUlSU_E0_NS1_11comp_targetILNS1_3genE2ELNS1_11target_archE906ELNS1_3gpuE6ELNS1_3repE0EEENS1_30default_config_static_selectorELNS0_4arch9wavefront6targetE1EEEvT1_.uses_flat_scratch, or(0, .L_ZZZZN2at6native31launch_logcumsumexp_cuda_kernelERKNS_10TensorBaseES3_lENKUlvE_clEvENKUlvE1_clEvENKUlN3c107complexIdEES8_E_clES8_S8_.uses_flat_scratch)
	.set _ZN7rocprim17ROCPRIM_400000_NS6detail17trampoline_kernelINS0_14default_configENS1_20scan_config_selectorIN3c107complexIdEEEEZZNS1_9scan_implILNS1_25lookback_scan_determinismE0ELb0ELb0ES3_PKS7_PS7_S7_ZZZN2at6native31launch_logcumsumexp_cuda_kernelERKNSE_10TensorBaseESI_lENKUlvE_clEvENKUlvE1_clEvEUlS7_S7_E_S7_EEDaPvRmT3_T4_T5_mT6_P12ihipStream_tbENKUlT_T0_E_clISt17integral_constantIbLb0EESY_IbLb1EEEEDaSU_SV_EUlSU_E0_NS1_11comp_targetILNS1_3genE2ELNS1_11target_archE906ELNS1_3gpuE6ELNS1_3repE0EEENS1_30default_config_static_selectorELNS0_4arch9wavefront6targetE1EEEvT1_.has_dyn_sized_stack, or(0, .L_ZZZZN2at6native31launch_logcumsumexp_cuda_kernelERKNS_10TensorBaseES3_lENKUlvE_clEvENKUlvE1_clEvENKUlN3c107complexIdEES8_E_clES8_S8_.has_dyn_sized_stack)
	.set _ZN7rocprim17ROCPRIM_400000_NS6detail17trampoline_kernelINS0_14default_configENS1_20scan_config_selectorIN3c107complexIdEEEEZZNS1_9scan_implILNS1_25lookback_scan_determinismE0ELb0ELb0ES3_PKS7_PS7_S7_ZZZN2at6native31launch_logcumsumexp_cuda_kernelERKNSE_10TensorBaseESI_lENKUlvE_clEvENKUlvE1_clEvEUlS7_S7_E_S7_EEDaPvRmT3_T4_T5_mT6_P12ihipStream_tbENKUlT_T0_E_clISt17integral_constantIbLb0EESY_IbLb1EEEEDaSU_SV_EUlSU_E0_NS1_11comp_targetILNS1_3genE2ELNS1_11target_archE906ELNS1_3gpuE6ELNS1_3repE0EEENS1_30default_config_static_selectorELNS0_4arch9wavefront6targetE1EEEvT1_.has_recursion, or(0, .L_ZZZZN2at6native31launch_logcumsumexp_cuda_kernelERKNS_10TensorBaseES3_lENKUlvE_clEvENKUlvE1_clEvENKUlN3c107complexIdEES8_E_clES8_S8_.has_recursion)
	.set _ZN7rocprim17ROCPRIM_400000_NS6detail17trampoline_kernelINS0_14default_configENS1_20scan_config_selectorIN3c107complexIdEEEEZZNS1_9scan_implILNS1_25lookback_scan_determinismE0ELb0ELb0ES3_PKS7_PS7_S7_ZZZN2at6native31launch_logcumsumexp_cuda_kernelERKNSE_10TensorBaseESI_lENKUlvE_clEvENKUlvE1_clEvEUlS7_S7_E_S7_EEDaPvRmT3_T4_T5_mT6_P12ihipStream_tbENKUlT_T0_E_clISt17integral_constantIbLb0EESY_IbLb1EEEEDaSU_SV_EUlSU_E0_NS1_11comp_targetILNS1_3genE2ELNS1_11target_archE906ELNS1_3gpuE6ELNS1_3repE0EEENS1_30default_config_static_selectorELNS0_4arch9wavefront6targetE1EEEvT1_.has_indirect_call, or(0, .L_ZZZZN2at6native31launch_logcumsumexp_cuda_kernelERKNS_10TensorBaseES3_lENKUlvE_clEvENKUlvE1_clEvENKUlN3c107complexIdEES8_E_clES8_S8_.has_indirect_call)
	.section	.AMDGPU.csdata,"",@progbits
; Kernel info:
; codeLenInByte = 3960
; TotalNumSgprs: 76
; NumVgprs: 167
; ScratchSize: 0
; MemoryBound: 1
; FloatMode: 240
; IeeeMode: 1
; LDSByteSize: 15360 bytes/workgroup (compile time only)
; SGPRBlocks: 12
; VGPRBlocks: 41
; NumSGPRsForWavesPerEU: 102
; NumVGPRsForWavesPerEU: 167
; Occupancy: 1
; WaveLimiterHint : 0
; COMPUTE_PGM_RSRC2:SCRATCH_EN: 0
; COMPUTE_PGM_RSRC2:USER_SGPR: 6
; COMPUTE_PGM_RSRC2:TRAP_HANDLER: 0
; COMPUTE_PGM_RSRC2:TGID_X_EN: 1
; COMPUTE_PGM_RSRC2:TGID_Y_EN: 0
; COMPUTE_PGM_RSRC2:TGID_Z_EN: 0
; COMPUTE_PGM_RSRC2:TIDIG_COMP_CNT: 0
	.section	.text._ZN7rocprim17ROCPRIM_400000_NS6detail17trampoline_kernelINS0_14default_configENS1_20scan_config_selectorIN3c107complexIdEEEEZZNS1_9scan_implILNS1_25lookback_scan_determinismE0ELb0ELb0ES3_PKS7_PS7_S7_ZZZN2at6native31launch_logcumsumexp_cuda_kernelERKNSE_10TensorBaseESI_lENKUlvE_clEvENKUlvE1_clEvEUlS7_S7_E_S7_EEDaPvRmT3_T4_T5_mT6_P12ihipStream_tbENKUlT_T0_E_clISt17integral_constantIbLb0EESY_IbLb1EEEEDaSU_SV_EUlSU_E0_NS1_11comp_targetILNS1_3genE10ELNS1_11target_archE1201ELNS1_3gpuE5ELNS1_3repE0EEENS1_30default_config_static_selectorELNS0_4arch9wavefront6targetE1EEEvT1_,"axG",@progbits,_ZN7rocprim17ROCPRIM_400000_NS6detail17trampoline_kernelINS0_14default_configENS1_20scan_config_selectorIN3c107complexIdEEEEZZNS1_9scan_implILNS1_25lookback_scan_determinismE0ELb0ELb0ES3_PKS7_PS7_S7_ZZZN2at6native31launch_logcumsumexp_cuda_kernelERKNSE_10TensorBaseESI_lENKUlvE_clEvENKUlvE1_clEvEUlS7_S7_E_S7_EEDaPvRmT3_T4_T5_mT6_P12ihipStream_tbENKUlT_T0_E_clISt17integral_constantIbLb0EESY_IbLb1EEEEDaSU_SV_EUlSU_E0_NS1_11comp_targetILNS1_3genE10ELNS1_11target_archE1201ELNS1_3gpuE5ELNS1_3repE0EEENS1_30default_config_static_selectorELNS0_4arch9wavefront6targetE1EEEvT1_,comdat
	.globl	_ZN7rocprim17ROCPRIM_400000_NS6detail17trampoline_kernelINS0_14default_configENS1_20scan_config_selectorIN3c107complexIdEEEEZZNS1_9scan_implILNS1_25lookback_scan_determinismE0ELb0ELb0ES3_PKS7_PS7_S7_ZZZN2at6native31launch_logcumsumexp_cuda_kernelERKNSE_10TensorBaseESI_lENKUlvE_clEvENKUlvE1_clEvEUlS7_S7_E_S7_EEDaPvRmT3_T4_T5_mT6_P12ihipStream_tbENKUlT_T0_E_clISt17integral_constantIbLb0EESY_IbLb1EEEEDaSU_SV_EUlSU_E0_NS1_11comp_targetILNS1_3genE10ELNS1_11target_archE1201ELNS1_3gpuE5ELNS1_3repE0EEENS1_30default_config_static_selectorELNS0_4arch9wavefront6targetE1EEEvT1_ ; -- Begin function _ZN7rocprim17ROCPRIM_400000_NS6detail17trampoline_kernelINS0_14default_configENS1_20scan_config_selectorIN3c107complexIdEEEEZZNS1_9scan_implILNS1_25lookback_scan_determinismE0ELb0ELb0ES3_PKS7_PS7_S7_ZZZN2at6native31launch_logcumsumexp_cuda_kernelERKNSE_10TensorBaseESI_lENKUlvE_clEvENKUlvE1_clEvEUlS7_S7_E_S7_EEDaPvRmT3_T4_T5_mT6_P12ihipStream_tbENKUlT_T0_E_clISt17integral_constantIbLb0EESY_IbLb1EEEEDaSU_SV_EUlSU_E0_NS1_11comp_targetILNS1_3genE10ELNS1_11target_archE1201ELNS1_3gpuE5ELNS1_3repE0EEENS1_30default_config_static_selectorELNS0_4arch9wavefront6targetE1EEEvT1_
	.p2align	8
	.type	_ZN7rocprim17ROCPRIM_400000_NS6detail17trampoline_kernelINS0_14default_configENS1_20scan_config_selectorIN3c107complexIdEEEEZZNS1_9scan_implILNS1_25lookback_scan_determinismE0ELb0ELb0ES3_PKS7_PS7_S7_ZZZN2at6native31launch_logcumsumexp_cuda_kernelERKNSE_10TensorBaseESI_lENKUlvE_clEvENKUlvE1_clEvEUlS7_S7_E_S7_EEDaPvRmT3_T4_T5_mT6_P12ihipStream_tbENKUlT_T0_E_clISt17integral_constantIbLb0EESY_IbLb1EEEEDaSU_SV_EUlSU_E0_NS1_11comp_targetILNS1_3genE10ELNS1_11target_archE1201ELNS1_3gpuE5ELNS1_3repE0EEENS1_30default_config_static_selectorELNS0_4arch9wavefront6targetE1EEEvT1_,@function
_ZN7rocprim17ROCPRIM_400000_NS6detail17trampoline_kernelINS0_14default_configENS1_20scan_config_selectorIN3c107complexIdEEEEZZNS1_9scan_implILNS1_25lookback_scan_determinismE0ELb0ELb0ES3_PKS7_PS7_S7_ZZZN2at6native31launch_logcumsumexp_cuda_kernelERKNSE_10TensorBaseESI_lENKUlvE_clEvENKUlvE1_clEvEUlS7_S7_E_S7_EEDaPvRmT3_T4_T5_mT6_P12ihipStream_tbENKUlT_T0_E_clISt17integral_constantIbLb0EESY_IbLb1EEEEDaSU_SV_EUlSU_E0_NS1_11comp_targetILNS1_3genE10ELNS1_11target_archE1201ELNS1_3gpuE5ELNS1_3repE0EEENS1_30default_config_static_selectorELNS0_4arch9wavefront6targetE1EEEvT1_: ; @_ZN7rocprim17ROCPRIM_400000_NS6detail17trampoline_kernelINS0_14default_configENS1_20scan_config_selectorIN3c107complexIdEEEEZZNS1_9scan_implILNS1_25lookback_scan_determinismE0ELb0ELb0ES3_PKS7_PS7_S7_ZZZN2at6native31launch_logcumsumexp_cuda_kernelERKNSE_10TensorBaseESI_lENKUlvE_clEvENKUlvE1_clEvEUlS7_S7_E_S7_EEDaPvRmT3_T4_T5_mT6_P12ihipStream_tbENKUlT_T0_E_clISt17integral_constantIbLb0EESY_IbLb1EEEEDaSU_SV_EUlSU_E0_NS1_11comp_targetILNS1_3genE10ELNS1_11target_archE1201ELNS1_3gpuE5ELNS1_3repE0EEENS1_30default_config_static_selectorELNS0_4arch9wavefront6targetE1EEEvT1_
; %bb.0:
	.section	.rodata,"a",@progbits
	.p2align	6, 0x0
	.amdhsa_kernel _ZN7rocprim17ROCPRIM_400000_NS6detail17trampoline_kernelINS0_14default_configENS1_20scan_config_selectorIN3c107complexIdEEEEZZNS1_9scan_implILNS1_25lookback_scan_determinismE0ELb0ELb0ES3_PKS7_PS7_S7_ZZZN2at6native31launch_logcumsumexp_cuda_kernelERKNSE_10TensorBaseESI_lENKUlvE_clEvENKUlvE1_clEvEUlS7_S7_E_S7_EEDaPvRmT3_T4_T5_mT6_P12ihipStream_tbENKUlT_T0_E_clISt17integral_constantIbLb0EESY_IbLb1EEEEDaSU_SV_EUlSU_E0_NS1_11comp_targetILNS1_3genE10ELNS1_11target_archE1201ELNS1_3gpuE5ELNS1_3repE0EEENS1_30default_config_static_selectorELNS0_4arch9wavefront6targetE1EEEvT1_
		.amdhsa_group_segment_fixed_size 0
		.amdhsa_private_segment_fixed_size 0
		.amdhsa_kernarg_size 48
		.amdhsa_user_sgpr_count 6
		.amdhsa_user_sgpr_private_segment_buffer 1
		.amdhsa_user_sgpr_dispatch_ptr 0
		.amdhsa_user_sgpr_queue_ptr 0
		.amdhsa_user_sgpr_kernarg_segment_ptr 1
		.amdhsa_user_sgpr_dispatch_id 0
		.amdhsa_user_sgpr_flat_scratch_init 0
		.amdhsa_user_sgpr_private_segment_size 0
		.amdhsa_uses_dynamic_stack 0
		.amdhsa_system_sgpr_private_segment_wavefront_offset 0
		.amdhsa_system_sgpr_workgroup_id_x 1
		.amdhsa_system_sgpr_workgroup_id_y 0
		.amdhsa_system_sgpr_workgroup_id_z 0
		.amdhsa_system_sgpr_workgroup_info 0
		.amdhsa_system_vgpr_workitem_id 0
		.amdhsa_next_free_vgpr 1
		.amdhsa_next_free_sgpr 0
		.amdhsa_reserve_vcc 0
		.amdhsa_reserve_flat_scratch 0
		.amdhsa_float_round_mode_32 0
		.amdhsa_float_round_mode_16_64 0
		.amdhsa_float_denorm_mode_32 3
		.amdhsa_float_denorm_mode_16_64 3
		.amdhsa_dx10_clamp 1
		.amdhsa_ieee_mode 1
		.amdhsa_fp16_overflow 0
		.amdhsa_exception_fp_ieee_invalid_op 0
		.amdhsa_exception_fp_denorm_src 0
		.amdhsa_exception_fp_ieee_div_zero 0
		.amdhsa_exception_fp_ieee_overflow 0
		.amdhsa_exception_fp_ieee_underflow 0
		.amdhsa_exception_fp_ieee_inexact 0
		.amdhsa_exception_int_div_zero 0
	.end_amdhsa_kernel
	.section	.text._ZN7rocprim17ROCPRIM_400000_NS6detail17trampoline_kernelINS0_14default_configENS1_20scan_config_selectorIN3c107complexIdEEEEZZNS1_9scan_implILNS1_25lookback_scan_determinismE0ELb0ELb0ES3_PKS7_PS7_S7_ZZZN2at6native31launch_logcumsumexp_cuda_kernelERKNSE_10TensorBaseESI_lENKUlvE_clEvENKUlvE1_clEvEUlS7_S7_E_S7_EEDaPvRmT3_T4_T5_mT6_P12ihipStream_tbENKUlT_T0_E_clISt17integral_constantIbLb0EESY_IbLb1EEEEDaSU_SV_EUlSU_E0_NS1_11comp_targetILNS1_3genE10ELNS1_11target_archE1201ELNS1_3gpuE5ELNS1_3repE0EEENS1_30default_config_static_selectorELNS0_4arch9wavefront6targetE1EEEvT1_,"axG",@progbits,_ZN7rocprim17ROCPRIM_400000_NS6detail17trampoline_kernelINS0_14default_configENS1_20scan_config_selectorIN3c107complexIdEEEEZZNS1_9scan_implILNS1_25lookback_scan_determinismE0ELb0ELb0ES3_PKS7_PS7_S7_ZZZN2at6native31launch_logcumsumexp_cuda_kernelERKNSE_10TensorBaseESI_lENKUlvE_clEvENKUlvE1_clEvEUlS7_S7_E_S7_EEDaPvRmT3_T4_T5_mT6_P12ihipStream_tbENKUlT_T0_E_clISt17integral_constantIbLb0EESY_IbLb1EEEEDaSU_SV_EUlSU_E0_NS1_11comp_targetILNS1_3genE10ELNS1_11target_archE1201ELNS1_3gpuE5ELNS1_3repE0EEENS1_30default_config_static_selectorELNS0_4arch9wavefront6targetE1EEEvT1_,comdat
.Lfunc_end255:
	.size	_ZN7rocprim17ROCPRIM_400000_NS6detail17trampoline_kernelINS0_14default_configENS1_20scan_config_selectorIN3c107complexIdEEEEZZNS1_9scan_implILNS1_25lookback_scan_determinismE0ELb0ELb0ES3_PKS7_PS7_S7_ZZZN2at6native31launch_logcumsumexp_cuda_kernelERKNSE_10TensorBaseESI_lENKUlvE_clEvENKUlvE1_clEvEUlS7_S7_E_S7_EEDaPvRmT3_T4_T5_mT6_P12ihipStream_tbENKUlT_T0_E_clISt17integral_constantIbLb0EESY_IbLb1EEEEDaSU_SV_EUlSU_E0_NS1_11comp_targetILNS1_3genE10ELNS1_11target_archE1201ELNS1_3gpuE5ELNS1_3repE0EEENS1_30default_config_static_selectorELNS0_4arch9wavefront6targetE1EEEvT1_, .Lfunc_end255-_ZN7rocprim17ROCPRIM_400000_NS6detail17trampoline_kernelINS0_14default_configENS1_20scan_config_selectorIN3c107complexIdEEEEZZNS1_9scan_implILNS1_25lookback_scan_determinismE0ELb0ELb0ES3_PKS7_PS7_S7_ZZZN2at6native31launch_logcumsumexp_cuda_kernelERKNSE_10TensorBaseESI_lENKUlvE_clEvENKUlvE1_clEvEUlS7_S7_E_S7_EEDaPvRmT3_T4_T5_mT6_P12ihipStream_tbENKUlT_T0_E_clISt17integral_constantIbLb0EESY_IbLb1EEEEDaSU_SV_EUlSU_E0_NS1_11comp_targetILNS1_3genE10ELNS1_11target_archE1201ELNS1_3gpuE5ELNS1_3repE0EEENS1_30default_config_static_selectorELNS0_4arch9wavefront6targetE1EEEvT1_
                                        ; -- End function
	.set _ZN7rocprim17ROCPRIM_400000_NS6detail17trampoline_kernelINS0_14default_configENS1_20scan_config_selectorIN3c107complexIdEEEEZZNS1_9scan_implILNS1_25lookback_scan_determinismE0ELb0ELb0ES3_PKS7_PS7_S7_ZZZN2at6native31launch_logcumsumexp_cuda_kernelERKNSE_10TensorBaseESI_lENKUlvE_clEvENKUlvE1_clEvEUlS7_S7_E_S7_EEDaPvRmT3_T4_T5_mT6_P12ihipStream_tbENKUlT_T0_E_clISt17integral_constantIbLb0EESY_IbLb1EEEEDaSU_SV_EUlSU_E0_NS1_11comp_targetILNS1_3genE10ELNS1_11target_archE1201ELNS1_3gpuE5ELNS1_3repE0EEENS1_30default_config_static_selectorELNS0_4arch9wavefront6targetE1EEEvT1_.num_vgpr, 0
	.set _ZN7rocprim17ROCPRIM_400000_NS6detail17trampoline_kernelINS0_14default_configENS1_20scan_config_selectorIN3c107complexIdEEEEZZNS1_9scan_implILNS1_25lookback_scan_determinismE0ELb0ELb0ES3_PKS7_PS7_S7_ZZZN2at6native31launch_logcumsumexp_cuda_kernelERKNSE_10TensorBaseESI_lENKUlvE_clEvENKUlvE1_clEvEUlS7_S7_E_S7_EEDaPvRmT3_T4_T5_mT6_P12ihipStream_tbENKUlT_T0_E_clISt17integral_constantIbLb0EESY_IbLb1EEEEDaSU_SV_EUlSU_E0_NS1_11comp_targetILNS1_3genE10ELNS1_11target_archE1201ELNS1_3gpuE5ELNS1_3repE0EEENS1_30default_config_static_selectorELNS0_4arch9wavefront6targetE1EEEvT1_.num_agpr, 0
	.set _ZN7rocprim17ROCPRIM_400000_NS6detail17trampoline_kernelINS0_14default_configENS1_20scan_config_selectorIN3c107complexIdEEEEZZNS1_9scan_implILNS1_25lookback_scan_determinismE0ELb0ELb0ES3_PKS7_PS7_S7_ZZZN2at6native31launch_logcumsumexp_cuda_kernelERKNSE_10TensorBaseESI_lENKUlvE_clEvENKUlvE1_clEvEUlS7_S7_E_S7_EEDaPvRmT3_T4_T5_mT6_P12ihipStream_tbENKUlT_T0_E_clISt17integral_constantIbLb0EESY_IbLb1EEEEDaSU_SV_EUlSU_E0_NS1_11comp_targetILNS1_3genE10ELNS1_11target_archE1201ELNS1_3gpuE5ELNS1_3repE0EEENS1_30default_config_static_selectorELNS0_4arch9wavefront6targetE1EEEvT1_.numbered_sgpr, 0
	.set _ZN7rocprim17ROCPRIM_400000_NS6detail17trampoline_kernelINS0_14default_configENS1_20scan_config_selectorIN3c107complexIdEEEEZZNS1_9scan_implILNS1_25lookback_scan_determinismE0ELb0ELb0ES3_PKS7_PS7_S7_ZZZN2at6native31launch_logcumsumexp_cuda_kernelERKNSE_10TensorBaseESI_lENKUlvE_clEvENKUlvE1_clEvEUlS7_S7_E_S7_EEDaPvRmT3_T4_T5_mT6_P12ihipStream_tbENKUlT_T0_E_clISt17integral_constantIbLb0EESY_IbLb1EEEEDaSU_SV_EUlSU_E0_NS1_11comp_targetILNS1_3genE10ELNS1_11target_archE1201ELNS1_3gpuE5ELNS1_3repE0EEENS1_30default_config_static_selectorELNS0_4arch9wavefront6targetE1EEEvT1_.num_named_barrier, 0
	.set _ZN7rocprim17ROCPRIM_400000_NS6detail17trampoline_kernelINS0_14default_configENS1_20scan_config_selectorIN3c107complexIdEEEEZZNS1_9scan_implILNS1_25lookback_scan_determinismE0ELb0ELb0ES3_PKS7_PS7_S7_ZZZN2at6native31launch_logcumsumexp_cuda_kernelERKNSE_10TensorBaseESI_lENKUlvE_clEvENKUlvE1_clEvEUlS7_S7_E_S7_EEDaPvRmT3_T4_T5_mT6_P12ihipStream_tbENKUlT_T0_E_clISt17integral_constantIbLb0EESY_IbLb1EEEEDaSU_SV_EUlSU_E0_NS1_11comp_targetILNS1_3genE10ELNS1_11target_archE1201ELNS1_3gpuE5ELNS1_3repE0EEENS1_30default_config_static_selectorELNS0_4arch9wavefront6targetE1EEEvT1_.private_seg_size, 0
	.set _ZN7rocprim17ROCPRIM_400000_NS6detail17trampoline_kernelINS0_14default_configENS1_20scan_config_selectorIN3c107complexIdEEEEZZNS1_9scan_implILNS1_25lookback_scan_determinismE0ELb0ELb0ES3_PKS7_PS7_S7_ZZZN2at6native31launch_logcumsumexp_cuda_kernelERKNSE_10TensorBaseESI_lENKUlvE_clEvENKUlvE1_clEvEUlS7_S7_E_S7_EEDaPvRmT3_T4_T5_mT6_P12ihipStream_tbENKUlT_T0_E_clISt17integral_constantIbLb0EESY_IbLb1EEEEDaSU_SV_EUlSU_E0_NS1_11comp_targetILNS1_3genE10ELNS1_11target_archE1201ELNS1_3gpuE5ELNS1_3repE0EEENS1_30default_config_static_selectorELNS0_4arch9wavefront6targetE1EEEvT1_.uses_vcc, 0
	.set _ZN7rocprim17ROCPRIM_400000_NS6detail17trampoline_kernelINS0_14default_configENS1_20scan_config_selectorIN3c107complexIdEEEEZZNS1_9scan_implILNS1_25lookback_scan_determinismE0ELb0ELb0ES3_PKS7_PS7_S7_ZZZN2at6native31launch_logcumsumexp_cuda_kernelERKNSE_10TensorBaseESI_lENKUlvE_clEvENKUlvE1_clEvEUlS7_S7_E_S7_EEDaPvRmT3_T4_T5_mT6_P12ihipStream_tbENKUlT_T0_E_clISt17integral_constantIbLb0EESY_IbLb1EEEEDaSU_SV_EUlSU_E0_NS1_11comp_targetILNS1_3genE10ELNS1_11target_archE1201ELNS1_3gpuE5ELNS1_3repE0EEENS1_30default_config_static_selectorELNS0_4arch9wavefront6targetE1EEEvT1_.uses_flat_scratch, 0
	.set _ZN7rocprim17ROCPRIM_400000_NS6detail17trampoline_kernelINS0_14default_configENS1_20scan_config_selectorIN3c107complexIdEEEEZZNS1_9scan_implILNS1_25lookback_scan_determinismE0ELb0ELb0ES3_PKS7_PS7_S7_ZZZN2at6native31launch_logcumsumexp_cuda_kernelERKNSE_10TensorBaseESI_lENKUlvE_clEvENKUlvE1_clEvEUlS7_S7_E_S7_EEDaPvRmT3_T4_T5_mT6_P12ihipStream_tbENKUlT_T0_E_clISt17integral_constantIbLb0EESY_IbLb1EEEEDaSU_SV_EUlSU_E0_NS1_11comp_targetILNS1_3genE10ELNS1_11target_archE1201ELNS1_3gpuE5ELNS1_3repE0EEENS1_30default_config_static_selectorELNS0_4arch9wavefront6targetE1EEEvT1_.has_dyn_sized_stack, 0
	.set _ZN7rocprim17ROCPRIM_400000_NS6detail17trampoline_kernelINS0_14default_configENS1_20scan_config_selectorIN3c107complexIdEEEEZZNS1_9scan_implILNS1_25lookback_scan_determinismE0ELb0ELb0ES3_PKS7_PS7_S7_ZZZN2at6native31launch_logcumsumexp_cuda_kernelERKNSE_10TensorBaseESI_lENKUlvE_clEvENKUlvE1_clEvEUlS7_S7_E_S7_EEDaPvRmT3_T4_T5_mT6_P12ihipStream_tbENKUlT_T0_E_clISt17integral_constantIbLb0EESY_IbLb1EEEEDaSU_SV_EUlSU_E0_NS1_11comp_targetILNS1_3genE10ELNS1_11target_archE1201ELNS1_3gpuE5ELNS1_3repE0EEENS1_30default_config_static_selectorELNS0_4arch9wavefront6targetE1EEEvT1_.has_recursion, 0
	.set _ZN7rocprim17ROCPRIM_400000_NS6detail17trampoline_kernelINS0_14default_configENS1_20scan_config_selectorIN3c107complexIdEEEEZZNS1_9scan_implILNS1_25lookback_scan_determinismE0ELb0ELb0ES3_PKS7_PS7_S7_ZZZN2at6native31launch_logcumsumexp_cuda_kernelERKNSE_10TensorBaseESI_lENKUlvE_clEvENKUlvE1_clEvEUlS7_S7_E_S7_EEDaPvRmT3_T4_T5_mT6_P12ihipStream_tbENKUlT_T0_E_clISt17integral_constantIbLb0EESY_IbLb1EEEEDaSU_SV_EUlSU_E0_NS1_11comp_targetILNS1_3genE10ELNS1_11target_archE1201ELNS1_3gpuE5ELNS1_3repE0EEENS1_30default_config_static_selectorELNS0_4arch9wavefront6targetE1EEEvT1_.has_indirect_call, 0
	.section	.AMDGPU.csdata,"",@progbits
; Kernel info:
; codeLenInByte = 0
; TotalNumSgprs: 4
; NumVgprs: 0
; ScratchSize: 0
; MemoryBound: 0
; FloatMode: 240
; IeeeMode: 1
; LDSByteSize: 0 bytes/workgroup (compile time only)
; SGPRBlocks: 0
; VGPRBlocks: 0
; NumSGPRsForWavesPerEU: 4
; NumVGPRsForWavesPerEU: 1
; Occupancy: 10
; WaveLimiterHint : 0
; COMPUTE_PGM_RSRC2:SCRATCH_EN: 0
; COMPUTE_PGM_RSRC2:USER_SGPR: 6
; COMPUTE_PGM_RSRC2:TRAP_HANDLER: 0
; COMPUTE_PGM_RSRC2:TGID_X_EN: 1
; COMPUTE_PGM_RSRC2:TGID_Y_EN: 0
; COMPUTE_PGM_RSRC2:TGID_Z_EN: 0
; COMPUTE_PGM_RSRC2:TIDIG_COMP_CNT: 0
	.section	.text._ZN7rocprim17ROCPRIM_400000_NS6detail17trampoline_kernelINS0_14default_configENS1_20scan_config_selectorIN3c107complexIdEEEEZZNS1_9scan_implILNS1_25lookback_scan_determinismE0ELb0ELb0ES3_PKS7_PS7_S7_ZZZN2at6native31launch_logcumsumexp_cuda_kernelERKNSE_10TensorBaseESI_lENKUlvE_clEvENKUlvE1_clEvEUlS7_S7_E_S7_EEDaPvRmT3_T4_T5_mT6_P12ihipStream_tbENKUlT_T0_E_clISt17integral_constantIbLb0EESY_IbLb1EEEEDaSU_SV_EUlSU_E0_NS1_11comp_targetILNS1_3genE10ELNS1_11target_archE1200ELNS1_3gpuE4ELNS1_3repE0EEENS1_30default_config_static_selectorELNS0_4arch9wavefront6targetE1EEEvT1_,"axG",@progbits,_ZN7rocprim17ROCPRIM_400000_NS6detail17trampoline_kernelINS0_14default_configENS1_20scan_config_selectorIN3c107complexIdEEEEZZNS1_9scan_implILNS1_25lookback_scan_determinismE0ELb0ELb0ES3_PKS7_PS7_S7_ZZZN2at6native31launch_logcumsumexp_cuda_kernelERKNSE_10TensorBaseESI_lENKUlvE_clEvENKUlvE1_clEvEUlS7_S7_E_S7_EEDaPvRmT3_T4_T5_mT6_P12ihipStream_tbENKUlT_T0_E_clISt17integral_constantIbLb0EESY_IbLb1EEEEDaSU_SV_EUlSU_E0_NS1_11comp_targetILNS1_3genE10ELNS1_11target_archE1200ELNS1_3gpuE4ELNS1_3repE0EEENS1_30default_config_static_selectorELNS0_4arch9wavefront6targetE1EEEvT1_,comdat
	.globl	_ZN7rocprim17ROCPRIM_400000_NS6detail17trampoline_kernelINS0_14default_configENS1_20scan_config_selectorIN3c107complexIdEEEEZZNS1_9scan_implILNS1_25lookback_scan_determinismE0ELb0ELb0ES3_PKS7_PS7_S7_ZZZN2at6native31launch_logcumsumexp_cuda_kernelERKNSE_10TensorBaseESI_lENKUlvE_clEvENKUlvE1_clEvEUlS7_S7_E_S7_EEDaPvRmT3_T4_T5_mT6_P12ihipStream_tbENKUlT_T0_E_clISt17integral_constantIbLb0EESY_IbLb1EEEEDaSU_SV_EUlSU_E0_NS1_11comp_targetILNS1_3genE10ELNS1_11target_archE1200ELNS1_3gpuE4ELNS1_3repE0EEENS1_30default_config_static_selectorELNS0_4arch9wavefront6targetE1EEEvT1_ ; -- Begin function _ZN7rocprim17ROCPRIM_400000_NS6detail17trampoline_kernelINS0_14default_configENS1_20scan_config_selectorIN3c107complexIdEEEEZZNS1_9scan_implILNS1_25lookback_scan_determinismE0ELb0ELb0ES3_PKS7_PS7_S7_ZZZN2at6native31launch_logcumsumexp_cuda_kernelERKNSE_10TensorBaseESI_lENKUlvE_clEvENKUlvE1_clEvEUlS7_S7_E_S7_EEDaPvRmT3_T4_T5_mT6_P12ihipStream_tbENKUlT_T0_E_clISt17integral_constantIbLb0EESY_IbLb1EEEEDaSU_SV_EUlSU_E0_NS1_11comp_targetILNS1_3genE10ELNS1_11target_archE1200ELNS1_3gpuE4ELNS1_3repE0EEENS1_30default_config_static_selectorELNS0_4arch9wavefront6targetE1EEEvT1_
	.p2align	8
	.type	_ZN7rocprim17ROCPRIM_400000_NS6detail17trampoline_kernelINS0_14default_configENS1_20scan_config_selectorIN3c107complexIdEEEEZZNS1_9scan_implILNS1_25lookback_scan_determinismE0ELb0ELb0ES3_PKS7_PS7_S7_ZZZN2at6native31launch_logcumsumexp_cuda_kernelERKNSE_10TensorBaseESI_lENKUlvE_clEvENKUlvE1_clEvEUlS7_S7_E_S7_EEDaPvRmT3_T4_T5_mT6_P12ihipStream_tbENKUlT_T0_E_clISt17integral_constantIbLb0EESY_IbLb1EEEEDaSU_SV_EUlSU_E0_NS1_11comp_targetILNS1_3genE10ELNS1_11target_archE1200ELNS1_3gpuE4ELNS1_3repE0EEENS1_30default_config_static_selectorELNS0_4arch9wavefront6targetE1EEEvT1_,@function
_ZN7rocprim17ROCPRIM_400000_NS6detail17trampoline_kernelINS0_14default_configENS1_20scan_config_selectorIN3c107complexIdEEEEZZNS1_9scan_implILNS1_25lookback_scan_determinismE0ELb0ELb0ES3_PKS7_PS7_S7_ZZZN2at6native31launch_logcumsumexp_cuda_kernelERKNSE_10TensorBaseESI_lENKUlvE_clEvENKUlvE1_clEvEUlS7_S7_E_S7_EEDaPvRmT3_T4_T5_mT6_P12ihipStream_tbENKUlT_T0_E_clISt17integral_constantIbLb0EESY_IbLb1EEEEDaSU_SV_EUlSU_E0_NS1_11comp_targetILNS1_3genE10ELNS1_11target_archE1200ELNS1_3gpuE4ELNS1_3repE0EEENS1_30default_config_static_selectorELNS0_4arch9wavefront6targetE1EEEvT1_: ; @_ZN7rocprim17ROCPRIM_400000_NS6detail17trampoline_kernelINS0_14default_configENS1_20scan_config_selectorIN3c107complexIdEEEEZZNS1_9scan_implILNS1_25lookback_scan_determinismE0ELb0ELb0ES3_PKS7_PS7_S7_ZZZN2at6native31launch_logcumsumexp_cuda_kernelERKNSE_10TensorBaseESI_lENKUlvE_clEvENKUlvE1_clEvEUlS7_S7_E_S7_EEDaPvRmT3_T4_T5_mT6_P12ihipStream_tbENKUlT_T0_E_clISt17integral_constantIbLb0EESY_IbLb1EEEEDaSU_SV_EUlSU_E0_NS1_11comp_targetILNS1_3genE10ELNS1_11target_archE1200ELNS1_3gpuE4ELNS1_3repE0EEENS1_30default_config_static_selectorELNS0_4arch9wavefront6targetE1EEEvT1_
; %bb.0:
	.section	.rodata,"a",@progbits
	.p2align	6, 0x0
	.amdhsa_kernel _ZN7rocprim17ROCPRIM_400000_NS6detail17trampoline_kernelINS0_14default_configENS1_20scan_config_selectorIN3c107complexIdEEEEZZNS1_9scan_implILNS1_25lookback_scan_determinismE0ELb0ELb0ES3_PKS7_PS7_S7_ZZZN2at6native31launch_logcumsumexp_cuda_kernelERKNSE_10TensorBaseESI_lENKUlvE_clEvENKUlvE1_clEvEUlS7_S7_E_S7_EEDaPvRmT3_T4_T5_mT6_P12ihipStream_tbENKUlT_T0_E_clISt17integral_constantIbLb0EESY_IbLb1EEEEDaSU_SV_EUlSU_E0_NS1_11comp_targetILNS1_3genE10ELNS1_11target_archE1200ELNS1_3gpuE4ELNS1_3repE0EEENS1_30default_config_static_selectorELNS0_4arch9wavefront6targetE1EEEvT1_
		.amdhsa_group_segment_fixed_size 0
		.amdhsa_private_segment_fixed_size 0
		.amdhsa_kernarg_size 48
		.amdhsa_user_sgpr_count 6
		.amdhsa_user_sgpr_private_segment_buffer 1
		.amdhsa_user_sgpr_dispatch_ptr 0
		.amdhsa_user_sgpr_queue_ptr 0
		.amdhsa_user_sgpr_kernarg_segment_ptr 1
		.amdhsa_user_sgpr_dispatch_id 0
		.amdhsa_user_sgpr_flat_scratch_init 0
		.amdhsa_user_sgpr_private_segment_size 0
		.amdhsa_uses_dynamic_stack 0
		.amdhsa_system_sgpr_private_segment_wavefront_offset 0
		.amdhsa_system_sgpr_workgroup_id_x 1
		.amdhsa_system_sgpr_workgroup_id_y 0
		.amdhsa_system_sgpr_workgroup_id_z 0
		.amdhsa_system_sgpr_workgroup_info 0
		.amdhsa_system_vgpr_workitem_id 0
		.amdhsa_next_free_vgpr 1
		.amdhsa_next_free_sgpr 0
		.amdhsa_reserve_vcc 0
		.amdhsa_reserve_flat_scratch 0
		.amdhsa_float_round_mode_32 0
		.amdhsa_float_round_mode_16_64 0
		.amdhsa_float_denorm_mode_32 3
		.amdhsa_float_denorm_mode_16_64 3
		.amdhsa_dx10_clamp 1
		.amdhsa_ieee_mode 1
		.amdhsa_fp16_overflow 0
		.amdhsa_exception_fp_ieee_invalid_op 0
		.amdhsa_exception_fp_denorm_src 0
		.amdhsa_exception_fp_ieee_div_zero 0
		.amdhsa_exception_fp_ieee_overflow 0
		.amdhsa_exception_fp_ieee_underflow 0
		.amdhsa_exception_fp_ieee_inexact 0
		.amdhsa_exception_int_div_zero 0
	.end_amdhsa_kernel
	.section	.text._ZN7rocprim17ROCPRIM_400000_NS6detail17trampoline_kernelINS0_14default_configENS1_20scan_config_selectorIN3c107complexIdEEEEZZNS1_9scan_implILNS1_25lookback_scan_determinismE0ELb0ELb0ES3_PKS7_PS7_S7_ZZZN2at6native31launch_logcumsumexp_cuda_kernelERKNSE_10TensorBaseESI_lENKUlvE_clEvENKUlvE1_clEvEUlS7_S7_E_S7_EEDaPvRmT3_T4_T5_mT6_P12ihipStream_tbENKUlT_T0_E_clISt17integral_constantIbLb0EESY_IbLb1EEEEDaSU_SV_EUlSU_E0_NS1_11comp_targetILNS1_3genE10ELNS1_11target_archE1200ELNS1_3gpuE4ELNS1_3repE0EEENS1_30default_config_static_selectorELNS0_4arch9wavefront6targetE1EEEvT1_,"axG",@progbits,_ZN7rocprim17ROCPRIM_400000_NS6detail17trampoline_kernelINS0_14default_configENS1_20scan_config_selectorIN3c107complexIdEEEEZZNS1_9scan_implILNS1_25lookback_scan_determinismE0ELb0ELb0ES3_PKS7_PS7_S7_ZZZN2at6native31launch_logcumsumexp_cuda_kernelERKNSE_10TensorBaseESI_lENKUlvE_clEvENKUlvE1_clEvEUlS7_S7_E_S7_EEDaPvRmT3_T4_T5_mT6_P12ihipStream_tbENKUlT_T0_E_clISt17integral_constantIbLb0EESY_IbLb1EEEEDaSU_SV_EUlSU_E0_NS1_11comp_targetILNS1_3genE10ELNS1_11target_archE1200ELNS1_3gpuE4ELNS1_3repE0EEENS1_30default_config_static_selectorELNS0_4arch9wavefront6targetE1EEEvT1_,comdat
.Lfunc_end256:
	.size	_ZN7rocprim17ROCPRIM_400000_NS6detail17trampoline_kernelINS0_14default_configENS1_20scan_config_selectorIN3c107complexIdEEEEZZNS1_9scan_implILNS1_25lookback_scan_determinismE0ELb0ELb0ES3_PKS7_PS7_S7_ZZZN2at6native31launch_logcumsumexp_cuda_kernelERKNSE_10TensorBaseESI_lENKUlvE_clEvENKUlvE1_clEvEUlS7_S7_E_S7_EEDaPvRmT3_T4_T5_mT6_P12ihipStream_tbENKUlT_T0_E_clISt17integral_constantIbLb0EESY_IbLb1EEEEDaSU_SV_EUlSU_E0_NS1_11comp_targetILNS1_3genE10ELNS1_11target_archE1200ELNS1_3gpuE4ELNS1_3repE0EEENS1_30default_config_static_selectorELNS0_4arch9wavefront6targetE1EEEvT1_, .Lfunc_end256-_ZN7rocprim17ROCPRIM_400000_NS6detail17trampoline_kernelINS0_14default_configENS1_20scan_config_selectorIN3c107complexIdEEEEZZNS1_9scan_implILNS1_25lookback_scan_determinismE0ELb0ELb0ES3_PKS7_PS7_S7_ZZZN2at6native31launch_logcumsumexp_cuda_kernelERKNSE_10TensorBaseESI_lENKUlvE_clEvENKUlvE1_clEvEUlS7_S7_E_S7_EEDaPvRmT3_T4_T5_mT6_P12ihipStream_tbENKUlT_T0_E_clISt17integral_constantIbLb0EESY_IbLb1EEEEDaSU_SV_EUlSU_E0_NS1_11comp_targetILNS1_3genE10ELNS1_11target_archE1200ELNS1_3gpuE4ELNS1_3repE0EEENS1_30default_config_static_selectorELNS0_4arch9wavefront6targetE1EEEvT1_
                                        ; -- End function
	.set _ZN7rocprim17ROCPRIM_400000_NS6detail17trampoline_kernelINS0_14default_configENS1_20scan_config_selectorIN3c107complexIdEEEEZZNS1_9scan_implILNS1_25lookback_scan_determinismE0ELb0ELb0ES3_PKS7_PS7_S7_ZZZN2at6native31launch_logcumsumexp_cuda_kernelERKNSE_10TensorBaseESI_lENKUlvE_clEvENKUlvE1_clEvEUlS7_S7_E_S7_EEDaPvRmT3_T4_T5_mT6_P12ihipStream_tbENKUlT_T0_E_clISt17integral_constantIbLb0EESY_IbLb1EEEEDaSU_SV_EUlSU_E0_NS1_11comp_targetILNS1_3genE10ELNS1_11target_archE1200ELNS1_3gpuE4ELNS1_3repE0EEENS1_30default_config_static_selectorELNS0_4arch9wavefront6targetE1EEEvT1_.num_vgpr, 0
	.set _ZN7rocprim17ROCPRIM_400000_NS6detail17trampoline_kernelINS0_14default_configENS1_20scan_config_selectorIN3c107complexIdEEEEZZNS1_9scan_implILNS1_25lookback_scan_determinismE0ELb0ELb0ES3_PKS7_PS7_S7_ZZZN2at6native31launch_logcumsumexp_cuda_kernelERKNSE_10TensorBaseESI_lENKUlvE_clEvENKUlvE1_clEvEUlS7_S7_E_S7_EEDaPvRmT3_T4_T5_mT6_P12ihipStream_tbENKUlT_T0_E_clISt17integral_constantIbLb0EESY_IbLb1EEEEDaSU_SV_EUlSU_E0_NS1_11comp_targetILNS1_3genE10ELNS1_11target_archE1200ELNS1_3gpuE4ELNS1_3repE0EEENS1_30default_config_static_selectorELNS0_4arch9wavefront6targetE1EEEvT1_.num_agpr, 0
	.set _ZN7rocprim17ROCPRIM_400000_NS6detail17trampoline_kernelINS0_14default_configENS1_20scan_config_selectorIN3c107complexIdEEEEZZNS1_9scan_implILNS1_25lookback_scan_determinismE0ELb0ELb0ES3_PKS7_PS7_S7_ZZZN2at6native31launch_logcumsumexp_cuda_kernelERKNSE_10TensorBaseESI_lENKUlvE_clEvENKUlvE1_clEvEUlS7_S7_E_S7_EEDaPvRmT3_T4_T5_mT6_P12ihipStream_tbENKUlT_T0_E_clISt17integral_constantIbLb0EESY_IbLb1EEEEDaSU_SV_EUlSU_E0_NS1_11comp_targetILNS1_3genE10ELNS1_11target_archE1200ELNS1_3gpuE4ELNS1_3repE0EEENS1_30default_config_static_selectorELNS0_4arch9wavefront6targetE1EEEvT1_.numbered_sgpr, 0
	.set _ZN7rocprim17ROCPRIM_400000_NS6detail17trampoline_kernelINS0_14default_configENS1_20scan_config_selectorIN3c107complexIdEEEEZZNS1_9scan_implILNS1_25lookback_scan_determinismE0ELb0ELb0ES3_PKS7_PS7_S7_ZZZN2at6native31launch_logcumsumexp_cuda_kernelERKNSE_10TensorBaseESI_lENKUlvE_clEvENKUlvE1_clEvEUlS7_S7_E_S7_EEDaPvRmT3_T4_T5_mT6_P12ihipStream_tbENKUlT_T0_E_clISt17integral_constantIbLb0EESY_IbLb1EEEEDaSU_SV_EUlSU_E0_NS1_11comp_targetILNS1_3genE10ELNS1_11target_archE1200ELNS1_3gpuE4ELNS1_3repE0EEENS1_30default_config_static_selectorELNS0_4arch9wavefront6targetE1EEEvT1_.num_named_barrier, 0
	.set _ZN7rocprim17ROCPRIM_400000_NS6detail17trampoline_kernelINS0_14default_configENS1_20scan_config_selectorIN3c107complexIdEEEEZZNS1_9scan_implILNS1_25lookback_scan_determinismE0ELb0ELb0ES3_PKS7_PS7_S7_ZZZN2at6native31launch_logcumsumexp_cuda_kernelERKNSE_10TensorBaseESI_lENKUlvE_clEvENKUlvE1_clEvEUlS7_S7_E_S7_EEDaPvRmT3_T4_T5_mT6_P12ihipStream_tbENKUlT_T0_E_clISt17integral_constantIbLb0EESY_IbLb1EEEEDaSU_SV_EUlSU_E0_NS1_11comp_targetILNS1_3genE10ELNS1_11target_archE1200ELNS1_3gpuE4ELNS1_3repE0EEENS1_30default_config_static_selectorELNS0_4arch9wavefront6targetE1EEEvT1_.private_seg_size, 0
	.set _ZN7rocprim17ROCPRIM_400000_NS6detail17trampoline_kernelINS0_14default_configENS1_20scan_config_selectorIN3c107complexIdEEEEZZNS1_9scan_implILNS1_25lookback_scan_determinismE0ELb0ELb0ES3_PKS7_PS7_S7_ZZZN2at6native31launch_logcumsumexp_cuda_kernelERKNSE_10TensorBaseESI_lENKUlvE_clEvENKUlvE1_clEvEUlS7_S7_E_S7_EEDaPvRmT3_T4_T5_mT6_P12ihipStream_tbENKUlT_T0_E_clISt17integral_constantIbLb0EESY_IbLb1EEEEDaSU_SV_EUlSU_E0_NS1_11comp_targetILNS1_3genE10ELNS1_11target_archE1200ELNS1_3gpuE4ELNS1_3repE0EEENS1_30default_config_static_selectorELNS0_4arch9wavefront6targetE1EEEvT1_.uses_vcc, 0
	.set _ZN7rocprim17ROCPRIM_400000_NS6detail17trampoline_kernelINS0_14default_configENS1_20scan_config_selectorIN3c107complexIdEEEEZZNS1_9scan_implILNS1_25lookback_scan_determinismE0ELb0ELb0ES3_PKS7_PS7_S7_ZZZN2at6native31launch_logcumsumexp_cuda_kernelERKNSE_10TensorBaseESI_lENKUlvE_clEvENKUlvE1_clEvEUlS7_S7_E_S7_EEDaPvRmT3_T4_T5_mT6_P12ihipStream_tbENKUlT_T0_E_clISt17integral_constantIbLb0EESY_IbLb1EEEEDaSU_SV_EUlSU_E0_NS1_11comp_targetILNS1_3genE10ELNS1_11target_archE1200ELNS1_3gpuE4ELNS1_3repE0EEENS1_30default_config_static_selectorELNS0_4arch9wavefront6targetE1EEEvT1_.uses_flat_scratch, 0
	.set _ZN7rocprim17ROCPRIM_400000_NS6detail17trampoline_kernelINS0_14default_configENS1_20scan_config_selectorIN3c107complexIdEEEEZZNS1_9scan_implILNS1_25lookback_scan_determinismE0ELb0ELb0ES3_PKS7_PS7_S7_ZZZN2at6native31launch_logcumsumexp_cuda_kernelERKNSE_10TensorBaseESI_lENKUlvE_clEvENKUlvE1_clEvEUlS7_S7_E_S7_EEDaPvRmT3_T4_T5_mT6_P12ihipStream_tbENKUlT_T0_E_clISt17integral_constantIbLb0EESY_IbLb1EEEEDaSU_SV_EUlSU_E0_NS1_11comp_targetILNS1_3genE10ELNS1_11target_archE1200ELNS1_3gpuE4ELNS1_3repE0EEENS1_30default_config_static_selectorELNS0_4arch9wavefront6targetE1EEEvT1_.has_dyn_sized_stack, 0
	.set _ZN7rocprim17ROCPRIM_400000_NS6detail17trampoline_kernelINS0_14default_configENS1_20scan_config_selectorIN3c107complexIdEEEEZZNS1_9scan_implILNS1_25lookback_scan_determinismE0ELb0ELb0ES3_PKS7_PS7_S7_ZZZN2at6native31launch_logcumsumexp_cuda_kernelERKNSE_10TensorBaseESI_lENKUlvE_clEvENKUlvE1_clEvEUlS7_S7_E_S7_EEDaPvRmT3_T4_T5_mT6_P12ihipStream_tbENKUlT_T0_E_clISt17integral_constantIbLb0EESY_IbLb1EEEEDaSU_SV_EUlSU_E0_NS1_11comp_targetILNS1_3genE10ELNS1_11target_archE1200ELNS1_3gpuE4ELNS1_3repE0EEENS1_30default_config_static_selectorELNS0_4arch9wavefront6targetE1EEEvT1_.has_recursion, 0
	.set _ZN7rocprim17ROCPRIM_400000_NS6detail17trampoline_kernelINS0_14default_configENS1_20scan_config_selectorIN3c107complexIdEEEEZZNS1_9scan_implILNS1_25lookback_scan_determinismE0ELb0ELb0ES3_PKS7_PS7_S7_ZZZN2at6native31launch_logcumsumexp_cuda_kernelERKNSE_10TensorBaseESI_lENKUlvE_clEvENKUlvE1_clEvEUlS7_S7_E_S7_EEDaPvRmT3_T4_T5_mT6_P12ihipStream_tbENKUlT_T0_E_clISt17integral_constantIbLb0EESY_IbLb1EEEEDaSU_SV_EUlSU_E0_NS1_11comp_targetILNS1_3genE10ELNS1_11target_archE1200ELNS1_3gpuE4ELNS1_3repE0EEENS1_30default_config_static_selectorELNS0_4arch9wavefront6targetE1EEEvT1_.has_indirect_call, 0
	.section	.AMDGPU.csdata,"",@progbits
; Kernel info:
; codeLenInByte = 0
; TotalNumSgprs: 4
; NumVgprs: 0
; ScratchSize: 0
; MemoryBound: 0
; FloatMode: 240
; IeeeMode: 1
; LDSByteSize: 0 bytes/workgroup (compile time only)
; SGPRBlocks: 0
; VGPRBlocks: 0
; NumSGPRsForWavesPerEU: 4
; NumVGPRsForWavesPerEU: 1
; Occupancy: 10
; WaveLimiterHint : 0
; COMPUTE_PGM_RSRC2:SCRATCH_EN: 0
; COMPUTE_PGM_RSRC2:USER_SGPR: 6
; COMPUTE_PGM_RSRC2:TRAP_HANDLER: 0
; COMPUTE_PGM_RSRC2:TGID_X_EN: 1
; COMPUTE_PGM_RSRC2:TGID_Y_EN: 0
; COMPUTE_PGM_RSRC2:TGID_Z_EN: 0
; COMPUTE_PGM_RSRC2:TIDIG_COMP_CNT: 0
	.section	.text._ZN7rocprim17ROCPRIM_400000_NS6detail17trampoline_kernelINS0_14default_configENS1_20scan_config_selectorIN3c107complexIdEEEEZZNS1_9scan_implILNS1_25lookback_scan_determinismE0ELb0ELb0ES3_PKS7_PS7_S7_ZZZN2at6native31launch_logcumsumexp_cuda_kernelERKNSE_10TensorBaseESI_lENKUlvE_clEvENKUlvE1_clEvEUlS7_S7_E_S7_EEDaPvRmT3_T4_T5_mT6_P12ihipStream_tbENKUlT_T0_E_clISt17integral_constantIbLb0EESY_IbLb1EEEEDaSU_SV_EUlSU_E0_NS1_11comp_targetILNS1_3genE9ELNS1_11target_archE1100ELNS1_3gpuE3ELNS1_3repE0EEENS1_30default_config_static_selectorELNS0_4arch9wavefront6targetE1EEEvT1_,"axG",@progbits,_ZN7rocprim17ROCPRIM_400000_NS6detail17trampoline_kernelINS0_14default_configENS1_20scan_config_selectorIN3c107complexIdEEEEZZNS1_9scan_implILNS1_25lookback_scan_determinismE0ELb0ELb0ES3_PKS7_PS7_S7_ZZZN2at6native31launch_logcumsumexp_cuda_kernelERKNSE_10TensorBaseESI_lENKUlvE_clEvENKUlvE1_clEvEUlS7_S7_E_S7_EEDaPvRmT3_T4_T5_mT6_P12ihipStream_tbENKUlT_T0_E_clISt17integral_constantIbLb0EESY_IbLb1EEEEDaSU_SV_EUlSU_E0_NS1_11comp_targetILNS1_3genE9ELNS1_11target_archE1100ELNS1_3gpuE3ELNS1_3repE0EEENS1_30default_config_static_selectorELNS0_4arch9wavefront6targetE1EEEvT1_,comdat
	.globl	_ZN7rocprim17ROCPRIM_400000_NS6detail17trampoline_kernelINS0_14default_configENS1_20scan_config_selectorIN3c107complexIdEEEEZZNS1_9scan_implILNS1_25lookback_scan_determinismE0ELb0ELb0ES3_PKS7_PS7_S7_ZZZN2at6native31launch_logcumsumexp_cuda_kernelERKNSE_10TensorBaseESI_lENKUlvE_clEvENKUlvE1_clEvEUlS7_S7_E_S7_EEDaPvRmT3_T4_T5_mT6_P12ihipStream_tbENKUlT_T0_E_clISt17integral_constantIbLb0EESY_IbLb1EEEEDaSU_SV_EUlSU_E0_NS1_11comp_targetILNS1_3genE9ELNS1_11target_archE1100ELNS1_3gpuE3ELNS1_3repE0EEENS1_30default_config_static_selectorELNS0_4arch9wavefront6targetE1EEEvT1_ ; -- Begin function _ZN7rocprim17ROCPRIM_400000_NS6detail17trampoline_kernelINS0_14default_configENS1_20scan_config_selectorIN3c107complexIdEEEEZZNS1_9scan_implILNS1_25lookback_scan_determinismE0ELb0ELb0ES3_PKS7_PS7_S7_ZZZN2at6native31launch_logcumsumexp_cuda_kernelERKNSE_10TensorBaseESI_lENKUlvE_clEvENKUlvE1_clEvEUlS7_S7_E_S7_EEDaPvRmT3_T4_T5_mT6_P12ihipStream_tbENKUlT_T0_E_clISt17integral_constantIbLb0EESY_IbLb1EEEEDaSU_SV_EUlSU_E0_NS1_11comp_targetILNS1_3genE9ELNS1_11target_archE1100ELNS1_3gpuE3ELNS1_3repE0EEENS1_30default_config_static_selectorELNS0_4arch9wavefront6targetE1EEEvT1_
	.p2align	8
	.type	_ZN7rocprim17ROCPRIM_400000_NS6detail17trampoline_kernelINS0_14default_configENS1_20scan_config_selectorIN3c107complexIdEEEEZZNS1_9scan_implILNS1_25lookback_scan_determinismE0ELb0ELb0ES3_PKS7_PS7_S7_ZZZN2at6native31launch_logcumsumexp_cuda_kernelERKNSE_10TensorBaseESI_lENKUlvE_clEvENKUlvE1_clEvEUlS7_S7_E_S7_EEDaPvRmT3_T4_T5_mT6_P12ihipStream_tbENKUlT_T0_E_clISt17integral_constantIbLb0EESY_IbLb1EEEEDaSU_SV_EUlSU_E0_NS1_11comp_targetILNS1_3genE9ELNS1_11target_archE1100ELNS1_3gpuE3ELNS1_3repE0EEENS1_30default_config_static_selectorELNS0_4arch9wavefront6targetE1EEEvT1_,@function
_ZN7rocprim17ROCPRIM_400000_NS6detail17trampoline_kernelINS0_14default_configENS1_20scan_config_selectorIN3c107complexIdEEEEZZNS1_9scan_implILNS1_25lookback_scan_determinismE0ELb0ELb0ES3_PKS7_PS7_S7_ZZZN2at6native31launch_logcumsumexp_cuda_kernelERKNSE_10TensorBaseESI_lENKUlvE_clEvENKUlvE1_clEvEUlS7_S7_E_S7_EEDaPvRmT3_T4_T5_mT6_P12ihipStream_tbENKUlT_T0_E_clISt17integral_constantIbLb0EESY_IbLb1EEEEDaSU_SV_EUlSU_E0_NS1_11comp_targetILNS1_3genE9ELNS1_11target_archE1100ELNS1_3gpuE3ELNS1_3repE0EEENS1_30default_config_static_selectorELNS0_4arch9wavefront6targetE1EEEvT1_: ; @_ZN7rocprim17ROCPRIM_400000_NS6detail17trampoline_kernelINS0_14default_configENS1_20scan_config_selectorIN3c107complexIdEEEEZZNS1_9scan_implILNS1_25lookback_scan_determinismE0ELb0ELb0ES3_PKS7_PS7_S7_ZZZN2at6native31launch_logcumsumexp_cuda_kernelERKNSE_10TensorBaseESI_lENKUlvE_clEvENKUlvE1_clEvEUlS7_S7_E_S7_EEDaPvRmT3_T4_T5_mT6_P12ihipStream_tbENKUlT_T0_E_clISt17integral_constantIbLb0EESY_IbLb1EEEEDaSU_SV_EUlSU_E0_NS1_11comp_targetILNS1_3genE9ELNS1_11target_archE1100ELNS1_3gpuE3ELNS1_3repE0EEENS1_30default_config_static_selectorELNS0_4arch9wavefront6targetE1EEEvT1_
; %bb.0:
	.section	.rodata,"a",@progbits
	.p2align	6, 0x0
	.amdhsa_kernel _ZN7rocprim17ROCPRIM_400000_NS6detail17trampoline_kernelINS0_14default_configENS1_20scan_config_selectorIN3c107complexIdEEEEZZNS1_9scan_implILNS1_25lookback_scan_determinismE0ELb0ELb0ES3_PKS7_PS7_S7_ZZZN2at6native31launch_logcumsumexp_cuda_kernelERKNSE_10TensorBaseESI_lENKUlvE_clEvENKUlvE1_clEvEUlS7_S7_E_S7_EEDaPvRmT3_T4_T5_mT6_P12ihipStream_tbENKUlT_T0_E_clISt17integral_constantIbLb0EESY_IbLb1EEEEDaSU_SV_EUlSU_E0_NS1_11comp_targetILNS1_3genE9ELNS1_11target_archE1100ELNS1_3gpuE3ELNS1_3repE0EEENS1_30default_config_static_selectorELNS0_4arch9wavefront6targetE1EEEvT1_
		.amdhsa_group_segment_fixed_size 0
		.amdhsa_private_segment_fixed_size 0
		.amdhsa_kernarg_size 48
		.amdhsa_user_sgpr_count 6
		.amdhsa_user_sgpr_private_segment_buffer 1
		.amdhsa_user_sgpr_dispatch_ptr 0
		.amdhsa_user_sgpr_queue_ptr 0
		.amdhsa_user_sgpr_kernarg_segment_ptr 1
		.amdhsa_user_sgpr_dispatch_id 0
		.amdhsa_user_sgpr_flat_scratch_init 0
		.amdhsa_user_sgpr_private_segment_size 0
		.amdhsa_uses_dynamic_stack 0
		.amdhsa_system_sgpr_private_segment_wavefront_offset 0
		.amdhsa_system_sgpr_workgroup_id_x 1
		.amdhsa_system_sgpr_workgroup_id_y 0
		.amdhsa_system_sgpr_workgroup_id_z 0
		.amdhsa_system_sgpr_workgroup_info 0
		.amdhsa_system_vgpr_workitem_id 0
		.amdhsa_next_free_vgpr 1
		.amdhsa_next_free_sgpr 0
		.amdhsa_reserve_vcc 0
		.amdhsa_reserve_flat_scratch 0
		.amdhsa_float_round_mode_32 0
		.amdhsa_float_round_mode_16_64 0
		.amdhsa_float_denorm_mode_32 3
		.amdhsa_float_denorm_mode_16_64 3
		.amdhsa_dx10_clamp 1
		.amdhsa_ieee_mode 1
		.amdhsa_fp16_overflow 0
		.amdhsa_exception_fp_ieee_invalid_op 0
		.amdhsa_exception_fp_denorm_src 0
		.amdhsa_exception_fp_ieee_div_zero 0
		.amdhsa_exception_fp_ieee_overflow 0
		.amdhsa_exception_fp_ieee_underflow 0
		.amdhsa_exception_fp_ieee_inexact 0
		.amdhsa_exception_int_div_zero 0
	.end_amdhsa_kernel
	.section	.text._ZN7rocprim17ROCPRIM_400000_NS6detail17trampoline_kernelINS0_14default_configENS1_20scan_config_selectorIN3c107complexIdEEEEZZNS1_9scan_implILNS1_25lookback_scan_determinismE0ELb0ELb0ES3_PKS7_PS7_S7_ZZZN2at6native31launch_logcumsumexp_cuda_kernelERKNSE_10TensorBaseESI_lENKUlvE_clEvENKUlvE1_clEvEUlS7_S7_E_S7_EEDaPvRmT3_T4_T5_mT6_P12ihipStream_tbENKUlT_T0_E_clISt17integral_constantIbLb0EESY_IbLb1EEEEDaSU_SV_EUlSU_E0_NS1_11comp_targetILNS1_3genE9ELNS1_11target_archE1100ELNS1_3gpuE3ELNS1_3repE0EEENS1_30default_config_static_selectorELNS0_4arch9wavefront6targetE1EEEvT1_,"axG",@progbits,_ZN7rocprim17ROCPRIM_400000_NS6detail17trampoline_kernelINS0_14default_configENS1_20scan_config_selectorIN3c107complexIdEEEEZZNS1_9scan_implILNS1_25lookback_scan_determinismE0ELb0ELb0ES3_PKS7_PS7_S7_ZZZN2at6native31launch_logcumsumexp_cuda_kernelERKNSE_10TensorBaseESI_lENKUlvE_clEvENKUlvE1_clEvEUlS7_S7_E_S7_EEDaPvRmT3_T4_T5_mT6_P12ihipStream_tbENKUlT_T0_E_clISt17integral_constantIbLb0EESY_IbLb1EEEEDaSU_SV_EUlSU_E0_NS1_11comp_targetILNS1_3genE9ELNS1_11target_archE1100ELNS1_3gpuE3ELNS1_3repE0EEENS1_30default_config_static_selectorELNS0_4arch9wavefront6targetE1EEEvT1_,comdat
.Lfunc_end257:
	.size	_ZN7rocprim17ROCPRIM_400000_NS6detail17trampoline_kernelINS0_14default_configENS1_20scan_config_selectorIN3c107complexIdEEEEZZNS1_9scan_implILNS1_25lookback_scan_determinismE0ELb0ELb0ES3_PKS7_PS7_S7_ZZZN2at6native31launch_logcumsumexp_cuda_kernelERKNSE_10TensorBaseESI_lENKUlvE_clEvENKUlvE1_clEvEUlS7_S7_E_S7_EEDaPvRmT3_T4_T5_mT6_P12ihipStream_tbENKUlT_T0_E_clISt17integral_constantIbLb0EESY_IbLb1EEEEDaSU_SV_EUlSU_E0_NS1_11comp_targetILNS1_3genE9ELNS1_11target_archE1100ELNS1_3gpuE3ELNS1_3repE0EEENS1_30default_config_static_selectorELNS0_4arch9wavefront6targetE1EEEvT1_, .Lfunc_end257-_ZN7rocprim17ROCPRIM_400000_NS6detail17trampoline_kernelINS0_14default_configENS1_20scan_config_selectorIN3c107complexIdEEEEZZNS1_9scan_implILNS1_25lookback_scan_determinismE0ELb0ELb0ES3_PKS7_PS7_S7_ZZZN2at6native31launch_logcumsumexp_cuda_kernelERKNSE_10TensorBaseESI_lENKUlvE_clEvENKUlvE1_clEvEUlS7_S7_E_S7_EEDaPvRmT3_T4_T5_mT6_P12ihipStream_tbENKUlT_T0_E_clISt17integral_constantIbLb0EESY_IbLb1EEEEDaSU_SV_EUlSU_E0_NS1_11comp_targetILNS1_3genE9ELNS1_11target_archE1100ELNS1_3gpuE3ELNS1_3repE0EEENS1_30default_config_static_selectorELNS0_4arch9wavefront6targetE1EEEvT1_
                                        ; -- End function
	.set _ZN7rocprim17ROCPRIM_400000_NS6detail17trampoline_kernelINS0_14default_configENS1_20scan_config_selectorIN3c107complexIdEEEEZZNS1_9scan_implILNS1_25lookback_scan_determinismE0ELb0ELb0ES3_PKS7_PS7_S7_ZZZN2at6native31launch_logcumsumexp_cuda_kernelERKNSE_10TensorBaseESI_lENKUlvE_clEvENKUlvE1_clEvEUlS7_S7_E_S7_EEDaPvRmT3_T4_T5_mT6_P12ihipStream_tbENKUlT_T0_E_clISt17integral_constantIbLb0EESY_IbLb1EEEEDaSU_SV_EUlSU_E0_NS1_11comp_targetILNS1_3genE9ELNS1_11target_archE1100ELNS1_3gpuE3ELNS1_3repE0EEENS1_30default_config_static_selectorELNS0_4arch9wavefront6targetE1EEEvT1_.num_vgpr, 0
	.set _ZN7rocprim17ROCPRIM_400000_NS6detail17trampoline_kernelINS0_14default_configENS1_20scan_config_selectorIN3c107complexIdEEEEZZNS1_9scan_implILNS1_25lookback_scan_determinismE0ELb0ELb0ES3_PKS7_PS7_S7_ZZZN2at6native31launch_logcumsumexp_cuda_kernelERKNSE_10TensorBaseESI_lENKUlvE_clEvENKUlvE1_clEvEUlS7_S7_E_S7_EEDaPvRmT3_T4_T5_mT6_P12ihipStream_tbENKUlT_T0_E_clISt17integral_constantIbLb0EESY_IbLb1EEEEDaSU_SV_EUlSU_E0_NS1_11comp_targetILNS1_3genE9ELNS1_11target_archE1100ELNS1_3gpuE3ELNS1_3repE0EEENS1_30default_config_static_selectorELNS0_4arch9wavefront6targetE1EEEvT1_.num_agpr, 0
	.set _ZN7rocprim17ROCPRIM_400000_NS6detail17trampoline_kernelINS0_14default_configENS1_20scan_config_selectorIN3c107complexIdEEEEZZNS1_9scan_implILNS1_25lookback_scan_determinismE0ELb0ELb0ES3_PKS7_PS7_S7_ZZZN2at6native31launch_logcumsumexp_cuda_kernelERKNSE_10TensorBaseESI_lENKUlvE_clEvENKUlvE1_clEvEUlS7_S7_E_S7_EEDaPvRmT3_T4_T5_mT6_P12ihipStream_tbENKUlT_T0_E_clISt17integral_constantIbLb0EESY_IbLb1EEEEDaSU_SV_EUlSU_E0_NS1_11comp_targetILNS1_3genE9ELNS1_11target_archE1100ELNS1_3gpuE3ELNS1_3repE0EEENS1_30default_config_static_selectorELNS0_4arch9wavefront6targetE1EEEvT1_.numbered_sgpr, 0
	.set _ZN7rocprim17ROCPRIM_400000_NS6detail17trampoline_kernelINS0_14default_configENS1_20scan_config_selectorIN3c107complexIdEEEEZZNS1_9scan_implILNS1_25lookback_scan_determinismE0ELb0ELb0ES3_PKS7_PS7_S7_ZZZN2at6native31launch_logcumsumexp_cuda_kernelERKNSE_10TensorBaseESI_lENKUlvE_clEvENKUlvE1_clEvEUlS7_S7_E_S7_EEDaPvRmT3_T4_T5_mT6_P12ihipStream_tbENKUlT_T0_E_clISt17integral_constantIbLb0EESY_IbLb1EEEEDaSU_SV_EUlSU_E0_NS1_11comp_targetILNS1_3genE9ELNS1_11target_archE1100ELNS1_3gpuE3ELNS1_3repE0EEENS1_30default_config_static_selectorELNS0_4arch9wavefront6targetE1EEEvT1_.num_named_barrier, 0
	.set _ZN7rocprim17ROCPRIM_400000_NS6detail17trampoline_kernelINS0_14default_configENS1_20scan_config_selectorIN3c107complexIdEEEEZZNS1_9scan_implILNS1_25lookback_scan_determinismE0ELb0ELb0ES3_PKS7_PS7_S7_ZZZN2at6native31launch_logcumsumexp_cuda_kernelERKNSE_10TensorBaseESI_lENKUlvE_clEvENKUlvE1_clEvEUlS7_S7_E_S7_EEDaPvRmT3_T4_T5_mT6_P12ihipStream_tbENKUlT_T0_E_clISt17integral_constantIbLb0EESY_IbLb1EEEEDaSU_SV_EUlSU_E0_NS1_11comp_targetILNS1_3genE9ELNS1_11target_archE1100ELNS1_3gpuE3ELNS1_3repE0EEENS1_30default_config_static_selectorELNS0_4arch9wavefront6targetE1EEEvT1_.private_seg_size, 0
	.set _ZN7rocprim17ROCPRIM_400000_NS6detail17trampoline_kernelINS0_14default_configENS1_20scan_config_selectorIN3c107complexIdEEEEZZNS1_9scan_implILNS1_25lookback_scan_determinismE0ELb0ELb0ES3_PKS7_PS7_S7_ZZZN2at6native31launch_logcumsumexp_cuda_kernelERKNSE_10TensorBaseESI_lENKUlvE_clEvENKUlvE1_clEvEUlS7_S7_E_S7_EEDaPvRmT3_T4_T5_mT6_P12ihipStream_tbENKUlT_T0_E_clISt17integral_constantIbLb0EESY_IbLb1EEEEDaSU_SV_EUlSU_E0_NS1_11comp_targetILNS1_3genE9ELNS1_11target_archE1100ELNS1_3gpuE3ELNS1_3repE0EEENS1_30default_config_static_selectorELNS0_4arch9wavefront6targetE1EEEvT1_.uses_vcc, 0
	.set _ZN7rocprim17ROCPRIM_400000_NS6detail17trampoline_kernelINS0_14default_configENS1_20scan_config_selectorIN3c107complexIdEEEEZZNS1_9scan_implILNS1_25lookback_scan_determinismE0ELb0ELb0ES3_PKS7_PS7_S7_ZZZN2at6native31launch_logcumsumexp_cuda_kernelERKNSE_10TensorBaseESI_lENKUlvE_clEvENKUlvE1_clEvEUlS7_S7_E_S7_EEDaPvRmT3_T4_T5_mT6_P12ihipStream_tbENKUlT_T0_E_clISt17integral_constantIbLb0EESY_IbLb1EEEEDaSU_SV_EUlSU_E0_NS1_11comp_targetILNS1_3genE9ELNS1_11target_archE1100ELNS1_3gpuE3ELNS1_3repE0EEENS1_30default_config_static_selectorELNS0_4arch9wavefront6targetE1EEEvT1_.uses_flat_scratch, 0
	.set _ZN7rocprim17ROCPRIM_400000_NS6detail17trampoline_kernelINS0_14default_configENS1_20scan_config_selectorIN3c107complexIdEEEEZZNS1_9scan_implILNS1_25lookback_scan_determinismE0ELb0ELb0ES3_PKS7_PS7_S7_ZZZN2at6native31launch_logcumsumexp_cuda_kernelERKNSE_10TensorBaseESI_lENKUlvE_clEvENKUlvE1_clEvEUlS7_S7_E_S7_EEDaPvRmT3_T4_T5_mT6_P12ihipStream_tbENKUlT_T0_E_clISt17integral_constantIbLb0EESY_IbLb1EEEEDaSU_SV_EUlSU_E0_NS1_11comp_targetILNS1_3genE9ELNS1_11target_archE1100ELNS1_3gpuE3ELNS1_3repE0EEENS1_30default_config_static_selectorELNS0_4arch9wavefront6targetE1EEEvT1_.has_dyn_sized_stack, 0
	.set _ZN7rocprim17ROCPRIM_400000_NS6detail17trampoline_kernelINS0_14default_configENS1_20scan_config_selectorIN3c107complexIdEEEEZZNS1_9scan_implILNS1_25lookback_scan_determinismE0ELb0ELb0ES3_PKS7_PS7_S7_ZZZN2at6native31launch_logcumsumexp_cuda_kernelERKNSE_10TensorBaseESI_lENKUlvE_clEvENKUlvE1_clEvEUlS7_S7_E_S7_EEDaPvRmT3_T4_T5_mT6_P12ihipStream_tbENKUlT_T0_E_clISt17integral_constantIbLb0EESY_IbLb1EEEEDaSU_SV_EUlSU_E0_NS1_11comp_targetILNS1_3genE9ELNS1_11target_archE1100ELNS1_3gpuE3ELNS1_3repE0EEENS1_30default_config_static_selectorELNS0_4arch9wavefront6targetE1EEEvT1_.has_recursion, 0
	.set _ZN7rocprim17ROCPRIM_400000_NS6detail17trampoline_kernelINS0_14default_configENS1_20scan_config_selectorIN3c107complexIdEEEEZZNS1_9scan_implILNS1_25lookback_scan_determinismE0ELb0ELb0ES3_PKS7_PS7_S7_ZZZN2at6native31launch_logcumsumexp_cuda_kernelERKNSE_10TensorBaseESI_lENKUlvE_clEvENKUlvE1_clEvEUlS7_S7_E_S7_EEDaPvRmT3_T4_T5_mT6_P12ihipStream_tbENKUlT_T0_E_clISt17integral_constantIbLb0EESY_IbLb1EEEEDaSU_SV_EUlSU_E0_NS1_11comp_targetILNS1_3genE9ELNS1_11target_archE1100ELNS1_3gpuE3ELNS1_3repE0EEENS1_30default_config_static_selectorELNS0_4arch9wavefront6targetE1EEEvT1_.has_indirect_call, 0
	.section	.AMDGPU.csdata,"",@progbits
; Kernel info:
; codeLenInByte = 0
; TotalNumSgprs: 4
; NumVgprs: 0
; ScratchSize: 0
; MemoryBound: 0
; FloatMode: 240
; IeeeMode: 1
; LDSByteSize: 0 bytes/workgroup (compile time only)
; SGPRBlocks: 0
; VGPRBlocks: 0
; NumSGPRsForWavesPerEU: 4
; NumVGPRsForWavesPerEU: 1
; Occupancy: 10
; WaveLimiterHint : 0
; COMPUTE_PGM_RSRC2:SCRATCH_EN: 0
; COMPUTE_PGM_RSRC2:USER_SGPR: 6
; COMPUTE_PGM_RSRC2:TRAP_HANDLER: 0
; COMPUTE_PGM_RSRC2:TGID_X_EN: 1
; COMPUTE_PGM_RSRC2:TGID_Y_EN: 0
; COMPUTE_PGM_RSRC2:TGID_Z_EN: 0
; COMPUTE_PGM_RSRC2:TIDIG_COMP_CNT: 0
	.section	.text._ZN7rocprim17ROCPRIM_400000_NS6detail17trampoline_kernelINS0_14default_configENS1_20scan_config_selectorIN3c107complexIdEEEEZZNS1_9scan_implILNS1_25lookback_scan_determinismE0ELb0ELb0ES3_PKS7_PS7_S7_ZZZN2at6native31launch_logcumsumexp_cuda_kernelERKNSE_10TensorBaseESI_lENKUlvE_clEvENKUlvE1_clEvEUlS7_S7_E_S7_EEDaPvRmT3_T4_T5_mT6_P12ihipStream_tbENKUlT_T0_E_clISt17integral_constantIbLb0EESY_IbLb1EEEEDaSU_SV_EUlSU_E0_NS1_11comp_targetILNS1_3genE8ELNS1_11target_archE1030ELNS1_3gpuE2ELNS1_3repE0EEENS1_30default_config_static_selectorELNS0_4arch9wavefront6targetE1EEEvT1_,"axG",@progbits,_ZN7rocprim17ROCPRIM_400000_NS6detail17trampoline_kernelINS0_14default_configENS1_20scan_config_selectorIN3c107complexIdEEEEZZNS1_9scan_implILNS1_25lookback_scan_determinismE0ELb0ELb0ES3_PKS7_PS7_S7_ZZZN2at6native31launch_logcumsumexp_cuda_kernelERKNSE_10TensorBaseESI_lENKUlvE_clEvENKUlvE1_clEvEUlS7_S7_E_S7_EEDaPvRmT3_T4_T5_mT6_P12ihipStream_tbENKUlT_T0_E_clISt17integral_constantIbLb0EESY_IbLb1EEEEDaSU_SV_EUlSU_E0_NS1_11comp_targetILNS1_3genE8ELNS1_11target_archE1030ELNS1_3gpuE2ELNS1_3repE0EEENS1_30default_config_static_selectorELNS0_4arch9wavefront6targetE1EEEvT1_,comdat
	.globl	_ZN7rocprim17ROCPRIM_400000_NS6detail17trampoline_kernelINS0_14default_configENS1_20scan_config_selectorIN3c107complexIdEEEEZZNS1_9scan_implILNS1_25lookback_scan_determinismE0ELb0ELb0ES3_PKS7_PS7_S7_ZZZN2at6native31launch_logcumsumexp_cuda_kernelERKNSE_10TensorBaseESI_lENKUlvE_clEvENKUlvE1_clEvEUlS7_S7_E_S7_EEDaPvRmT3_T4_T5_mT6_P12ihipStream_tbENKUlT_T0_E_clISt17integral_constantIbLb0EESY_IbLb1EEEEDaSU_SV_EUlSU_E0_NS1_11comp_targetILNS1_3genE8ELNS1_11target_archE1030ELNS1_3gpuE2ELNS1_3repE0EEENS1_30default_config_static_selectorELNS0_4arch9wavefront6targetE1EEEvT1_ ; -- Begin function _ZN7rocprim17ROCPRIM_400000_NS6detail17trampoline_kernelINS0_14default_configENS1_20scan_config_selectorIN3c107complexIdEEEEZZNS1_9scan_implILNS1_25lookback_scan_determinismE0ELb0ELb0ES3_PKS7_PS7_S7_ZZZN2at6native31launch_logcumsumexp_cuda_kernelERKNSE_10TensorBaseESI_lENKUlvE_clEvENKUlvE1_clEvEUlS7_S7_E_S7_EEDaPvRmT3_T4_T5_mT6_P12ihipStream_tbENKUlT_T0_E_clISt17integral_constantIbLb0EESY_IbLb1EEEEDaSU_SV_EUlSU_E0_NS1_11comp_targetILNS1_3genE8ELNS1_11target_archE1030ELNS1_3gpuE2ELNS1_3repE0EEENS1_30default_config_static_selectorELNS0_4arch9wavefront6targetE1EEEvT1_
	.p2align	8
	.type	_ZN7rocprim17ROCPRIM_400000_NS6detail17trampoline_kernelINS0_14default_configENS1_20scan_config_selectorIN3c107complexIdEEEEZZNS1_9scan_implILNS1_25lookback_scan_determinismE0ELb0ELb0ES3_PKS7_PS7_S7_ZZZN2at6native31launch_logcumsumexp_cuda_kernelERKNSE_10TensorBaseESI_lENKUlvE_clEvENKUlvE1_clEvEUlS7_S7_E_S7_EEDaPvRmT3_T4_T5_mT6_P12ihipStream_tbENKUlT_T0_E_clISt17integral_constantIbLb0EESY_IbLb1EEEEDaSU_SV_EUlSU_E0_NS1_11comp_targetILNS1_3genE8ELNS1_11target_archE1030ELNS1_3gpuE2ELNS1_3repE0EEENS1_30default_config_static_selectorELNS0_4arch9wavefront6targetE1EEEvT1_,@function
_ZN7rocprim17ROCPRIM_400000_NS6detail17trampoline_kernelINS0_14default_configENS1_20scan_config_selectorIN3c107complexIdEEEEZZNS1_9scan_implILNS1_25lookback_scan_determinismE0ELb0ELb0ES3_PKS7_PS7_S7_ZZZN2at6native31launch_logcumsumexp_cuda_kernelERKNSE_10TensorBaseESI_lENKUlvE_clEvENKUlvE1_clEvEUlS7_S7_E_S7_EEDaPvRmT3_T4_T5_mT6_P12ihipStream_tbENKUlT_T0_E_clISt17integral_constantIbLb0EESY_IbLb1EEEEDaSU_SV_EUlSU_E0_NS1_11comp_targetILNS1_3genE8ELNS1_11target_archE1030ELNS1_3gpuE2ELNS1_3repE0EEENS1_30default_config_static_selectorELNS0_4arch9wavefront6targetE1EEEvT1_: ; @_ZN7rocprim17ROCPRIM_400000_NS6detail17trampoline_kernelINS0_14default_configENS1_20scan_config_selectorIN3c107complexIdEEEEZZNS1_9scan_implILNS1_25lookback_scan_determinismE0ELb0ELb0ES3_PKS7_PS7_S7_ZZZN2at6native31launch_logcumsumexp_cuda_kernelERKNSE_10TensorBaseESI_lENKUlvE_clEvENKUlvE1_clEvEUlS7_S7_E_S7_EEDaPvRmT3_T4_T5_mT6_P12ihipStream_tbENKUlT_T0_E_clISt17integral_constantIbLb0EESY_IbLb1EEEEDaSU_SV_EUlSU_E0_NS1_11comp_targetILNS1_3genE8ELNS1_11target_archE1030ELNS1_3gpuE2ELNS1_3repE0EEENS1_30default_config_static_selectorELNS0_4arch9wavefront6targetE1EEEvT1_
; %bb.0:
	.section	.rodata,"a",@progbits
	.p2align	6, 0x0
	.amdhsa_kernel _ZN7rocprim17ROCPRIM_400000_NS6detail17trampoline_kernelINS0_14default_configENS1_20scan_config_selectorIN3c107complexIdEEEEZZNS1_9scan_implILNS1_25lookback_scan_determinismE0ELb0ELb0ES3_PKS7_PS7_S7_ZZZN2at6native31launch_logcumsumexp_cuda_kernelERKNSE_10TensorBaseESI_lENKUlvE_clEvENKUlvE1_clEvEUlS7_S7_E_S7_EEDaPvRmT3_T4_T5_mT6_P12ihipStream_tbENKUlT_T0_E_clISt17integral_constantIbLb0EESY_IbLb1EEEEDaSU_SV_EUlSU_E0_NS1_11comp_targetILNS1_3genE8ELNS1_11target_archE1030ELNS1_3gpuE2ELNS1_3repE0EEENS1_30default_config_static_selectorELNS0_4arch9wavefront6targetE1EEEvT1_
		.amdhsa_group_segment_fixed_size 0
		.amdhsa_private_segment_fixed_size 0
		.amdhsa_kernarg_size 48
		.amdhsa_user_sgpr_count 6
		.amdhsa_user_sgpr_private_segment_buffer 1
		.amdhsa_user_sgpr_dispatch_ptr 0
		.amdhsa_user_sgpr_queue_ptr 0
		.amdhsa_user_sgpr_kernarg_segment_ptr 1
		.amdhsa_user_sgpr_dispatch_id 0
		.amdhsa_user_sgpr_flat_scratch_init 0
		.amdhsa_user_sgpr_private_segment_size 0
		.amdhsa_uses_dynamic_stack 0
		.amdhsa_system_sgpr_private_segment_wavefront_offset 0
		.amdhsa_system_sgpr_workgroup_id_x 1
		.amdhsa_system_sgpr_workgroup_id_y 0
		.amdhsa_system_sgpr_workgroup_id_z 0
		.amdhsa_system_sgpr_workgroup_info 0
		.amdhsa_system_vgpr_workitem_id 0
		.amdhsa_next_free_vgpr 1
		.amdhsa_next_free_sgpr 0
		.amdhsa_reserve_vcc 0
		.amdhsa_reserve_flat_scratch 0
		.amdhsa_float_round_mode_32 0
		.amdhsa_float_round_mode_16_64 0
		.amdhsa_float_denorm_mode_32 3
		.amdhsa_float_denorm_mode_16_64 3
		.amdhsa_dx10_clamp 1
		.amdhsa_ieee_mode 1
		.amdhsa_fp16_overflow 0
		.amdhsa_exception_fp_ieee_invalid_op 0
		.amdhsa_exception_fp_denorm_src 0
		.amdhsa_exception_fp_ieee_div_zero 0
		.amdhsa_exception_fp_ieee_overflow 0
		.amdhsa_exception_fp_ieee_underflow 0
		.amdhsa_exception_fp_ieee_inexact 0
		.amdhsa_exception_int_div_zero 0
	.end_amdhsa_kernel
	.section	.text._ZN7rocprim17ROCPRIM_400000_NS6detail17trampoline_kernelINS0_14default_configENS1_20scan_config_selectorIN3c107complexIdEEEEZZNS1_9scan_implILNS1_25lookback_scan_determinismE0ELb0ELb0ES3_PKS7_PS7_S7_ZZZN2at6native31launch_logcumsumexp_cuda_kernelERKNSE_10TensorBaseESI_lENKUlvE_clEvENKUlvE1_clEvEUlS7_S7_E_S7_EEDaPvRmT3_T4_T5_mT6_P12ihipStream_tbENKUlT_T0_E_clISt17integral_constantIbLb0EESY_IbLb1EEEEDaSU_SV_EUlSU_E0_NS1_11comp_targetILNS1_3genE8ELNS1_11target_archE1030ELNS1_3gpuE2ELNS1_3repE0EEENS1_30default_config_static_selectorELNS0_4arch9wavefront6targetE1EEEvT1_,"axG",@progbits,_ZN7rocprim17ROCPRIM_400000_NS6detail17trampoline_kernelINS0_14default_configENS1_20scan_config_selectorIN3c107complexIdEEEEZZNS1_9scan_implILNS1_25lookback_scan_determinismE0ELb0ELb0ES3_PKS7_PS7_S7_ZZZN2at6native31launch_logcumsumexp_cuda_kernelERKNSE_10TensorBaseESI_lENKUlvE_clEvENKUlvE1_clEvEUlS7_S7_E_S7_EEDaPvRmT3_T4_T5_mT6_P12ihipStream_tbENKUlT_T0_E_clISt17integral_constantIbLb0EESY_IbLb1EEEEDaSU_SV_EUlSU_E0_NS1_11comp_targetILNS1_3genE8ELNS1_11target_archE1030ELNS1_3gpuE2ELNS1_3repE0EEENS1_30default_config_static_selectorELNS0_4arch9wavefront6targetE1EEEvT1_,comdat
.Lfunc_end258:
	.size	_ZN7rocprim17ROCPRIM_400000_NS6detail17trampoline_kernelINS0_14default_configENS1_20scan_config_selectorIN3c107complexIdEEEEZZNS1_9scan_implILNS1_25lookback_scan_determinismE0ELb0ELb0ES3_PKS7_PS7_S7_ZZZN2at6native31launch_logcumsumexp_cuda_kernelERKNSE_10TensorBaseESI_lENKUlvE_clEvENKUlvE1_clEvEUlS7_S7_E_S7_EEDaPvRmT3_T4_T5_mT6_P12ihipStream_tbENKUlT_T0_E_clISt17integral_constantIbLb0EESY_IbLb1EEEEDaSU_SV_EUlSU_E0_NS1_11comp_targetILNS1_3genE8ELNS1_11target_archE1030ELNS1_3gpuE2ELNS1_3repE0EEENS1_30default_config_static_selectorELNS0_4arch9wavefront6targetE1EEEvT1_, .Lfunc_end258-_ZN7rocprim17ROCPRIM_400000_NS6detail17trampoline_kernelINS0_14default_configENS1_20scan_config_selectorIN3c107complexIdEEEEZZNS1_9scan_implILNS1_25lookback_scan_determinismE0ELb0ELb0ES3_PKS7_PS7_S7_ZZZN2at6native31launch_logcumsumexp_cuda_kernelERKNSE_10TensorBaseESI_lENKUlvE_clEvENKUlvE1_clEvEUlS7_S7_E_S7_EEDaPvRmT3_T4_T5_mT6_P12ihipStream_tbENKUlT_T0_E_clISt17integral_constantIbLb0EESY_IbLb1EEEEDaSU_SV_EUlSU_E0_NS1_11comp_targetILNS1_3genE8ELNS1_11target_archE1030ELNS1_3gpuE2ELNS1_3repE0EEENS1_30default_config_static_selectorELNS0_4arch9wavefront6targetE1EEEvT1_
                                        ; -- End function
	.set _ZN7rocprim17ROCPRIM_400000_NS6detail17trampoline_kernelINS0_14default_configENS1_20scan_config_selectorIN3c107complexIdEEEEZZNS1_9scan_implILNS1_25lookback_scan_determinismE0ELb0ELb0ES3_PKS7_PS7_S7_ZZZN2at6native31launch_logcumsumexp_cuda_kernelERKNSE_10TensorBaseESI_lENKUlvE_clEvENKUlvE1_clEvEUlS7_S7_E_S7_EEDaPvRmT3_T4_T5_mT6_P12ihipStream_tbENKUlT_T0_E_clISt17integral_constantIbLb0EESY_IbLb1EEEEDaSU_SV_EUlSU_E0_NS1_11comp_targetILNS1_3genE8ELNS1_11target_archE1030ELNS1_3gpuE2ELNS1_3repE0EEENS1_30default_config_static_selectorELNS0_4arch9wavefront6targetE1EEEvT1_.num_vgpr, 0
	.set _ZN7rocprim17ROCPRIM_400000_NS6detail17trampoline_kernelINS0_14default_configENS1_20scan_config_selectorIN3c107complexIdEEEEZZNS1_9scan_implILNS1_25lookback_scan_determinismE0ELb0ELb0ES3_PKS7_PS7_S7_ZZZN2at6native31launch_logcumsumexp_cuda_kernelERKNSE_10TensorBaseESI_lENKUlvE_clEvENKUlvE1_clEvEUlS7_S7_E_S7_EEDaPvRmT3_T4_T5_mT6_P12ihipStream_tbENKUlT_T0_E_clISt17integral_constantIbLb0EESY_IbLb1EEEEDaSU_SV_EUlSU_E0_NS1_11comp_targetILNS1_3genE8ELNS1_11target_archE1030ELNS1_3gpuE2ELNS1_3repE0EEENS1_30default_config_static_selectorELNS0_4arch9wavefront6targetE1EEEvT1_.num_agpr, 0
	.set _ZN7rocprim17ROCPRIM_400000_NS6detail17trampoline_kernelINS0_14default_configENS1_20scan_config_selectorIN3c107complexIdEEEEZZNS1_9scan_implILNS1_25lookback_scan_determinismE0ELb0ELb0ES3_PKS7_PS7_S7_ZZZN2at6native31launch_logcumsumexp_cuda_kernelERKNSE_10TensorBaseESI_lENKUlvE_clEvENKUlvE1_clEvEUlS7_S7_E_S7_EEDaPvRmT3_T4_T5_mT6_P12ihipStream_tbENKUlT_T0_E_clISt17integral_constantIbLb0EESY_IbLb1EEEEDaSU_SV_EUlSU_E0_NS1_11comp_targetILNS1_3genE8ELNS1_11target_archE1030ELNS1_3gpuE2ELNS1_3repE0EEENS1_30default_config_static_selectorELNS0_4arch9wavefront6targetE1EEEvT1_.numbered_sgpr, 0
	.set _ZN7rocprim17ROCPRIM_400000_NS6detail17trampoline_kernelINS0_14default_configENS1_20scan_config_selectorIN3c107complexIdEEEEZZNS1_9scan_implILNS1_25lookback_scan_determinismE0ELb0ELb0ES3_PKS7_PS7_S7_ZZZN2at6native31launch_logcumsumexp_cuda_kernelERKNSE_10TensorBaseESI_lENKUlvE_clEvENKUlvE1_clEvEUlS7_S7_E_S7_EEDaPvRmT3_T4_T5_mT6_P12ihipStream_tbENKUlT_T0_E_clISt17integral_constantIbLb0EESY_IbLb1EEEEDaSU_SV_EUlSU_E0_NS1_11comp_targetILNS1_3genE8ELNS1_11target_archE1030ELNS1_3gpuE2ELNS1_3repE0EEENS1_30default_config_static_selectorELNS0_4arch9wavefront6targetE1EEEvT1_.num_named_barrier, 0
	.set _ZN7rocprim17ROCPRIM_400000_NS6detail17trampoline_kernelINS0_14default_configENS1_20scan_config_selectorIN3c107complexIdEEEEZZNS1_9scan_implILNS1_25lookback_scan_determinismE0ELb0ELb0ES3_PKS7_PS7_S7_ZZZN2at6native31launch_logcumsumexp_cuda_kernelERKNSE_10TensorBaseESI_lENKUlvE_clEvENKUlvE1_clEvEUlS7_S7_E_S7_EEDaPvRmT3_T4_T5_mT6_P12ihipStream_tbENKUlT_T0_E_clISt17integral_constantIbLb0EESY_IbLb1EEEEDaSU_SV_EUlSU_E0_NS1_11comp_targetILNS1_3genE8ELNS1_11target_archE1030ELNS1_3gpuE2ELNS1_3repE0EEENS1_30default_config_static_selectorELNS0_4arch9wavefront6targetE1EEEvT1_.private_seg_size, 0
	.set _ZN7rocprim17ROCPRIM_400000_NS6detail17trampoline_kernelINS0_14default_configENS1_20scan_config_selectorIN3c107complexIdEEEEZZNS1_9scan_implILNS1_25lookback_scan_determinismE0ELb0ELb0ES3_PKS7_PS7_S7_ZZZN2at6native31launch_logcumsumexp_cuda_kernelERKNSE_10TensorBaseESI_lENKUlvE_clEvENKUlvE1_clEvEUlS7_S7_E_S7_EEDaPvRmT3_T4_T5_mT6_P12ihipStream_tbENKUlT_T0_E_clISt17integral_constantIbLb0EESY_IbLb1EEEEDaSU_SV_EUlSU_E0_NS1_11comp_targetILNS1_3genE8ELNS1_11target_archE1030ELNS1_3gpuE2ELNS1_3repE0EEENS1_30default_config_static_selectorELNS0_4arch9wavefront6targetE1EEEvT1_.uses_vcc, 0
	.set _ZN7rocprim17ROCPRIM_400000_NS6detail17trampoline_kernelINS0_14default_configENS1_20scan_config_selectorIN3c107complexIdEEEEZZNS1_9scan_implILNS1_25lookback_scan_determinismE0ELb0ELb0ES3_PKS7_PS7_S7_ZZZN2at6native31launch_logcumsumexp_cuda_kernelERKNSE_10TensorBaseESI_lENKUlvE_clEvENKUlvE1_clEvEUlS7_S7_E_S7_EEDaPvRmT3_T4_T5_mT6_P12ihipStream_tbENKUlT_T0_E_clISt17integral_constantIbLb0EESY_IbLb1EEEEDaSU_SV_EUlSU_E0_NS1_11comp_targetILNS1_3genE8ELNS1_11target_archE1030ELNS1_3gpuE2ELNS1_3repE0EEENS1_30default_config_static_selectorELNS0_4arch9wavefront6targetE1EEEvT1_.uses_flat_scratch, 0
	.set _ZN7rocprim17ROCPRIM_400000_NS6detail17trampoline_kernelINS0_14default_configENS1_20scan_config_selectorIN3c107complexIdEEEEZZNS1_9scan_implILNS1_25lookback_scan_determinismE0ELb0ELb0ES3_PKS7_PS7_S7_ZZZN2at6native31launch_logcumsumexp_cuda_kernelERKNSE_10TensorBaseESI_lENKUlvE_clEvENKUlvE1_clEvEUlS7_S7_E_S7_EEDaPvRmT3_T4_T5_mT6_P12ihipStream_tbENKUlT_T0_E_clISt17integral_constantIbLb0EESY_IbLb1EEEEDaSU_SV_EUlSU_E0_NS1_11comp_targetILNS1_3genE8ELNS1_11target_archE1030ELNS1_3gpuE2ELNS1_3repE0EEENS1_30default_config_static_selectorELNS0_4arch9wavefront6targetE1EEEvT1_.has_dyn_sized_stack, 0
	.set _ZN7rocprim17ROCPRIM_400000_NS6detail17trampoline_kernelINS0_14default_configENS1_20scan_config_selectorIN3c107complexIdEEEEZZNS1_9scan_implILNS1_25lookback_scan_determinismE0ELb0ELb0ES3_PKS7_PS7_S7_ZZZN2at6native31launch_logcumsumexp_cuda_kernelERKNSE_10TensorBaseESI_lENKUlvE_clEvENKUlvE1_clEvEUlS7_S7_E_S7_EEDaPvRmT3_T4_T5_mT6_P12ihipStream_tbENKUlT_T0_E_clISt17integral_constantIbLb0EESY_IbLb1EEEEDaSU_SV_EUlSU_E0_NS1_11comp_targetILNS1_3genE8ELNS1_11target_archE1030ELNS1_3gpuE2ELNS1_3repE0EEENS1_30default_config_static_selectorELNS0_4arch9wavefront6targetE1EEEvT1_.has_recursion, 0
	.set _ZN7rocprim17ROCPRIM_400000_NS6detail17trampoline_kernelINS0_14default_configENS1_20scan_config_selectorIN3c107complexIdEEEEZZNS1_9scan_implILNS1_25lookback_scan_determinismE0ELb0ELb0ES3_PKS7_PS7_S7_ZZZN2at6native31launch_logcumsumexp_cuda_kernelERKNSE_10TensorBaseESI_lENKUlvE_clEvENKUlvE1_clEvEUlS7_S7_E_S7_EEDaPvRmT3_T4_T5_mT6_P12ihipStream_tbENKUlT_T0_E_clISt17integral_constantIbLb0EESY_IbLb1EEEEDaSU_SV_EUlSU_E0_NS1_11comp_targetILNS1_3genE8ELNS1_11target_archE1030ELNS1_3gpuE2ELNS1_3repE0EEENS1_30default_config_static_selectorELNS0_4arch9wavefront6targetE1EEEvT1_.has_indirect_call, 0
	.section	.AMDGPU.csdata,"",@progbits
; Kernel info:
; codeLenInByte = 0
; TotalNumSgprs: 4
; NumVgprs: 0
; ScratchSize: 0
; MemoryBound: 0
; FloatMode: 240
; IeeeMode: 1
; LDSByteSize: 0 bytes/workgroup (compile time only)
; SGPRBlocks: 0
; VGPRBlocks: 0
; NumSGPRsForWavesPerEU: 4
; NumVGPRsForWavesPerEU: 1
; Occupancy: 10
; WaveLimiterHint : 0
; COMPUTE_PGM_RSRC2:SCRATCH_EN: 0
; COMPUTE_PGM_RSRC2:USER_SGPR: 6
; COMPUTE_PGM_RSRC2:TRAP_HANDLER: 0
; COMPUTE_PGM_RSRC2:TGID_X_EN: 1
; COMPUTE_PGM_RSRC2:TGID_Y_EN: 0
; COMPUTE_PGM_RSRC2:TGID_Z_EN: 0
; COMPUTE_PGM_RSRC2:TIDIG_COMP_CNT: 0
	.section	.text._ZN2at6native32tensor_kernel_scan_innermost_dimIN3c107complexIdEEZZZNS0_31launch_logcumsumexp_cuda_kernelERKNS_10TensorBaseES7_lENKUlvE_clEvENKUlvE1_clEvEUlS4_S4_E_EEvPT_PKSB_jjjSB_T0_,"axG",@progbits,_ZN2at6native32tensor_kernel_scan_innermost_dimIN3c107complexIdEEZZZNS0_31launch_logcumsumexp_cuda_kernelERKNS_10TensorBaseES7_lENKUlvE_clEvENKUlvE1_clEvEUlS4_S4_E_EEvPT_PKSB_jjjSB_T0_,comdat
	.globl	_ZN2at6native32tensor_kernel_scan_innermost_dimIN3c107complexIdEEZZZNS0_31launch_logcumsumexp_cuda_kernelERKNS_10TensorBaseES7_lENKUlvE_clEvENKUlvE1_clEvEUlS4_S4_E_EEvPT_PKSB_jjjSB_T0_ ; -- Begin function _ZN2at6native32tensor_kernel_scan_innermost_dimIN3c107complexIdEEZZZNS0_31launch_logcumsumexp_cuda_kernelERKNS_10TensorBaseES7_lENKUlvE_clEvENKUlvE1_clEvEUlS4_S4_E_EEvPT_PKSB_jjjSB_T0_
	.p2align	8
	.type	_ZN2at6native32tensor_kernel_scan_innermost_dimIN3c107complexIdEEZZZNS0_31launch_logcumsumexp_cuda_kernelERKNS_10TensorBaseES7_lENKUlvE_clEvENKUlvE1_clEvEUlS4_S4_E_EEvPT_PKSB_jjjSB_T0_,@function
_ZN2at6native32tensor_kernel_scan_innermost_dimIN3c107complexIdEEZZZNS0_31launch_logcumsumexp_cuda_kernelERKNS_10TensorBaseES7_lENKUlvE_clEvENKUlvE1_clEvEUlS4_S4_E_EEvPT_PKSB_jjjSB_T0_: ; @_ZN2at6native32tensor_kernel_scan_innermost_dimIN3c107complexIdEEZZZNS0_31launch_logcumsumexp_cuda_kernelERKNS_10TensorBaseES7_lENKUlvE_clEvENKUlvE1_clEvEUlS4_S4_E_EEvPT_PKSB_jjjSB_T0_
; %bb.0:
	s_load_dwordx8 s[48:55], s[4:5], 0x0
	s_add_u32 s0, s0, s7
	s_addc_u32 s1, s1, 0
	v_mov_b32_e32 v42, v1
	v_mov_b32_e32 v40, v0
	s_waitcnt lgkmcnt(0)
	s_lshl_b32 s41, 2, s54
	v_mul_lo_u32 v0, s41, v42
	s_load_dwordx4 s[56:59], s[4:5], 0x20
	s_mov_b64 s[34:35], s[4:5]
	s_mul_hi_u32 s4, s52, s53
	s_mov_b32 s33, s6
	s_cmp_lg_u32 s4, 0
	v_lshl_add_u32 v47, v0, 4, 0
	s_mov_b64 s[4:5], -1
	s_mov_b32 s32, 0
	s_cbranch_scc1 .LBB259_30
; %bb.1:
	s_load_dword s6, s[34:35], 0x44
	s_add_u32 s4, s34, 56
	s_addc_u32 s5, s35, 0
	s_waitcnt lgkmcnt(0)
	s_lshr_b32 s6, s6, 16
	s_mul_i32 s55, s33, s6
	s_cmp_ge_u32 s55, s52
	s_cbranch_scc1 .LBB259_29
; %bb.2:
	s_load_dword s63, s[4:5], 0x0
	s_lshl_b32 s62, 1, s54
	s_cmp_lg_u32 s53, 0
	s_cselect_b64 s[8:9], -1, 0
	v_lshl_add_u32 v41, v40, 4, v47
	s_lshl_b32 s4, s41, 4
	v_cndmask_b32_e64 v0, 0, 1, s[8:9]
	v_lshl_add_u32 v55, s62, 4, v41
	v_cmp_eq_u32_e64 s[36:37], 0, v40
	v_add3_u32 v56, v47, s4, -16
	s_waitcnt lgkmcnt(0)
	s_mul_i32 s63, s63, s6
	s_add_i32 s64, s54, 1
	v_cmp_ne_u32_e64 s[38:39], 1, v0
	v_mov_b32_e32 v44, 0
	s_branch .LBB259_4
.LBB259_3:                              ;   in Loop: Header=BB259_4 Depth=1
	s_add_i32 s55, s55, s63
	s_cmp_ge_u32 s55, s52
	s_cbranch_scc1 .LBB259_29
.LBB259_4:                              ; =>This Loop Header: Depth=1
                                        ;     Child Loop BB259_7 Depth 2
                                        ;       Child Loop BB259_18 Depth 3
	s_and_b64 vcc, exec, s[38:39]
	s_cbranch_vccnz .LBB259_3
; %bb.5:                                ;   in Loop: Header=BB259_4 Depth=1
	v_add_u32_e32 v2, s55, v42
	v_mul_lo_u32 v43, v2, s53
	v_mov_b32_e32 v3, s51
	v_mov_b32_e32 v6, s58
	;; [unrolled: 1-line block ×3, first 2 shown]
	v_lshlrev_b64 v[0:1], 4, v[43:44]
	v_cmp_gt_u32_e64 s[42:43], s52, v2
	v_add_co_u32_e32 v57, vcc, s50, v0
	v_addc_co_u32_e32 v58, vcc, v3, v1, vcc
	v_mov_b32_e32 v3, s49
	v_add_co_u32_e32 v59, vcc, s48, v0
	v_addc_co_u32_e32 v60, vcc, v3, v1, vcc
	v_cmp_le_u32_e64 s[44:45], s52, v2
	s_mov_b32 s65, 0
	v_mov_b32_e32 v7, s59
	v_mov_b32_e32 v5, s57
	s_branch .LBB259_7
.LBB259_6:                              ;   in Loop: Header=BB259_7 Depth=2
	s_or_b64 exec, exec, s[4:5]
	ds_read_b128 v[4:7], v56
	s_add_i32 s65, s65, s41
	s_cmp_ge_u32 s65, s53
	s_waitcnt vmcnt(0) lgkmcnt(0)
	s_barrier
	s_cbranch_scc1 .LBB259_3
.LBB259_7:                              ;   Parent Loop BB259_4 Depth=1
                                        ; =>  This Loop Header: Depth=2
                                        ;       Child Loop BB259_18 Depth 3
	v_add_u32_e32 v43, s65, v40
	v_add_u32_e32 v45, s62, v43
	s_and_saveexec_b64 s[46:47], s[42:43]
	s_cbranch_execz .LBB259_16
; %bb.8:                                ;   in Loop: Header=BB259_7 Depth=2
	v_cmp_le_u32_e32 vcc, s53, v43
	s_and_saveexec_b64 s[4:5], vcc
	s_xor_b64 s[4:5], exec, s[4:5]
; %bb.9:                                ;   in Loop: Header=BB259_7 Depth=2
	v_mov_b32_e32 v0, s56
	v_mov_b32_e32 v1, s57
	;; [unrolled: 1-line block ×4, first 2 shown]
	ds_write_b128 v41, v[0:3]
; %bb.10:                               ;   in Loop: Header=BB259_7 Depth=2
	s_andn2_saveexec_b64 s[4:5], s[4:5]
	s_cbranch_execz .LBB259_12
; %bb.11:                               ;   in Loop: Header=BB259_7 Depth=2
	v_lshlrev_b64 v[0:1], 4, v[43:44]
	v_add_co_u32_e32 v0, vcc, v57, v0
	v_addc_co_u32_e32 v1, vcc, v58, v1, vcc
	global_load_dwordx4 v[0:3], v[0:1], off
	s_waitcnt vmcnt(0)
	ds_write_b128 v41, v[0:3]
.LBB259_12:                             ;   in Loop: Header=BB259_7 Depth=2
	s_or_b64 exec, exec, s[4:5]
	v_cmp_le_u32_e32 vcc, s53, v45
	s_and_saveexec_b64 s[4:5], vcc
	s_xor_b64 s[4:5], exec, s[4:5]
	s_cbranch_execnz .LBB259_27
; %bb.13:                               ;   in Loop: Header=BB259_7 Depth=2
	s_andn2_saveexec_b64 s[4:5], s[4:5]
	s_cbranch_execnz .LBB259_28
.LBB259_14:                             ;   in Loop: Header=BB259_7 Depth=2
	s_or_b64 exec, exec, s[4:5]
	s_and_b64 exec, exec, s[36:37]
	s_cbranch_execz .LBB259_16
.LBB259_15:                             ;   in Loop: Header=BB259_7 Depth=2
	ds_read_b128 v[0:3], v47
	s_getpc_b64 s[4:5]
	s_add_u32 s4, s4, _ZZZZN2at6native31launch_logcumsumexp_cuda_kernelERKNS_10TensorBaseES3_lENKUlvE_clEvENKUlvE1_clEvENKUlN3c107complexIdEES8_E_clES8_S8_@rel32@lo+4
	s_addc_u32 s5, s5, _ZZZZN2at6native31launch_logcumsumexp_cuda_kernelERKNS_10TensorBaseES3_lENKUlvE_clEvENKUlvE1_clEvENKUlN3c107complexIdEES8_E_clES8_S8_@rel32@hi+12
	s_swappc_b64 s[30:31], s[4:5]
	ds_write_b128 v47, v[0:3]
.LBB259_16:                             ;   in Loop: Header=BB259_7 Depth=2
	s_or_b64 exec, exec, s[46:47]
	v_mov_b32_e32 v0, 0
	s_mov_b64 s[46:47], 0
	s_waitcnt lgkmcnt(0)
	s_barrier
	s_branch .LBB259_18
.LBB259_17:                             ;   in Loop: Header=BB259_18 Depth=3
	s_or_b64 exec, exec, s[60:61]
	v_cmp_eq_u32_e32 vcc, s64, v0
	s_or_b64 s[46:47], vcc, s[46:47]
	s_waitcnt lgkmcnt(0)
	s_barrier
	s_andn2_b64 exec, exec, s[46:47]
	s_cbranch_execz .LBB259_22
.LBB259_18:                             ;   Parent Loop BB259_4 Depth=1
                                        ;     Parent Loop BB259_7 Depth=2
                                        ; =>    This Inner Loop Header: Depth=3
	v_add_u32_e32 v46, 1, v0
	s_and_saveexec_b64 s[4:5], s[44:45]
	s_xor_b64 s[4:5], exec, s[4:5]
; %bb.19:                               ;   in Loop: Header=BB259_18 Depth=3
	v_add_u32_e32 v0, 1, v0
                                        ; implicit-def: $vgpr46
; %bb.20:                               ;   in Loop: Header=BB259_18 Depth=3
	s_andn2_saveexec_b64 s[60:61], s[4:5]
	s_cbranch_execz .LBB259_17
; %bb.21:                               ;   in Loop: Header=BB259_18 Depth=3
	v_lshlrev_b32_e64 v1, v0, 1
	v_lshrrev_b32_e32 v2, v0, v40
	v_lshl_or_b32 v1, v2, v46, v1
	v_bfm_b32 v0, v0, 0
	v_and_b32_e32 v0, v0, v40
	v_lshl_add_u32 v4, v1, 4, v47
	v_lshl_add_u32 v61, v0, 4, v4
	v_add_u32_e32 v4, -16, v4
	ds_read_b128 v[0:3], v61
	ds_read_b128 v[4:7], v4
	s_getpc_b64 s[4:5]
	s_add_u32 s4, s4, _ZZZZN2at6native31launch_logcumsumexp_cuda_kernelERKNS_10TensorBaseES3_lENKUlvE_clEvENKUlvE1_clEvENKUlN3c107complexIdEES8_E_clES8_S8_@rel32@lo+4
	s_addc_u32 s5, s5, _ZZZZN2at6native31launch_logcumsumexp_cuda_kernelERKNS_10TensorBaseES3_lENKUlvE_clEvENKUlvE1_clEvENKUlN3c107complexIdEES8_E_clES8_S8_@rel32@hi+12
	s_swappc_b64 s[30:31], s[4:5]
	ds_write_b128 v61, v[0:3]
	v_mov_b32_e32 v0, v46
	s_branch .LBB259_17
.LBB259_22:                             ;   in Loop: Header=BB259_7 Depth=2
	s_or_b64 exec, exec, s[46:47]
	s_and_saveexec_b64 s[4:5], s[42:43]
	s_cbranch_execz .LBB259_6
; %bb.23:                               ;   in Loop: Header=BB259_7 Depth=2
	v_cmp_gt_u32_e32 vcc, s53, v43
	s_and_saveexec_b64 s[6:7], vcc
	s_cbranch_execz .LBB259_25
; %bb.24:                               ;   in Loop: Header=BB259_7 Depth=2
	ds_read_b128 v[0:3], v41
	v_lshlrev_b64 v[4:5], 4, v[43:44]
	v_add_co_u32_e32 v4, vcc, v59, v4
	v_addc_co_u32_e32 v5, vcc, v60, v5, vcc
	s_waitcnt lgkmcnt(0)
	global_store_dwordx4 v[4:5], v[0:3], off
.LBB259_25:                             ;   in Loop: Header=BB259_7 Depth=2
	s_or_b64 exec, exec, s[6:7]
	v_cmp_gt_u32_e32 vcc, s53, v45
	s_and_b64 exec, exec, vcc
	s_cbranch_execz .LBB259_6
; %bb.26:                               ;   in Loop: Header=BB259_7 Depth=2
	v_mov_b32_e32 v46, v44
	ds_read_b128 v[0:3], v55
	v_lshlrev_b64 v[4:5], 4, v[45:46]
	v_add_co_u32_e32 v4, vcc, v59, v4
	v_addc_co_u32_e32 v5, vcc, v60, v5, vcc
	s_waitcnt lgkmcnt(0)
	global_store_dwordx4 v[4:5], v[0:3], off
	s_branch .LBB259_6
.LBB259_27:                             ;   in Loop: Header=BB259_7 Depth=2
	v_mov_b32_e32 v0, s56
	v_mov_b32_e32 v1, s57
	;; [unrolled: 1-line block ×4, first 2 shown]
	ds_write_b128 v55, v[0:3]
	s_andn2_saveexec_b64 s[4:5], s[4:5]
	s_cbranch_execz .LBB259_14
.LBB259_28:                             ;   in Loop: Header=BB259_7 Depth=2
	v_mov_b32_e32 v46, v44
	v_lshlrev_b64 v[0:1], 4, v[45:46]
	v_add_co_u32_e32 v0, vcc, v57, v0
	v_addc_co_u32_e32 v1, vcc, v58, v1, vcc
	global_load_dwordx4 v[0:3], v[0:1], off
	s_waitcnt vmcnt(0)
	ds_write_b128 v55, v[0:3]
	s_or_b64 exec, exec, s[4:5]
	s_and_b64 exec, exec, s[36:37]
	s_cbranch_execnz .LBB259_15
	s_branch .LBB259_16
.LBB259_29:
	s_mov_b64 s[4:5], 0
.LBB259_30:
	s_andn2_b64 vcc, exec, s[4:5]
	s_cbranch_vccnz .LBB259_61
; %bb.31:
	s_load_dword s6, s[34:35], 0x44
	s_add_u32 s4, s34, 56
	s_mov_b32 s44, s52
	s_mov_b32 s45, 0
	s_addc_u32 s5, s35, 0
	s_waitcnt lgkmcnt(0)
	s_lshr_b32 s6, s6, 16
	v_mov_b32_e32 v0, s44
	s_mul_hi_u32 s47, s6, s33
	s_mul_i32 s46, s6, s33
	v_mov_b32_e32 v1, s45
	v_cmp_ge_u64_e32 vcc, s[46:47], v[0:1]
	s_cbranch_vccnz .LBB259_61
; %bb.32:
	s_lshl_b32 s60, 1, s54
	s_load_dword s4, s[4:5], 0x0
	s_and_b32 s8, 0xffff, s6
	s_ashr_i32 s61, s60, 31
	s_cmp_lg_u32 s53, 0
	s_mov_b32 s62, s53
	s_cselect_b64 s[6:7], -1, 0
	s_lshl_b64 s[52:53], s[60:61], 1
	v_lshl_add_u32 v55, v40, 4, v47
	s_lshl_b32 s5, s52, 4
	v_cndmask_b32_e64 v0, 0, 1, s[6:7]
	v_mov_b32_e32 v41, 0
	s_mov_b32 s63, s45
	v_lshl_add_u32 v56, s60, 4, v55
	v_cmp_eq_u32_e64 s[34:35], 0, v40
	v_add3_u32 v57, v47, s5, -16
	s_waitcnt lgkmcnt(0)
	s_mul_i32 s33, s4, s8
	s_add_i32 s41, s54, 1
	v_cmp_ne_u32_e64 s[36:37], 1, v0
	s_branch .LBB259_34
.LBB259_33:                             ;   in Loop: Header=BB259_34 Depth=1
	s_add_u32 s46, s46, s33
	v_mov_b32_e32 v0, s44
	s_addc_u32 s47, s47, 0
	v_mov_b32_e32 v1, s45
	v_cmp_ge_u64_e32 vcc, s[46:47], v[0:1]
	s_cbranch_vccnz .LBB259_61
.LBB259_34:                             ; =>This Loop Header: Depth=1
                                        ;     Child Loop BB259_37 Depth 2
                                        ;       Child Loop BB259_49 Depth 3
	s_and_b64 vcc, exec, s[36:37]
	s_cbranch_vccnz .LBB259_33
; %bb.35:                               ;   in Loop: Header=BB259_34 Depth=1
	v_add_co_u32_e32 v0, vcc, s46, v42
	v_mad_u64_u32 v[2:3], s[4:5], v0, s62, 0
	v_mov_b32_e32 v1, s47
	v_addc_co_u32_e32 v1, vcc, 0, v1, vcc
	v_mad_u64_u32 v[3:4], s[4:5], v1, s62, v[3:4]
	v_mov_b32_e32 v4, s51
	v_cmp_gt_u64_e64 s[38:39], s[44:45], v[0:1]
	v_lshlrev_b64 v[2:3], 4, v[2:3]
	v_cmp_le_u64_e64 s[42:43], s[44:45], v[0:1]
	v_add_co_u32_e32 v58, vcc, s50, v2
	v_addc_co_u32_e32 v59, vcc, v4, v3, vcc
	v_mov_b32_e32 v4, s49
	v_add_co_u32_e32 v60, vcc, s48, v2
	v_addc_co_u32_e32 v61, vcc, v4, v3, vcc
	v_mov_b32_e32 v6, s58
	v_mov_b32_e32 v4, s56
	s_mov_b64 s[54:55], 0
	v_mov_b32_e32 v7, s59
	v_mov_b32_e32 v5, s57
	s_branch .LBB259_37
.LBB259_36:                             ;   in Loop: Header=BB259_37 Depth=2
	s_or_b64 exec, exec, s[4:5]
	ds_read_b128 v[4:7], v57
	s_add_u32 s54, s54, s52
	v_mov_b32_e32 v0, s62
	s_addc_u32 s55, s55, s53
	v_mov_b32_e32 v1, s63
	v_cmp_ge_u64_e32 vcc, s[54:55], v[0:1]
	s_waitcnt lgkmcnt(0)
	s_waitcnt vmcnt(0)
	s_barrier
	s_cbranch_vccnz .LBB259_33
.LBB259_37:                             ;   Parent Loop BB259_34 Depth=1
                                        ; =>  This Loop Header: Depth=2
                                        ;       Child Loop BB259_49 Depth 3
	v_mov_b32_e32 v0, s55
	v_add_co_u32_e32 v45, vcc, s54, v40
	v_addc_co_u32_e32 v46, vcc, 0, v0, vcc
	v_mov_b32_e32 v0, s61
	v_add_co_u32_e32 v43, vcc, s60, v45
	v_addc_co_u32_e32 v44, vcc, v46, v0, vcc
	s_and_saveexec_b64 s[64:65], s[38:39]
	s_cbranch_execz .LBB259_46
; %bb.38:                               ;   in Loop: Header=BB259_37 Depth=2
	v_cmp_le_u64_e32 vcc, s[62:63], v[45:46]
	s_and_saveexec_b64 s[4:5], vcc
	s_xor_b64 s[4:5], exec, s[4:5]
; %bb.39:                               ;   in Loop: Header=BB259_37 Depth=2
	v_mov_b32_e32 v0, s56
	v_mov_b32_e32 v1, s57
	;; [unrolled: 1-line block ×4, first 2 shown]
	ds_write_b128 v55, v[0:3]
; %bb.40:                               ;   in Loop: Header=BB259_37 Depth=2
	s_andn2_saveexec_b64 s[4:5], s[4:5]
	s_cbranch_execz .LBB259_42
; %bb.41:                               ;   in Loop: Header=BB259_37 Depth=2
	v_lshlrev_b64 v[0:1], 4, v[45:46]
	v_add_co_u32_e32 v0, vcc, v58, v0
	v_addc_co_u32_e32 v1, vcc, v59, v1, vcc
	global_load_dwordx4 v[0:3], v[0:1], off
	s_waitcnt vmcnt(0)
	ds_write_b128 v55, v[0:3]
.LBB259_42:                             ;   in Loop: Header=BB259_37 Depth=2
	s_or_b64 exec, exec, s[4:5]
	v_cmp_le_u64_e32 vcc, s[62:63], v[43:44]
	s_and_saveexec_b64 s[4:5], vcc
	s_xor_b64 s[4:5], exec, s[4:5]
	s_cbranch_execnz .LBB259_59
; %bb.43:                               ;   in Loop: Header=BB259_37 Depth=2
	s_andn2_saveexec_b64 s[4:5], s[4:5]
	s_cbranch_execnz .LBB259_60
.LBB259_44:                             ;   in Loop: Header=BB259_37 Depth=2
	s_or_b64 exec, exec, s[4:5]
	s_and_b64 exec, exec, s[34:35]
	s_cbranch_execz .LBB259_46
.LBB259_45:                             ;   in Loop: Header=BB259_37 Depth=2
	ds_read_b128 v[0:3], v47
	s_getpc_b64 s[4:5]
	s_add_u32 s4, s4, _ZZZZN2at6native31launch_logcumsumexp_cuda_kernelERKNS_10TensorBaseES3_lENKUlvE_clEvENKUlvE1_clEvENKUlN3c107complexIdEES8_E_clES8_S8_@rel32@lo+4
	s_addc_u32 s5, s5, _ZZZZN2at6native31launch_logcumsumexp_cuda_kernelERKNS_10TensorBaseES3_lENKUlvE_clEvENKUlvE1_clEvENKUlN3c107complexIdEES8_E_clES8_S8_@rel32@hi+12
	s_swappc_b64 s[30:31], s[4:5]
	ds_write_b128 v47, v[0:3]
.LBB259_46:                             ;   in Loop: Header=BB259_37 Depth=2
	s_or_b64 exec, exec, s[64:65]
	v_mov_b32_e32 v3, 0
	s_mov_b64 s[64:65], 0
	s_waitcnt lgkmcnt(0)
	s_barrier
	s_branch .LBB259_49
.LBB259_47:                             ;   in Loop: Header=BB259_49 Depth=3
	s_or_b64 exec, exec, s[4:5]
	v_lshrrev_b32_e32 v2, v3, v40
	v_lshl_or_b32 v0, v2, v62, v0
	v_lshl_add_u32 v4, v0, 4, v47
	v_lshl_add_u32 v63, v1, 4, v4
	v_add_u32_e32 v4, -16, v4
	ds_read_b128 v[0:3], v63
	ds_read_b128 v[4:7], v4
	s_getpc_b64 s[4:5]
	s_add_u32 s4, s4, _ZZZZN2at6native31launch_logcumsumexp_cuda_kernelERKNS_10TensorBaseES3_lENKUlvE_clEvENKUlvE1_clEvENKUlN3c107complexIdEES8_E_clES8_S8_@rel32@lo+4
	s_addc_u32 s5, s5, _ZZZZN2at6native31launch_logcumsumexp_cuda_kernelERKNS_10TensorBaseES3_lENKUlvE_clEvENKUlvE1_clEvENKUlN3c107complexIdEES8_E_clES8_S8_@rel32@hi+12
	s_swappc_b64 s[30:31], s[4:5]
	ds_write_b128 v63, v[0:3]
.LBB259_48:                             ;   in Loop: Header=BB259_49 Depth=3
	s_or_b64 exec, exec, s[66:67]
	v_cmp_eq_u32_e32 vcc, s41, v62
	s_or_b64 s[64:65], vcc, s[64:65]
	v_mov_b32_e32 v3, v62
	s_waitcnt lgkmcnt(0)
	s_barrier
	s_andn2_b64 exec, exec, s[64:65]
	s_cbranch_execz .LBB259_54
.LBB259_49:                             ;   Parent Loop BB259_34 Depth=1
                                        ;     Parent Loop BB259_37 Depth=2
                                        ; =>    This Inner Loop Header: Depth=3
	v_add_u32_e32 v62, 1, v3
	s_and_saveexec_b64 s[4:5], s[42:43]
	s_xor_b64 s[4:5], exec, s[4:5]
; %bb.50:                               ;   in Loop: Header=BB259_49 Depth=3
	v_add_u32_e32 v62, 1, v3
                                        ; implicit-def: $vgpr3
; %bb.51:                               ;   in Loop: Header=BB259_49 Depth=3
	s_andn2_saveexec_b64 s[66:67], s[4:5]
	s_cbranch_execz .LBB259_48
; %bb.52:                               ;   in Loop: Header=BB259_49 Depth=3
	v_lshlrev_b32_e64 v0, v3, 1
	v_ashrrev_i32_e32 v1, 31, v0
	v_cmp_ge_u64_e32 vcc, v[40:41], v[0:1]
	v_mov_b32_e32 v1, v40
	v_mov_b32_e32 v2, v41
	s_and_saveexec_b64 s[4:5], vcc
	s_cbranch_execz .LBB259_47
; %bb.53:                               ;   in Loop: Header=BB259_49 Depth=3
	v_cvt_f32_u32_e32 v1, v0
	v_sub_u32_e32 v2, 0, v0
	v_rcp_iflag_f32_e32 v1, v1
	v_mul_f32_e32 v1, 0x4f7ffffe, v1
	v_cvt_u32_f32_e32 v1, v1
	v_mul_lo_u32 v2, v2, v1
	v_mul_hi_u32 v2, v1, v2
	v_add_u32_e32 v1, v1, v2
	v_mul_hi_u32 v1, v40, v1
	v_mul_lo_u32 v1, v1, v0
	v_sub_u32_e32 v1, v40, v1
	v_sub_u32_e32 v2, v1, v0
	v_cmp_ge_u32_e32 vcc, v1, v0
	v_cndmask_b32_e32 v1, v1, v2, vcc
	v_sub_u32_e32 v2, v1, v0
	v_cmp_ge_u32_e32 vcc, v1, v0
	v_cndmask_b32_e32 v1, v1, v2, vcc
	s_branch .LBB259_47
.LBB259_54:                             ;   in Loop: Header=BB259_37 Depth=2
	s_or_b64 exec, exec, s[64:65]
	s_and_saveexec_b64 s[4:5], s[38:39]
	s_cbranch_execz .LBB259_36
; %bb.55:                               ;   in Loop: Header=BB259_37 Depth=2
	v_cmp_gt_u64_e32 vcc, s[62:63], v[45:46]
	s_and_saveexec_b64 s[6:7], vcc
	s_cbranch_execz .LBB259_57
; %bb.56:                               ;   in Loop: Header=BB259_37 Depth=2
	ds_read_b128 v[0:3], v55
	v_lshlrev_b64 v[4:5], 4, v[45:46]
	v_add_co_u32_e32 v4, vcc, v60, v4
	v_addc_co_u32_e32 v5, vcc, v61, v5, vcc
	s_waitcnt lgkmcnt(0)
	global_store_dwordx4 v[4:5], v[0:3], off
.LBB259_57:                             ;   in Loop: Header=BB259_37 Depth=2
	s_or_b64 exec, exec, s[6:7]
	v_cmp_gt_u64_e32 vcc, s[62:63], v[43:44]
	s_and_b64 exec, exec, vcc
	s_cbranch_execz .LBB259_36
; %bb.58:                               ;   in Loop: Header=BB259_37 Depth=2
	ds_read_b128 v[0:3], v56
	v_lshlrev_b64 v[4:5], 4, v[43:44]
	v_add_co_u32_e32 v4, vcc, v60, v4
	v_addc_co_u32_e32 v5, vcc, v61, v5, vcc
	s_waitcnt lgkmcnt(0)
	global_store_dwordx4 v[4:5], v[0:3], off
	s_branch .LBB259_36
.LBB259_59:                             ;   in Loop: Header=BB259_37 Depth=2
	v_mov_b32_e32 v0, s56
	v_mov_b32_e32 v1, s57
	;; [unrolled: 1-line block ×4, first 2 shown]
	ds_write_b128 v56, v[0:3]
	s_andn2_saveexec_b64 s[4:5], s[4:5]
	s_cbranch_execz .LBB259_44
.LBB259_60:                             ;   in Loop: Header=BB259_37 Depth=2
	v_lshlrev_b64 v[0:1], 4, v[43:44]
	v_add_co_u32_e32 v0, vcc, v58, v0
	v_addc_co_u32_e32 v1, vcc, v59, v1, vcc
	global_load_dwordx4 v[0:3], v[0:1], off
	s_waitcnt vmcnt(0)
	ds_write_b128 v56, v[0:3]
	s_or_b64 exec, exec, s[4:5]
	s_and_b64 exec, exec, s[34:35]
	s_cbranch_execnz .LBB259_45
	s_branch .LBB259_46
.LBB259_61:
	s_endpgm
	.section	.rodata,"a",@progbits
	.p2align	6, 0x0
	.amdhsa_kernel _ZN2at6native32tensor_kernel_scan_innermost_dimIN3c107complexIdEEZZZNS0_31launch_logcumsumexp_cuda_kernelERKNS_10TensorBaseES7_lENKUlvE_clEvENKUlvE1_clEvEUlS4_S4_E_EEvPT_PKSB_jjjSB_T0_
		.amdhsa_group_segment_fixed_size 0
		.amdhsa_private_segment_fixed_size 0
		.amdhsa_kernarg_size 312
		.amdhsa_user_sgpr_count 6
		.amdhsa_user_sgpr_private_segment_buffer 1
		.amdhsa_user_sgpr_dispatch_ptr 0
		.amdhsa_user_sgpr_queue_ptr 0
		.amdhsa_user_sgpr_kernarg_segment_ptr 1
		.amdhsa_user_sgpr_dispatch_id 0
		.amdhsa_user_sgpr_flat_scratch_init 0
		.amdhsa_user_sgpr_private_segment_size 0
		.amdhsa_uses_dynamic_stack 0
		.amdhsa_system_sgpr_private_segment_wavefront_offset 0
		.amdhsa_system_sgpr_workgroup_id_x 1
		.amdhsa_system_sgpr_workgroup_id_y 0
		.amdhsa_system_sgpr_workgroup_id_z 0
		.amdhsa_system_sgpr_workgroup_info 0
		.amdhsa_system_vgpr_workitem_id 1
		.amdhsa_next_free_vgpr 64
		.amdhsa_next_free_sgpr 68
		.amdhsa_reserve_vcc 1
		.amdhsa_reserve_flat_scratch 0
		.amdhsa_float_round_mode_32 0
		.amdhsa_float_round_mode_16_64 0
		.amdhsa_float_denorm_mode_32 3
		.amdhsa_float_denorm_mode_16_64 3
		.amdhsa_dx10_clamp 1
		.amdhsa_ieee_mode 1
		.amdhsa_fp16_overflow 0
		.amdhsa_exception_fp_ieee_invalid_op 0
		.amdhsa_exception_fp_denorm_src 0
		.amdhsa_exception_fp_ieee_div_zero 0
		.amdhsa_exception_fp_ieee_overflow 0
		.amdhsa_exception_fp_ieee_underflow 0
		.amdhsa_exception_fp_ieee_inexact 0
		.amdhsa_exception_int_div_zero 0
	.end_amdhsa_kernel
	.section	.text._ZN2at6native32tensor_kernel_scan_innermost_dimIN3c107complexIdEEZZZNS0_31launch_logcumsumexp_cuda_kernelERKNS_10TensorBaseES7_lENKUlvE_clEvENKUlvE1_clEvEUlS4_S4_E_EEvPT_PKSB_jjjSB_T0_,"axG",@progbits,_ZN2at6native32tensor_kernel_scan_innermost_dimIN3c107complexIdEEZZZNS0_31launch_logcumsumexp_cuda_kernelERKNS_10TensorBaseES7_lENKUlvE_clEvENKUlvE1_clEvEUlS4_S4_E_EEvPT_PKSB_jjjSB_T0_,comdat
.Lfunc_end259:
	.size	_ZN2at6native32tensor_kernel_scan_innermost_dimIN3c107complexIdEEZZZNS0_31launch_logcumsumexp_cuda_kernelERKNS_10TensorBaseES7_lENKUlvE_clEvENKUlvE1_clEvEUlS4_S4_E_EEvPT_PKSB_jjjSB_T0_, .Lfunc_end259-_ZN2at6native32tensor_kernel_scan_innermost_dimIN3c107complexIdEEZZZNS0_31launch_logcumsumexp_cuda_kernelERKNS_10TensorBaseES7_lENKUlvE_clEvENKUlvE1_clEvEUlS4_S4_E_EEvPT_PKSB_jjjSB_T0_
                                        ; -- End function
	.set _ZN2at6native32tensor_kernel_scan_innermost_dimIN3c107complexIdEEZZZNS0_31launch_logcumsumexp_cuda_kernelERKNS_10TensorBaseES7_lENKUlvE_clEvENKUlvE1_clEvEUlS4_S4_E_EEvPT_PKSB_jjjSB_T0_.num_vgpr, max(64, .L_ZZZZN2at6native31launch_logcumsumexp_cuda_kernelERKNS_10TensorBaseES3_lENKUlvE_clEvENKUlvE1_clEvENKUlN3c107complexIdEES8_E_clES8_S8_.num_vgpr)
	.set _ZN2at6native32tensor_kernel_scan_innermost_dimIN3c107complexIdEEZZZNS0_31launch_logcumsumexp_cuda_kernelERKNS_10TensorBaseES7_lENKUlvE_clEvENKUlvE1_clEvEUlS4_S4_E_EEvPT_PKSB_jjjSB_T0_.num_agpr, max(0, .L_ZZZZN2at6native31launch_logcumsumexp_cuda_kernelERKNS_10TensorBaseES3_lENKUlvE_clEvENKUlvE1_clEvENKUlN3c107complexIdEES8_E_clES8_S8_.num_agpr)
	.set _ZN2at6native32tensor_kernel_scan_innermost_dimIN3c107complexIdEEZZZNS0_31launch_logcumsumexp_cuda_kernelERKNS_10TensorBaseES7_lENKUlvE_clEvENKUlvE1_clEvEUlS4_S4_E_EEvPT_PKSB_jjjSB_T0_.numbered_sgpr, max(68, .L_ZZZZN2at6native31launch_logcumsumexp_cuda_kernelERKNS_10TensorBaseES3_lENKUlvE_clEvENKUlvE1_clEvENKUlN3c107complexIdEES8_E_clES8_S8_.numbered_sgpr)
	.set _ZN2at6native32tensor_kernel_scan_innermost_dimIN3c107complexIdEEZZZNS0_31launch_logcumsumexp_cuda_kernelERKNS_10TensorBaseES7_lENKUlvE_clEvENKUlvE1_clEvEUlS4_S4_E_EEvPT_PKSB_jjjSB_T0_.num_named_barrier, max(0, .L_ZZZZN2at6native31launch_logcumsumexp_cuda_kernelERKNS_10TensorBaseES3_lENKUlvE_clEvENKUlvE1_clEvENKUlN3c107complexIdEES8_E_clES8_S8_.num_named_barrier)
	.set _ZN2at6native32tensor_kernel_scan_innermost_dimIN3c107complexIdEEZZZNS0_31launch_logcumsumexp_cuda_kernelERKNS_10TensorBaseES7_lENKUlvE_clEvENKUlvE1_clEvEUlS4_S4_E_EEvPT_PKSB_jjjSB_T0_.private_seg_size, 0+max(.L_ZZZZN2at6native31launch_logcumsumexp_cuda_kernelERKNS_10TensorBaseES3_lENKUlvE_clEvENKUlvE1_clEvENKUlN3c107complexIdEES8_E_clES8_S8_.private_seg_size)
	.set _ZN2at6native32tensor_kernel_scan_innermost_dimIN3c107complexIdEEZZZNS0_31launch_logcumsumexp_cuda_kernelERKNS_10TensorBaseES7_lENKUlvE_clEvENKUlvE1_clEvEUlS4_S4_E_EEvPT_PKSB_jjjSB_T0_.uses_vcc, or(1, .L_ZZZZN2at6native31launch_logcumsumexp_cuda_kernelERKNS_10TensorBaseES3_lENKUlvE_clEvENKUlvE1_clEvENKUlN3c107complexIdEES8_E_clES8_S8_.uses_vcc)
	.set _ZN2at6native32tensor_kernel_scan_innermost_dimIN3c107complexIdEEZZZNS0_31launch_logcumsumexp_cuda_kernelERKNS_10TensorBaseES7_lENKUlvE_clEvENKUlvE1_clEvEUlS4_S4_E_EEvPT_PKSB_jjjSB_T0_.uses_flat_scratch, or(0, .L_ZZZZN2at6native31launch_logcumsumexp_cuda_kernelERKNS_10TensorBaseES3_lENKUlvE_clEvENKUlvE1_clEvENKUlN3c107complexIdEES8_E_clES8_S8_.uses_flat_scratch)
	.set _ZN2at6native32tensor_kernel_scan_innermost_dimIN3c107complexIdEEZZZNS0_31launch_logcumsumexp_cuda_kernelERKNS_10TensorBaseES7_lENKUlvE_clEvENKUlvE1_clEvEUlS4_S4_E_EEvPT_PKSB_jjjSB_T0_.has_dyn_sized_stack, or(0, .L_ZZZZN2at6native31launch_logcumsumexp_cuda_kernelERKNS_10TensorBaseES3_lENKUlvE_clEvENKUlvE1_clEvENKUlN3c107complexIdEES8_E_clES8_S8_.has_dyn_sized_stack)
	.set _ZN2at6native32tensor_kernel_scan_innermost_dimIN3c107complexIdEEZZZNS0_31launch_logcumsumexp_cuda_kernelERKNS_10TensorBaseES7_lENKUlvE_clEvENKUlvE1_clEvEUlS4_S4_E_EEvPT_PKSB_jjjSB_T0_.has_recursion, or(0, .L_ZZZZN2at6native31launch_logcumsumexp_cuda_kernelERKNS_10TensorBaseES3_lENKUlvE_clEvENKUlvE1_clEvENKUlN3c107complexIdEES8_E_clES8_S8_.has_recursion)
	.set _ZN2at6native32tensor_kernel_scan_innermost_dimIN3c107complexIdEEZZZNS0_31launch_logcumsumexp_cuda_kernelERKNS_10TensorBaseES7_lENKUlvE_clEvENKUlvE1_clEvEUlS4_S4_E_EEvPT_PKSB_jjjSB_T0_.has_indirect_call, or(0, .L_ZZZZN2at6native31launch_logcumsumexp_cuda_kernelERKNS_10TensorBaseES3_lENKUlvE_clEvENKUlvE1_clEvENKUlN3c107complexIdEES8_E_clES8_S8_.has_indirect_call)
	.section	.AMDGPU.csdata,"",@progbits
; Kernel info:
; codeLenInByte = 1964
; TotalNumSgprs: 72
; NumVgprs: 64
; ScratchSize: 0
; MemoryBound: 0
; FloatMode: 240
; IeeeMode: 1
; LDSByteSize: 0 bytes/workgroup (compile time only)
; SGPRBlocks: 8
; VGPRBlocks: 15
; NumSGPRsForWavesPerEU: 72
; NumVGPRsForWavesPerEU: 64
; Occupancy: 4
; WaveLimiterHint : 0
; COMPUTE_PGM_RSRC2:SCRATCH_EN: 0
; COMPUTE_PGM_RSRC2:USER_SGPR: 6
; COMPUTE_PGM_RSRC2:TRAP_HANDLER: 0
; COMPUTE_PGM_RSRC2:TGID_X_EN: 1
; COMPUTE_PGM_RSRC2:TGID_Y_EN: 0
; COMPUTE_PGM_RSRC2:TGID_Z_EN: 0
; COMPUTE_PGM_RSRC2:TIDIG_COMP_CNT: 1
	.section	.text._ZN2at6native28tensor_kernel_scan_outer_dimIN3c107complexIdEEjZZZNS0_31launch_logcumsumexp_cuda_kernelERKNS_10TensorBaseES7_lENKUlvE_clEvENKUlvE1_clEvEUlS4_S4_E_EEvPT_PKSB_jjjSB_T1_,"axG",@progbits,_ZN2at6native28tensor_kernel_scan_outer_dimIN3c107complexIdEEjZZZNS0_31launch_logcumsumexp_cuda_kernelERKNS_10TensorBaseES7_lENKUlvE_clEvENKUlvE1_clEvEUlS4_S4_E_EEvPT_PKSB_jjjSB_T1_,comdat
	.globl	_ZN2at6native28tensor_kernel_scan_outer_dimIN3c107complexIdEEjZZZNS0_31launch_logcumsumexp_cuda_kernelERKNS_10TensorBaseES7_lENKUlvE_clEvENKUlvE1_clEvEUlS4_S4_E_EEvPT_PKSB_jjjSB_T1_ ; -- Begin function _ZN2at6native28tensor_kernel_scan_outer_dimIN3c107complexIdEEjZZZNS0_31launch_logcumsumexp_cuda_kernelERKNS_10TensorBaseES7_lENKUlvE_clEvENKUlvE1_clEvEUlS4_S4_E_EEvPT_PKSB_jjjSB_T1_
	.p2align	8
	.type	_ZN2at6native28tensor_kernel_scan_outer_dimIN3c107complexIdEEjZZZNS0_31launch_logcumsumexp_cuda_kernelERKNS_10TensorBaseES7_lENKUlvE_clEvENKUlvE1_clEvEUlS4_S4_E_EEvPT_PKSB_jjjSB_T1_,@function
_ZN2at6native28tensor_kernel_scan_outer_dimIN3c107complexIdEEjZZZNS0_31launch_logcumsumexp_cuda_kernelERKNS_10TensorBaseES7_lENKUlvE_clEvENKUlvE1_clEvEUlS4_S4_E_EEvPT_PKSB_jjjSB_T1_: ; @_ZN2at6native28tensor_kernel_scan_outer_dimIN3c107complexIdEEjZZZNS0_31launch_logcumsumexp_cuda_kernelERKNS_10TensorBaseES7_lENKUlvE_clEvENKUlvE1_clEvEUlS4_S4_E_EEvPT_PKSB_jjjSB_T1_
; %bb.0:
	s_load_dwordx4 s[44:47], s[4:5], 0x10
	s_add_u32 s0, s0, s8
	s_addc_u32 s1, s1, 0
	s_mov_b32 s32, 0
	s_waitcnt lgkmcnt(0)
	s_cmp_ge_u32 s6, s44
	s_cbranch_scc1 .LBB260_9
; %bb.1:
	s_mov_b32 s33, s6
	s_load_dword s41, s[4:5], 0x38
	s_load_dword s6, s[4:5], 0x44
	s_load_dwordx4 s[48:51], s[4:5], 0x0
	s_load_dwordx4 s[52:55], s[4:5], 0x20
	s_add_u32 s38, s4, 56
	s_addc_u32 s39, s5, 0
	s_waitcnt lgkmcnt(0)
	s_and_b32 s47, s6, 0xffff
	s_cmp_lg_u32 s46, 0
	s_mul_i32 s7, s7, s47
	s_cselect_b64 s[4:5], -1, 0
	s_mul_i32 s6, s33, s46
	v_add_u32_e32 v42, s7, v0
	s_mov_b32 s43, 0
	s_mov_b32 s42, s45
	s_mul_i32 s6, s6, s45
	s_mul_i32 s64, s41, s46
	v_cndmask_b32_e64 v0, 0, 1, s[4:5]
	v_cmp_gt_u32_e64 s[34:35], s45, v42
	s_mul_i32 s64, s64, s45
	s_lshl_b64 s[56:57], s[42:43], 4
	v_cmp_ne_u32_e64 s[36:37], 1, v0
	v_mov_b32_e32 v41, 0
	s_mov_b32 s42, s6
	s_branch .LBB260_3
.LBB260_2:                              ;   in Loop: Header=BB260_3 Depth=1
	s_or_b64 exec, exec, s[58:59]
	s_add_i32 s33, s41, s33
	s_add_i32 s42, s42, s64
	s_cmp_ge_u32 s33, s44
	s_cbranch_scc1 .LBB260_9
.LBB260_3:                              ; =>This Loop Header: Depth=1
                                        ;     Child Loop BB260_6 Depth 2
                                        ;       Child Loop BB260_8 Depth 3
	s_and_saveexec_b64 s[58:59], s[34:35]
	s_cbranch_execz .LBB260_2
; %bb.4:                                ;   in Loop: Header=BB260_3 Depth=1
	s_load_dword s65, s[38:39], 0x4
	s_lshl_b64 s[60:61], s[42:43], 4
	s_mov_b64 s[62:63], 0
	v_mov_b32_e32 v40, v42
	s_waitcnt lgkmcnt(0)
	s_mul_i32 s65, s65, s47
	s_branch .LBB260_6
.LBB260_5:                              ;   in Loop: Header=BB260_6 Depth=2
	v_add_u32_e32 v40, s65, v40
	v_cmp_le_u32_e32 vcc, s45, v40
	s_or_b64 s[62:63], vcc, s[62:63]
	s_andn2_b64 exec, exec, s[62:63]
	s_cbranch_execz .LBB260_2
.LBB260_6:                              ;   Parent Loop BB260_3 Depth=1
                                        ; =>  This Loop Header: Depth=2
                                        ;       Child Loop BB260_8 Depth 3
	s_and_b64 vcc, exec, s[36:37]
	s_cbranch_vccnz .LBB260_5
; %bb.7:                                ;   in Loop: Header=BB260_6 Depth=2
	v_lshlrev_b64 v[0:1], 4, v[40:41]
	v_mov_b32_e32 v2, s61
	v_add_co_u32_e32 v43, vcc, s60, v0
	v_addc_co_u32_e32 v44, vcc, v2, v1, vcc
	v_mov_b32_e32 v2, s54
	v_mov_b32_e32 v0, s52
	;; [unrolled: 1-line block ×4, first 2 shown]
	s_mov_b32 s66, s46
.LBB260_8:                              ;   Parent Loop BB260_3 Depth=1
                                        ;     Parent Loop BB260_6 Depth=2
                                        ; =>    This Inner Loop Header: Depth=3
	v_mov_b32_e32 v5, s51
	v_add_co_u32_e32 v4, vcc, s50, v43
	v_addc_co_u32_e32 v5, vcc, v5, v44, vcc
	global_load_dwordx4 v[4:7], v[4:5], off
	v_mov_b32_e32 v8, s49
	s_getpc_b64 s[4:5]
	s_add_u32 s4, s4, _ZZZZN2at6native31launch_logcumsumexp_cuda_kernelERKNS_10TensorBaseES3_lENKUlvE_clEvENKUlvE1_clEvENKUlN3c107complexIdEES8_E_clES8_S8_@rel32@lo+4
	s_addc_u32 s5, s5, _ZZZZN2at6native31launch_logcumsumexp_cuda_kernelERKNS_10TensorBaseES3_lENKUlvE_clEvENKUlvE1_clEvENKUlN3c107complexIdEES8_E_clES8_S8_@rel32@hi+12
	v_add_co_u32_e32 v45, vcc, s48, v43
	v_addc_co_u32_e32 v46, vcc, v8, v44, vcc
	s_swappc_b64 s[30:31], s[4:5]
	s_add_i32 s66, s66, -1
	v_mov_b32_e32 v4, s57
	v_add_co_u32_e32 v43, vcc, s56, v43
	s_cmp_eq_u32 s66, 0
	v_addc_co_u32_e32 v44, vcc, v44, v4, vcc
	global_store_dwordx4 v[45:46], v[0:3], off
	s_cbranch_scc0 .LBB260_8
	s_branch .LBB260_5
.LBB260_9:
	s_endpgm
	.section	.rodata,"a",@progbits
	.p2align	6, 0x0
	.amdhsa_kernel _ZN2at6native28tensor_kernel_scan_outer_dimIN3c107complexIdEEjZZZNS0_31launch_logcumsumexp_cuda_kernelERKNS_10TensorBaseES7_lENKUlvE_clEvENKUlvE1_clEvEUlS4_S4_E_EEvPT_PKSB_jjjSB_T1_
		.amdhsa_group_segment_fixed_size 0
		.amdhsa_private_segment_fixed_size 0
		.amdhsa_kernarg_size 312
		.amdhsa_user_sgpr_count 6
		.amdhsa_user_sgpr_private_segment_buffer 1
		.amdhsa_user_sgpr_dispatch_ptr 0
		.amdhsa_user_sgpr_queue_ptr 0
		.amdhsa_user_sgpr_kernarg_segment_ptr 1
		.amdhsa_user_sgpr_dispatch_id 0
		.amdhsa_user_sgpr_flat_scratch_init 0
		.amdhsa_user_sgpr_private_segment_size 0
		.amdhsa_uses_dynamic_stack 0
		.amdhsa_system_sgpr_private_segment_wavefront_offset 0
		.amdhsa_system_sgpr_workgroup_id_x 1
		.amdhsa_system_sgpr_workgroup_id_y 1
		.amdhsa_system_sgpr_workgroup_id_z 0
		.amdhsa_system_sgpr_workgroup_info 0
		.amdhsa_system_vgpr_workitem_id 0
		.amdhsa_next_free_vgpr 55
		.amdhsa_next_free_sgpr 67
		.amdhsa_reserve_vcc 1
		.amdhsa_reserve_flat_scratch 0
		.amdhsa_float_round_mode_32 0
		.amdhsa_float_round_mode_16_64 0
		.amdhsa_float_denorm_mode_32 3
		.amdhsa_float_denorm_mode_16_64 3
		.amdhsa_dx10_clamp 1
		.amdhsa_ieee_mode 1
		.amdhsa_fp16_overflow 0
		.amdhsa_exception_fp_ieee_invalid_op 0
		.amdhsa_exception_fp_denorm_src 0
		.amdhsa_exception_fp_ieee_div_zero 0
		.amdhsa_exception_fp_ieee_overflow 0
		.amdhsa_exception_fp_ieee_underflow 0
		.amdhsa_exception_fp_ieee_inexact 0
		.amdhsa_exception_int_div_zero 0
	.end_amdhsa_kernel
	.section	.text._ZN2at6native28tensor_kernel_scan_outer_dimIN3c107complexIdEEjZZZNS0_31launch_logcumsumexp_cuda_kernelERKNS_10TensorBaseES7_lENKUlvE_clEvENKUlvE1_clEvEUlS4_S4_E_EEvPT_PKSB_jjjSB_T1_,"axG",@progbits,_ZN2at6native28tensor_kernel_scan_outer_dimIN3c107complexIdEEjZZZNS0_31launch_logcumsumexp_cuda_kernelERKNS_10TensorBaseES7_lENKUlvE_clEvENKUlvE1_clEvEUlS4_S4_E_EEvPT_PKSB_jjjSB_T1_,comdat
.Lfunc_end260:
	.size	_ZN2at6native28tensor_kernel_scan_outer_dimIN3c107complexIdEEjZZZNS0_31launch_logcumsumexp_cuda_kernelERKNS_10TensorBaseES7_lENKUlvE_clEvENKUlvE1_clEvEUlS4_S4_E_EEvPT_PKSB_jjjSB_T1_, .Lfunc_end260-_ZN2at6native28tensor_kernel_scan_outer_dimIN3c107complexIdEEjZZZNS0_31launch_logcumsumexp_cuda_kernelERKNS_10TensorBaseES7_lENKUlvE_clEvENKUlvE1_clEvEUlS4_S4_E_EEvPT_PKSB_jjjSB_T1_
                                        ; -- End function
	.set _ZN2at6native28tensor_kernel_scan_outer_dimIN3c107complexIdEEjZZZNS0_31launch_logcumsumexp_cuda_kernelERKNS_10TensorBaseES7_lENKUlvE_clEvENKUlvE1_clEvEUlS4_S4_E_EEvPT_PKSB_jjjSB_T1_.num_vgpr, max(47, .L_ZZZZN2at6native31launch_logcumsumexp_cuda_kernelERKNS_10TensorBaseES3_lENKUlvE_clEvENKUlvE1_clEvENKUlN3c107complexIdEES8_E_clES8_S8_.num_vgpr)
	.set _ZN2at6native28tensor_kernel_scan_outer_dimIN3c107complexIdEEjZZZNS0_31launch_logcumsumexp_cuda_kernelERKNS_10TensorBaseES7_lENKUlvE_clEvENKUlvE1_clEvEUlS4_S4_E_EEvPT_PKSB_jjjSB_T1_.num_agpr, max(0, .L_ZZZZN2at6native31launch_logcumsumexp_cuda_kernelERKNS_10TensorBaseES3_lENKUlvE_clEvENKUlvE1_clEvENKUlN3c107complexIdEES8_E_clES8_S8_.num_agpr)
	.set _ZN2at6native28tensor_kernel_scan_outer_dimIN3c107complexIdEEjZZZNS0_31launch_logcumsumexp_cuda_kernelERKNS_10TensorBaseES7_lENKUlvE_clEvENKUlvE1_clEvEUlS4_S4_E_EEvPT_PKSB_jjjSB_T1_.numbered_sgpr, max(67, .L_ZZZZN2at6native31launch_logcumsumexp_cuda_kernelERKNS_10TensorBaseES3_lENKUlvE_clEvENKUlvE1_clEvENKUlN3c107complexIdEES8_E_clES8_S8_.numbered_sgpr)
	.set _ZN2at6native28tensor_kernel_scan_outer_dimIN3c107complexIdEEjZZZNS0_31launch_logcumsumexp_cuda_kernelERKNS_10TensorBaseES7_lENKUlvE_clEvENKUlvE1_clEvEUlS4_S4_E_EEvPT_PKSB_jjjSB_T1_.num_named_barrier, max(0, .L_ZZZZN2at6native31launch_logcumsumexp_cuda_kernelERKNS_10TensorBaseES3_lENKUlvE_clEvENKUlvE1_clEvENKUlN3c107complexIdEES8_E_clES8_S8_.num_named_barrier)
	.set _ZN2at6native28tensor_kernel_scan_outer_dimIN3c107complexIdEEjZZZNS0_31launch_logcumsumexp_cuda_kernelERKNS_10TensorBaseES7_lENKUlvE_clEvENKUlvE1_clEvEUlS4_S4_E_EEvPT_PKSB_jjjSB_T1_.private_seg_size, 0+max(.L_ZZZZN2at6native31launch_logcumsumexp_cuda_kernelERKNS_10TensorBaseES3_lENKUlvE_clEvENKUlvE1_clEvENKUlN3c107complexIdEES8_E_clES8_S8_.private_seg_size)
	.set _ZN2at6native28tensor_kernel_scan_outer_dimIN3c107complexIdEEjZZZNS0_31launch_logcumsumexp_cuda_kernelERKNS_10TensorBaseES7_lENKUlvE_clEvENKUlvE1_clEvEUlS4_S4_E_EEvPT_PKSB_jjjSB_T1_.uses_vcc, or(1, .L_ZZZZN2at6native31launch_logcumsumexp_cuda_kernelERKNS_10TensorBaseES3_lENKUlvE_clEvENKUlvE1_clEvENKUlN3c107complexIdEES8_E_clES8_S8_.uses_vcc)
	.set _ZN2at6native28tensor_kernel_scan_outer_dimIN3c107complexIdEEjZZZNS0_31launch_logcumsumexp_cuda_kernelERKNS_10TensorBaseES7_lENKUlvE_clEvENKUlvE1_clEvEUlS4_S4_E_EEvPT_PKSB_jjjSB_T1_.uses_flat_scratch, or(0, .L_ZZZZN2at6native31launch_logcumsumexp_cuda_kernelERKNS_10TensorBaseES3_lENKUlvE_clEvENKUlvE1_clEvENKUlN3c107complexIdEES8_E_clES8_S8_.uses_flat_scratch)
	.set _ZN2at6native28tensor_kernel_scan_outer_dimIN3c107complexIdEEjZZZNS0_31launch_logcumsumexp_cuda_kernelERKNS_10TensorBaseES7_lENKUlvE_clEvENKUlvE1_clEvEUlS4_S4_E_EEvPT_PKSB_jjjSB_T1_.has_dyn_sized_stack, or(0, .L_ZZZZN2at6native31launch_logcumsumexp_cuda_kernelERKNS_10TensorBaseES3_lENKUlvE_clEvENKUlvE1_clEvENKUlN3c107complexIdEES8_E_clES8_S8_.has_dyn_sized_stack)
	.set _ZN2at6native28tensor_kernel_scan_outer_dimIN3c107complexIdEEjZZZNS0_31launch_logcumsumexp_cuda_kernelERKNS_10TensorBaseES7_lENKUlvE_clEvENKUlvE1_clEvEUlS4_S4_E_EEvPT_PKSB_jjjSB_T1_.has_recursion, or(0, .L_ZZZZN2at6native31launch_logcumsumexp_cuda_kernelERKNS_10TensorBaseES3_lENKUlvE_clEvENKUlvE1_clEvENKUlN3c107complexIdEES8_E_clES8_S8_.has_recursion)
	.set _ZN2at6native28tensor_kernel_scan_outer_dimIN3c107complexIdEEjZZZNS0_31launch_logcumsumexp_cuda_kernelERKNS_10TensorBaseES7_lENKUlvE_clEvENKUlvE1_clEvEUlS4_S4_E_EEvPT_PKSB_jjjSB_T1_.has_indirect_call, or(0, .L_ZZZZN2at6native31launch_logcumsumexp_cuda_kernelERKNS_10TensorBaseES3_lENKUlvE_clEvENKUlvE1_clEvENKUlN3c107complexIdEES8_E_clES8_S8_.has_indirect_call)
	.section	.AMDGPU.csdata,"",@progbits
; Kernel info:
; codeLenInByte = 392
; TotalNumSgprs: 71
; NumVgprs: 55
; ScratchSize: 0
; MemoryBound: 0
; FloatMode: 240
; IeeeMode: 1
; LDSByteSize: 0 bytes/workgroup (compile time only)
; SGPRBlocks: 8
; VGPRBlocks: 13
; NumSGPRsForWavesPerEU: 71
; NumVGPRsForWavesPerEU: 55
; Occupancy: 4
; WaveLimiterHint : 0
; COMPUTE_PGM_RSRC2:SCRATCH_EN: 0
; COMPUTE_PGM_RSRC2:USER_SGPR: 6
; COMPUTE_PGM_RSRC2:TRAP_HANDLER: 0
; COMPUTE_PGM_RSRC2:TGID_X_EN: 1
; COMPUTE_PGM_RSRC2:TGID_Y_EN: 1
; COMPUTE_PGM_RSRC2:TGID_Z_EN: 0
; COMPUTE_PGM_RSRC2:TIDIG_COMP_CNT: 0
	.section	.text._ZN2at6native28tensor_kernel_scan_outer_dimIN3c107complexIdEEmZZZNS0_31launch_logcumsumexp_cuda_kernelERKNS_10TensorBaseES7_lENKUlvE_clEvENKUlvE1_clEvEUlS4_S4_E_EEvPT_PKSB_jjjSB_T1_,"axG",@progbits,_ZN2at6native28tensor_kernel_scan_outer_dimIN3c107complexIdEEmZZZNS0_31launch_logcumsumexp_cuda_kernelERKNS_10TensorBaseES7_lENKUlvE_clEvENKUlvE1_clEvEUlS4_S4_E_EEvPT_PKSB_jjjSB_T1_,comdat
	.globl	_ZN2at6native28tensor_kernel_scan_outer_dimIN3c107complexIdEEmZZZNS0_31launch_logcumsumexp_cuda_kernelERKNS_10TensorBaseES7_lENKUlvE_clEvENKUlvE1_clEvEUlS4_S4_E_EEvPT_PKSB_jjjSB_T1_ ; -- Begin function _ZN2at6native28tensor_kernel_scan_outer_dimIN3c107complexIdEEmZZZNS0_31launch_logcumsumexp_cuda_kernelERKNS_10TensorBaseES7_lENKUlvE_clEvENKUlvE1_clEvEUlS4_S4_E_EEvPT_PKSB_jjjSB_T1_
	.p2align	8
	.type	_ZN2at6native28tensor_kernel_scan_outer_dimIN3c107complexIdEEmZZZNS0_31launch_logcumsumexp_cuda_kernelERKNS_10TensorBaseES7_lENKUlvE_clEvENKUlvE1_clEvEUlS4_S4_E_EEvPT_PKSB_jjjSB_T1_,@function
_ZN2at6native28tensor_kernel_scan_outer_dimIN3c107complexIdEEmZZZNS0_31launch_logcumsumexp_cuda_kernelERKNS_10TensorBaseES7_lENKUlvE_clEvENKUlvE1_clEvEUlS4_S4_E_EEvPT_PKSB_jjjSB_T1_: ; @_ZN2at6native28tensor_kernel_scan_outer_dimIN3c107complexIdEEmZZZNS0_31launch_logcumsumexp_cuda_kernelERKNS_10TensorBaseES7_lENKUlvE_clEvENKUlvE1_clEvEUlS4_S4_E_EEvPT_PKSB_jjjSB_T1_
; %bb.0:
	s_load_dwordx4 s[44:47], s[4:5], 0x10
	s_add_u32 s0, s0, s8
	s_addc_u32 s1, s1, 0
	s_mov_b32 s32, 0
	s_waitcnt lgkmcnt(0)
	s_cmp_ge_u32 s6, s44
	s_cbranch_scc1 .LBB261_9
; %bb.1:
	s_mov_b32 s33, s6
	s_load_dword s41, s[4:5], 0x38
	s_load_dword s6, s[4:5], 0x44
	s_load_dwordx4 s[48:51], s[4:5], 0x0
	s_load_dwordx4 s[52:55], s[4:5], 0x20
	s_add_u32 s38, s4, 56
	s_addc_u32 s39, s5, 0
	s_waitcnt lgkmcnt(0)
	s_and_b32 s47, s6, 0xffff
	s_mul_i32 s7, s7, s47
	s_cmp_lg_u32 s46, 0
	v_add_u32_e32 v42, s7, v0
	s_cselect_b64 s[6:7], -1, 0
	s_mov_b32 s5, 0
	s_mov_b32 s4, s45
	s_mul_hi_u32 s9, s46, s45
	s_mul_i32 s8, s46, s45
	v_cndmask_b32_e64 v0, 0, 1, s[6:7]
	v_cmp_gt_u32_e64 s[34:35], s45, v42
	s_lshl_b64 s[42:43], s[8:9], 4
	s_lshl_b64 s[56:57], s[4:5], 4
	v_cmp_ne_u32_e64 s[36:37], 1, v0
	v_mov_b32_e32 v41, 0
	s_branch .LBB261_3
.LBB261_2:                              ;   in Loop: Header=BB261_3 Depth=1
	s_or_b64 exec, exec, s[58:59]
	s_add_i32 s33, s33, s41
	s_cmp_ge_u32 s33, s44
	s_cbranch_scc1 .LBB261_9
.LBB261_3:                              ; =>This Loop Header: Depth=1
                                        ;     Child Loop BB261_6 Depth 2
                                        ;       Child Loop BB261_8 Depth 3
	s_and_saveexec_b64 s[58:59], s[34:35]
	s_cbranch_execz .LBB261_2
; %bb.4:                                ;   in Loop: Header=BB261_3 Depth=1
	s_load_dword s64, s[38:39], 0x4
	s_mul_i32 s4, s43, s33
	s_mul_hi_u32 s5, s42, s33
	s_mul_i32 s62, s42, s33
	s_add_i32 s63, s5, s4
	s_waitcnt lgkmcnt(0)
	s_mul_i32 s64, s64, s47
	s_mov_b64 s[60:61], 0
	v_mov_b32_e32 v40, v42
	s_branch .LBB261_6
.LBB261_5:                              ;   in Loop: Header=BB261_6 Depth=2
	v_add_u32_e32 v40, s64, v40
	v_cmp_le_u32_e32 vcc, s45, v40
	s_or_b64 s[60:61], vcc, s[60:61]
	s_andn2_b64 exec, exec, s[60:61]
	s_cbranch_execz .LBB261_2
.LBB261_6:                              ;   Parent Loop BB261_3 Depth=1
                                        ; =>  This Loop Header: Depth=2
                                        ;       Child Loop BB261_8 Depth 3
	s_and_b64 vcc, exec, s[36:37]
	s_cbranch_vccnz .LBB261_5
; %bb.7:                                ;   in Loop: Header=BB261_6 Depth=2
	v_lshlrev_b64 v[0:1], 4, v[40:41]
	v_mov_b32_e32 v2, s63
	v_add_co_u32_e32 v43, vcc, s62, v0
	v_addc_co_u32_e32 v44, vcc, v2, v1, vcc
	v_mov_b32_e32 v2, s54
	v_mov_b32_e32 v0, s52
	;; [unrolled: 1-line block ×4, first 2 shown]
	s_mov_b32 s65, s46
.LBB261_8:                              ;   Parent Loop BB261_3 Depth=1
                                        ;     Parent Loop BB261_6 Depth=2
                                        ; =>    This Inner Loop Header: Depth=3
	v_mov_b32_e32 v5, s51
	v_add_co_u32_e32 v4, vcc, s50, v43
	v_addc_co_u32_e32 v5, vcc, v5, v44, vcc
	global_load_dwordx4 v[4:7], v[4:5], off
	v_mov_b32_e32 v8, s49
	s_getpc_b64 s[4:5]
	s_add_u32 s4, s4, _ZZZZN2at6native31launch_logcumsumexp_cuda_kernelERKNS_10TensorBaseES3_lENKUlvE_clEvENKUlvE1_clEvENKUlN3c107complexIdEES8_E_clES8_S8_@rel32@lo+4
	s_addc_u32 s5, s5, _ZZZZN2at6native31launch_logcumsumexp_cuda_kernelERKNS_10TensorBaseES3_lENKUlvE_clEvENKUlvE1_clEvENKUlN3c107complexIdEES8_E_clES8_S8_@rel32@hi+12
	v_add_co_u32_e32 v45, vcc, s48, v43
	v_addc_co_u32_e32 v46, vcc, v8, v44, vcc
	s_swappc_b64 s[30:31], s[4:5]
	s_add_i32 s65, s65, -1
	v_mov_b32_e32 v4, s57
	v_add_co_u32_e32 v43, vcc, s56, v43
	s_cmp_eq_u32 s65, 0
	v_addc_co_u32_e32 v44, vcc, v44, v4, vcc
	global_store_dwordx4 v[45:46], v[0:3], off
	s_cbranch_scc0 .LBB261_8
	s_branch .LBB261_5
.LBB261_9:
	s_endpgm
	.section	.rodata,"a",@progbits
	.p2align	6, 0x0
	.amdhsa_kernel _ZN2at6native28tensor_kernel_scan_outer_dimIN3c107complexIdEEmZZZNS0_31launch_logcumsumexp_cuda_kernelERKNS_10TensorBaseES7_lENKUlvE_clEvENKUlvE1_clEvEUlS4_S4_E_EEvPT_PKSB_jjjSB_T1_
		.amdhsa_group_segment_fixed_size 0
		.amdhsa_private_segment_fixed_size 0
		.amdhsa_kernarg_size 312
		.amdhsa_user_sgpr_count 6
		.amdhsa_user_sgpr_private_segment_buffer 1
		.amdhsa_user_sgpr_dispatch_ptr 0
		.amdhsa_user_sgpr_queue_ptr 0
		.amdhsa_user_sgpr_kernarg_segment_ptr 1
		.amdhsa_user_sgpr_dispatch_id 0
		.amdhsa_user_sgpr_flat_scratch_init 0
		.amdhsa_user_sgpr_private_segment_size 0
		.amdhsa_uses_dynamic_stack 0
		.amdhsa_system_sgpr_private_segment_wavefront_offset 0
		.amdhsa_system_sgpr_workgroup_id_x 1
		.amdhsa_system_sgpr_workgroup_id_y 1
		.amdhsa_system_sgpr_workgroup_id_z 0
		.amdhsa_system_sgpr_workgroup_info 0
		.amdhsa_system_vgpr_workitem_id 0
		.amdhsa_next_free_vgpr 55
		.amdhsa_next_free_sgpr 66
		.amdhsa_reserve_vcc 1
		.amdhsa_reserve_flat_scratch 0
		.amdhsa_float_round_mode_32 0
		.amdhsa_float_round_mode_16_64 0
		.amdhsa_float_denorm_mode_32 3
		.amdhsa_float_denorm_mode_16_64 3
		.amdhsa_dx10_clamp 1
		.amdhsa_ieee_mode 1
		.amdhsa_fp16_overflow 0
		.amdhsa_exception_fp_ieee_invalid_op 0
		.amdhsa_exception_fp_denorm_src 0
		.amdhsa_exception_fp_ieee_div_zero 0
		.amdhsa_exception_fp_ieee_overflow 0
		.amdhsa_exception_fp_ieee_underflow 0
		.amdhsa_exception_fp_ieee_inexact 0
		.amdhsa_exception_int_div_zero 0
	.end_amdhsa_kernel
	.section	.text._ZN2at6native28tensor_kernel_scan_outer_dimIN3c107complexIdEEmZZZNS0_31launch_logcumsumexp_cuda_kernelERKNS_10TensorBaseES7_lENKUlvE_clEvENKUlvE1_clEvEUlS4_S4_E_EEvPT_PKSB_jjjSB_T1_,"axG",@progbits,_ZN2at6native28tensor_kernel_scan_outer_dimIN3c107complexIdEEmZZZNS0_31launch_logcumsumexp_cuda_kernelERKNS_10TensorBaseES7_lENKUlvE_clEvENKUlvE1_clEvEUlS4_S4_E_EEvPT_PKSB_jjjSB_T1_,comdat
.Lfunc_end261:
	.size	_ZN2at6native28tensor_kernel_scan_outer_dimIN3c107complexIdEEmZZZNS0_31launch_logcumsumexp_cuda_kernelERKNS_10TensorBaseES7_lENKUlvE_clEvENKUlvE1_clEvEUlS4_S4_E_EEvPT_PKSB_jjjSB_T1_, .Lfunc_end261-_ZN2at6native28tensor_kernel_scan_outer_dimIN3c107complexIdEEmZZZNS0_31launch_logcumsumexp_cuda_kernelERKNS_10TensorBaseES7_lENKUlvE_clEvENKUlvE1_clEvEUlS4_S4_E_EEvPT_PKSB_jjjSB_T1_
                                        ; -- End function
	.set _ZN2at6native28tensor_kernel_scan_outer_dimIN3c107complexIdEEmZZZNS0_31launch_logcumsumexp_cuda_kernelERKNS_10TensorBaseES7_lENKUlvE_clEvENKUlvE1_clEvEUlS4_S4_E_EEvPT_PKSB_jjjSB_T1_.num_vgpr, max(47, .L_ZZZZN2at6native31launch_logcumsumexp_cuda_kernelERKNS_10TensorBaseES3_lENKUlvE_clEvENKUlvE1_clEvENKUlN3c107complexIdEES8_E_clES8_S8_.num_vgpr)
	.set _ZN2at6native28tensor_kernel_scan_outer_dimIN3c107complexIdEEmZZZNS0_31launch_logcumsumexp_cuda_kernelERKNS_10TensorBaseES7_lENKUlvE_clEvENKUlvE1_clEvEUlS4_S4_E_EEvPT_PKSB_jjjSB_T1_.num_agpr, max(0, .L_ZZZZN2at6native31launch_logcumsumexp_cuda_kernelERKNS_10TensorBaseES3_lENKUlvE_clEvENKUlvE1_clEvENKUlN3c107complexIdEES8_E_clES8_S8_.num_agpr)
	.set _ZN2at6native28tensor_kernel_scan_outer_dimIN3c107complexIdEEmZZZNS0_31launch_logcumsumexp_cuda_kernelERKNS_10TensorBaseES7_lENKUlvE_clEvENKUlvE1_clEvEUlS4_S4_E_EEvPT_PKSB_jjjSB_T1_.numbered_sgpr, max(66, .L_ZZZZN2at6native31launch_logcumsumexp_cuda_kernelERKNS_10TensorBaseES3_lENKUlvE_clEvENKUlvE1_clEvENKUlN3c107complexIdEES8_E_clES8_S8_.numbered_sgpr)
	.set _ZN2at6native28tensor_kernel_scan_outer_dimIN3c107complexIdEEmZZZNS0_31launch_logcumsumexp_cuda_kernelERKNS_10TensorBaseES7_lENKUlvE_clEvENKUlvE1_clEvEUlS4_S4_E_EEvPT_PKSB_jjjSB_T1_.num_named_barrier, max(0, .L_ZZZZN2at6native31launch_logcumsumexp_cuda_kernelERKNS_10TensorBaseES3_lENKUlvE_clEvENKUlvE1_clEvENKUlN3c107complexIdEES8_E_clES8_S8_.num_named_barrier)
	.set _ZN2at6native28tensor_kernel_scan_outer_dimIN3c107complexIdEEmZZZNS0_31launch_logcumsumexp_cuda_kernelERKNS_10TensorBaseES7_lENKUlvE_clEvENKUlvE1_clEvEUlS4_S4_E_EEvPT_PKSB_jjjSB_T1_.private_seg_size, 0+max(.L_ZZZZN2at6native31launch_logcumsumexp_cuda_kernelERKNS_10TensorBaseES3_lENKUlvE_clEvENKUlvE1_clEvENKUlN3c107complexIdEES8_E_clES8_S8_.private_seg_size)
	.set _ZN2at6native28tensor_kernel_scan_outer_dimIN3c107complexIdEEmZZZNS0_31launch_logcumsumexp_cuda_kernelERKNS_10TensorBaseES7_lENKUlvE_clEvENKUlvE1_clEvEUlS4_S4_E_EEvPT_PKSB_jjjSB_T1_.uses_vcc, or(1, .L_ZZZZN2at6native31launch_logcumsumexp_cuda_kernelERKNS_10TensorBaseES3_lENKUlvE_clEvENKUlvE1_clEvENKUlN3c107complexIdEES8_E_clES8_S8_.uses_vcc)
	.set _ZN2at6native28tensor_kernel_scan_outer_dimIN3c107complexIdEEmZZZNS0_31launch_logcumsumexp_cuda_kernelERKNS_10TensorBaseES7_lENKUlvE_clEvENKUlvE1_clEvEUlS4_S4_E_EEvPT_PKSB_jjjSB_T1_.uses_flat_scratch, or(0, .L_ZZZZN2at6native31launch_logcumsumexp_cuda_kernelERKNS_10TensorBaseES3_lENKUlvE_clEvENKUlvE1_clEvENKUlN3c107complexIdEES8_E_clES8_S8_.uses_flat_scratch)
	.set _ZN2at6native28tensor_kernel_scan_outer_dimIN3c107complexIdEEmZZZNS0_31launch_logcumsumexp_cuda_kernelERKNS_10TensorBaseES7_lENKUlvE_clEvENKUlvE1_clEvEUlS4_S4_E_EEvPT_PKSB_jjjSB_T1_.has_dyn_sized_stack, or(0, .L_ZZZZN2at6native31launch_logcumsumexp_cuda_kernelERKNS_10TensorBaseES3_lENKUlvE_clEvENKUlvE1_clEvENKUlN3c107complexIdEES8_E_clES8_S8_.has_dyn_sized_stack)
	.set _ZN2at6native28tensor_kernel_scan_outer_dimIN3c107complexIdEEmZZZNS0_31launch_logcumsumexp_cuda_kernelERKNS_10TensorBaseES7_lENKUlvE_clEvENKUlvE1_clEvEUlS4_S4_E_EEvPT_PKSB_jjjSB_T1_.has_recursion, or(0, .L_ZZZZN2at6native31launch_logcumsumexp_cuda_kernelERKNS_10TensorBaseES3_lENKUlvE_clEvENKUlvE1_clEvENKUlN3c107complexIdEES8_E_clES8_S8_.has_recursion)
	.set _ZN2at6native28tensor_kernel_scan_outer_dimIN3c107complexIdEEmZZZNS0_31launch_logcumsumexp_cuda_kernelERKNS_10TensorBaseES7_lENKUlvE_clEvENKUlvE1_clEvEUlS4_S4_E_EEvPT_PKSB_jjjSB_T1_.has_indirect_call, or(0, .L_ZZZZN2at6native31launch_logcumsumexp_cuda_kernelERKNS_10TensorBaseES3_lENKUlvE_clEvENKUlvE1_clEvENKUlN3c107complexIdEES8_E_clES8_S8_.has_indirect_call)
	.section	.AMDGPU.csdata,"",@progbits
; Kernel info:
; codeLenInByte = 392
; TotalNumSgprs: 70
; NumVgprs: 55
; ScratchSize: 0
; MemoryBound: 0
; FloatMode: 240
; IeeeMode: 1
; LDSByteSize: 0 bytes/workgroup (compile time only)
; SGPRBlocks: 8
; VGPRBlocks: 13
; NumSGPRsForWavesPerEU: 70
; NumVGPRsForWavesPerEU: 55
; Occupancy: 4
; WaveLimiterHint : 0
; COMPUTE_PGM_RSRC2:SCRATCH_EN: 0
; COMPUTE_PGM_RSRC2:USER_SGPR: 6
; COMPUTE_PGM_RSRC2:TRAP_HANDLER: 0
; COMPUTE_PGM_RSRC2:TGID_X_EN: 1
; COMPUTE_PGM_RSRC2:TGID_Y_EN: 1
; COMPUTE_PGM_RSRC2:TGID_Z_EN: 0
; COMPUTE_PGM_RSRC2:TIDIG_COMP_CNT: 0
	.section	.text._ZN7rocprim17ROCPRIM_400000_NS6detail31init_lookback_scan_state_kernelINS1_19lookback_scan_stateIN3c107complexIfEELb0ELb1EEENS1_16block_id_wrapperIjLb0EEEEEvT_jT0_jPNSA_10value_typeE,"axG",@progbits,_ZN7rocprim17ROCPRIM_400000_NS6detail31init_lookback_scan_state_kernelINS1_19lookback_scan_stateIN3c107complexIfEELb0ELb1EEENS1_16block_id_wrapperIjLb0EEEEEvT_jT0_jPNSA_10value_typeE,comdat
	.protected	_ZN7rocprim17ROCPRIM_400000_NS6detail31init_lookback_scan_state_kernelINS1_19lookback_scan_stateIN3c107complexIfEELb0ELb1EEENS1_16block_id_wrapperIjLb0EEEEEvT_jT0_jPNSA_10value_typeE ; -- Begin function _ZN7rocprim17ROCPRIM_400000_NS6detail31init_lookback_scan_state_kernelINS1_19lookback_scan_stateIN3c107complexIfEELb0ELb1EEENS1_16block_id_wrapperIjLb0EEEEEvT_jT0_jPNSA_10value_typeE
	.globl	_ZN7rocprim17ROCPRIM_400000_NS6detail31init_lookback_scan_state_kernelINS1_19lookback_scan_stateIN3c107complexIfEELb0ELb1EEENS1_16block_id_wrapperIjLb0EEEEEvT_jT0_jPNSA_10value_typeE
	.p2align	8
	.type	_ZN7rocprim17ROCPRIM_400000_NS6detail31init_lookback_scan_state_kernelINS1_19lookback_scan_stateIN3c107complexIfEELb0ELb1EEENS1_16block_id_wrapperIjLb0EEEEEvT_jT0_jPNSA_10value_typeE,@function
_ZN7rocprim17ROCPRIM_400000_NS6detail31init_lookback_scan_state_kernelINS1_19lookback_scan_stateIN3c107complexIfEELb0ELb1EEENS1_16block_id_wrapperIjLb0EEEEEvT_jT0_jPNSA_10value_typeE: ; @_ZN7rocprim17ROCPRIM_400000_NS6detail31init_lookback_scan_state_kernelINS1_19lookback_scan_stateIN3c107complexIfEELb0ELb1EEENS1_16block_id_wrapperIjLb0EEEEEvT_jT0_jPNSA_10value_typeE
; %bb.0:
	s_load_dword s7, s[4:5], 0x2c
	s_load_dwordx2 s[2:3], s[4:5], 0x18
	s_load_dwordx2 s[0:1], s[4:5], 0x0
	s_load_dword s12, s[4:5], 0x8
	s_waitcnt lgkmcnt(0)
	s_and_b32 s7, s7, 0xffff
	s_mul_i32 s6, s6, s7
	s_cmp_eq_u64 s[2:3], 0
	v_add_u32_e32 v0, s6, v0
	s_cbranch_scc1 .LBB262_8
; %bb.1:
	s_load_dword s6, s[4:5], 0x10
	s_mov_b32 s7, 0
	s_waitcnt lgkmcnt(0)
	s_cmp_lt_u32 s6, s12
	s_cselect_b32 s4, s6, 0
	v_cmp_eq_u32_e32 vcc, s4, v0
	s_and_saveexec_b64 s[4:5], vcc
	s_cbranch_execz .LBB262_7
; %bb.2:
	s_add_i32 s6, s6, 64
	s_lshl_b64 s[6:7], s[6:7], 4
	s_add_u32 s10, s0, s6
	s_addc_u32 s11, s1, s7
	v_mov_b32_e32 v1, s10
	v_mov_b32_e32 v2, s11
	;;#ASMSTART
	global_load_dwordx4 v[1:4], v[1:2] off glc	
s_waitcnt vmcnt(0)
	;;#ASMEND
	v_and_b32_e32 v4, 0xff, v3
	v_mov_b32_e32 v5, 0
	v_cmp_eq_u64_e32 vcc, 0, v[4:5]
	s_mov_b64 s[8:9], 0
	s_and_saveexec_b64 s[6:7], vcc
	s_cbranch_execz .LBB262_6
; %bb.3:
	v_mov_b32_e32 v6, s10
	v_mov_b32_e32 v7, s11
.LBB262_4:                              ; =>This Inner Loop Header: Depth=1
	;;#ASMSTART
	global_load_dwordx4 v[1:4], v[6:7] off glc	
s_waitcnt vmcnt(0)
	;;#ASMEND
	v_and_b32_e32 v4, 0xff, v3
	v_cmp_ne_u64_e32 vcc, 0, v[4:5]
	s_or_b64 s[8:9], vcc, s[8:9]
	s_andn2_b64 exec, exec, s[8:9]
	s_cbranch_execnz .LBB262_4
; %bb.5:
	s_or_b64 exec, exec, s[8:9]
.LBB262_6:
	s_or_b64 exec, exec, s[6:7]
	v_mov_b32_e32 v3, 0
	global_store_dwordx2 v3, v[1:2], s[2:3]
.LBB262_7:
	s_or_b64 exec, exec, s[4:5]
.LBB262_8:
	v_cmp_gt_u32_e32 vcc, s12, v0
	s_and_saveexec_b64 s[2:3], vcc
	s_cbranch_execnz .LBB262_11
; %bb.9:
	s_or_b64 exec, exec, s[2:3]
	v_cmp_gt_u32_e32 vcc, 64, v0
	s_and_saveexec_b64 s[2:3], vcc
	s_cbranch_execnz .LBB262_12
.LBB262_10:
	s_endpgm
.LBB262_11:
	v_add_u32_e32 v1, 64, v0
	v_mov_b32_e32 v2, 0
	v_lshlrev_b64 v[3:4], 4, v[1:2]
	v_mov_b32_e32 v1, s1
	v_add_co_u32_e32 v5, vcc, s0, v3
	v_addc_co_u32_e32 v6, vcc, v1, v4, vcc
	v_mov_b32_e32 v1, v2
	v_mov_b32_e32 v3, v2
	;; [unrolled: 1-line block ×3, first 2 shown]
	global_store_dwordx4 v[5:6], v[1:4], off
	s_or_b64 exec, exec, s[2:3]
	v_cmp_gt_u32_e32 vcc, 64, v0
	s_and_saveexec_b64 s[2:3], vcc
	s_cbranch_execz .LBB262_10
.LBB262_12:
	v_mov_b32_e32 v1, 0
	v_lshlrev_b64 v[2:3], 4, v[0:1]
	v_mov_b32_e32 v0, s1
	v_add_co_u32_e32 v4, vcc, s0, v2
	v_addc_co_u32_e32 v5, vcc, v0, v3, vcc
	v_mov_b32_e32 v2, 0xff
	v_mov_b32_e32 v0, v1
	;; [unrolled: 1-line block ×3, first 2 shown]
	global_store_dwordx4 v[4:5], v[0:3], off
	s_endpgm
	.section	.rodata,"a",@progbits
	.p2align	6, 0x0
	.amdhsa_kernel _ZN7rocprim17ROCPRIM_400000_NS6detail31init_lookback_scan_state_kernelINS1_19lookback_scan_stateIN3c107complexIfEELb0ELb1EEENS1_16block_id_wrapperIjLb0EEEEEvT_jT0_jPNSA_10value_typeE
		.amdhsa_group_segment_fixed_size 0
		.amdhsa_private_segment_fixed_size 0
		.amdhsa_kernarg_size 288
		.amdhsa_user_sgpr_count 6
		.amdhsa_user_sgpr_private_segment_buffer 1
		.amdhsa_user_sgpr_dispatch_ptr 0
		.amdhsa_user_sgpr_queue_ptr 0
		.amdhsa_user_sgpr_kernarg_segment_ptr 1
		.amdhsa_user_sgpr_dispatch_id 0
		.amdhsa_user_sgpr_flat_scratch_init 0
		.amdhsa_user_sgpr_private_segment_size 0
		.amdhsa_uses_dynamic_stack 0
		.amdhsa_system_sgpr_private_segment_wavefront_offset 0
		.amdhsa_system_sgpr_workgroup_id_x 1
		.amdhsa_system_sgpr_workgroup_id_y 0
		.amdhsa_system_sgpr_workgroup_id_z 0
		.amdhsa_system_sgpr_workgroup_info 0
		.amdhsa_system_vgpr_workitem_id 0
		.amdhsa_next_free_vgpr 8
		.amdhsa_next_free_sgpr 13
		.amdhsa_reserve_vcc 1
		.amdhsa_reserve_flat_scratch 0
		.amdhsa_float_round_mode_32 0
		.amdhsa_float_round_mode_16_64 0
		.amdhsa_float_denorm_mode_32 3
		.amdhsa_float_denorm_mode_16_64 3
		.amdhsa_dx10_clamp 1
		.amdhsa_ieee_mode 1
		.amdhsa_fp16_overflow 0
		.amdhsa_exception_fp_ieee_invalid_op 0
		.amdhsa_exception_fp_denorm_src 0
		.amdhsa_exception_fp_ieee_div_zero 0
		.amdhsa_exception_fp_ieee_overflow 0
		.amdhsa_exception_fp_ieee_underflow 0
		.amdhsa_exception_fp_ieee_inexact 0
		.amdhsa_exception_int_div_zero 0
	.end_amdhsa_kernel
	.section	.text._ZN7rocprim17ROCPRIM_400000_NS6detail31init_lookback_scan_state_kernelINS1_19lookback_scan_stateIN3c107complexIfEELb0ELb1EEENS1_16block_id_wrapperIjLb0EEEEEvT_jT0_jPNSA_10value_typeE,"axG",@progbits,_ZN7rocprim17ROCPRIM_400000_NS6detail31init_lookback_scan_state_kernelINS1_19lookback_scan_stateIN3c107complexIfEELb0ELb1EEENS1_16block_id_wrapperIjLb0EEEEEvT_jT0_jPNSA_10value_typeE,comdat
.Lfunc_end262:
	.size	_ZN7rocprim17ROCPRIM_400000_NS6detail31init_lookback_scan_state_kernelINS1_19lookback_scan_stateIN3c107complexIfEELb0ELb1EEENS1_16block_id_wrapperIjLb0EEEEEvT_jT0_jPNSA_10value_typeE, .Lfunc_end262-_ZN7rocprim17ROCPRIM_400000_NS6detail31init_lookback_scan_state_kernelINS1_19lookback_scan_stateIN3c107complexIfEELb0ELb1EEENS1_16block_id_wrapperIjLb0EEEEEvT_jT0_jPNSA_10value_typeE
                                        ; -- End function
	.set _ZN7rocprim17ROCPRIM_400000_NS6detail31init_lookback_scan_state_kernelINS1_19lookback_scan_stateIN3c107complexIfEELb0ELb1EEENS1_16block_id_wrapperIjLb0EEEEEvT_jT0_jPNSA_10value_typeE.num_vgpr, 8
	.set _ZN7rocprim17ROCPRIM_400000_NS6detail31init_lookback_scan_state_kernelINS1_19lookback_scan_stateIN3c107complexIfEELb0ELb1EEENS1_16block_id_wrapperIjLb0EEEEEvT_jT0_jPNSA_10value_typeE.num_agpr, 0
	.set _ZN7rocprim17ROCPRIM_400000_NS6detail31init_lookback_scan_state_kernelINS1_19lookback_scan_stateIN3c107complexIfEELb0ELb1EEENS1_16block_id_wrapperIjLb0EEEEEvT_jT0_jPNSA_10value_typeE.numbered_sgpr, 13
	.set _ZN7rocprim17ROCPRIM_400000_NS6detail31init_lookback_scan_state_kernelINS1_19lookback_scan_stateIN3c107complexIfEELb0ELb1EEENS1_16block_id_wrapperIjLb0EEEEEvT_jT0_jPNSA_10value_typeE.num_named_barrier, 0
	.set _ZN7rocprim17ROCPRIM_400000_NS6detail31init_lookback_scan_state_kernelINS1_19lookback_scan_stateIN3c107complexIfEELb0ELb1EEENS1_16block_id_wrapperIjLb0EEEEEvT_jT0_jPNSA_10value_typeE.private_seg_size, 0
	.set _ZN7rocprim17ROCPRIM_400000_NS6detail31init_lookback_scan_state_kernelINS1_19lookback_scan_stateIN3c107complexIfEELb0ELb1EEENS1_16block_id_wrapperIjLb0EEEEEvT_jT0_jPNSA_10value_typeE.uses_vcc, 1
	.set _ZN7rocprim17ROCPRIM_400000_NS6detail31init_lookback_scan_state_kernelINS1_19lookback_scan_stateIN3c107complexIfEELb0ELb1EEENS1_16block_id_wrapperIjLb0EEEEEvT_jT0_jPNSA_10value_typeE.uses_flat_scratch, 0
	.set _ZN7rocprim17ROCPRIM_400000_NS6detail31init_lookback_scan_state_kernelINS1_19lookback_scan_stateIN3c107complexIfEELb0ELb1EEENS1_16block_id_wrapperIjLb0EEEEEvT_jT0_jPNSA_10value_typeE.has_dyn_sized_stack, 0
	.set _ZN7rocprim17ROCPRIM_400000_NS6detail31init_lookback_scan_state_kernelINS1_19lookback_scan_stateIN3c107complexIfEELb0ELb1EEENS1_16block_id_wrapperIjLb0EEEEEvT_jT0_jPNSA_10value_typeE.has_recursion, 0
	.set _ZN7rocprim17ROCPRIM_400000_NS6detail31init_lookback_scan_state_kernelINS1_19lookback_scan_stateIN3c107complexIfEELb0ELb1EEENS1_16block_id_wrapperIjLb0EEEEEvT_jT0_jPNSA_10value_typeE.has_indirect_call, 0
	.section	.AMDGPU.csdata,"",@progbits
; Kernel info:
; codeLenInByte = 384
; TotalNumSgprs: 17
; NumVgprs: 8
; ScratchSize: 0
; MemoryBound: 0
; FloatMode: 240
; IeeeMode: 1
; LDSByteSize: 0 bytes/workgroup (compile time only)
; SGPRBlocks: 2
; VGPRBlocks: 1
; NumSGPRsForWavesPerEU: 17
; NumVGPRsForWavesPerEU: 8
; Occupancy: 10
; WaveLimiterHint : 0
; COMPUTE_PGM_RSRC2:SCRATCH_EN: 0
; COMPUTE_PGM_RSRC2:USER_SGPR: 6
; COMPUTE_PGM_RSRC2:TRAP_HANDLER: 0
; COMPUTE_PGM_RSRC2:TGID_X_EN: 1
; COMPUTE_PGM_RSRC2:TGID_Y_EN: 0
; COMPUTE_PGM_RSRC2:TGID_Z_EN: 0
; COMPUTE_PGM_RSRC2:TIDIG_COMP_CNT: 0
	.section	.text._ZN7rocprim17ROCPRIM_400000_NS6detail17trampoline_kernelINS0_14default_configENS1_20scan_config_selectorIN3c107complexIfEEEEZZNS1_9scan_implILNS1_25lookback_scan_determinismE0ELb0ELb0ES3_PKS7_PS7_S7_ZZZN2at6native31launch_logcumsumexp_cuda_kernelERKNSE_10TensorBaseESI_lENKUlvE_clEvENKUlvE2_clEvEUlS7_S7_E_S7_EEDaPvRmT3_T4_T5_mT6_P12ihipStream_tbENKUlT_T0_E_clISt17integral_constantIbLb0EESZ_EEDaSU_SV_EUlSU_E_NS1_11comp_targetILNS1_3genE0ELNS1_11target_archE4294967295ELNS1_3gpuE0ELNS1_3repE0EEENS1_30default_config_static_selectorELNS0_4arch9wavefront6targetE1EEEvT1_,"axG",@progbits,_ZN7rocprim17ROCPRIM_400000_NS6detail17trampoline_kernelINS0_14default_configENS1_20scan_config_selectorIN3c107complexIfEEEEZZNS1_9scan_implILNS1_25lookback_scan_determinismE0ELb0ELb0ES3_PKS7_PS7_S7_ZZZN2at6native31launch_logcumsumexp_cuda_kernelERKNSE_10TensorBaseESI_lENKUlvE_clEvENKUlvE2_clEvEUlS7_S7_E_S7_EEDaPvRmT3_T4_T5_mT6_P12ihipStream_tbENKUlT_T0_E_clISt17integral_constantIbLb0EESZ_EEDaSU_SV_EUlSU_E_NS1_11comp_targetILNS1_3genE0ELNS1_11target_archE4294967295ELNS1_3gpuE0ELNS1_3repE0EEENS1_30default_config_static_selectorELNS0_4arch9wavefront6targetE1EEEvT1_,comdat
	.globl	_ZN7rocprim17ROCPRIM_400000_NS6detail17trampoline_kernelINS0_14default_configENS1_20scan_config_selectorIN3c107complexIfEEEEZZNS1_9scan_implILNS1_25lookback_scan_determinismE0ELb0ELb0ES3_PKS7_PS7_S7_ZZZN2at6native31launch_logcumsumexp_cuda_kernelERKNSE_10TensorBaseESI_lENKUlvE_clEvENKUlvE2_clEvEUlS7_S7_E_S7_EEDaPvRmT3_T4_T5_mT6_P12ihipStream_tbENKUlT_T0_E_clISt17integral_constantIbLb0EESZ_EEDaSU_SV_EUlSU_E_NS1_11comp_targetILNS1_3genE0ELNS1_11target_archE4294967295ELNS1_3gpuE0ELNS1_3repE0EEENS1_30default_config_static_selectorELNS0_4arch9wavefront6targetE1EEEvT1_ ; -- Begin function _ZN7rocprim17ROCPRIM_400000_NS6detail17trampoline_kernelINS0_14default_configENS1_20scan_config_selectorIN3c107complexIfEEEEZZNS1_9scan_implILNS1_25lookback_scan_determinismE0ELb0ELb0ES3_PKS7_PS7_S7_ZZZN2at6native31launch_logcumsumexp_cuda_kernelERKNSE_10TensorBaseESI_lENKUlvE_clEvENKUlvE2_clEvEUlS7_S7_E_S7_EEDaPvRmT3_T4_T5_mT6_P12ihipStream_tbENKUlT_T0_E_clISt17integral_constantIbLb0EESZ_EEDaSU_SV_EUlSU_E_NS1_11comp_targetILNS1_3genE0ELNS1_11target_archE4294967295ELNS1_3gpuE0ELNS1_3repE0EEENS1_30default_config_static_selectorELNS0_4arch9wavefront6targetE1EEEvT1_
	.p2align	8
	.type	_ZN7rocprim17ROCPRIM_400000_NS6detail17trampoline_kernelINS0_14default_configENS1_20scan_config_selectorIN3c107complexIfEEEEZZNS1_9scan_implILNS1_25lookback_scan_determinismE0ELb0ELb0ES3_PKS7_PS7_S7_ZZZN2at6native31launch_logcumsumexp_cuda_kernelERKNSE_10TensorBaseESI_lENKUlvE_clEvENKUlvE2_clEvEUlS7_S7_E_S7_EEDaPvRmT3_T4_T5_mT6_P12ihipStream_tbENKUlT_T0_E_clISt17integral_constantIbLb0EESZ_EEDaSU_SV_EUlSU_E_NS1_11comp_targetILNS1_3genE0ELNS1_11target_archE4294967295ELNS1_3gpuE0ELNS1_3repE0EEENS1_30default_config_static_selectorELNS0_4arch9wavefront6targetE1EEEvT1_,@function
_ZN7rocprim17ROCPRIM_400000_NS6detail17trampoline_kernelINS0_14default_configENS1_20scan_config_selectorIN3c107complexIfEEEEZZNS1_9scan_implILNS1_25lookback_scan_determinismE0ELb0ELb0ES3_PKS7_PS7_S7_ZZZN2at6native31launch_logcumsumexp_cuda_kernelERKNSE_10TensorBaseESI_lENKUlvE_clEvENKUlvE2_clEvEUlS7_S7_E_S7_EEDaPvRmT3_T4_T5_mT6_P12ihipStream_tbENKUlT_T0_E_clISt17integral_constantIbLb0EESZ_EEDaSU_SV_EUlSU_E_NS1_11comp_targetILNS1_3genE0ELNS1_11target_archE4294967295ELNS1_3gpuE0ELNS1_3repE0EEENS1_30default_config_static_selectorELNS0_4arch9wavefront6targetE1EEEvT1_: ; @_ZN7rocprim17ROCPRIM_400000_NS6detail17trampoline_kernelINS0_14default_configENS1_20scan_config_selectorIN3c107complexIfEEEEZZNS1_9scan_implILNS1_25lookback_scan_determinismE0ELb0ELb0ES3_PKS7_PS7_S7_ZZZN2at6native31launch_logcumsumexp_cuda_kernelERKNSE_10TensorBaseESI_lENKUlvE_clEvENKUlvE2_clEvEUlS7_S7_E_S7_EEDaPvRmT3_T4_T5_mT6_P12ihipStream_tbENKUlT_T0_E_clISt17integral_constantIbLb0EESZ_EEDaSU_SV_EUlSU_E_NS1_11comp_targetILNS1_3genE0ELNS1_11target_archE4294967295ELNS1_3gpuE0ELNS1_3repE0EEENS1_30default_config_static_selectorELNS0_4arch9wavefront6targetE1EEEvT1_
; %bb.0:
	.section	.rodata,"a",@progbits
	.p2align	6, 0x0
	.amdhsa_kernel _ZN7rocprim17ROCPRIM_400000_NS6detail17trampoline_kernelINS0_14default_configENS1_20scan_config_selectorIN3c107complexIfEEEEZZNS1_9scan_implILNS1_25lookback_scan_determinismE0ELb0ELb0ES3_PKS7_PS7_S7_ZZZN2at6native31launch_logcumsumexp_cuda_kernelERKNSE_10TensorBaseESI_lENKUlvE_clEvENKUlvE2_clEvEUlS7_S7_E_S7_EEDaPvRmT3_T4_T5_mT6_P12ihipStream_tbENKUlT_T0_E_clISt17integral_constantIbLb0EESZ_EEDaSU_SV_EUlSU_E_NS1_11comp_targetILNS1_3genE0ELNS1_11target_archE4294967295ELNS1_3gpuE0ELNS1_3repE0EEENS1_30default_config_static_selectorELNS0_4arch9wavefront6targetE1EEEvT1_
		.amdhsa_group_segment_fixed_size 0
		.amdhsa_private_segment_fixed_size 0
		.amdhsa_kernarg_size 104
		.amdhsa_user_sgpr_count 6
		.amdhsa_user_sgpr_private_segment_buffer 1
		.amdhsa_user_sgpr_dispatch_ptr 0
		.amdhsa_user_sgpr_queue_ptr 0
		.amdhsa_user_sgpr_kernarg_segment_ptr 1
		.amdhsa_user_sgpr_dispatch_id 0
		.amdhsa_user_sgpr_flat_scratch_init 0
		.amdhsa_user_sgpr_private_segment_size 0
		.amdhsa_uses_dynamic_stack 0
		.amdhsa_system_sgpr_private_segment_wavefront_offset 0
		.amdhsa_system_sgpr_workgroup_id_x 1
		.amdhsa_system_sgpr_workgroup_id_y 0
		.amdhsa_system_sgpr_workgroup_id_z 0
		.amdhsa_system_sgpr_workgroup_info 0
		.amdhsa_system_vgpr_workitem_id 0
		.amdhsa_next_free_vgpr 1
		.amdhsa_next_free_sgpr 0
		.amdhsa_reserve_vcc 0
		.amdhsa_reserve_flat_scratch 0
		.amdhsa_float_round_mode_32 0
		.amdhsa_float_round_mode_16_64 0
		.amdhsa_float_denorm_mode_32 3
		.amdhsa_float_denorm_mode_16_64 3
		.amdhsa_dx10_clamp 1
		.amdhsa_ieee_mode 1
		.amdhsa_fp16_overflow 0
		.amdhsa_exception_fp_ieee_invalid_op 0
		.amdhsa_exception_fp_denorm_src 0
		.amdhsa_exception_fp_ieee_div_zero 0
		.amdhsa_exception_fp_ieee_overflow 0
		.amdhsa_exception_fp_ieee_underflow 0
		.amdhsa_exception_fp_ieee_inexact 0
		.amdhsa_exception_int_div_zero 0
	.end_amdhsa_kernel
	.section	.text._ZN7rocprim17ROCPRIM_400000_NS6detail17trampoline_kernelINS0_14default_configENS1_20scan_config_selectorIN3c107complexIfEEEEZZNS1_9scan_implILNS1_25lookback_scan_determinismE0ELb0ELb0ES3_PKS7_PS7_S7_ZZZN2at6native31launch_logcumsumexp_cuda_kernelERKNSE_10TensorBaseESI_lENKUlvE_clEvENKUlvE2_clEvEUlS7_S7_E_S7_EEDaPvRmT3_T4_T5_mT6_P12ihipStream_tbENKUlT_T0_E_clISt17integral_constantIbLb0EESZ_EEDaSU_SV_EUlSU_E_NS1_11comp_targetILNS1_3genE0ELNS1_11target_archE4294967295ELNS1_3gpuE0ELNS1_3repE0EEENS1_30default_config_static_selectorELNS0_4arch9wavefront6targetE1EEEvT1_,"axG",@progbits,_ZN7rocprim17ROCPRIM_400000_NS6detail17trampoline_kernelINS0_14default_configENS1_20scan_config_selectorIN3c107complexIfEEEEZZNS1_9scan_implILNS1_25lookback_scan_determinismE0ELb0ELb0ES3_PKS7_PS7_S7_ZZZN2at6native31launch_logcumsumexp_cuda_kernelERKNSE_10TensorBaseESI_lENKUlvE_clEvENKUlvE2_clEvEUlS7_S7_E_S7_EEDaPvRmT3_T4_T5_mT6_P12ihipStream_tbENKUlT_T0_E_clISt17integral_constantIbLb0EESZ_EEDaSU_SV_EUlSU_E_NS1_11comp_targetILNS1_3genE0ELNS1_11target_archE4294967295ELNS1_3gpuE0ELNS1_3repE0EEENS1_30default_config_static_selectorELNS0_4arch9wavefront6targetE1EEEvT1_,comdat
.Lfunc_end263:
	.size	_ZN7rocprim17ROCPRIM_400000_NS6detail17trampoline_kernelINS0_14default_configENS1_20scan_config_selectorIN3c107complexIfEEEEZZNS1_9scan_implILNS1_25lookback_scan_determinismE0ELb0ELb0ES3_PKS7_PS7_S7_ZZZN2at6native31launch_logcumsumexp_cuda_kernelERKNSE_10TensorBaseESI_lENKUlvE_clEvENKUlvE2_clEvEUlS7_S7_E_S7_EEDaPvRmT3_T4_T5_mT6_P12ihipStream_tbENKUlT_T0_E_clISt17integral_constantIbLb0EESZ_EEDaSU_SV_EUlSU_E_NS1_11comp_targetILNS1_3genE0ELNS1_11target_archE4294967295ELNS1_3gpuE0ELNS1_3repE0EEENS1_30default_config_static_selectorELNS0_4arch9wavefront6targetE1EEEvT1_, .Lfunc_end263-_ZN7rocprim17ROCPRIM_400000_NS6detail17trampoline_kernelINS0_14default_configENS1_20scan_config_selectorIN3c107complexIfEEEEZZNS1_9scan_implILNS1_25lookback_scan_determinismE0ELb0ELb0ES3_PKS7_PS7_S7_ZZZN2at6native31launch_logcumsumexp_cuda_kernelERKNSE_10TensorBaseESI_lENKUlvE_clEvENKUlvE2_clEvEUlS7_S7_E_S7_EEDaPvRmT3_T4_T5_mT6_P12ihipStream_tbENKUlT_T0_E_clISt17integral_constantIbLb0EESZ_EEDaSU_SV_EUlSU_E_NS1_11comp_targetILNS1_3genE0ELNS1_11target_archE4294967295ELNS1_3gpuE0ELNS1_3repE0EEENS1_30default_config_static_selectorELNS0_4arch9wavefront6targetE1EEEvT1_
                                        ; -- End function
	.set _ZN7rocprim17ROCPRIM_400000_NS6detail17trampoline_kernelINS0_14default_configENS1_20scan_config_selectorIN3c107complexIfEEEEZZNS1_9scan_implILNS1_25lookback_scan_determinismE0ELb0ELb0ES3_PKS7_PS7_S7_ZZZN2at6native31launch_logcumsumexp_cuda_kernelERKNSE_10TensorBaseESI_lENKUlvE_clEvENKUlvE2_clEvEUlS7_S7_E_S7_EEDaPvRmT3_T4_T5_mT6_P12ihipStream_tbENKUlT_T0_E_clISt17integral_constantIbLb0EESZ_EEDaSU_SV_EUlSU_E_NS1_11comp_targetILNS1_3genE0ELNS1_11target_archE4294967295ELNS1_3gpuE0ELNS1_3repE0EEENS1_30default_config_static_selectorELNS0_4arch9wavefront6targetE1EEEvT1_.num_vgpr, 0
	.set _ZN7rocprim17ROCPRIM_400000_NS6detail17trampoline_kernelINS0_14default_configENS1_20scan_config_selectorIN3c107complexIfEEEEZZNS1_9scan_implILNS1_25lookback_scan_determinismE0ELb0ELb0ES3_PKS7_PS7_S7_ZZZN2at6native31launch_logcumsumexp_cuda_kernelERKNSE_10TensorBaseESI_lENKUlvE_clEvENKUlvE2_clEvEUlS7_S7_E_S7_EEDaPvRmT3_T4_T5_mT6_P12ihipStream_tbENKUlT_T0_E_clISt17integral_constantIbLb0EESZ_EEDaSU_SV_EUlSU_E_NS1_11comp_targetILNS1_3genE0ELNS1_11target_archE4294967295ELNS1_3gpuE0ELNS1_3repE0EEENS1_30default_config_static_selectorELNS0_4arch9wavefront6targetE1EEEvT1_.num_agpr, 0
	.set _ZN7rocprim17ROCPRIM_400000_NS6detail17trampoline_kernelINS0_14default_configENS1_20scan_config_selectorIN3c107complexIfEEEEZZNS1_9scan_implILNS1_25lookback_scan_determinismE0ELb0ELb0ES3_PKS7_PS7_S7_ZZZN2at6native31launch_logcumsumexp_cuda_kernelERKNSE_10TensorBaseESI_lENKUlvE_clEvENKUlvE2_clEvEUlS7_S7_E_S7_EEDaPvRmT3_T4_T5_mT6_P12ihipStream_tbENKUlT_T0_E_clISt17integral_constantIbLb0EESZ_EEDaSU_SV_EUlSU_E_NS1_11comp_targetILNS1_3genE0ELNS1_11target_archE4294967295ELNS1_3gpuE0ELNS1_3repE0EEENS1_30default_config_static_selectorELNS0_4arch9wavefront6targetE1EEEvT1_.numbered_sgpr, 0
	.set _ZN7rocprim17ROCPRIM_400000_NS6detail17trampoline_kernelINS0_14default_configENS1_20scan_config_selectorIN3c107complexIfEEEEZZNS1_9scan_implILNS1_25lookback_scan_determinismE0ELb0ELb0ES3_PKS7_PS7_S7_ZZZN2at6native31launch_logcumsumexp_cuda_kernelERKNSE_10TensorBaseESI_lENKUlvE_clEvENKUlvE2_clEvEUlS7_S7_E_S7_EEDaPvRmT3_T4_T5_mT6_P12ihipStream_tbENKUlT_T0_E_clISt17integral_constantIbLb0EESZ_EEDaSU_SV_EUlSU_E_NS1_11comp_targetILNS1_3genE0ELNS1_11target_archE4294967295ELNS1_3gpuE0ELNS1_3repE0EEENS1_30default_config_static_selectorELNS0_4arch9wavefront6targetE1EEEvT1_.num_named_barrier, 0
	.set _ZN7rocprim17ROCPRIM_400000_NS6detail17trampoline_kernelINS0_14default_configENS1_20scan_config_selectorIN3c107complexIfEEEEZZNS1_9scan_implILNS1_25lookback_scan_determinismE0ELb0ELb0ES3_PKS7_PS7_S7_ZZZN2at6native31launch_logcumsumexp_cuda_kernelERKNSE_10TensorBaseESI_lENKUlvE_clEvENKUlvE2_clEvEUlS7_S7_E_S7_EEDaPvRmT3_T4_T5_mT6_P12ihipStream_tbENKUlT_T0_E_clISt17integral_constantIbLb0EESZ_EEDaSU_SV_EUlSU_E_NS1_11comp_targetILNS1_3genE0ELNS1_11target_archE4294967295ELNS1_3gpuE0ELNS1_3repE0EEENS1_30default_config_static_selectorELNS0_4arch9wavefront6targetE1EEEvT1_.private_seg_size, 0
	.set _ZN7rocprim17ROCPRIM_400000_NS6detail17trampoline_kernelINS0_14default_configENS1_20scan_config_selectorIN3c107complexIfEEEEZZNS1_9scan_implILNS1_25lookback_scan_determinismE0ELb0ELb0ES3_PKS7_PS7_S7_ZZZN2at6native31launch_logcumsumexp_cuda_kernelERKNSE_10TensorBaseESI_lENKUlvE_clEvENKUlvE2_clEvEUlS7_S7_E_S7_EEDaPvRmT3_T4_T5_mT6_P12ihipStream_tbENKUlT_T0_E_clISt17integral_constantIbLb0EESZ_EEDaSU_SV_EUlSU_E_NS1_11comp_targetILNS1_3genE0ELNS1_11target_archE4294967295ELNS1_3gpuE0ELNS1_3repE0EEENS1_30default_config_static_selectorELNS0_4arch9wavefront6targetE1EEEvT1_.uses_vcc, 0
	.set _ZN7rocprim17ROCPRIM_400000_NS6detail17trampoline_kernelINS0_14default_configENS1_20scan_config_selectorIN3c107complexIfEEEEZZNS1_9scan_implILNS1_25lookback_scan_determinismE0ELb0ELb0ES3_PKS7_PS7_S7_ZZZN2at6native31launch_logcumsumexp_cuda_kernelERKNSE_10TensorBaseESI_lENKUlvE_clEvENKUlvE2_clEvEUlS7_S7_E_S7_EEDaPvRmT3_T4_T5_mT6_P12ihipStream_tbENKUlT_T0_E_clISt17integral_constantIbLb0EESZ_EEDaSU_SV_EUlSU_E_NS1_11comp_targetILNS1_3genE0ELNS1_11target_archE4294967295ELNS1_3gpuE0ELNS1_3repE0EEENS1_30default_config_static_selectorELNS0_4arch9wavefront6targetE1EEEvT1_.uses_flat_scratch, 0
	.set _ZN7rocprim17ROCPRIM_400000_NS6detail17trampoline_kernelINS0_14default_configENS1_20scan_config_selectorIN3c107complexIfEEEEZZNS1_9scan_implILNS1_25lookback_scan_determinismE0ELb0ELb0ES3_PKS7_PS7_S7_ZZZN2at6native31launch_logcumsumexp_cuda_kernelERKNSE_10TensorBaseESI_lENKUlvE_clEvENKUlvE2_clEvEUlS7_S7_E_S7_EEDaPvRmT3_T4_T5_mT6_P12ihipStream_tbENKUlT_T0_E_clISt17integral_constantIbLb0EESZ_EEDaSU_SV_EUlSU_E_NS1_11comp_targetILNS1_3genE0ELNS1_11target_archE4294967295ELNS1_3gpuE0ELNS1_3repE0EEENS1_30default_config_static_selectorELNS0_4arch9wavefront6targetE1EEEvT1_.has_dyn_sized_stack, 0
	.set _ZN7rocprim17ROCPRIM_400000_NS6detail17trampoline_kernelINS0_14default_configENS1_20scan_config_selectorIN3c107complexIfEEEEZZNS1_9scan_implILNS1_25lookback_scan_determinismE0ELb0ELb0ES3_PKS7_PS7_S7_ZZZN2at6native31launch_logcumsumexp_cuda_kernelERKNSE_10TensorBaseESI_lENKUlvE_clEvENKUlvE2_clEvEUlS7_S7_E_S7_EEDaPvRmT3_T4_T5_mT6_P12ihipStream_tbENKUlT_T0_E_clISt17integral_constantIbLb0EESZ_EEDaSU_SV_EUlSU_E_NS1_11comp_targetILNS1_3genE0ELNS1_11target_archE4294967295ELNS1_3gpuE0ELNS1_3repE0EEENS1_30default_config_static_selectorELNS0_4arch9wavefront6targetE1EEEvT1_.has_recursion, 0
	.set _ZN7rocprim17ROCPRIM_400000_NS6detail17trampoline_kernelINS0_14default_configENS1_20scan_config_selectorIN3c107complexIfEEEEZZNS1_9scan_implILNS1_25lookback_scan_determinismE0ELb0ELb0ES3_PKS7_PS7_S7_ZZZN2at6native31launch_logcumsumexp_cuda_kernelERKNSE_10TensorBaseESI_lENKUlvE_clEvENKUlvE2_clEvEUlS7_S7_E_S7_EEDaPvRmT3_T4_T5_mT6_P12ihipStream_tbENKUlT_T0_E_clISt17integral_constantIbLb0EESZ_EEDaSU_SV_EUlSU_E_NS1_11comp_targetILNS1_3genE0ELNS1_11target_archE4294967295ELNS1_3gpuE0ELNS1_3repE0EEENS1_30default_config_static_selectorELNS0_4arch9wavefront6targetE1EEEvT1_.has_indirect_call, 0
	.section	.AMDGPU.csdata,"",@progbits
; Kernel info:
; codeLenInByte = 0
; TotalNumSgprs: 4
; NumVgprs: 0
; ScratchSize: 0
; MemoryBound: 0
; FloatMode: 240
; IeeeMode: 1
; LDSByteSize: 0 bytes/workgroup (compile time only)
; SGPRBlocks: 0
; VGPRBlocks: 0
; NumSGPRsForWavesPerEU: 4
; NumVGPRsForWavesPerEU: 1
; Occupancy: 10
; WaveLimiterHint : 0
; COMPUTE_PGM_RSRC2:SCRATCH_EN: 0
; COMPUTE_PGM_RSRC2:USER_SGPR: 6
; COMPUTE_PGM_RSRC2:TRAP_HANDLER: 0
; COMPUTE_PGM_RSRC2:TGID_X_EN: 1
; COMPUTE_PGM_RSRC2:TGID_Y_EN: 0
; COMPUTE_PGM_RSRC2:TGID_Z_EN: 0
; COMPUTE_PGM_RSRC2:TIDIG_COMP_CNT: 0
	.section	.text._ZN7rocprim17ROCPRIM_400000_NS6detail17trampoline_kernelINS0_14default_configENS1_20scan_config_selectorIN3c107complexIfEEEEZZNS1_9scan_implILNS1_25lookback_scan_determinismE0ELb0ELb0ES3_PKS7_PS7_S7_ZZZN2at6native31launch_logcumsumexp_cuda_kernelERKNSE_10TensorBaseESI_lENKUlvE_clEvENKUlvE2_clEvEUlS7_S7_E_S7_EEDaPvRmT3_T4_T5_mT6_P12ihipStream_tbENKUlT_T0_E_clISt17integral_constantIbLb0EESZ_EEDaSU_SV_EUlSU_E_NS1_11comp_targetILNS1_3genE5ELNS1_11target_archE942ELNS1_3gpuE9ELNS1_3repE0EEENS1_30default_config_static_selectorELNS0_4arch9wavefront6targetE1EEEvT1_,"axG",@progbits,_ZN7rocprim17ROCPRIM_400000_NS6detail17trampoline_kernelINS0_14default_configENS1_20scan_config_selectorIN3c107complexIfEEEEZZNS1_9scan_implILNS1_25lookback_scan_determinismE0ELb0ELb0ES3_PKS7_PS7_S7_ZZZN2at6native31launch_logcumsumexp_cuda_kernelERKNSE_10TensorBaseESI_lENKUlvE_clEvENKUlvE2_clEvEUlS7_S7_E_S7_EEDaPvRmT3_T4_T5_mT6_P12ihipStream_tbENKUlT_T0_E_clISt17integral_constantIbLb0EESZ_EEDaSU_SV_EUlSU_E_NS1_11comp_targetILNS1_3genE5ELNS1_11target_archE942ELNS1_3gpuE9ELNS1_3repE0EEENS1_30default_config_static_selectorELNS0_4arch9wavefront6targetE1EEEvT1_,comdat
	.globl	_ZN7rocprim17ROCPRIM_400000_NS6detail17trampoline_kernelINS0_14default_configENS1_20scan_config_selectorIN3c107complexIfEEEEZZNS1_9scan_implILNS1_25lookback_scan_determinismE0ELb0ELb0ES3_PKS7_PS7_S7_ZZZN2at6native31launch_logcumsumexp_cuda_kernelERKNSE_10TensorBaseESI_lENKUlvE_clEvENKUlvE2_clEvEUlS7_S7_E_S7_EEDaPvRmT3_T4_T5_mT6_P12ihipStream_tbENKUlT_T0_E_clISt17integral_constantIbLb0EESZ_EEDaSU_SV_EUlSU_E_NS1_11comp_targetILNS1_3genE5ELNS1_11target_archE942ELNS1_3gpuE9ELNS1_3repE0EEENS1_30default_config_static_selectorELNS0_4arch9wavefront6targetE1EEEvT1_ ; -- Begin function _ZN7rocprim17ROCPRIM_400000_NS6detail17trampoline_kernelINS0_14default_configENS1_20scan_config_selectorIN3c107complexIfEEEEZZNS1_9scan_implILNS1_25lookback_scan_determinismE0ELb0ELb0ES3_PKS7_PS7_S7_ZZZN2at6native31launch_logcumsumexp_cuda_kernelERKNSE_10TensorBaseESI_lENKUlvE_clEvENKUlvE2_clEvEUlS7_S7_E_S7_EEDaPvRmT3_T4_T5_mT6_P12ihipStream_tbENKUlT_T0_E_clISt17integral_constantIbLb0EESZ_EEDaSU_SV_EUlSU_E_NS1_11comp_targetILNS1_3genE5ELNS1_11target_archE942ELNS1_3gpuE9ELNS1_3repE0EEENS1_30default_config_static_selectorELNS0_4arch9wavefront6targetE1EEEvT1_
	.p2align	8
	.type	_ZN7rocprim17ROCPRIM_400000_NS6detail17trampoline_kernelINS0_14default_configENS1_20scan_config_selectorIN3c107complexIfEEEEZZNS1_9scan_implILNS1_25lookback_scan_determinismE0ELb0ELb0ES3_PKS7_PS7_S7_ZZZN2at6native31launch_logcumsumexp_cuda_kernelERKNSE_10TensorBaseESI_lENKUlvE_clEvENKUlvE2_clEvEUlS7_S7_E_S7_EEDaPvRmT3_T4_T5_mT6_P12ihipStream_tbENKUlT_T0_E_clISt17integral_constantIbLb0EESZ_EEDaSU_SV_EUlSU_E_NS1_11comp_targetILNS1_3genE5ELNS1_11target_archE942ELNS1_3gpuE9ELNS1_3repE0EEENS1_30default_config_static_selectorELNS0_4arch9wavefront6targetE1EEEvT1_,@function
_ZN7rocprim17ROCPRIM_400000_NS6detail17trampoline_kernelINS0_14default_configENS1_20scan_config_selectorIN3c107complexIfEEEEZZNS1_9scan_implILNS1_25lookback_scan_determinismE0ELb0ELb0ES3_PKS7_PS7_S7_ZZZN2at6native31launch_logcumsumexp_cuda_kernelERKNSE_10TensorBaseESI_lENKUlvE_clEvENKUlvE2_clEvEUlS7_S7_E_S7_EEDaPvRmT3_T4_T5_mT6_P12ihipStream_tbENKUlT_T0_E_clISt17integral_constantIbLb0EESZ_EEDaSU_SV_EUlSU_E_NS1_11comp_targetILNS1_3genE5ELNS1_11target_archE942ELNS1_3gpuE9ELNS1_3repE0EEENS1_30default_config_static_selectorELNS0_4arch9wavefront6targetE1EEEvT1_: ; @_ZN7rocprim17ROCPRIM_400000_NS6detail17trampoline_kernelINS0_14default_configENS1_20scan_config_selectorIN3c107complexIfEEEEZZNS1_9scan_implILNS1_25lookback_scan_determinismE0ELb0ELb0ES3_PKS7_PS7_S7_ZZZN2at6native31launch_logcumsumexp_cuda_kernelERKNSE_10TensorBaseESI_lENKUlvE_clEvENKUlvE2_clEvEUlS7_S7_E_S7_EEDaPvRmT3_T4_T5_mT6_P12ihipStream_tbENKUlT_T0_E_clISt17integral_constantIbLb0EESZ_EEDaSU_SV_EUlSU_E_NS1_11comp_targetILNS1_3genE5ELNS1_11target_archE942ELNS1_3gpuE9ELNS1_3repE0EEENS1_30default_config_static_selectorELNS0_4arch9wavefront6targetE1EEEvT1_
; %bb.0:
	.section	.rodata,"a",@progbits
	.p2align	6, 0x0
	.amdhsa_kernel _ZN7rocprim17ROCPRIM_400000_NS6detail17trampoline_kernelINS0_14default_configENS1_20scan_config_selectorIN3c107complexIfEEEEZZNS1_9scan_implILNS1_25lookback_scan_determinismE0ELb0ELb0ES3_PKS7_PS7_S7_ZZZN2at6native31launch_logcumsumexp_cuda_kernelERKNSE_10TensorBaseESI_lENKUlvE_clEvENKUlvE2_clEvEUlS7_S7_E_S7_EEDaPvRmT3_T4_T5_mT6_P12ihipStream_tbENKUlT_T0_E_clISt17integral_constantIbLb0EESZ_EEDaSU_SV_EUlSU_E_NS1_11comp_targetILNS1_3genE5ELNS1_11target_archE942ELNS1_3gpuE9ELNS1_3repE0EEENS1_30default_config_static_selectorELNS0_4arch9wavefront6targetE1EEEvT1_
		.amdhsa_group_segment_fixed_size 0
		.amdhsa_private_segment_fixed_size 0
		.amdhsa_kernarg_size 104
		.amdhsa_user_sgpr_count 6
		.amdhsa_user_sgpr_private_segment_buffer 1
		.amdhsa_user_sgpr_dispatch_ptr 0
		.amdhsa_user_sgpr_queue_ptr 0
		.amdhsa_user_sgpr_kernarg_segment_ptr 1
		.amdhsa_user_sgpr_dispatch_id 0
		.amdhsa_user_sgpr_flat_scratch_init 0
		.amdhsa_user_sgpr_private_segment_size 0
		.amdhsa_uses_dynamic_stack 0
		.amdhsa_system_sgpr_private_segment_wavefront_offset 0
		.amdhsa_system_sgpr_workgroup_id_x 1
		.amdhsa_system_sgpr_workgroup_id_y 0
		.amdhsa_system_sgpr_workgroup_id_z 0
		.amdhsa_system_sgpr_workgroup_info 0
		.amdhsa_system_vgpr_workitem_id 0
		.amdhsa_next_free_vgpr 1
		.amdhsa_next_free_sgpr 0
		.amdhsa_reserve_vcc 0
		.amdhsa_reserve_flat_scratch 0
		.amdhsa_float_round_mode_32 0
		.amdhsa_float_round_mode_16_64 0
		.amdhsa_float_denorm_mode_32 3
		.amdhsa_float_denorm_mode_16_64 3
		.amdhsa_dx10_clamp 1
		.amdhsa_ieee_mode 1
		.amdhsa_fp16_overflow 0
		.amdhsa_exception_fp_ieee_invalid_op 0
		.amdhsa_exception_fp_denorm_src 0
		.amdhsa_exception_fp_ieee_div_zero 0
		.amdhsa_exception_fp_ieee_overflow 0
		.amdhsa_exception_fp_ieee_underflow 0
		.amdhsa_exception_fp_ieee_inexact 0
		.amdhsa_exception_int_div_zero 0
	.end_amdhsa_kernel
	.section	.text._ZN7rocprim17ROCPRIM_400000_NS6detail17trampoline_kernelINS0_14default_configENS1_20scan_config_selectorIN3c107complexIfEEEEZZNS1_9scan_implILNS1_25lookback_scan_determinismE0ELb0ELb0ES3_PKS7_PS7_S7_ZZZN2at6native31launch_logcumsumexp_cuda_kernelERKNSE_10TensorBaseESI_lENKUlvE_clEvENKUlvE2_clEvEUlS7_S7_E_S7_EEDaPvRmT3_T4_T5_mT6_P12ihipStream_tbENKUlT_T0_E_clISt17integral_constantIbLb0EESZ_EEDaSU_SV_EUlSU_E_NS1_11comp_targetILNS1_3genE5ELNS1_11target_archE942ELNS1_3gpuE9ELNS1_3repE0EEENS1_30default_config_static_selectorELNS0_4arch9wavefront6targetE1EEEvT1_,"axG",@progbits,_ZN7rocprim17ROCPRIM_400000_NS6detail17trampoline_kernelINS0_14default_configENS1_20scan_config_selectorIN3c107complexIfEEEEZZNS1_9scan_implILNS1_25lookback_scan_determinismE0ELb0ELb0ES3_PKS7_PS7_S7_ZZZN2at6native31launch_logcumsumexp_cuda_kernelERKNSE_10TensorBaseESI_lENKUlvE_clEvENKUlvE2_clEvEUlS7_S7_E_S7_EEDaPvRmT3_T4_T5_mT6_P12ihipStream_tbENKUlT_T0_E_clISt17integral_constantIbLb0EESZ_EEDaSU_SV_EUlSU_E_NS1_11comp_targetILNS1_3genE5ELNS1_11target_archE942ELNS1_3gpuE9ELNS1_3repE0EEENS1_30default_config_static_selectorELNS0_4arch9wavefront6targetE1EEEvT1_,comdat
.Lfunc_end264:
	.size	_ZN7rocprim17ROCPRIM_400000_NS6detail17trampoline_kernelINS0_14default_configENS1_20scan_config_selectorIN3c107complexIfEEEEZZNS1_9scan_implILNS1_25lookback_scan_determinismE0ELb0ELb0ES3_PKS7_PS7_S7_ZZZN2at6native31launch_logcumsumexp_cuda_kernelERKNSE_10TensorBaseESI_lENKUlvE_clEvENKUlvE2_clEvEUlS7_S7_E_S7_EEDaPvRmT3_T4_T5_mT6_P12ihipStream_tbENKUlT_T0_E_clISt17integral_constantIbLb0EESZ_EEDaSU_SV_EUlSU_E_NS1_11comp_targetILNS1_3genE5ELNS1_11target_archE942ELNS1_3gpuE9ELNS1_3repE0EEENS1_30default_config_static_selectorELNS0_4arch9wavefront6targetE1EEEvT1_, .Lfunc_end264-_ZN7rocprim17ROCPRIM_400000_NS6detail17trampoline_kernelINS0_14default_configENS1_20scan_config_selectorIN3c107complexIfEEEEZZNS1_9scan_implILNS1_25lookback_scan_determinismE0ELb0ELb0ES3_PKS7_PS7_S7_ZZZN2at6native31launch_logcumsumexp_cuda_kernelERKNSE_10TensorBaseESI_lENKUlvE_clEvENKUlvE2_clEvEUlS7_S7_E_S7_EEDaPvRmT3_T4_T5_mT6_P12ihipStream_tbENKUlT_T0_E_clISt17integral_constantIbLb0EESZ_EEDaSU_SV_EUlSU_E_NS1_11comp_targetILNS1_3genE5ELNS1_11target_archE942ELNS1_3gpuE9ELNS1_3repE0EEENS1_30default_config_static_selectorELNS0_4arch9wavefront6targetE1EEEvT1_
                                        ; -- End function
	.set _ZN7rocprim17ROCPRIM_400000_NS6detail17trampoline_kernelINS0_14default_configENS1_20scan_config_selectorIN3c107complexIfEEEEZZNS1_9scan_implILNS1_25lookback_scan_determinismE0ELb0ELb0ES3_PKS7_PS7_S7_ZZZN2at6native31launch_logcumsumexp_cuda_kernelERKNSE_10TensorBaseESI_lENKUlvE_clEvENKUlvE2_clEvEUlS7_S7_E_S7_EEDaPvRmT3_T4_T5_mT6_P12ihipStream_tbENKUlT_T0_E_clISt17integral_constantIbLb0EESZ_EEDaSU_SV_EUlSU_E_NS1_11comp_targetILNS1_3genE5ELNS1_11target_archE942ELNS1_3gpuE9ELNS1_3repE0EEENS1_30default_config_static_selectorELNS0_4arch9wavefront6targetE1EEEvT1_.num_vgpr, 0
	.set _ZN7rocprim17ROCPRIM_400000_NS6detail17trampoline_kernelINS0_14default_configENS1_20scan_config_selectorIN3c107complexIfEEEEZZNS1_9scan_implILNS1_25lookback_scan_determinismE0ELb0ELb0ES3_PKS7_PS7_S7_ZZZN2at6native31launch_logcumsumexp_cuda_kernelERKNSE_10TensorBaseESI_lENKUlvE_clEvENKUlvE2_clEvEUlS7_S7_E_S7_EEDaPvRmT3_T4_T5_mT6_P12ihipStream_tbENKUlT_T0_E_clISt17integral_constantIbLb0EESZ_EEDaSU_SV_EUlSU_E_NS1_11comp_targetILNS1_3genE5ELNS1_11target_archE942ELNS1_3gpuE9ELNS1_3repE0EEENS1_30default_config_static_selectorELNS0_4arch9wavefront6targetE1EEEvT1_.num_agpr, 0
	.set _ZN7rocprim17ROCPRIM_400000_NS6detail17trampoline_kernelINS0_14default_configENS1_20scan_config_selectorIN3c107complexIfEEEEZZNS1_9scan_implILNS1_25lookback_scan_determinismE0ELb0ELb0ES3_PKS7_PS7_S7_ZZZN2at6native31launch_logcumsumexp_cuda_kernelERKNSE_10TensorBaseESI_lENKUlvE_clEvENKUlvE2_clEvEUlS7_S7_E_S7_EEDaPvRmT3_T4_T5_mT6_P12ihipStream_tbENKUlT_T0_E_clISt17integral_constantIbLb0EESZ_EEDaSU_SV_EUlSU_E_NS1_11comp_targetILNS1_3genE5ELNS1_11target_archE942ELNS1_3gpuE9ELNS1_3repE0EEENS1_30default_config_static_selectorELNS0_4arch9wavefront6targetE1EEEvT1_.numbered_sgpr, 0
	.set _ZN7rocprim17ROCPRIM_400000_NS6detail17trampoline_kernelINS0_14default_configENS1_20scan_config_selectorIN3c107complexIfEEEEZZNS1_9scan_implILNS1_25lookback_scan_determinismE0ELb0ELb0ES3_PKS7_PS7_S7_ZZZN2at6native31launch_logcumsumexp_cuda_kernelERKNSE_10TensorBaseESI_lENKUlvE_clEvENKUlvE2_clEvEUlS7_S7_E_S7_EEDaPvRmT3_T4_T5_mT6_P12ihipStream_tbENKUlT_T0_E_clISt17integral_constantIbLb0EESZ_EEDaSU_SV_EUlSU_E_NS1_11comp_targetILNS1_3genE5ELNS1_11target_archE942ELNS1_3gpuE9ELNS1_3repE0EEENS1_30default_config_static_selectorELNS0_4arch9wavefront6targetE1EEEvT1_.num_named_barrier, 0
	.set _ZN7rocprim17ROCPRIM_400000_NS6detail17trampoline_kernelINS0_14default_configENS1_20scan_config_selectorIN3c107complexIfEEEEZZNS1_9scan_implILNS1_25lookback_scan_determinismE0ELb0ELb0ES3_PKS7_PS7_S7_ZZZN2at6native31launch_logcumsumexp_cuda_kernelERKNSE_10TensorBaseESI_lENKUlvE_clEvENKUlvE2_clEvEUlS7_S7_E_S7_EEDaPvRmT3_T4_T5_mT6_P12ihipStream_tbENKUlT_T0_E_clISt17integral_constantIbLb0EESZ_EEDaSU_SV_EUlSU_E_NS1_11comp_targetILNS1_3genE5ELNS1_11target_archE942ELNS1_3gpuE9ELNS1_3repE0EEENS1_30default_config_static_selectorELNS0_4arch9wavefront6targetE1EEEvT1_.private_seg_size, 0
	.set _ZN7rocprim17ROCPRIM_400000_NS6detail17trampoline_kernelINS0_14default_configENS1_20scan_config_selectorIN3c107complexIfEEEEZZNS1_9scan_implILNS1_25lookback_scan_determinismE0ELb0ELb0ES3_PKS7_PS7_S7_ZZZN2at6native31launch_logcumsumexp_cuda_kernelERKNSE_10TensorBaseESI_lENKUlvE_clEvENKUlvE2_clEvEUlS7_S7_E_S7_EEDaPvRmT3_T4_T5_mT6_P12ihipStream_tbENKUlT_T0_E_clISt17integral_constantIbLb0EESZ_EEDaSU_SV_EUlSU_E_NS1_11comp_targetILNS1_3genE5ELNS1_11target_archE942ELNS1_3gpuE9ELNS1_3repE0EEENS1_30default_config_static_selectorELNS0_4arch9wavefront6targetE1EEEvT1_.uses_vcc, 0
	.set _ZN7rocprim17ROCPRIM_400000_NS6detail17trampoline_kernelINS0_14default_configENS1_20scan_config_selectorIN3c107complexIfEEEEZZNS1_9scan_implILNS1_25lookback_scan_determinismE0ELb0ELb0ES3_PKS7_PS7_S7_ZZZN2at6native31launch_logcumsumexp_cuda_kernelERKNSE_10TensorBaseESI_lENKUlvE_clEvENKUlvE2_clEvEUlS7_S7_E_S7_EEDaPvRmT3_T4_T5_mT6_P12ihipStream_tbENKUlT_T0_E_clISt17integral_constantIbLb0EESZ_EEDaSU_SV_EUlSU_E_NS1_11comp_targetILNS1_3genE5ELNS1_11target_archE942ELNS1_3gpuE9ELNS1_3repE0EEENS1_30default_config_static_selectorELNS0_4arch9wavefront6targetE1EEEvT1_.uses_flat_scratch, 0
	.set _ZN7rocprim17ROCPRIM_400000_NS6detail17trampoline_kernelINS0_14default_configENS1_20scan_config_selectorIN3c107complexIfEEEEZZNS1_9scan_implILNS1_25lookback_scan_determinismE0ELb0ELb0ES3_PKS7_PS7_S7_ZZZN2at6native31launch_logcumsumexp_cuda_kernelERKNSE_10TensorBaseESI_lENKUlvE_clEvENKUlvE2_clEvEUlS7_S7_E_S7_EEDaPvRmT3_T4_T5_mT6_P12ihipStream_tbENKUlT_T0_E_clISt17integral_constantIbLb0EESZ_EEDaSU_SV_EUlSU_E_NS1_11comp_targetILNS1_3genE5ELNS1_11target_archE942ELNS1_3gpuE9ELNS1_3repE0EEENS1_30default_config_static_selectorELNS0_4arch9wavefront6targetE1EEEvT1_.has_dyn_sized_stack, 0
	.set _ZN7rocprim17ROCPRIM_400000_NS6detail17trampoline_kernelINS0_14default_configENS1_20scan_config_selectorIN3c107complexIfEEEEZZNS1_9scan_implILNS1_25lookback_scan_determinismE0ELb0ELb0ES3_PKS7_PS7_S7_ZZZN2at6native31launch_logcumsumexp_cuda_kernelERKNSE_10TensorBaseESI_lENKUlvE_clEvENKUlvE2_clEvEUlS7_S7_E_S7_EEDaPvRmT3_T4_T5_mT6_P12ihipStream_tbENKUlT_T0_E_clISt17integral_constantIbLb0EESZ_EEDaSU_SV_EUlSU_E_NS1_11comp_targetILNS1_3genE5ELNS1_11target_archE942ELNS1_3gpuE9ELNS1_3repE0EEENS1_30default_config_static_selectorELNS0_4arch9wavefront6targetE1EEEvT1_.has_recursion, 0
	.set _ZN7rocprim17ROCPRIM_400000_NS6detail17trampoline_kernelINS0_14default_configENS1_20scan_config_selectorIN3c107complexIfEEEEZZNS1_9scan_implILNS1_25lookback_scan_determinismE0ELb0ELb0ES3_PKS7_PS7_S7_ZZZN2at6native31launch_logcumsumexp_cuda_kernelERKNSE_10TensorBaseESI_lENKUlvE_clEvENKUlvE2_clEvEUlS7_S7_E_S7_EEDaPvRmT3_T4_T5_mT6_P12ihipStream_tbENKUlT_T0_E_clISt17integral_constantIbLb0EESZ_EEDaSU_SV_EUlSU_E_NS1_11comp_targetILNS1_3genE5ELNS1_11target_archE942ELNS1_3gpuE9ELNS1_3repE0EEENS1_30default_config_static_selectorELNS0_4arch9wavefront6targetE1EEEvT1_.has_indirect_call, 0
	.section	.AMDGPU.csdata,"",@progbits
; Kernel info:
; codeLenInByte = 0
; TotalNumSgprs: 4
; NumVgprs: 0
; ScratchSize: 0
; MemoryBound: 0
; FloatMode: 240
; IeeeMode: 1
; LDSByteSize: 0 bytes/workgroup (compile time only)
; SGPRBlocks: 0
; VGPRBlocks: 0
; NumSGPRsForWavesPerEU: 4
; NumVGPRsForWavesPerEU: 1
; Occupancy: 10
; WaveLimiterHint : 0
; COMPUTE_PGM_RSRC2:SCRATCH_EN: 0
; COMPUTE_PGM_RSRC2:USER_SGPR: 6
; COMPUTE_PGM_RSRC2:TRAP_HANDLER: 0
; COMPUTE_PGM_RSRC2:TGID_X_EN: 1
; COMPUTE_PGM_RSRC2:TGID_Y_EN: 0
; COMPUTE_PGM_RSRC2:TGID_Z_EN: 0
; COMPUTE_PGM_RSRC2:TIDIG_COMP_CNT: 0
	.section	.text._ZN7rocprim17ROCPRIM_400000_NS6detail17trampoline_kernelINS0_14default_configENS1_20scan_config_selectorIN3c107complexIfEEEEZZNS1_9scan_implILNS1_25lookback_scan_determinismE0ELb0ELb0ES3_PKS7_PS7_S7_ZZZN2at6native31launch_logcumsumexp_cuda_kernelERKNSE_10TensorBaseESI_lENKUlvE_clEvENKUlvE2_clEvEUlS7_S7_E_S7_EEDaPvRmT3_T4_T5_mT6_P12ihipStream_tbENKUlT_T0_E_clISt17integral_constantIbLb0EESZ_EEDaSU_SV_EUlSU_E_NS1_11comp_targetILNS1_3genE4ELNS1_11target_archE910ELNS1_3gpuE8ELNS1_3repE0EEENS1_30default_config_static_selectorELNS0_4arch9wavefront6targetE1EEEvT1_,"axG",@progbits,_ZN7rocprim17ROCPRIM_400000_NS6detail17trampoline_kernelINS0_14default_configENS1_20scan_config_selectorIN3c107complexIfEEEEZZNS1_9scan_implILNS1_25lookback_scan_determinismE0ELb0ELb0ES3_PKS7_PS7_S7_ZZZN2at6native31launch_logcumsumexp_cuda_kernelERKNSE_10TensorBaseESI_lENKUlvE_clEvENKUlvE2_clEvEUlS7_S7_E_S7_EEDaPvRmT3_T4_T5_mT6_P12ihipStream_tbENKUlT_T0_E_clISt17integral_constantIbLb0EESZ_EEDaSU_SV_EUlSU_E_NS1_11comp_targetILNS1_3genE4ELNS1_11target_archE910ELNS1_3gpuE8ELNS1_3repE0EEENS1_30default_config_static_selectorELNS0_4arch9wavefront6targetE1EEEvT1_,comdat
	.globl	_ZN7rocprim17ROCPRIM_400000_NS6detail17trampoline_kernelINS0_14default_configENS1_20scan_config_selectorIN3c107complexIfEEEEZZNS1_9scan_implILNS1_25lookback_scan_determinismE0ELb0ELb0ES3_PKS7_PS7_S7_ZZZN2at6native31launch_logcumsumexp_cuda_kernelERKNSE_10TensorBaseESI_lENKUlvE_clEvENKUlvE2_clEvEUlS7_S7_E_S7_EEDaPvRmT3_T4_T5_mT6_P12ihipStream_tbENKUlT_T0_E_clISt17integral_constantIbLb0EESZ_EEDaSU_SV_EUlSU_E_NS1_11comp_targetILNS1_3genE4ELNS1_11target_archE910ELNS1_3gpuE8ELNS1_3repE0EEENS1_30default_config_static_selectorELNS0_4arch9wavefront6targetE1EEEvT1_ ; -- Begin function _ZN7rocprim17ROCPRIM_400000_NS6detail17trampoline_kernelINS0_14default_configENS1_20scan_config_selectorIN3c107complexIfEEEEZZNS1_9scan_implILNS1_25lookback_scan_determinismE0ELb0ELb0ES3_PKS7_PS7_S7_ZZZN2at6native31launch_logcumsumexp_cuda_kernelERKNSE_10TensorBaseESI_lENKUlvE_clEvENKUlvE2_clEvEUlS7_S7_E_S7_EEDaPvRmT3_T4_T5_mT6_P12ihipStream_tbENKUlT_T0_E_clISt17integral_constantIbLb0EESZ_EEDaSU_SV_EUlSU_E_NS1_11comp_targetILNS1_3genE4ELNS1_11target_archE910ELNS1_3gpuE8ELNS1_3repE0EEENS1_30default_config_static_selectorELNS0_4arch9wavefront6targetE1EEEvT1_
	.p2align	8
	.type	_ZN7rocprim17ROCPRIM_400000_NS6detail17trampoline_kernelINS0_14default_configENS1_20scan_config_selectorIN3c107complexIfEEEEZZNS1_9scan_implILNS1_25lookback_scan_determinismE0ELb0ELb0ES3_PKS7_PS7_S7_ZZZN2at6native31launch_logcumsumexp_cuda_kernelERKNSE_10TensorBaseESI_lENKUlvE_clEvENKUlvE2_clEvEUlS7_S7_E_S7_EEDaPvRmT3_T4_T5_mT6_P12ihipStream_tbENKUlT_T0_E_clISt17integral_constantIbLb0EESZ_EEDaSU_SV_EUlSU_E_NS1_11comp_targetILNS1_3genE4ELNS1_11target_archE910ELNS1_3gpuE8ELNS1_3repE0EEENS1_30default_config_static_selectorELNS0_4arch9wavefront6targetE1EEEvT1_,@function
_ZN7rocprim17ROCPRIM_400000_NS6detail17trampoline_kernelINS0_14default_configENS1_20scan_config_selectorIN3c107complexIfEEEEZZNS1_9scan_implILNS1_25lookback_scan_determinismE0ELb0ELb0ES3_PKS7_PS7_S7_ZZZN2at6native31launch_logcumsumexp_cuda_kernelERKNSE_10TensorBaseESI_lENKUlvE_clEvENKUlvE2_clEvEUlS7_S7_E_S7_EEDaPvRmT3_T4_T5_mT6_P12ihipStream_tbENKUlT_T0_E_clISt17integral_constantIbLb0EESZ_EEDaSU_SV_EUlSU_E_NS1_11comp_targetILNS1_3genE4ELNS1_11target_archE910ELNS1_3gpuE8ELNS1_3repE0EEENS1_30default_config_static_selectorELNS0_4arch9wavefront6targetE1EEEvT1_: ; @_ZN7rocprim17ROCPRIM_400000_NS6detail17trampoline_kernelINS0_14default_configENS1_20scan_config_selectorIN3c107complexIfEEEEZZNS1_9scan_implILNS1_25lookback_scan_determinismE0ELb0ELb0ES3_PKS7_PS7_S7_ZZZN2at6native31launch_logcumsumexp_cuda_kernelERKNSE_10TensorBaseESI_lENKUlvE_clEvENKUlvE2_clEvEUlS7_S7_E_S7_EEDaPvRmT3_T4_T5_mT6_P12ihipStream_tbENKUlT_T0_E_clISt17integral_constantIbLb0EESZ_EEDaSU_SV_EUlSU_E_NS1_11comp_targetILNS1_3genE4ELNS1_11target_archE910ELNS1_3gpuE8ELNS1_3repE0EEENS1_30default_config_static_selectorELNS0_4arch9wavefront6targetE1EEEvT1_
; %bb.0:
	.section	.rodata,"a",@progbits
	.p2align	6, 0x0
	.amdhsa_kernel _ZN7rocprim17ROCPRIM_400000_NS6detail17trampoline_kernelINS0_14default_configENS1_20scan_config_selectorIN3c107complexIfEEEEZZNS1_9scan_implILNS1_25lookback_scan_determinismE0ELb0ELb0ES3_PKS7_PS7_S7_ZZZN2at6native31launch_logcumsumexp_cuda_kernelERKNSE_10TensorBaseESI_lENKUlvE_clEvENKUlvE2_clEvEUlS7_S7_E_S7_EEDaPvRmT3_T4_T5_mT6_P12ihipStream_tbENKUlT_T0_E_clISt17integral_constantIbLb0EESZ_EEDaSU_SV_EUlSU_E_NS1_11comp_targetILNS1_3genE4ELNS1_11target_archE910ELNS1_3gpuE8ELNS1_3repE0EEENS1_30default_config_static_selectorELNS0_4arch9wavefront6targetE1EEEvT1_
		.amdhsa_group_segment_fixed_size 0
		.amdhsa_private_segment_fixed_size 0
		.amdhsa_kernarg_size 104
		.amdhsa_user_sgpr_count 6
		.amdhsa_user_sgpr_private_segment_buffer 1
		.amdhsa_user_sgpr_dispatch_ptr 0
		.amdhsa_user_sgpr_queue_ptr 0
		.amdhsa_user_sgpr_kernarg_segment_ptr 1
		.amdhsa_user_sgpr_dispatch_id 0
		.amdhsa_user_sgpr_flat_scratch_init 0
		.amdhsa_user_sgpr_private_segment_size 0
		.amdhsa_uses_dynamic_stack 0
		.amdhsa_system_sgpr_private_segment_wavefront_offset 0
		.amdhsa_system_sgpr_workgroup_id_x 1
		.amdhsa_system_sgpr_workgroup_id_y 0
		.amdhsa_system_sgpr_workgroup_id_z 0
		.amdhsa_system_sgpr_workgroup_info 0
		.amdhsa_system_vgpr_workitem_id 0
		.amdhsa_next_free_vgpr 1
		.amdhsa_next_free_sgpr 0
		.amdhsa_reserve_vcc 0
		.amdhsa_reserve_flat_scratch 0
		.amdhsa_float_round_mode_32 0
		.amdhsa_float_round_mode_16_64 0
		.amdhsa_float_denorm_mode_32 3
		.amdhsa_float_denorm_mode_16_64 3
		.amdhsa_dx10_clamp 1
		.amdhsa_ieee_mode 1
		.amdhsa_fp16_overflow 0
		.amdhsa_exception_fp_ieee_invalid_op 0
		.amdhsa_exception_fp_denorm_src 0
		.amdhsa_exception_fp_ieee_div_zero 0
		.amdhsa_exception_fp_ieee_overflow 0
		.amdhsa_exception_fp_ieee_underflow 0
		.amdhsa_exception_fp_ieee_inexact 0
		.amdhsa_exception_int_div_zero 0
	.end_amdhsa_kernel
	.section	.text._ZN7rocprim17ROCPRIM_400000_NS6detail17trampoline_kernelINS0_14default_configENS1_20scan_config_selectorIN3c107complexIfEEEEZZNS1_9scan_implILNS1_25lookback_scan_determinismE0ELb0ELb0ES3_PKS7_PS7_S7_ZZZN2at6native31launch_logcumsumexp_cuda_kernelERKNSE_10TensorBaseESI_lENKUlvE_clEvENKUlvE2_clEvEUlS7_S7_E_S7_EEDaPvRmT3_T4_T5_mT6_P12ihipStream_tbENKUlT_T0_E_clISt17integral_constantIbLb0EESZ_EEDaSU_SV_EUlSU_E_NS1_11comp_targetILNS1_3genE4ELNS1_11target_archE910ELNS1_3gpuE8ELNS1_3repE0EEENS1_30default_config_static_selectorELNS0_4arch9wavefront6targetE1EEEvT1_,"axG",@progbits,_ZN7rocprim17ROCPRIM_400000_NS6detail17trampoline_kernelINS0_14default_configENS1_20scan_config_selectorIN3c107complexIfEEEEZZNS1_9scan_implILNS1_25lookback_scan_determinismE0ELb0ELb0ES3_PKS7_PS7_S7_ZZZN2at6native31launch_logcumsumexp_cuda_kernelERKNSE_10TensorBaseESI_lENKUlvE_clEvENKUlvE2_clEvEUlS7_S7_E_S7_EEDaPvRmT3_T4_T5_mT6_P12ihipStream_tbENKUlT_T0_E_clISt17integral_constantIbLb0EESZ_EEDaSU_SV_EUlSU_E_NS1_11comp_targetILNS1_3genE4ELNS1_11target_archE910ELNS1_3gpuE8ELNS1_3repE0EEENS1_30default_config_static_selectorELNS0_4arch9wavefront6targetE1EEEvT1_,comdat
.Lfunc_end265:
	.size	_ZN7rocprim17ROCPRIM_400000_NS6detail17trampoline_kernelINS0_14default_configENS1_20scan_config_selectorIN3c107complexIfEEEEZZNS1_9scan_implILNS1_25lookback_scan_determinismE0ELb0ELb0ES3_PKS7_PS7_S7_ZZZN2at6native31launch_logcumsumexp_cuda_kernelERKNSE_10TensorBaseESI_lENKUlvE_clEvENKUlvE2_clEvEUlS7_S7_E_S7_EEDaPvRmT3_T4_T5_mT6_P12ihipStream_tbENKUlT_T0_E_clISt17integral_constantIbLb0EESZ_EEDaSU_SV_EUlSU_E_NS1_11comp_targetILNS1_3genE4ELNS1_11target_archE910ELNS1_3gpuE8ELNS1_3repE0EEENS1_30default_config_static_selectorELNS0_4arch9wavefront6targetE1EEEvT1_, .Lfunc_end265-_ZN7rocprim17ROCPRIM_400000_NS6detail17trampoline_kernelINS0_14default_configENS1_20scan_config_selectorIN3c107complexIfEEEEZZNS1_9scan_implILNS1_25lookback_scan_determinismE0ELb0ELb0ES3_PKS7_PS7_S7_ZZZN2at6native31launch_logcumsumexp_cuda_kernelERKNSE_10TensorBaseESI_lENKUlvE_clEvENKUlvE2_clEvEUlS7_S7_E_S7_EEDaPvRmT3_T4_T5_mT6_P12ihipStream_tbENKUlT_T0_E_clISt17integral_constantIbLb0EESZ_EEDaSU_SV_EUlSU_E_NS1_11comp_targetILNS1_3genE4ELNS1_11target_archE910ELNS1_3gpuE8ELNS1_3repE0EEENS1_30default_config_static_selectorELNS0_4arch9wavefront6targetE1EEEvT1_
                                        ; -- End function
	.set _ZN7rocprim17ROCPRIM_400000_NS6detail17trampoline_kernelINS0_14default_configENS1_20scan_config_selectorIN3c107complexIfEEEEZZNS1_9scan_implILNS1_25lookback_scan_determinismE0ELb0ELb0ES3_PKS7_PS7_S7_ZZZN2at6native31launch_logcumsumexp_cuda_kernelERKNSE_10TensorBaseESI_lENKUlvE_clEvENKUlvE2_clEvEUlS7_S7_E_S7_EEDaPvRmT3_T4_T5_mT6_P12ihipStream_tbENKUlT_T0_E_clISt17integral_constantIbLb0EESZ_EEDaSU_SV_EUlSU_E_NS1_11comp_targetILNS1_3genE4ELNS1_11target_archE910ELNS1_3gpuE8ELNS1_3repE0EEENS1_30default_config_static_selectorELNS0_4arch9wavefront6targetE1EEEvT1_.num_vgpr, 0
	.set _ZN7rocprim17ROCPRIM_400000_NS6detail17trampoline_kernelINS0_14default_configENS1_20scan_config_selectorIN3c107complexIfEEEEZZNS1_9scan_implILNS1_25lookback_scan_determinismE0ELb0ELb0ES3_PKS7_PS7_S7_ZZZN2at6native31launch_logcumsumexp_cuda_kernelERKNSE_10TensorBaseESI_lENKUlvE_clEvENKUlvE2_clEvEUlS7_S7_E_S7_EEDaPvRmT3_T4_T5_mT6_P12ihipStream_tbENKUlT_T0_E_clISt17integral_constantIbLb0EESZ_EEDaSU_SV_EUlSU_E_NS1_11comp_targetILNS1_3genE4ELNS1_11target_archE910ELNS1_3gpuE8ELNS1_3repE0EEENS1_30default_config_static_selectorELNS0_4arch9wavefront6targetE1EEEvT1_.num_agpr, 0
	.set _ZN7rocprim17ROCPRIM_400000_NS6detail17trampoline_kernelINS0_14default_configENS1_20scan_config_selectorIN3c107complexIfEEEEZZNS1_9scan_implILNS1_25lookback_scan_determinismE0ELb0ELb0ES3_PKS7_PS7_S7_ZZZN2at6native31launch_logcumsumexp_cuda_kernelERKNSE_10TensorBaseESI_lENKUlvE_clEvENKUlvE2_clEvEUlS7_S7_E_S7_EEDaPvRmT3_T4_T5_mT6_P12ihipStream_tbENKUlT_T0_E_clISt17integral_constantIbLb0EESZ_EEDaSU_SV_EUlSU_E_NS1_11comp_targetILNS1_3genE4ELNS1_11target_archE910ELNS1_3gpuE8ELNS1_3repE0EEENS1_30default_config_static_selectorELNS0_4arch9wavefront6targetE1EEEvT1_.numbered_sgpr, 0
	.set _ZN7rocprim17ROCPRIM_400000_NS6detail17trampoline_kernelINS0_14default_configENS1_20scan_config_selectorIN3c107complexIfEEEEZZNS1_9scan_implILNS1_25lookback_scan_determinismE0ELb0ELb0ES3_PKS7_PS7_S7_ZZZN2at6native31launch_logcumsumexp_cuda_kernelERKNSE_10TensorBaseESI_lENKUlvE_clEvENKUlvE2_clEvEUlS7_S7_E_S7_EEDaPvRmT3_T4_T5_mT6_P12ihipStream_tbENKUlT_T0_E_clISt17integral_constantIbLb0EESZ_EEDaSU_SV_EUlSU_E_NS1_11comp_targetILNS1_3genE4ELNS1_11target_archE910ELNS1_3gpuE8ELNS1_3repE0EEENS1_30default_config_static_selectorELNS0_4arch9wavefront6targetE1EEEvT1_.num_named_barrier, 0
	.set _ZN7rocprim17ROCPRIM_400000_NS6detail17trampoline_kernelINS0_14default_configENS1_20scan_config_selectorIN3c107complexIfEEEEZZNS1_9scan_implILNS1_25lookback_scan_determinismE0ELb0ELb0ES3_PKS7_PS7_S7_ZZZN2at6native31launch_logcumsumexp_cuda_kernelERKNSE_10TensorBaseESI_lENKUlvE_clEvENKUlvE2_clEvEUlS7_S7_E_S7_EEDaPvRmT3_T4_T5_mT6_P12ihipStream_tbENKUlT_T0_E_clISt17integral_constantIbLb0EESZ_EEDaSU_SV_EUlSU_E_NS1_11comp_targetILNS1_3genE4ELNS1_11target_archE910ELNS1_3gpuE8ELNS1_3repE0EEENS1_30default_config_static_selectorELNS0_4arch9wavefront6targetE1EEEvT1_.private_seg_size, 0
	.set _ZN7rocprim17ROCPRIM_400000_NS6detail17trampoline_kernelINS0_14default_configENS1_20scan_config_selectorIN3c107complexIfEEEEZZNS1_9scan_implILNS1_25lookback_scan_determinismE0ELb0ELb0ES3_PKS7_PS7_S7_ZZZN2at6native31launch_logcumsumexp_cuda_kernelERKNSE_10TensorBaseESI_lENKUlvE_clEvENKUlvE2_clEvEUlS7_S7_E_S7_EEDaPvRmT3_T4_T5_mT6_P12ihipStream_tbENKUlT_T0_E_clISt17integral_constantIbLb0EESZ_EEDaSU_SV_EUlSU_E_NS1_11comp_targetILNS1_3genE4ELNS1_11target_archE910ELNS1_3gpuE8ELNS1_3repE0EEENS1_30default_config_static_selectorELNS0_4arch9wavefront6targetE1EEEvT1_.uses_vcc, 0
	.set _ZN7rocprim17ROCPRIM_400000_NS6detail17trampoline_kernelINS0_14default_configENS1_20scan_config_selectorIN3c107complexIfEEEEZZNS1_9scan_implILNS1_25lookback_scan_determinismE0ELb0ELb0ES3_PKS7_PS7_S7_ZZZN2at6native31launch_logcumsumexp_cuda_kernelERKNSE_10TensorBaseESI_lENKUlvE_clEvENKUlvE2_clEvEUlS7_S7_E_S7_EEDaPvRmT3_T4_T5_mT6_P12ihipStream_tbENKUlT_T0_E_clISt17integral_constantIbLb0EESZ_EEDaSU_SV_EUlSU_E_NS1_11comp_targetILNS1_3genE4ELNS1_11target_archE910ELNS1_3gpuE8ELNS1_3repE0EEENS1_30default_config_static_selectorELNS0_4arch9wavefront6targetE1EEEvT1_.uses_flat_scratch, 0
	.set _ZN7rocprim17ROCPRIM_400000_NS6detail17trampoline_kernelINS0_14default_configENS1_20scan_config_selectorIN3c107complexIfEEEEZZNS1_9scan_implILNS1_25lookback_scan_determinismE0ELb0ELb0ES3_PKS7_PS7_S7_ZZZN2at6native31launch_logcumsumexp_cuda_kernelERKNSE_10TensorBaseESI_lENKUlvE_clEvENKUlvE2_clEvEUlS7_S7_E_S7_EEDaPvRmT3_T4_T5_mT6_P12ihipStream_tbENKUlT_T0_E_clISt17integral_constantIbLb0EESZ_EEDaSU_SV_EUlSU_E_NS1_11comp_targetILNS1_3genE4ELNS1_11target_archE910ELNS1_3gpuE8ELNS1_3repE0EEENS1_30default_config_static_selectorELNS0_4arch9wavefront6targetE1EEEvT1_.has_dyn_sized_stack, 0
	.set _ZN7rocprim17ROCPRIM_400000_NS6detail17trampoline_kernelINS0_14default_configENS1_20scan_config_selectorIN3c107complexIfEEEEZZNS1_9scan_implILNS1_25lookback_scan_determinismE0ELb0ELb0ES3_PKS7_PS7_S7_ZZZN2at6native31launch_logcumsumexp_cuda_kernelERKNSE_10TensorBaseESI_lENKUlvE_clEvENKUlvE2_clEvEUlS7_S7_E_S7_EEDaPvRmT3_T4_T5_mT6_P12ihipStream_tbENKUlT_T0_E_clISt17integral_constantIbLb0EESZ_EEDaSU_SV_EUlSU_E_NS1_11comp_targetILNS1_3genE4ELNS1_11target_archE910ELNS1_3gpuE8ELNS1_3repE0EEENS1_30default_config_static_selectorELNS0_4arch9wavefront6targetE1EEEvT1_.has_recursion, 0
	.set _ZN7rocprim17ROCPRIM_400000_NS6detail17trampoline_kernelINS0_14default_configENS1_20scan_config_selectorIN3c107complexIfEEEEZZNS1_9scan_implILNS1_25lookback_scan_determinismE0ELb0ELb0ES3_PKS7_PS7_S7_ZZZN2at6native31launch_logcumsumexp_cuda_kernelERKNSE_10TensorBaseESI_lENKUlvE_clEvENKUlvE2_clEvEUlS7_S7_E_S7_EEDaPvRmT3_T4_T5_mT6_P12ihipStream_tbENKUlT_T0_E_clISt17integral_constantIbLb0EESZ_EEDaSU_SV_EUlSU_E_NS1_11comp_targetILNS1_3genE4ELNS1_11target_archE910ELNS1_3gpuE8ELNS1_3repE0EEENS1_30default_config_static_selectorELNS0_4arch9wavefront6targetE1EEEvT1_.has_indirect_call, 0
	.section	.AMDGPU.csdata,"",@progbits
; Kernel info:
; codeLenInByte = 0
; TotalNumSgprs: 4
; NumVgprs: 0
; ScratchSize: 0
; MemoryBound: 0
; FloatMode: 240
; IeeeMode: 1
; LDSByteSize: 0 bytes/workgroup (compile time only)
; SGPRBlocks: 0
; VGPRBlocks: 0
; NumSGPRsForWavesPerEU: 4
; NumVGPRsForWavesPerEU: 1
; Occupancy: 10
; WaveLimiterHint : 0
; COMPUTE_PGM_RSRC2:SCRATCH_EN: 0
; COMPUTE_PGM_RSRC2:USER_SGPR: 6
; COMPUTE_PGM_RSRC2:TRAP_HANDLER: 0
; COMPUTE_PGM_RSRC2:TGID_X_EN: 1
; COMPUTE_PGM_RSRC2:TGID_Y_EN: 0
; COMPUTE_PGM_RSRC2:TGID_Z_EN: 0
; COMPUTE_PGM_RSRC2:TIDIG_COMP_CNT: 0
	.section	.text._ZN7rocprim17ROCPRIM_400000_NS6detail17trampoline_kernelINS0_14default_configENS1_20scan_config_selectorIN3c107complexIfEEEEZZNS1_9scan_implILNS1_25lookback_scan_determinismE0ELb0ELb0ES3_PKS7_PS7_S7_ZZZN2at6native31launch_logcumsumexp_cuda_kernelERKNSE_10TensorBaseESI_lENKUlvE_clEvENKUlvE2_clEvEUlS7_S7_E_S7_EEDaPvRmT3_T4_T5_mT6_P12ihipStream_tbENKUlT_T0_E_clISt17integral_constantIbLb0EESZ_EEDaSU_SV_EUlSU_E_NS1_11comp_targetILNS1_3genE3ELNS1_11target_archE908ELNS1_3gpuE7ELNS1_3repE0EEENS1_30default_config_static_selectorELNS0_4arch9wavefront6targetE1EEEvT1_,"axG",@progbits,_ZN7rocprim17ROCPRIM_400000_NS6detail17trampoline_kernelINS0_14default_configENS1_20scan_config_selectorIN3c107complexIfEEEEZZNS1_9scan_implILNS1_25lookback_scan_determinismE0ELb0ELb0ES3_PKS7_PS7_S7_ZZZN2at6native31launch_logcumsumexp_cuda_kernelERKNSE_10TensorBaseESI_lENKUlvE_clEvENKUlvE2_clEvEUlS7_S7_E_S7_EEDaPvRmT3_T4_T5_mT6_P12ihipStream_tbENKUlT_T0_E_clISt17integral_constantIbLb0EESZ_EEDaSU_SV_EUlSU_E_NS1_11comp_targetILNS1_3genE3ELNS1_11target_archE908ELNS1_3gpuE7ELNS1_3repE0EEENS1_30default_config_static_selectorELNS0_4arch9wavefront6targetE1EEEvT1_,comdat
	.globl	_ZN7rocprim17ROCPRIM_400000_NS6detail17trampoline_kernelINS0_14default_configENS1_20scan_config_selectorIN3c107complexIfEEEEZZNS1_9scan_implILNS1_25lookback_scan_determinismE0ELb0ELb0ES3_PKS7_PS7_S7_ZZZN2at6native31launch_logcumsumexp_cuda_kernelERKNSE_10TensorBaseESI_lENKUlvE_clEvENKUlvE2_clEvEUlS7_S7_E_S7_EEDaPvRmT3_T4_T5_mT6_P12ihipStream_tbENKUlT_T0_E_clISt17integral_constantIbLb0EESZ_EEDaSU_SV_EUlSU_E_NS1_11comp_targetILNS1_3genE3ELNS1_11target_archE908ELNS1_3gpuE7ELNS1_3repE0EEENS1_30default_config_static_selectorELNS0_4arch9wavefront6targetE1EEEvT1_ ; -- Begin function _ZN7rocprim17ROCPRIM_400000_NS6detail17trampoline_kernelINS0_14default_configENS1_20scan_config_selectorIN3c107complexIfEEEEZZNS1_9scan_implILNS1_25lookback_scan_determinismE0ELb0ELb0ES3_PKS7_PS7_S7_ZZZN2at6native31launch_logcumsumexp_cuda_kernelERKNSE_10TensorBaseESI_lENKUlvE_clEvENKUlvE2_clEvEUlS7_S7_E_S7_EEDaPvRmT3_T4_T5_mT6_P12ihipStream_tbENKUlT_T0_E_clISt17integral_constantIbLb0EESZ_EEDaSU_SV_EUlSU_E_NS1_11comp_targetILNS1_3genE3ELNS1_11target_archE908ELNS1_3gpuE7ELNS1_3repE0EEENS1_30default_config_static_selectorELNS0_4arch9wavefront6targetE1EEEvT1_
	.p2align	8
	.type	_ZN7rocprim17ROCPRIM_400000_NS6detail17trampoline_kernelINS0_14default_configENS1_20scan_config_selectorIN3c107complexIfEEEEZZNS1_9scan_implILNS1_25lookback_scan_determinismE0ELb0ELb0ES3_PKS7_PS7_S7_ZZZN2at6native31launch_logcumsumexp_cuda_kernelERKNSE_10TensorBaseESI_lENKUlvE_clEvENKUlvE2_clEvEUlS7_S7_E_S7_EEDaPvRmT3_T4_T5_mT6_P12ihipStream_tbENKUlT_T0_E_clISt17integral_constantIbLb0EESZ_EEDaSU_SV_EUlSU_E_NS1_11comp_targetILNS1_3genE3ELNS1_11target_archE908ELNS1_3gpuE7ELNS1_3repE0EEENS1_30default_config_static_selectorELNS0_4arch9wavefront6targetE1EEEvT1_,@function
_ZN7rocprim17ROCPRIM_400000_NS6detail17trampoline_kernelINS0_14default_configENS1_20scan_config_selectorIN3c107complexIfEEEEZZNS1_9scan_implILNS1_25lookback_scan_determinismE0ELb0ELb0ES3_PKS7_PS7_S7_ZZZN2at6native31launch_logcumsumexp_cuda_kernelERKNSE_10TensorBaseESI_lENKUlvE_clEvENKUlvE2_clEvEUlS7_S7_E_S7_EEDaPvRmT3_T4_T5_mT6_P12ihipStream_tbENKUlT_T0_E_clISt17integral_constantIbLb0EESZ_EEDaSU_SV_EUlSU_E_NS1_11comp_targetILNS1_3genE3ELNS1_11target_archE908ELNS1_3gpuE7ELNS1_3repE0EEENS1_30default_config_static_selectorELNS0_4arch9wavefront6targetE1EEEvT1_: ; @_ZN7rocprim17ROCPRIM_400000_NS6detail17trampoline_kernelINS0_14default_configENS1_20scan_config_selectorIN3c107complexIfEEEEZZNS1_9scan_implILNS1_25lookback_scan_determinismE0ELb0ELb0ES3_PKS7_PS7_S7_ZZZN2at6native31launch_logcumsumexp_cuda_kernelERKNSE_10TensorBaseESI_lENKUlvE_clEvENKUlvE2_clEvEUlS7_S7_E_S7_EEDaPvRmT3_T4_T5_mT6_P12ihipStream_tbENKUlT_T0_E_clISt17integral_constantIbLb0EESZ_EEDaSU_SV_EUlSU_E_NS1_11comp_targetILNS1_3genE3ELNS1_11target_archE908ELNS1_3gpuE7ELNS1_3repE0EEENS1_30default_config_static_selectorELNS0_4arch9wavefront6targetE1EEEvT1_
; %bb.0:
	.section	.rodata,"a",@progbits
	.p2align	6, 0x0
	.amdhsa_kernel _ZN7rocprim17ROCPRIM_400000_NS6detail17trampoline_kernelINS0_14default_configENS1_20scan_config_selectorIN3c107complexIfEEEEZZNS1_9scan_implILNS1_25lookback_scan_determinismE0ELb0ELb0ES3_PKS7_PS7_S7_ZZZN2at6native31launch_logcumsumexp_cuda_kernelERKNSE_10TensorBaseESI_lENKUlvE_clEvENKUlvE2_clEvEUlS7_S7_E_S7_EEDaPvRmT3_T4_T5_mT6_P12ihipStream_tbENKUlT_T0_E_clISt17integral_constantIbLb0EESZ_EEDaSU_SV_EUlSU_E_NS1_11comp_targetILNS1_3genE3ELNS1_11target_archE908ELNS1_3gpuE7ELNS1_3repE0EEENS1_30default_config_static_selectorELNS0_4arch9wavefront6targetE1EEEvT1_
		.amdhsa_group_segment_fixed_size 0
		.amdhsa_private_segment_fixed_size 0
		.amdhsa_kernarg_size 104
		.amdhsa_user_sgpr_count 6
		.amdhsa_user_sgpr_private_segment_buffer 1
		.amdhsa_user_sgpr_dispatch_ptr 0
		.amdhsa_user_sgpr_queue_ptr 0
		.amdhsa_user_sgpr_kernarg_segment_ptr 1
		.amdhsa_user_sgpr_dispatch_id 0
		.amdhsa_user_sgpr_flat_scratch_init 0
		.amdhsa_user_sgpr_private_segment_size 0
		.amdhsa_uses_dynamic_stack 0
		.amdhsa_system_sgpr_private_segment_wavefront_offset 0
		.amdhsa_system_sgpr_workgroup_id_x 1
		.amdhsa_system_sgpr_workgroup_id_y 0
		.amdhsa_system_sgpr_workgroup_id_z 0
		.amdhsa_system_sgpr_workgroup_info 0
		.amdhsa_system_vgpr_workitem_id 0
		.amdhsa_next_free_vgpr 1
		.amdhsa_next_free_sgpr 0
		.amdhsa_reserve_vcc 0
		.amdhsa_reserve_flat_scratch 0
		.amdhsa_float_round_mode_32 0
		.amdhsa_float_round_mode_16_64 0
		.amdhsa_float_denorm_mode_32 3
		.amdhsa_float_denorm_mode_16_64 3
		.amdhsa_dx10_clamp 1
		.amdhsa_ieee_mode 1
		.amdhsa_fp16_overflow 0
		.amdhsa_exception_fp_ieee_invalid_op 0
		.amdhsa_exception_fp_denorm_src 0
		.amdhsa_exception_fp_ieee_div_zero 0
		.amdhsa_exception_fp_ieee_overflow 0
		.amdhsa_exception_fp_ieee_underflow 0
		.amdhsa_exception_fp_ieee_inexact 0
		.amdhsa_exception_int_div_zero 0
	.end_amdhsa_kernel
	.section	.text._ZN7rocprim17ROCPRIM_400000_NS6detail17trampoline_kernelINS0_14default_configENS1_20scan_config_selectorIN3c107complexIfEEEEZZNS1_9scan_implILNS1_25lookback_scan_determinismE0ELb0ELb0ES3_PKS7_PS7_S7_ZZZN2at6native31launch_logcumsumexp_cuda_kernelERKNSE_10TensorBaseESI_lENKUlvE_clEvENKUlvE2_clEvEUlS7_S7_E_S7_EEDaPvRmT3_T4_T5_mT6_P12ihipStream_tbENKUlT_T0_E_clISt17integral_constantIbLb0EESZ_EEDaSU_SV_EUlSU_E_NS1_11comp_targetILNS1_3genE3ELNS1_11target_archE908ELNS1_3gpuE7ELNS1_3repE0EEENS1_30default_config_static_selectorELNS0_4arch9wavefront6targetE1EEEvT1_,"axG",@progbits,_ZN7rocprim17ROCPRIM_400000_NS6detail17trampoline_kernelINS0_14default_configENS1_20scan_config_selectorIN3c107complexIfEEEEZZNS1_9scan_implILNS1_25lookback_scan_determinismE0ELb0ELb0ES3_PKS7_PS7_S7_ZZZN2at6native31launch_logcumsumexp_cuda_kernelERKNSE_10TensorBaseESI_lENKUlvE_clEvENKUlvE2_clEvEUlS7_S7_E_S7_EEDaPvRmT3_T4_T5_mT6_P12ihipStream_tbENKUlT_T0_E_clISt17integral_constantIbLb0EESZ_EEDaSU_SV_EUlSU_E_NS1_11comp_targetILNS1_3genE3ELNS1_11target_archE908ELNS1_3gpuE7ELNS1_3repE0EEENS1_30default_config_static_selectorELNS0_4arch9wavefront6targetE1EEEvT1_,comdat
.Lfunc_end266:
	.size	_ZN7rocprim17ROCPRIM_400000_NS6detail17trampoline_kernelINS0_14default_configENS1_20scan_config_selectorIN3c107complexIfEEEEZZNS1_9scan_implILNS1_25lookback_scan_determinismE0ELb0ELb0ES3_PKS7_PS7_S7_ZZZN2at6native31launch_logcumsumexp_cuda_kernelERKNSE_10TensorBaseESI_lENKUlvE_clEvENKUlvE2_clEvEUlS7_S7_E_S7_EEDaPvRmT3_T4_T5_mT6_P12ihipStream_tbENKUlT_T0_E_clISt17integral_constantIbLb0EESZ_EEDaSU_SV_EUlSU_E_NS1_11comp_targetILNS1_3genE3ELNS1_11target_archE908ELNS1_3gpuE7ELNS1_3repE0EEENS1_30default_config_static_selectorELNS0_4arch9wavefront6targetE1EEEvT1_, .Lfunc_end266-_ZN7rocprim17ROCPRIM_400000_NS6detail17trampoline_kernelINS0_14default_configENS1_20scan_config_selectorIN3c107complexIfEEEEZZNS1_9scan_implILNS1_25lookback_scan_determinismE0ELb0ELb0ES3_PKS7_PS7_S7_ZZZN2at6native31launch_logcumsumexp_cuda_kernelERKNSE_10TensorBaseESI_lENKUlvE_clEvENKUlvE2_clEvEUlS7_S7_E_S7_EEDaPvRmT3_T4_T5_mT6_P12ihipStream_tbENKUlT_T0_E_clISt17integral_constantIbLb0EESZ_EEDaSU_SV_EUlSU_E_NS1_11comp_targetILNS1_3genE3ELNS1_11target_archE908ELNS1_3gpuE7ELNS1_3repE0EEENS1_30default_config_static_selectorELNS0_4arch9wavefront6targetE1EEEvT1_
                                        ; -- End function
	.set _ZN7rocprim17ROCPRIM_400000_NS6detail17trampoline_kernelINS0_14default_configENS1_20scan_config_selectorIN3c107complexIfEEEEZZNS1_9scan_implILNS1_25lookback_scan_determinismE0ELb0ELb0ES3_PKS7_PS7_S7_ZZZN2at6native31launch_logcumsumexp_cuda_kernelERKNSE_10TensorBaseESI_lENKUlvE_clEvENKUlvE2_clEvEUlS7_S7_E_S7_EEDaPvRmT3_T4_T5_mT6_P12ihipStream_tbENKUlT_T0_E_clISt17integral_constantIbLb0EESZ_EEDaSU_SV_EUlSU_E_NS1_11comp_targetILNS1_3genE3ELNS1_11target_archE908ELNS1_3gpuE7ELNS1_3repE0EEENS1_30default_config_static_selectorELNS0_4arch9wavefront6targetE1EEEvT1_.num_vgpr, 0
	.set _ZN7rocprim17ROCPRIM_400000_NS6detail17trampoline_kernelINS0_14default_configENS1_20scan_config_selectorIN3c107complexIfEEEEZZNS1_9scan_implILNS1_25lookback_scan_determinismE0ELb0ELb0ES3_PKS7_PS7_S7_ZZZN2at6native31launch_logcumsumexp_cuda_kernelERKNSE_10TensorBaseESI_lENKUlvE_clEvENKUlvE2_clEvEUlS7_S7_E_S7_EEDaPvRmT3_T4_T5_mT6_P12ihipStream_tbENKUlT_T0_E_clISt17integral_constantIbLb0EESZ_EEDaSU_SV_EUlSU_E_NS1_11comp_targetILNS1_3genE3ELNS1_11target_archE908ELNS1_3gpuE7ELNS1_3repE0EEENS1_30default_config_static_selectorELNS0_4arch9wavefront6targetE1EEEvT1_.num_agpr, 0
	.set _ZN7rocprim17ROCPRIM_400000_NS6detail17trampoline_kernelINS0_14default_configENS1_20scan_config_selectorIN3c107complexIfEEEEZZNS1_9scan_implILNS1_25lookback_scan_determinismE0ELb0ELb0ES3_PKS7_PS7_S7_ZZZN2at6native31launch_logcumsumexp_cuda_kernelERKNSE_10TensorBaseESI_lENKUlvE_clEvENKUlvE2_clEvEUlS7_S7_E_S7_EEDaPvRmT3_T4_T5_mT6_P12ihipStream_tbENKUlT_T0_E_clISt17integral_constantIbLb0EESZ_EEDaSU_SV_EUlSU_E_NS1_11comp_targetILNS1_3genE3ELNS1_11target_archE908ELNS1_3gpuE7ELNS1_3repE0EEENS1_30default_config_static_selectorELNS0_4arch9wavefront6targetE1EEEvT1_.numbered_sgpr, 0
	.set _ZN7rocprim17ROCPRIM_400000_NS6detail17trampoline_kernelINS0_14default_configENS1_20scan_config_selectorIN3c107complexIfEEEEZZNS1_9scan_implILNS1_25lookback_scan_determinismE0ELb0ELb0ES3_PKS7_PS7_S7_ZZZN2at6native31launch_logcumsumexp_cuda_kernelERKNSE_10TensorBaseESI_lENKUlvE_clEvENKUlvE2_clEvEUlS7_S7_E_S7_EEDaPvRmT3_T4_T5_mT6_P12ihipStream_tbENKUlT_T0_E_clISt17integral_constantIbLb0EESZ_EEDaSU_SV_EUlSU_E_NS1_11comp_targetILNS1_3genE3ELNS1_11target_archE908ELNS1_3gpuE7ELNS1_3repE0EEENS1_30default_config_static_selectorELNS0_4arch9wavefront6targetE1EEEvT1_.num_named_barrier, 0
	.set _ZN7rocprim17ROCPRIM_400000_NS6detail17trampoline_kernelINS0_14default_configENS1_20scan_config_selectorIN3c107complexIfEEEEZZNS1_9scan_implILNS1_25lookback_scan_determinismE0ELb0ELb0ES3_PKS7_PS7_S7_ZZZN2at6native31launch_logcumsumexp_cuda_kernelERKNSE_10TensorBaseESI_lENKUlvE_clEvENKUlvE2_clEvEUlS7_S7_E_S7_EEDaPvRmT3_T4_T5_mT6_P12ihipStream_tbENKUlT_T0_E_clISt17integral_constantIbLb0EESZ_EEDaSU_SV_EUlSU_E_NS1_11comp_targetILNS1_3genE3ELNS1_11target_archE908ELNS1_3gpuE7ELNS1_3repE0EEENS1_30default_config_static_selectorELNS0_4arch9wavefront6targetE1EEEvT1_.private_seg_size, 0
	.set _ZN7rocprim17ROCPRIM_400000_NS6detail17trampoline_kernelINS0_14default_configENS1_20scan_config_selectorIN3c107complexIfEEEEZZNS1_9scan_implILNS1_25lookback_scan_determinismE0ELb0ELb0ES3_PKS7_PS7_S7_ZZZN2at6native31launch_logcumsumexp_cuda_kernelERKNSE_10TensorBaseESI_lENKUlvE_clEvENKUlvE2_clEvEUlS7_S7_E_S7_EEDaPvRmT3_T4_T5_mT6_P12ihipStream_tbENKUlT_T0_E_clISt17integral_constantIbLb0EESZ_EEDaSU_SV_EUlSU_E_NS1_11comp_targetILNS1_3genE3ELNS1_11target_archE908ELNS1_3gpuE7ELNS1_3repE0EEENS1_30default_config_static_selectorELNS0_4arch9wavefront6targetE1EEEvT1_.uses_vcc, 0
	.set _ZN7rocprim17ROCPRIM_400000_NS6detail17trampoline_kernelINS0_14default_configENS1_20scan_config_selectorIN3c107complexIfEEEEZZNS1_9scan_implILNS1_25lookback_scan_determinismE0ELb0ELb0ES3_PKS7_PS7_S7_ZZZN2at6native31launch_logcumsumexp_cuda_kernelERKNSE_10TensorBaseESI_lENKUlvE_clEvENKUlvE2_clEvEUlS7_S7_E_S7_EEDaPvRmT3_T4_T5_mT6_P12ihipStream_tbENKUlT_T0_E_clISt17integral_constantIbLb0EESZ_EEDaSU_SV_EUlSU_E_NS1_11comp_targetILNS1_3genE3ELNS1_11target_archE908ELNS1_3gpuE7ELNS1_3repE0EEENS1_30default_config_static_selectorELNS0_4arch9wavefront6targetE1EEEvT1_.uses_flat_scratch, 0
	.set _ZN7rocprim17ROCPRIM_400000_NS6detail17trampoline_kernelINS0_14default_configENS1_20scan_config_selectorIN3c107complexIfEEEEZZNS1_9scan_implILNS1_25lookback_scan_determinismE0ELb0ELb0ES3_PKS7_PS7_S7_ZZZN2at6native31launch_logcumsumexp_cuda_kernelERKNSE_10TensorBaseESI_lENKUlvE_clEvENKUlvE2_clEvEUlS7_S7_E_S7_EEDaPvRmT3_T4_T5_mT6_P12ihipStream_tbENKUlT_T0_E_clISt17integral_constantIbLb0EESZ_EEDaSU_SV_EUlSU_E_NS1_11comp_targetILNS1_3genE3ELNS1_11target_archE908ELNS1_3gpuE7ELNS1_3repE0EEENS1_30default_config_static_selectorELNS0_4arch9wavefront6targetE1EEEvT1_.has_dyn_sized_stack, 0
	.set _ZN7rocprim17ROCPRIM_400000_NS6detail17trampoline_kernelINS0_14default_configENS1_20scan_config_selectorIN3c107complexIfEEEEZZNS1_9scan_implILNS1_25lookback_scan_determinismE0ELb0ELb0ES3_PKS7_PS7_S7_ZZZN2at6native31launch_logcumsumexp_cuda_kernelERKNSE_10TensorBaseESI_lENKUlvE_clEvENKUlvE2_clEvEUlS7_S7_E_S7_EEDaPvRmT3_T4_T5_mT6_P12ihipStream_tbENKUlT_T0_E_clISt17integral_constantIbLb0EESZ_EEDaSU_SV_EUlSU_E_NS1_11comp_targetILNS1_3genE3ELNS1_11target_archE908ELNS1_3gpuE7ELNS1_3repE0EEENS1_30default_config_static_selectorELNS0_4arch9wavefront6targetE1EEEvT1_.has_recursion, 0
	.set _ZN7rocprim17ROCPRIM_400000_NS6detail17trampoline_kernelINS0_14default_configENS1_20scan_config_selectorIN3c107complexIfEEEEZZNS1_9scan_implILNS1_25lookback_scan_determinismE0ELb0ELb0ES3_PKS7_PS7_S7_ZZZN2at6native31launch_logcumsumexp_cuda_kernelERKNSE_10TensorBaseESI_lENKUlvE_clEvENKUlvE2_clEvEUlS7_S7_E_S7_EEDaPvRmT3_T4_T5_mT6_P12ihipStream_tbENKUlT_T0_E_clISt17integral_constantIbLb0EESZ_EEDaSU_SV_EUlSU_E_NS1_11comp_targetILNS1_3genE3ELNS1_11target_archE908ELNS1_3gpuE7ELNS1_3repE0EEENS1_30default_config_static_selectorELNS0_4arch9wavefront6targetE1EEEvT1_.has_indirect_call, 0
	.section	.AMDGPU.csdata,"",@progbits
; Kernel info:
; codeLenInByte = 0
; TotalNumSgprs: 4
; NumVgprs: 0
; ScratchSize: 0
; MemoryBound: 0
; FloatMode: 240
; IeeeMode: 1
; LDSByteSize: 0 bytes/workgroup (compile time only)
; SGPRBlocks: 0
; VGPRBlocks: 0
; NumSGPRsForWavesPerEU: 4
; NumVGPRsForWavesPerEU: 1
; Occupancy: 10
; WaveLimiterHint : 0
; COMPUTE_PGM_RSRC2:SCRATCH_EN: 0
; COMPUTE_PGM_RSRC2:USER_SGPR: 6
; COMPUTE_PGM_RSRC2:TRAP_HANDLER: 0
; COMPUTE_PGM_RSRC2:TGID_X_EN: 1
; COMPUTE_PGM_RSRC2:TGID_Y_EN: 0
; COMPUTE_PGM_RSRC2:TGID_Z_EN: 0
; COMPUTE_PGM_RSRC2:TIDIG_COMP_CNT: 0
	.text
	.p2align	2                               ; -- Begin function _ZZZZN2at6native31launch_logcumsumexp_cuda_kernelERKNS_10TensorBaseES3_lENKUlvE_clEvENKUlvE2_clEvENKUlN3c107complexIfEES8_E_clES8_S8_
	.type	_ZZZZN2at6native31launch_logcumsumexp_cuda_kernelERKNS_10TensorBaseES3_lENKUlvE_clEvENKUlvE2_clEvENKUlN3c107complexIfEES8_E_clES8_S8_,@function
_ZZZZN2at6native31launch_logcumsumexp_cuda_kernelERKNS_10TensorBaseES3_lENKUlvE_clEvENKUlvE2_clEvENKUlN3c107complexIfEES8_E_clES8_S8_: ; @_ZZZZN2at6native31launch_logcumsumexp_cuda_kernelERKNS_10TensorBaseES3_lENKUlvE_clEvENKUlvE2_clEvENKUlN3c107complexIfEES8_E_clES8_S8_
; %bb.0:
	s_waitcnt vmcnt(0) expcnt(0) lgkmcnt(0)
	v_cmp_o_f32_e32 vcc, v2, v3
	v_mov_b32_e32 v4, v3
	v_mov_b32_e32 v5, v2
	s_and_saveexec_b64 s[8:9], vcc
; %bb.1:
	v_cmp_u_f32_e64 s[4:5], v0, v1
	v_cmp_lt_f32_e64 s[6:7], v0, v2
	s_or_b64 s[4:5], s[4:5], s[6:7]
	v_cndmask_b32_e64 v4, v3, v1, s[4:5]
	v_cndmask_b32_e64 v5, v2, v0, s[4:5]
; %bb.2:
	s_or_b64 exec, exec, s[8:9]
	s_and_saveexec_b64 s[6:7], vcc
; %bb.3:
	v_cmp_u_f32_e32 vcc, v0, v1
	v_cmp_ge_f32_e64 s[4:5], v0, v2
	s_or_b64 vcc, vcc, s[4:5]
	v_cndmask_b32_e32 v3, v3, v1, vcc
	v_cndmask_b32_e32 v2, v2, v0, vcc
; %bb.4:
	s_or_b64 exec, exec, s[6:7]
	v_cmp_o_f32_e32 vcc, v5, v4
	v_mov_b32_e32 v0, 0x7fc00000
	v_mov_b32_e32 v1, 0x7fc00000
	s_and_saveexec_b64 s[10:11], vcc
	s_cbranch_execz .LBB267_48
; %bb.5:
	s_movk_i32 s4, 0x1f8
	v_cmp_class_f32_e64 s[4:5], v5, s4
	v_cmp_neq_f32_e32 vcc, v2, v5
	s_or_b64 s[4:5], s[4:5], vcc
	s_and_saveexec_b64 s[6:7], s[4:5]
	s_xor_b64 s[12:13], exec, s[6:7]
	s_cbranch_execz .LBB267_21
; %bb.6:
	v_sub_f32_e32 v0, v4, v3
	v_and_b32_e32 v1, 0x7fffffff, v0
	s_brev_b32 s4, 18
	v_cmp_nlt_f32_e64 s[14:15], |v0|, s4
	v_lshrrev_b32_e32 v7, 23, v1
                                        ; implicit-def: $vgpr6
                                        ; implicit-def: $vgpr4
	s_and_saveexec_b64 s[4:5], s[14:15]
	s_xor_b64 s[16:17], exec, s[4:5]
	s_cbranch_execz .LBB267_8
; %bb.7:
	v_and_b32_e32 v4, 0x7fffff, v1
	v_or_b32_e32 v4, 0x800000, v4
	s_mov_b32 s4, 0xfe5163ab
	v_mad_u64_u32 v[8:9], s[4:5], v4, s4, 0
	v_mov_b32_e32 v10, 0
	s_mov_b32 s4, 0x3c439041
	v_mad_u64_u32 v[11:12], s[4:5], v4, s4, v[9:10]
	s_mov_b32 s4, 0xdb629599
	v_add_u32_e32 v6, 0xffffff88, v7
	v_mov_b32_e32 v9, v12
	v_mad_u64_u32 v[12:13], s[4:5], v4, s4, v[9:10]
	s_mov_b32 s4, 0xf534ddc0
	v_not_b32_e32 v16, 63
	v_mov_b32_e32 v9, v13
	v_mad_u64_u32 v[13:14], s[4:5], v4, s4, v[9:10]
	s_mov_b32 s4, 0xfc2757d1
	v_cmp_lt_u32_e32 vcc, 63, v6
	v_mov_b32_e32 v9, v14
	v_mad_u64_u32 v[14:15], s[4:5], v4, s4, v[9:10]
	v_cndmask_b32_e32 v9, 0, v16, vcc
	v_add_u32_e32 v6, v9, v6
	v_mov_b32_e32 v9, v15
	s_mov_b32 s4, 0x4e441529
	v_mad_u64_u32 v[15:16], s[4:5], v4, s4, v[9:10]
	v_not_b32_e32 v17, 31
	v_cmp_lt_u32_e64 s[4:5], 31, v6
	v_cndmask_b32_e64 v9, 0, v17, s[4:5]
	v_add_u32_e32 v6, v9, v6
	v_mov_b32_e32 v9, v16
	s_mov_b32 s6, 0xa2f9836e
	v_mad_u64_u32 v[9:10], s[6:7], v4, s6, v[9:10]
	v_cmp_lt_u32_e64 s[6:7], 31, v6
	v_cndmask_b32_e64 v4, 0, v17, s[6:7]
	v_add_u32_e32 v4, v4, v6
	v_cndmask_b32_e32 v6, v15, v13, vcc
	v_cndmask_b32_e32 v9, v9, v14, vcc
	;; [unrolled: 1-line block ×3, first 2 shown]
	v_cndmask_b32_e64 v16, v9, v6, s[4:5]
	v_cndmask_b32_e64 v9, v10, v9, s[4:5]
	v_cndmask_b32_e32 v10, v14, v12, vcc
	v_cndmask_b32_e64 v6, v6, v10, s[4:5]
	v_sub_u32_e32 v15, 32, v4
	v_cmp_eq_u32_e64 s[8:9], 0, v4
	v_cndmask_b32_e32 v4, v13, v11, vcc
	v_cndmask_b32_e64 v9, v9, v16, s[6:7]
	v_cndmask_b32_e64 v14, v16, v6, s[6:7]
	;; [unrolled: 1-line block ×3, first 2 shown]
	v_alignbit_b32 v16, v9, v14, v15
	v_cndmask_b32_e64 v6, v6, v10, s[6:7]
	v_cndmask_b32_e64 v9, v16, v9, s[8:9]
	v_alignbit_b32 v11, v14, v6, v15
	v_cndmask_b32_e32 v8, v12, v8, vcc
	v_cndmask_b32_e64 v11, v11, v14, s[8:9]
	v_bfe_u32 v16, v9, 29, 1
	v_cndmask_b32_e64 v4, v4, v8, s[4:5]
	v_alignbit_b32 v13, v9, v11, 30
	v_sub_u32_e32 v17, 0, v16
	v_cndmask_b32_e64 v4, v10, v4, s[6:7]
	v_xor_b32_e32 v13, v13, v17
	v_alignbit_b32 v8, v6, v4, v15
	v_cndmask_b32_e64 v6, v8, v6, s[8:9]
	v_ffbh_u32_e32 v10, v13
	v_alignbit_b32 v8, v11, v6, 30
	v_min_u32_e32 v10, 32, v10
	v_alignbit_b32 v4, v6, v4, 30
	v_xor_b32_e32 v8, v8, v17
	v_sub_u32_e32 v11, 31, v10
	v_xor_b32_e32 v4, v4, v17
	v_alignbit_b32 v12, v13, v8, v11
	v_alignbit_b32 v4, v8, v4, v11
	;; [unrolled: 1-line block ×3, first 2 shown]
	v_ffbh_u32_e32 v8, v6
	v_min_u32_e32 v8, 32, v8
	v_lshrrev_b32_e32 v14, 29, v9
	v_not_b32_e32 v11, v8
	v_alignbit_b32 v4, v6, v4, v11
	v_lshlrev_b32_e32 v6, 31, v14
	v_or_b32_e32 v11, 0x33000000, v6
	v_add_lshl_u32 v8, v8, v10, 23
	v_lshrrev_b32_e32 v4, 9, v4
	v_sub_u32_e32 v8, v11, v8
	v_or_b32_e32 v6, 0.5, v6
	v_lshlrev_b32_e32 v10, 23, v10
	v_or_b32_e32 v4, v8, v4
	v_lshrrev_b32_e32 v8, 9, v12
	v_sub_u32_e32 v6, v6, v10
	v_or_b32_e32 v6, v8, v6
	s_mov_b32 s4, 0x3fc90fda
	v_mul_f32_e32 v8, 0x3fc90fda, v6
	v_fma_f32 v10, v6, s4, -v8
	v_fmac_f32_e32 v10, 0x33a22168, v6
	v_fmac_f32_e32 v10, 0x3fc90fda, v4
	v_lshrrev_b32_e32 v6, 30, v9
	v_add_f32_e32 v4, v8, v10
	v_add_u32_e32 v6, v16, v6
	s_andn2_saveexec_b64 s[4:5], s[16:17]
	s_cbranch_execz .LBB267_10
	s_branch .LBB267_9
.LBB267_8:
	s_andn2_saveexec_b64 s[4:5], s[16:17]
	s_cbranch_execz .LBB267_10
.LBB267_9:
	s_mov_b32 s6, 0x3f22f983
	v_mul_f32_e64 v4, |v0|, s6
	v_rndne_f32_e32 v8, v4
	s_mov_b32 s6, 0xbfc90fda
	v_cvt_i32_f32_e32 v6, v8
	v_fma_f32 v4, v8, s6, |v0|
	v_fmac_f32_e32 v4, 0xb3a22168, v8
	v_fmac_f32_e32 v4, 0xa7c234c4, v8
.LBB267_10:
	s_or_b64 exec, exec, s[4:5]
                                        ; implicit-def: $vgpr8
                                        ; implicit-def: $vgpr9
	s_and_saveexec_b64 s[4:5], s[14:15]
	s_xor_b64 s[14:15], exec, s[4:5]
	s_cbranch_execz .LBB267_12
; %bb.11:
	v_and_b32_e32 v8, 0x7fffff, v1
	v_or_b32_e32 v17, 0x800000, v8
	s_mov_b32 s4, 0xfe5163ab
	v_mad_u64_u32 v[8:9], s[4:5], v17, s4, 0
	v_mov_b32_e32 v10, 0
	s_mov_b32 s4, 0x3c439041
	v_mad_u64_u32 v[11:12], s[4:5], v17, s4, v[9:10]
	s_mov_b32 s4, 0xdb629599
	v_add_u32_e32 v7, 0xffffff88, v7
	v_mov_b32_e32 v9, v12
	v_mad_u64_u32 v[12:13], s[4:5], v17, s4, v[9:10]
	s_mov_b32 s4, 0xf534ddc0
	v_not_b32_e32 v16, 63
	v_mov_b32_e32 v9, v13
	v_mad_u64_u32 v[13:14], s[4:5], v17, s4, v[9:10]
	s_mov_b32 s4, 0xfc2757d1
	v_cmp_lt_u32_e32 vcc, 63, v7
	v_mov_b32_e32 v9, v14
	v_mad_u64_u32 v[14:15], s[4:5], v17, s4, v[9:10]
	v_cndmask_b32_e32 v9, 0, v16, vcc
	v_add_u32_e32 v7, v9, v7
	v_mov_b32_e32 v9, v15
	s_mov_b32 s4, 0x4e441529
	v_mad_u64_u32 v[15:16], s[4:5], v17, s4, v[9:10]
	v_not_b32_e32 v18, 31
	v_cmp_lt_u32_e64 s[4:5], 31, v7
	v_cndmask_b32_e64 v9, 0, v18, s[4:5]
	v_add_u32_e32 v7, v9, v7
	v_mov_b32_e32 v9, v16
	s_mov_b32 s6, 0xa2f9836e
	v_mad_u64_u32 v[9:10], s[6:7], v17, s6, v[9:10]
	v_cmp_lt_u32_e64 s[6:7], 31, v7
	v_cndmask_b32_e64 v16, 0, v18, s[6:7]
	v_add_u32_e32 v7, v16, v7
	v_cndmask_b32_e32 v16, v15, v13, vcc
	v_cndmask_b32_e32 v9, v9, v14, vcc
	;; [unrolled: 1-line block ×3, first 2 shown]
	v_cndmask_b32_e64 v17, v9, v16, s[4:5]
	v_cndmask_b32_e64 v9, v10, v9, s[4:5]
	v_cndmask_b32_e32 v10, v14, v12, vcc
	v_cndmask_b32_e64 v14, v16, v10, s[4:5]
	v_cndmask_b32_e64 v9, v9, v17, s[6:7]
	;; [unrolled: 1-line block ×3, first 2 shown]
	v_sub_u32_e32 v16, 32, v7
	v_alignbit_b32 v17, v9, v15, v16
	v_cmp_eq_u32_e64 s[8:9], 0, v7
	v_cndmask_b32_e64 v7, v17, v9, s[8:9]
	v_cndmask_b32_e32 v9, v13, v11, vcc
	v_cndmask_b32_e64 v10, v10, v9, s[4:5]
	v_cndmask_b32_e64 v11, v14, v10, s[6:7]
	v_alignbit_b32 v13, v15, v11, v16
	v_cndmask_b32_e32 v8, v12, v8, vcc
	v_cndmask_b32_e64 v13, v13, v15, s[8:9]
	v_bfe_u32 v17, v7, 29, 1
	v_cndmask_b32_e64 v8, v9, v8, s[4:5]
	v_alignbit_b32 v14, v7, v13, 30
	v_sub_u32_e32 v18, 0, v17
	v_cndmask_b32_e64 v8, v10, v8, s[6:7]
	v_xor_b32_e32 v14, v14, v18
	v_alignbit_b32 v9, v11, v8, v16
	v_cndmask_b32_e64 v9, v9, v11, s[8:9]
	v_ffbh_u32_e32 v11, v14
	v_alignbit_b32 v10, v13, v9, 30
	v_min_u32_e32 v11, 32, v11
	v_alignbit_b32 v8, v9, v8, 30
	v_xor_b32_e32 v10, v10, v18
	v_sub_u32_e32 v12, 31, v11
	v_xor_b32_e32 v8, v8, v18
	v_alignbit_b32 v13, v14, v10, v12
	v_alignbit_b32 v8, v10, v8, v12
	;; [unrolled: 1-line block ×3, first 2 shown]
	v_ffbh_u32_e32 v10, v9
	v_min_u32_e32 v10, 32, v10
	v_lshrrev_b32_e32 v15, 29, v7
	v_not_b32_e32 v12, v10
	v_alignbit_b32 v8, v9, v8, v12
	v_lshlrev_b32_e32 v9, 31, v15
	v_or_b32_e32 v12, 0x33000000, v9
	v_add_lshl_u32 v10, v10, v11, 23
	v_lshrrev_b32_e32 v8, 9, v8
	v_sub_u32_e32 v10, v12, v10
	v_or_b32_e32 v9, 0.5, v9
	v_lshlrev_b32_e32 v11, 23, v11
	v_or_b32_e32 v8, v10, v8
	v_lshrrev_b32_e32 v10, 9, v13
	v_sub_u32_e32 v9, v9, v11
	v_or_b32_e32 v9, v10, v9
	s_mov_b32 s4, 0x3fc90fda
	v_mul_f32_e32 v10, 0x3fc90fda, v9
	v_fma_f32 v11, v9, s4, -v10
	v_fmac_f32_e32 v11, 0x33a22168, v9
	v_fmac_f32_e32 v11, 0x3fc90fda, v8
	v_lshrrev_b32_e32 v7, 30, v7
	v_add_f32_e32 v9, v10, v11
	v_add_u32_e32 v8, v17, v7
	s_andn2_saveexec_b64 s[4:5], s[14:15]
	s_cbranch_execnz .LBB267_13
	s_branch .LBB267_14
.LBB267_12:
	s_andn2_saveexec_b64 s[4:5], s[14:15]
	s_cbranch_execz .LBB267_14
.LBB267_13:
	s_mov_b32 s6, 0x3f22f983
	v_mul_f32_e64 v7, |v0|, s6
	v_rndne_f32_e32 v7, v7
	s_mov_b32 s6, 0xbfc90fda
	v_cvt_i32_f32_e32 v8, v7
	v_fma_f32 v9, v7, s6, |v0|
	v_fmac_f32_e32 v9, 0xb3a22168, v7
	v_fmac_f32_e32 v9, 0xa7c234c4, v7
.LBB267_14:
	s_or_b64 exec, exec, s[4:5]
	v_sub_f32_e32 v5, v5, v2
	s_mov_b32 s4, 0x3fb8aa3b
	v_mul_f32_e32 v7, 0x3fb8aa3b, v5
	v_fma_f32 v10, v5, s4, -v7
	v_rndne_f32_e32 v11, v7
	v_fmac_f32_e32 v10, 0x32a5705f, v5
	v_sub_f32_e32 v7, v7, v11
	v_add_f32_e32 v7, v7, v10
	v_cvt_i32_f32_e32 v10, v11
	v_mul_f32_e32 v11, v4, v4
	v_mov_b32_e32 v13, 0xbab64f3b
	v_exp_f32_e32 v7, v7
	v_fmac_f32_e32 v13, 0x37d75334, v11
	v_mov_b32_e32 v14, 0x3d2aabf7
	v_mov_b32_e32 v17, 0x3c0881c4
	v_fma_f32 v13, v11, v13, v14
	v_mov_b32_e32 v15, 0xbf000004
	v_fmac_f32_e32 v17, 0xb94c1982, v11
	v_mov_b32_e32 v18, 0xbe2aaa9d
	v_fma_f32 v13, v11, v13, v15
	v_fma_f32 v17, v11, v17, v18
	s_mov_b32 s4, 0xc2ce8ed0
	v_fma_f32 v13, v11, v13, 1.0
	v_mul_f32_e32 v11, v11, v17
	v_ldexp_f32 v7, v7, v10
	v_cmp_ngt_f32_e32 vcc, s4, v5
	s_mov_b32 s4, 0x42b17218
	v_mov_b32_e32 v12, 0xbab64f3b
	v_mov_b32_e32 v16, 0x3c0881c4
	v_fmac_f32_e32 v4, v4, v11
	v_mul_f32_e32 v11, v9, v9
	v_cndmask_b32_e32 v10, 0, v7, vcc
	v_mov_b32_e32 v7, 0x7f800000
	v_cmp_nlt_f32_e32 vcc, s4, v5
	v_lshlrev_b32_e32 v5, 30, v6
	v_and_b32_e32 v6, 1, v6
	v_fmac_f32_e32 v16, 0xb94c1982, v11
	v_fmac_f32_e32 v12, 0x37d75334, v11
	v_cndmask_b32_e32 v10, v7, v10, vcc
	v_cmp_eq_u32_e32 vcc, 0, v6
	v_fmac_f32_e32 v18, v11, v16
	v_fmac_f32_e32 v14, v11, v12
	s_movk_i32 s4, 0x1f8
	v_cndmask_b32_e64 v4, -v4, v13, vcc
	v_mul_f32_e32 v13, v11, v18
	v_fmac_f32_e32 v15, v11, v14
	v_and_b32_e32 v12, 1, v8
	v_lshlrev_b32_e32 v8, 30, v8
	v_cmp_class_f32_e64 vcc, v0, s4
	v_fmac_f32_e32 v9, v9, v13
	v_fma_f32 v11, v11, v15, 1.0
	v_cmp_eq_u32_e64 s[4:5], 0, v12
	v_and_b32_e32 v8, 0x80000000, v8
	v_xor_b32_e32 v0, v1, v0
	v_and_b32_e32 v5, 0x80000000, v5
	v_cndmask_b32_e64 v9, v11, v9, s[4:5]
	v_xor_b32_e32 v0, v0, v8
	v_xor_b32_e32 v4, v5, v4
	v_mov_b32_e32 v6, 0x7fc00000
	v_xor_b32_e32 v0, v0, v9
	v_cndmask_b32_e32 v4, v6, v4, vcc
	v_cndmask_b32_e32 v0, v6, v0, vcc
	v_mul_f32_e32 v5, v10, v4
	v_mul_f32_e32 v0, v10, v0
	v_max_f32_e64 v1, |v5|, |v0|
	v_cvt_f64_f32_e32 v[8:9], v1
	s_mov_b32 s8, 0x7f800000
	v_cmp_eq_f32_e32 vcc, s8, v1
	v_fma_f32 v1, v10, v4, 1.0
	v_frexp_exp_i32_f64_e32 v6, v[8:9]
	v_max_f32_e64 v4, |v1|, |v0|
	v_sub_u32_e32 v8, 0, v6
	v_ldexp_f32 v9, |v5|, v8
	v_ldexp_f32 v8, |v0|, v8
	v_mul_f32_e32 v8, v8, v8
	v_fmac_f32_e32 v8, v9, v9
	v_sqrt_f32_e32 v8, v8
	v_ldexp_f32 v6, v8, v6
	v_cmp_ngt_f32_e64 s[4:5], 0.5, v6
	s_or_b64 s[4:5], vcc, s[4:5]
	s_and_saveexec_b64 s[6:7], s[4:5]
	s_xor_b64 s[6:7], exec, s[6:7]
	s_cbranch_execz .LBB267_16
; %bb.15:
	v_cvt_f64_f32_e32 v[5:6], v4
	v_cmp_neq_f32_e32 vcc, s8, v4
	s_mov_b32 s4, 0x800000
	v_frexp_exp_i32_f64_e32 v5, v[5:6]
	v_sub_u32_e32 v6, 0, v5
	v_ldexp_f32 v8, |v1|, v6
	v_ldexp_f32 v6, |v0|, v6
	v_mul_f32_e32 v6, v6, v6
	v_fmac_f32_e32 v6, v8, v8
	v_sqrt_f32_e32 v6, v6
	v_ldexp_f32 v5, v6, v5
	v_cndmask_b32_e32 v5, v7, v5, vcc
	v_cmp_gt_f32_e32 vcc, s4, v5
	v_cndmask_b32_e64 v6, 0, 32, vcc
	v_ldexp_f32 v5, v5, v6
	v_log_f32_e32 v5, v5
	s_mov_b32 s4, 0x3f317217
	v_mov_b32_e32 v6, 0x41b17218
	v_cndmask_b32_e32 v6, 0, v6, vcc
	v_mul_f32_e32 v7, 0x3f317217, v5
	v_fma_f32 v7, v5, s4, -v7
	v_fmac_f32_e32 v7, 0x3377d1cf, v5
	v_fmac_f32_e32 v7, 0x3f317217, v5
	v_cmp_lt_f32_e64 s[4:5], |v5|, s8
	v_cndmask_b32_e64 v5, v5, v7, s[4:5]
	v_sub_f32_e32 v5, v5, v6
.LBB267_16:
	s_andn2_saveexec_b64 s[4:5], s[6:7]
	s_cbranch_execz .LBB267_20
; %bb.17:
	v_add_f32_e32 v7, 2.0, v5
	v_mul_f32_e32 v6, v0, v0
	v_fmac_f32_e32 v6, v5, v7
	v_cmp_neq_f32_e32 vcc, 0, v6
	s_and_saveexec_b64 s[6:7], vcc
	s_cbranch_execz .LBB267_19
; %bb.18:
	v_add_f32_e32 v5, 1.0, v6
	v_cvt_f64_f32_e32 v[7:8], v5
	s_mov_b32 s8, 0x3f2aaaab
	v_add_f32_e32 v9, -1.0, v5
	v_sub_f32_e32 v10, v9, v5
	v_frexp_exp_i32_f64_e32 v7, v[7:8]
	v_frexp_mant_f32_e32 v8, v5
	v_cmp_gt_f32_e32 vcc, s8, v8
	v_sub_f32_e32 v9, v6, v9
	v_add_f32_e32 v10, 1.0, v10
	v_add_f32_e32 v9, v9, v10
	s_mov_b32 s8, 0x3f317218
	v_subbrev_co_u32_e32 v7, vcc, 0, v7, vcc
	v_sub_u32_e32 v8, 0, v7
	v_ldexp_f32 v5, v5, v8
	v_ldexp_f32 v8, v9, v8
	v_add_f32_e32 v9, -1.0, v5
	v_add_f32_e32 v12, 1.0, v5
	v_add_f32_e32 v10, 1.0, v9
	v_add_f32_e32 v13, -1.0, v12
	v_sub_f32_e32 v10, v5, v10
	v_sub_f32_e32 v5, v5, v13
	v_add_f32_e32 v5, v8, v5
	v_add_f32_e32 v10, v8, v10
	;; [unrolled: 1-line block ×3, first 2 shown]
	v_rcp_f32_e32 v13, v8
	v_add_f32_e32 v11, v9, v10
	v_sub_f32_e32 v9, v11, v9
	v_sub_f32_e32 v9, v10, v9
	;; [unrolled: 1-line block ×4, first 2 shown]
	v_mul_f32_e32 v10, v11, v13
	v_mul_f32_e32 v12, v8, v10
	v_fma_f32 v14, v10, v8, -v12
	v_fmac_f32_e32 v14, v10, v5
	v_add_f32_e32 v15, v12, v14
	v_sub_f32_e32 v16, v11, v15
	v_sub_f32_e32 v11, v11, v16
	;; [unrolled: 1-line block ×4, first 2 shown]
	v_add_f32_e32 v9, v9, v11
	v_sub_f32_e32 v11, v12, v14
	v_add_f32_e32 v9, v11, v9
	v_add_f32_e32 v11, v16, v9
	v_mul_f32_e32 v12, v13, v11
	v_mul_f32_e32 v14, v8, v12
	v_fma_f32 v8, v12, v8, -v14
	v_fmac_f32_e32 v8, v12, v5
	v_sub_f32_e32 v5, v16, v11
	v_add_f32_e32 v5, v9, v5
	v_add_f32_e32 v9, v14, v8
	v_sub_f32_e32 v15, v11, v9
	v_sub_f32_e32 v11, v11, v15
	;; [unrolled: 1-line block ×4, first 2 shown]
	v_add_f32_e32 v5, v5, v9
	v_sub_f32_e32 v8, v14, v8
	v_add_f32_e32 v5, v8, v5
	v_add_f32_e32 v8, v10, v12
	;; [unrolled: 1-line block ×3, first 2 shown]
	v_sub_f32_e32 v9, v8, v10
	v_mul_f32_e32 v5, v13, v5
	v_sub_f32_e32 v9, v12, v9
	v_add_f32_e32 v5, v9, v5
	v_cvt_f32_i32_e32 v7, v7
	v_add_f32_e32 v9, v8, v5
	v_mul_f32_e32 v10, v9, v9
	v_mov_b32_e32 v11, 0x3ecc95a3
	v_fmac_f32_e32 v11, 0x3e9b6dac, v10
	v_mov_b32_e32 v12, 0x3f2aaada
	v_fmac_f32_e32 v12, v10, v11
	v_mul_f32_e32 v11, 0x3f317218, v7
	v_fma_f32 v13, v7, s8, -v11
	v_fmac_f32_e32 v13, 0xb102e308, v7
	v_sub_f32_e32 v7, v9, v8
	v_sub_f32_e32 v5, v5, v7
	v_add_f32_e32 v7, v11, v13
	v_sub_f32_e32 v8, v7, v11
	v_ldexp_f32 v11, v9, 1
	v_mul_f32_e32 v9, v9, v10
	v_mul_f32_e32 v9, v9, v12
	v_add_f32_e32 v10, v11, v9
	v_sub_f32_e32 v11, v10, v11
	v_ldexp_f32 v5, v5, 1
	v_sub_f32_e32 v9, v9, v11
	v_add_f32_e32 v5, v5, v9
	v_add_f32_e32 v9, v10, v5
	v_sub_f32_e32 v10, v9, v10
	v_sub_f32_e32 v5, v5, v10
	v_add_f32_e32 v10, v7, v9
	v_sub_f32_e32 v11, v10, v7
	v_sub_f32_e32 v12, v10, v11
	;; [unrolled: 1-line block ×5, first 2 shown]
	v_add_f32_e32 v7, v9, v7
	v_add_f32_e32 v9, v8, v5
	v_sub_f32_e32 v11, v9, v8
	v_sub_f32_e32 v12, v9, v11
	;; [unrolled: 1-line block ×4, first 2 shown]
	v_add_f32_e32 v7, v9, v7
	v_add_f32_e32 v5, v5, v8
	;; [unrolled: 1-line block ×3, first 2 shown]
	v_sub_f32_e32 v9, v8, v10
	v_sub_f32_e32 v7, v7, v9
	v_add_f32_e32 v5, v5, v7
	s_mov_b32 s8, 0x7f800000
	v_add_f32_e32 v5, v8, v5
	v_mov_b32_e32 v7, 0x7f800000
	v_cmp_neq_f32_e32 vcc, s8, v6
	v_cndmask_b32_e32 v5, v7, v5, vcc
	v_mov_b32_e32 v7, 0x7fc00000
	v_cmp_ngt_f32_e32 vcc, -1.0, v6
	v_cndmask_b32_e32 v5, v7, v5, vcc
	v_mov_b32_e32 v7, 0xff800000
	v_cmp_neq_f32_e32 vcc, -1.0, v6
	s_mov_b32 s8, 0x33800000
	v_cndmask_b32_e32 v5, v7, v5, vcc
	v_cmp_lt_f32_e64 vcc, |v6|, s8
	v_cndmask_b32_e32 v5, v5, v6, vcc
	v_mul_f32_e32 v5, 0.5, v5
.LBB267_19:
	s_or_b64 exec, exec, s[6:7]
.LBB267_20:
	s_or_b64 exec, exec, s[4:5]
	v_max_f32_e64 v8, |v0|, |v0|
	v_max_f32_e64 v9, |v1|, |v1|
	v_min_f32_e32 v8, v9, v8
	v_frexp_mant_f32_e32 v9, v4
	v_rcp_f32_e32 v9, v9
	v_frexp_exp_i32_f32_e32 v4, v4
	v_frexp_exp_i32_f32_e32 v10, v8
	v_frexp_mant_f32_e32 v8, v8
	v_mul_f32_e32 v8, v8, v9
	v_sub_u32_e32 v4, v10, v4
	v_ldexp_f32 v4, v8, v4
	v_mul_f32_e32 v8, v4, v4
	v_mov_b32_e32 v9, 0xbc7a590c
	v_fmac_f32_e32 v9, 0x3b2d2a58, v8
	v_mov_b32_e32 v10, 0x3d29fb3f
	v_fmac_f32_e32 v10, v8, v9
	;; [unrolled: 2-line block ×7, first 2 shown]
	s_movk_i32 s4, 0x204
	v_mov_b32_e32 v6, 0x3f490fdb
	v_mov_b32_e32 v7, 0x4016cbe4
	v_cmp_gt_f32_e32 vcc, 0, v1
	v_mul_f32_e32 v8, v8, v9
	v_cmp_class_f32_e64 s[6:7], v0, s4
	v_cmp_class_f32_e64 s[8:9], v1, s4
	v_cndmask_b32_e32 v6, v6, v7, vcc
	v_mov_b32_e32 v7, 0x40490fdb
	v_cmp_gt_i32_e64 s[4:5], 0, v1
	v_fmac_f32_e32 v4, v4, v8
	v_cndmask_b32_e64 v7, 0, v7, s[4:5]
	v_sub_f32_e32 v8, 0x3fc90fdb, v4
	v_cmp_gt_f32_e64 s[4:5], |v0|, |v1|
	v_cndmask_b32_e64 v4, v4, v8, s[4:5]
	v_sub_f32_e32 v8, 0x40490fdb, v4
	v_cndmask_b32_e32 v4, v4, v8, vcc
	v_cmp_eq_f32_e32 vcc, 0, v0
	v_cndmask_b32_e32 v4, v4, v7, vcc
	s_and_b64 vcc, s[8:9], s[6:7]
	v_cndmask_b32_e32 v4, v4, v6, vcc
	v_mov_b32_e32 v6, 0x7fc00000
	v_cmp_o_f32_e32 vcc, v1, v0
	v_cndmask_b32_e32 v1, v6, v4, vcc
	s_brev_b32 s4, -2
	v_bfi_b32 v0, s4, v1, v0
	v_add_f32_e32 v5, v2, v5
	v_add_f32_e32 v4, v0, v3
                                        ; implicit-def: $vgpr3
.LBB267_21:
	s_andn2_saveexec_b64 s[12:13], s[12:13]
	s_cbranch_execz .LBB267_47
; %bb.22:
	v_cmp_ngt_f32_e32 vcc, 0, v5
	s_and_saveexec_b64 s[14:15], vcc
	s_cbranch_execz .LBB267_46
; %bb.23:
	v_and_b32_e32 v0, 0x7fffffff, v4
	s_brev_b32 s4, 18
	v_cmp_nlt_f32_e64 s[16:17], |v4|, s4
	v_lshrrev_b32_e32 v7, 23, v0
                                        ; implicit-def: $vgpr2
                                        ; implicit-def: $vgpr1
	s_and_saveexec_b64 s[4:5], s[16:17]
	s_xor_b64 s[18:19], exec, s[4:5]
	s_cbranch_execz .LBB267_25
; %bb.24:
	v_and_b32_e32 v1, 0x7fffff, v0
	v_or_b32_e32 v14, 0x800000, v1
	s_mov_b32 s4, 0xfe5163ab
	v_mad_u64_u32 v[1:2], s[4:5], v14, s4, 0
	v_mov_b32_e32 v6, 0
	s_mov_b32 s4, 0x3c439041
	v_mov_b32_e32 v5, v2
	v_mad_u64_u32 v[8:9], s[4:5], v14, s4, v[5:6]
	s_mov_b32 s4, 0xdb629599
	v_add_u32_e32 v2, 0xffffff88, v7
	v_mov_b32_e32 v5, v9
	v_mad_u64_u32 v[9:10], s[4:5], v14, s4, v[5:6]
	s_mov_b32 s4, 0xf534ddc0
	v_not_b32_e32 v13, 63
	v_mov_b32_e32 v5, v10
	v_mad_u64_u32 v[10:11], s[4:5], v14, s4, v[5:6]
	s_mov_b32 s4, 0xfc2757d1
	v_cmp_lt_u32_e32 vcc, 63, v2
	v_mov_b32_e32 v5, v11
	v_mad_u64_u32 v[11:12], s[4:5], v14, s4, v[5:6]
	v_cndmask_b32_e32 v5, 0, v13, vcc
	v_add_u32_e32 v2, v5, v2
	v_mov_b32_e32 v5, v12
	s_mov_b32 s4, 0x4e441529
	v_mad_u64_u32 v[12:13], s[4:5], v14, s4, v[5:6]
	v_not_b32_e32 v15, 31
	v_cmp_lt_u32_e64 s[4:5], 31, v2
	v_cndmask_b32_e64 v5, 0, v15, s[4:5]
	v_add_u32_e32 v2, v5, v2
	v_mov_b32_e32 v5, v13
	s_mov_b32 s6, 0xa2f9836e
	v_mad_u64_u32 v[5:6], s[6:7], v14, s6, v[5:6]
	v_cmp_lt_u32_e64 s[6:7], 31, v2
	v_cndmask_b32_e64 v13, 0, v15, s[6:7]
	v_add_u32_e32 v2, v13, v2
	v_cndmask_b32_e32 v13, v12, v10, vcc
	v_cndmask_b32_e32 v5, v5, v11, vcc
	;; [unrolled: 1-line block ×3, first 2 shown]
	v_cndmask_b32_e64 v14, v5, v13, s[4:5]
	v_cndmask_b32_e64 v5, v6, v5, s[4:5]
	v_cndmask_b32_e32 v6, v11, v9, vcc
	v_cndmask_b32_e64 v11, v13, v6, s[4:5]
	v_cndmask_b32_e64 v5, v5, v14, s[6:7]
	;; [unrolled: 1-line block ×3, first 2 shown]
	v_sub_u32_e32 v13, 32, v2
	v_alignbit_b32 v14, v5, v12, v13
	v_cmp_eq_u32_e64 s[8:9], 0, v2
	v_cndmask_b32_e64 v2, v14, v5, s[8:9]
	v_cndmask_b32_e32 v5, v10, v8, vcc
	v_cndmask_b32_e64 v6, v6, v5, s[4:5]
	v_cndmask_b32_e64 v8, v11, v6, s[6:7]
	v_alignbit_b32 v10, v12, v8, v13
	v_cndmask_b32_e32 v1, v9, v1, vcc
	v_cndmask_b32_e64 v10, v10, v12, s[8:9]
	v_bfe_u32 v14, v2, 29, 1
	v_cndmask_b32_e64 v1, v5, v1, s[4:5]
	v_alignbit_b32 v11, v2, v10, 30
	v_sub_u32_e32 v15, 0, v14
	v_cndmask_b32_e64 v1, v6, v1, s[6:7]
	v_xor_b32_e32 v11, v11, v15
	v_alignbit_b32 v5, v8, v1, v13
	v_cndmask_b32_e64 v5, v5, v8, s[8:9]
	v_ffbh_u32_e32 v8, v11
	v_alignbit_b32 v6, v10, v5, 30
	v_min_u32_e32 v8, 32, v8
	v_alignbit_b32 v1, v5, v1, 30
	v_xor_b32_e32 v6, v6, v15
	v_sub_u32_e32 v9, 31, v8
	v_xor_b32_e32 v1, v1, v15
	v_alignbit_b32 v10, v11, v6, v9
	v_alignbit_b32 v1, v6, v1, v9
	;; [unrolled: 1-line block ×3, first 2 shown]
	v_ffbh_u32_e32 v6, v5
	v_min_u32_e32 v6, 32, v6
	v_lshrrev_b32_e32 v12, 29, v2
	v_not_b32_e32 v9, v6
	v_alignbit_b32 v1, v5, v1, v9
	v_lshlrev_b32_e32 v5, 31, v12
	v_or_b32_e32 v9, 0x33000000, v5
	v_add_lshl_u32 v6, v6, v8, 23
	v_lshrrev_b32_e32 v1, 9, v1
	v_sub_u32_e32 v6, v9, v6
	v_or_b32_e32 v5, 0.5, v5
	v_lshlrev_b32_e32 v8, 23, v8
	v_or_b32_e32 v1, v6, v1
	v_lshrrev_b32_e32 v6, 9, v10
	v_sub_u32_e32 v5, v5, v8
	v_or_b32_e32 v5, v6, v5
	s_mov_b32 s4, 0x3fc90fda
	v_mul_f32_e32 v6, 0x3fc90fda, v5
	v_fma_f32 v8, v5, s4, -v6
	v_fmac_f32_e32 v8, 0x33a22168, v5
	v_fmac_f32_e32 v8, 0x3fc90fda, v1
	v_lshrrev_b32_e32 v2, 30, v2
	v_add_f32_e32 v1, v6, v8
	v_add_u32_e32 v2, v14, v2
	s_andn2_saveexec_b64 s[4:5], s[18:19]
	s_cbranch_execz .LBB267_27
	s_branch .LBB267_26
.LBB267_25:
	s_andn2_saveexec_b64 s[4:5], s[18:19]
	s_cbranch_execz .LBB267_27
.LBB267_26:
	s_mov_b32 s6, 0x3f22f983
	v_mul_f32_e64 v1, |v4|, s6
	v_rndne_f32_e32 v5, v1
	s_mov_b32 s6, 0xbfc90fda
	v_cvt_i32_f32_e32 v2, v5
	v_fma_f32 v1, v5, s6, |v4|
	v_fmac_f32_e32 v1, 0xb3a22168, v5
	v_fmac_f32_e32 v1, 0xa7c234c4, v5
.LBB267_27:
	s_or_b64 exec, exec, s[4:5]
                                        ; implicit-def: $vgpr5
                                        ; implicit-def: $vgpr6
	s_and_saveexec_b64 s[4:5], s[16:17]
	s_xor_b64 s[16:17], exec, s[4:5]
	s_cbranch_execz .LBB267_29
; %bb.28:
	v_and_b32_e32 v5, 0x7fffff, v0
	v_or_b32_e32 v14, 0x800000, v5
	s_mov_b32 s4, 0xfe5163ab
	v_mad_u64_u32 v[5:6], s[4:5], v14, s4, 0
	v_mov_b32_e32 v9, 0
	s_mov_b32 s4, 0x3c439041
	v_mov_b32_e32 v8, v6
	v_mad_u64_u32 v[10:11], s[4:5], v14, s4, v[8:9]
	s_mov_b32 s4, 0xdb629599
	v_add_u32_e32 v15, 0xffffff88, v7
	v_mov_b32_e32 v8, v11
	v_mad_u64_u32 v[11:12], s[4:5], v14, s4, v[8:9]
	s_mov_b32 s4, 0xf534ddc0
	v_not_b32_e32 v16, 63
	v_mov_b32_e32 v8, v12
	v_mad_u64_u32 v[12:13], s[4:5], v14, s4, v[8:9]
	s_mov_b32 s4, 0xfc2757d1
	v_cmp_lt_u32_e32 vcc, 63, v15
	v_mov_b32_e32 v8, v13
	v_mad_u64_u32 v[6:7], s[4:5], v14, s4, v[8:9]
	v_cndmask_b32_e32 v8, 0, v16, vcc
	v_add_u32_e32 v13, v8, v15
	v_mov_b32_e32 v8, v7
	s_mov_b32 s4, 0x4e441529
	v_mad_u64_u32 v[7:8], s[4:5], v14, s4, v[8:9]
	v_not_b32_e32 v15, 31
	v_cmp_lt_u32_e64 s[4:5], 31, v13
	s_mov_b32 s6, 0xa2f9836e
	v_cndmask_b32_e64 v16, 0, v15, s[4:5]
	v_mad_u64_u32 v[8:9], s[6:7], v14, s6, v[8:9]
	v_add_u32_e32 v13, v16, v13
	v_cmp_lt_u32_e64 s[6:7], 31, v13
	v_cndmask_b32_e64 v14, 0, v15, s[6:7]
	v_add_u32_e32 v13, v14, v13
	v_cndmask_b32_e32 v14, v7, v12, vcc
	v_cndmask_b32_e32 v8, v8, v6, vcc
	;; [unrolled: 1-line block ×4, first 2 shown]
	v_cndmask_b32_e64 v15, v8, v14, s[4:5]
	v_cndmask_b32_e64 v7, v7, v8, s[4:5]
	;; [unrolled: 1-line block ×3, first 2 shown]
	v_cndmask_b32_e32 v10, v12, v10, vcc
	v_cndmask_b32_e64 v7, v7, v15, s[6:7]
	v_cndmask_b32_e64 v9, v15, v8, s[6:7]
	v_sub_u32_e32 v14, 32, v13
	v_cndmask_b32_e64 v6, v6, v10, s[4:5]
	v_alignbit_b32 v15, v7, v9, v14
	v_cmp_eq_u32_e64 s[8:9], 0, v13
	v_cndmask_b32_e64 v8, v8, v6, s[6:7]
	v_cndmask_b32_e32 v5, v11, v5, vcc
	v_cndmask_b32_e64 v7, v15, v7, s[8:9]
	v_alignbit_b32 v12, v9, v8, v14
	v_cndmask_b32_e64 v5, v10, v5, s[4:5]
	v_cndmask_b32_e64 v9, v12, v9, s[8:9]
	v_bfe_u32 v15, v7, 29, 1
	v_cndmask_b32_e64 v5, v6, v5, s[6:7]
	v_alignbit_b32 v12, v7, v9, 30
	v_sub_u32_e32 v16, 0, v15
	v_alignbit_b32 v6, v8, v5, v14
	v_xor_b32_e32 v12, v12, v16
	v_cndmask_b32_e64 v6, v6, v8, s[8:9]
	v_alignbit_b32 v8, v9, v6, 30
	v_ffbh_u32_e32 v9, v12
	v_min_u32_e32 v9, 32, v9
	v_alignbit_b32 v5, v6, v5, 30
	v_xor_b32_e32 v8, v8, v16
	v_sub_u32_e32 v10, 31, v9
	v_xor_b32_e32 v5, v5, v16
	v_alignbit_b32 v11, v12, v8, v10
	v_alignbit_b32 v5, v8, v5, v10
	;; [unrolled: 1-line block ×3, first 2 shown]
	v_ffbh_u32_e32 v8, v6
	v_min_u32_e32 v8, 32, v8
	v_lshrrev_b32_e32 v13, 29, v7
	v_not_b32_e32 v10, v8
	v_alignbit_b32 v5, v6, v5, v10
	v_lshlrev_b32_e32 v6, 31, v13
	v_or_b32_e32 v10, 0x33000000, v6
	v_add_lshl_u32 v8, v8, v9, 23
	v_lshrrev_b32_e32 v5, 9, v5
	v_sub_u32_e32 v8, v10, v8
	v_or_b32_e32 v6, 0.5, v6
	v_lshlrev_b32_e32 v9, 23, v9
	v_or_b32_e32 v5, v8, v5
	v_lshrrev_b32_e32 v8, 9, v11
	v_sub_u32_e32 v6, v6, v9
	v_or_b32_e32 v6, v8, v6
	s_mov_b32 s4, 0x3fc90fda
	v_mul_f32_e32 v8, 0x3fc90fda, v6
	v_fma_f32 v9, v6, s4, -v8
	v_fmac_f32_e32 v9, 0x33a22168, v6
	v_fmac_f32_e32 v9, 0x3fc90fda, v5
	v_lshrrev_b32_e32 v5, 30, v7
	v_add_f32_e32 v6, v8, v9
	v_add_u32_e32 v5, v15, v5
	s_andn2_saveexec_b64 s[4:5], s[16:17]
	s_cbranch_execnz .LBB267_30
	s_branch .LBB267_31
.LBB267_29:
	s_andn2_saveexec_b64 s[4:5], s[16:17]
	s_cbranch_execz .LBB267_31
.LBB267_30:
	s_mov_b32 s6, 0x3f22f983
	v_mul_f32_e64 v5, |v4|, s6
	v_rndne_f32_e32 v7, v5
	s_mov_b32 s6, 0xbfc90fda
	v_cvt_i32_f32_e32 v5, v7
	v_fma_f32 v6, v7, s6, |v4|
	v_fmac_f32_e32 v6, 0xb3a22168, v7
	v_fmac_f32_e32 v6, 0xa7c234c4, v7
.LBB267_31:
	s_or_b64 exec, exec, s[4:5]
	v_and_b32_e32 v7, 0x7fffffff, v3
	s_brev_b32 s4, 18
	v_cmp_nlt_f32_e64 s[16:17], |v3|, s4
	v_lshrrev_b32_e32 v10, 23, v7
                                        ; implicit-def: $vgpr9
                                        ; implicit-def: $vgpr8
	s_and_saveexec_b64 s[4:5], s[16:17]
	s_xor_b64 s[18:19], exec, s[4:5]
	s_cbranch_execz .LBB267_33
; %bb.32:
	v_and_b32_e32 v8, 0x7fffff, v7
	v_or_b32_e32 v19, 0x800000, v8
	s_mov_b32 s4, 0xfe5163ab
	v_mad_u64_u32 v[8:9], s[4:5], v19, s4, 0
	v_mov_b32_e32 v12, 0
	s_mov_b32 s4, 0x3c439041
	v_mov_b32_e32 v11, v9
	v_mad_u64_u32 v[13:14], s[4:5], v19, s4, v[11:12]
	s_mov_b32 s4, 0xdb629599
	v_add_u32_e32 v9, 0xffffff88, v10
	v_mov_b32_e32 v11, v14
	v_mad_u64_u32 v[14:15], s[4:5], v19, s4, v[11:12]
	s_mov_b32 s4, 0xf534ddc0
	v_not_b32_e32 v18, 63
	v_mov_b32_e32 v11, v15
	v_mad_u64_u32 v[15:16], s[4:5], v19, s4, v[11:12]
	s_mov_b32 s4, 0xfc2757d1
	v_cmp_lt_u32_e32 vcc, 63, v9
	v_mov_b32_e32 v11, v16
	v_mad_u64_u32 v[16:17], s[4:5], v19, s4, v[11:12]
	v_cndmask_b32_e32 v11, 0, v18, vcc
	v_add_u32_e32 v9, v11, v9
	v_mov_b32_e32 v11, v17
	s_mov_b32 s4, 0x4e441529
	v_mad_u64_u32 v[17:18], s[4:5], v19, s4, v[11:12]
	v_not_b32_e32 v20, 31
	v_cmp_lt_u32_e64 s[4:5], 31, v9
	v_cndmask_b32_e64 v11, 0, v20, s[4:5]
	v_add_u32_e32 v9, v11, v9
	v_mov_b32_e32 v11, v18
	s_mov_b32 s6, 0xa2f9836e
	v_mad_u64_u32 v[11:12], s[6:7], v19, s6, v[11:12]
	v_cmp_lt_u32_e64 s[6:7], 31, v9
	v_cndmask_b32_e64 v18, 0, v20, s[6:7]
	v_add_u32_e32 v9, v18, v9
	v_cndmask_b32_e32 v18, v17, v15, vcc
	v_cndmask_b32_e32 v11, v11, v16, vcc
	;; [unrolled: 1-line block ×3, first 2 shown]
	v_cndmask_b32_e64 v19, v11, v18, s[4:5]
	v_cndmask_b32_e64 v11, v12, v11, s[4:5]
	v_cndmask_b32_e32 v12, v16, v14, vcc
	v_cndmask_b32_e64 v16, v18, v12, s[4:5]
	v_cndmask_b32_e64 v11, v11, v19, s[6:7]
	;; [unrolled: 1-line block ×3, first 2 shown]
	v_sub_u32_e32 v18, 32, v9
	v_alignbit_b32 v19, v11, v17, v18
	v_cmp_eq_u32_e64 s[8:9], 0, v9
	v_cndmask_b32_e64 v9, v19, v11, s[8:9]
	v_cndmask_b32_e32 v11, v15, v13, vcc
	v_cndmask_b32_e64 v12, v12, v11, s[4:5]
	v_cndmask_b32_e64 v13, v16, v12, s[6:7]
	v_alignbit_b32 v15, v17, v13, v18
	v_cndmask_b32_e32 v8, v14, v8, vcc
	v_cndmask_b32_e64 v15, v15, v17, s[8:9]
	v_bfe_u32 v19, v9, 29, 1
	v_cndmask_b32_e64 v8, v11, v8, s[4:5]
	v_alignbit_b32 v16, v9, v15, 30
	v_sub_u32_e32 v20, 0, v19
	v_cndmask_b32_e64 v8, v12, v8, s[6:7]
	v_xor_b32_e32 v16, v16, v20
	v_alignbit_b32 v11, v13, v8, v18
	v_cndmask_b32_e64 v11, v11, v13, s[8:9]
	v_ffbh_u32_e32 v13, v16
	v_alignbit_b32 v12, v15, v11, 30
	v_min_u32_e32 v13, 32, v13
	v_alignbit_b32 v8, v11, v8, 30
	v_xor_b32_e32 v12, v12, v20
	v_sub_u32_e32 v14, 31, v13
	v_xor_b32_e32 v8, v8, v20
	v_alignbit_b32 v15, v16, v12, v14
	v_alignbit_b32 v8, v12, v8, v14
	;; [unrolled: 1-line block ×3, first 2 shown]
	v_ffbh_u32_e32 v12, v11
	v_min_u32_e32 v12, 32, v12
	v_lshrrev_b32_e32 v17, 29, v9
	v_not_b32_e32 v14, v12
	v_alignbit_b32 v8, v11, v8, v14
	v_lshlrev_b32_e32 v11, 31, v17
	v_or_b32_e32 v14, 0x33000000, v11
	v_add_lshl_u32 v12, v12, v13, 23
	v_lshrrev_b32_e32 v8, 9, v8
	v_sub_u32_e32 v12, v14, v12
	v_or_b32_e32 v11, 0.5, v11
	v_lshlrev_b32_e32 v13, 23, v13
	v_or_b32_e32 v8, v12, v8
	v_lshrrev_b32_e32 v12, 9, v15
	v_sub_u32_e32 v11, v11, v13
	v_or_b32_e32 v11, v12, v11
	s_mov_b32 s4, 0x3fc90fda
	v_mul_f32_e32 v12, 0x3fc90fda, v11
	v_fma_f32 v13, v11, s4, -v12
	v_fmac_f32_e32 v13, 0x33a22168, v11
	v_fmac_f32_e32 v13, 0x3fc90fda, v8
	v_lshrrev_b32_e32 v9, 30, v9
	v_add_f32_e32 v8, v12, v13
	v_add_u32_e32 v9, v19, v9
	s_andn2_saveexec_b64 s[4:5], s[18:19]
	s_cbranch_execz .LBB267_35
	s_branch .LBB267_34
.LBB267_33:
	s_andn2_saveexec_b64 s[4:5], s[18:19]
	s_cbranch_execz .LBB267_35
.LBB267_34:
	s_mov_b32 s6, 0x3f22f983
	v_mul_f32_e64 v8, |v3|, s6
	v_rndne_f32_e32 v11, v8
	s_mov_b32 s6, 0xbfc90fda
	v_cvt_i32_f32_e32 v9, v11
	v_fma_f32 v8, v11, s6, |v3|
	v_fmac_f32_e32 v8, 0xb3a22168, v11
	v_fmac_f32_e32 v8, 0xa7c234c4, v11
.LBB267_35:
	s_or_b64 exec, exec, s[4:5]
                                        ; implicit-def: $vgpr11
                                        ; implicit-def: $vgpr12
	s_and_saveexec_b64 s[4:5], s[16:17]
	s_xor_b64 s[16:17], exec, s[4:5]
	s_cbranch_execz .LBB267_37
; %bb.36:
	v_and_b32_e32 v11, 0x7fffff, v7
	v_or_b32_e32 v20, 0x800000, v11
	s_mov_b32 s4, 0xfe5163ab
	v_mad_u64_u32 v[11:12], s[4:5], v20, s4, 0
	v_mov_b32_e32 v13, 0
	s_mov_b32 s4, 0x3c439041
	v_mad_u64_u32 v[14:15], s[4:5], v20, s4, v[12:13]
	s_mov_b32 s4, 0xdb629599
	v_add_u32_e32 v10, 0xffffff88, v10
	v_mov_b32_e32 v12, v15
	v_mad_u64_u32 v[15:16], s[4:5], v20, s4, v[12:13]
	s_mov_b32 s4, 0xf534ddc0
	v_not_b32_e32 v19, 63
	v_mov_b32_e32 v12, v16
	v_mad_u64_u32 v[16:17], s[4:5], v20, s4, v[12:13]
	s_mov_b32 s4, 0xfc2757d1
	v_cmp_lt_u32_e32 vcc, 63, v10
	v_mov_b32_e32 v12, v17
	v_mad_u64_u32 v[17:18], s[4:5], v20, s4, v[12:13]
	v_cndmask_b32_e32 v12, 0, v19, vcc
	v_add_u32_e32 v10, v12, v10
	v_mov_b32_e32 v12, v18
	s_mov_b32 s4, 0x4e441529
	v_mad_u64_u32 v[18:19], s[4:5], v20, s4, v[12:13]
	v_not_b32_e32 v21, 31
	v_cmp_lt_u32_e64 s[4:5], 31, v10
	v_cndmask_b32_e64 v12, 0, v21, s[4:5]
	v_add_u32_e32 v10, v12, v10
	v_mov_b32_e32 v12, v19
	s_mov_b32 s6, 0xa2f9836e
	v_mad_u64_u32 v[12:13], s[6:7], v20, s6, v[12:13]
	v_cmp_lt_u32_e64 s[6:7], 31, v10
	v_cndmask_b32_e64 v19, 0, v21, s[6:7]
	v_add_u32_e32 v10, v19, v10
	v_cndmask_b32_e32 v19, v18, v16, vcc
	v_cndmask_b32_e32 v12, v12, v17, vcc
	;; [unrolled: 1-line block ×3, first 2 shown]
	v_cndmask_b32_e64 v20, v12, v19, s[4:5]
	v_cndmask_b32_e64 v12, v13, v12, s[4:5]
	v_cndmask_b32_e32 v13, v17, v15, vcc
	v_cndmask_b32_e64 v17, v19, v13, s[4:5]
	v_cndmask_b32_e64 v12, v12, v20, s[6:7]
	;; [unrolled: 1-line block ×3, first 2 shown]
	v_sub_u32_e32 v19, 32, v10
	v_alignbit_b32 v20, v12, v18, v19
	v_cmp_eq_u32_e64 s[8:9], 0, v10
	v_cndmask_b32_e64 v10, v20, v12, s[8:9]
	v_cndmask_b32_e32 v12, v16, v14, vcc
	v_cndmask_b32_e64 v13, v13, v12, s[4:5]
	v_cndmask_b32_e64 v14, v17, v13, s[6:7]
	v_alignbit_b32 v16, v18, v14, v19
	v_cndmask_b32_e32 v11, v15, v11, vcc
	v_cndmask_b32_e64 v16, v16, v18, s[8:9]
	v_bfe_u32 v20, v10, 29, 1
	v_cndmask_b32_e64 v11, v12, v11, s[4:5]
	v_alignbit_b32 v17, v10, v16, 30
	v_sub_u32_e32 v21, 0, v20
	v_cndmask_b32_e64 v11, v13, v11, s[6:7]
	v_xor_b32_e32 v17, v17, v21
	v_alignbit_b32 v12, v14, v11, v19
	v_cndmask_b32_e64 v12, v12, v14, s[8:9]
	v_ffbh_u32_e32 v14, v17
	v_alignbit_b32 v13, v16, v12, 30
	v_min_u32_e32 v14, 32, v14
	v_alignbit_b32 v11, v12, v11, 30
	v_xor_b32_e32 v13, v13, v21
	v_sub_u32_e32 v15, 31, v14
	v_xor_b32_e32 v11, v11, v21
	v_alignbit_b32 v16, v17, v13, v15
	v_alignbit_b32 v11, v13, v11, v15
	;; [unrolled: 1-line block ×3, first 2 shown]
	v_ffbh_u32_e32 v13, v12
	v_min_u32_e32 v13, 32, v13
	v_lshrrev_b32_e32 v18, 29, v10
	v_not_b32_e32 v15, v13
	v_alignbit_b32 v11, v12, v11, v15
	v_lshlrev_b32_e32 v12, 31, v18
	v_or_b32_e32 v15, 0x33000000, v12
	v_add_lshl_u32 v13, v13, v14, 23
	v_lshrrev_b32_e32 v11, 9, v11
	v_sub_u32_e32 v13, v15, v13
	v_or_b32_e32 v12, 0.5, v12
	v_lshlrev_b32_e32 v14, 23, v14
	v_or_b32_e32 v11, v13, v11
	v_lshrrev_b32_e32 v13, 9, v16
	v_sub_u32_e32 v12, v12, v14
	v_or_b32_e32 v12, v13, v12
	s_mov_b32 s4, 0x3fc90fda
	v_mul_f32_e32 v13, 0x3fc90fda, v12
	v_fma_f32 v14, v12, s4, -v13
	v_fmac_f32_e32 v14, 0x33a22168, v12
	v_fmac_f32_e32 v14, 0x3fc90fda, v11
	v_lshrrev_b32_e32 v10, 30, v10
	v_add_f32_e32 v12, v13, v14
	v_add_u32_e32 v11, v20, v10
	s_andn2_saveexec_b64 s[4:5], s[16:17]
	s_cbranch_execnz .LBB267_38
	s_branch .LBB267_39
.LBB267_37:
	s_andn2_saveexec_b64 s[4:5], s[16:17]
	s_cbranch_execz .LBB267_39
.LBB267_38:
	s_mov_b32 s6, 0x3f22f983
	v_mul_f32_e64 v10, |v3|, s6
	v_rndne_f32_e32 v10, v10
	s_mov_b32 s6, 0xbfc90fda
	v_cvt_i32_f32_e32 v11, v10
	v_fma_f32 v12, v10, s6, |v3|
	v_fmac_f32_e32 v12, 0xb3a22168, v10
	v_fmac_f32_e32 v12, 0xa7c234c4, v10
.LBB267_39:
	s_or_b64 exec, exec, s[4:5]
	v_mul_f32_e32 v13, v1, v1
	v_mov_b32_e32 v15, 0x3c0881c4
	v_mov_b32_e32 v17, 0xbab64f3b
	v_fmac_f32_e32 v15, 0xb94c1982, v13
	v_mov_b32_e32 v16, 0xbe2aaa9d
	v_fmac_f32_e32 v17, 0x37d75334, v13
	v_mov_b32_e32 v18, 0x3d2aabf7
	v_fma_f32 v15, v13, v15, v16
	v_fma_f32 v17, v13, v17, v18
	v_mov_b32_e32 v19, 0xbf000004
	v_lshlrev_b32_e32 v10, 30, v2
	v_and_b32_e32 v2, 1, v2
	v_mul_f32_e32 v15, v13, v15
	v_fma_f32 v17, v13, v17, v19
	v_and_b32_e32 v10, 0x80000000, v10
	v_fmac_f32_e32 v1, v1, v15
	v_fma_f32 v13, v13, v17, 1.0
	v_cmp_eq_u32_e32 vcc, 0, v2
	v_cndmask_b32_e32 v1, v13, v1, vcc
	v_xor_b32_e32 v0, v0, v10
	s_movk_i32 s6, 0x1f8
	v_xor_b32_e32 v0, v0, v1
	v_xor_b32_e32 v0, v0, v4
	v_cmp_class_f32_e64 vcc, v4, s6
	v_mul_f32_e32 v2, v6, v6
	v_mov_b32_e32 v4, 0x3c0881c4
	v_fmac_f32_e32 v4, 0xb94c1982, v2
	v_fma_f32 v4, v2, v4, v16
	v_mul_f32_e32 v4, v2, v4
	v_fmac_f32_e32 v6, v6, v4
	v_mov_b32_e32 v4, 0xbab64f3b
	v_fmac_f32_e32 v4, 0x37d75334, v2
	v_fma_f32 v4, v2, v4, v18
	v_fma_f32 v4, v2, v4, v19
	v_fma_f32 v2, v2, v4, 1.0
	v_and_b32_e32 v4, 1, v5
	v_cmp_eq_u32_e64 s[4:5], 0, v4
	v_lshlrev_b32_e32 v4, 30, v5
	v_cndmask_b32_e64 v2, -v6, v2, s[4:5]
	v_and_b32_e32 v4, 0x80000000, v4
	v_mov_b32_e32 v1, 0x7fc00000
	v_xor_b32_e32 v2, v4, v2
	v_cndmask_b32_e32 v2, v1, v2, vcc
	v_cndmask_b32_e32 v0, v1, v0, vcc
	v_mul_f32_e32 v4, 0x7f800000, v2
	v_cmp_neq_f32_e32 vcc, 0, v2
	v_cndmask_b32_e32 v2, 0, v4, vcc
	v_mul_f32_e32 v4, 0x7f800000, v0
	v_cmp_neq_f32_e32 vcc, 0, v0
	v_cndmask_b32_e32 v0, 0, v4, vcc
	v_lshlrev_b32_e32 v4, 30, v9
	v_and_b32_e32 v5, 1, v9
	v_mul_f32_e32 v6, v8, v8
	v_mov_b32_e32 v9, 0x3c0881c4
	v_fmac_f32_e32 v9, 0xb94c1982, v6
	v_fma_f32 v9, v6, v9, v16
	v_mul_f32_e32 v9, v6, v9
	v_fmac_f32_e32 v8, v8, v9
	v_mov_b32_e32 v9, 0xbab64f3b
	v_fmac_f32_e32 v9, 0x37d75334, v6
	v_fma_f32 v9, v6, v9, v18
	v_fma_f32 v9, v6, v9, v19
	v_and_b32_e32 v4, 0x80000000, v4
	v_fma_f32 v6, v6, v9, 1.0
	v_cmp_eq_u32_e32 vcc, 0, v5
	v_cndmask_b32_e32 v5, v6, v8, vcc
	v_xor_b32_e32 v4, v7, v4
	v_xor_b32_e32 v4, v4, v5
	;; [unrolled: 1-line block ×3, first 2 shown]
	v_cmp_class_f32_e64 vcc, v3, s6
	v_mov_b32_e32 v14, 0x3c0881c4
	v_cndmask_b32_e32 v3, v1, v4, vcc
	v_mul_f32_e32 v4, v12, v12
	v_mov_b32_e32 v15, 0xbab64f3b
	v_fmac_f32_e32 v14, 0xb94c1982, v4
	v_fmac_f32_e32 v16, v4, v14
	;; [unrolled: 1-line block ×3, first 2 shown]
	v_mul_f32_e32 v5, v4, v16
	v_fmac_f32_e32 v18, v4, v15
	v_fmac_f32_e32 v12, v12, v5
	;; [unrolled: 1-line block ×3, first 2 shown]
	v_and_b32_e32 v5, 1, v11
	v_fma_f32 v4, v4, v19, 1.0
	v_cmp_eq_u32_e64 s[4:5], 0, v5
	v_lshlrev_b32_e32 v5, 30, v11
	v_cndmask_b32_e64 v4, -v12, v4, s[4:5]
	v_and_b32_e32 v5, 0x80000000, v5
	v_xor_b32_e32 v4, v5, v4
	v_cndmask_b32_e32 v1, v1, v4, vcc
	v_mul_f32_e32 v4, 0x7f800000, v1
	v_cmp_neq_f32_e32 vcc, 0, v1
	v_cndmask_b32_e32 v1, 0, v4, vcc
	v_mul_f32_e32 v4, 0x7f800000, v3
	v_cmp_neq_f32_e32 vcc, 0, v3
	v_cndmask_b32_e32 v3, 0, v4, vcc
	v_add_f32_e32 v1, v2, v1
	v_add_f32_e32 v0, v0, v3
	v_add_f32_e32 v5, -1.0, v1
	v_max_f32_e64 v3, |v5|, |v0|
	v_cvt_f64_f32_e32 v[1:2], v3
	s_mov_b32 s8, 0x7f800000
	v_cmp_eq_f32_e32 vcc, s8, v3
	v_frexp_exp_i32_f64_e32 v1, v[1:2]
	v_sub_u32_e32 v2, 0, v1
	v_ldexp_f32 v4, |v5|, v2
	v_ldexp_f32 v2, |v0|, v2
	v_mul_f32_e32 v2, v2, v2
	v_fmac_f32_e32 v2, v4, v4
	v_sqrt_f32_e32 v2, v2
	v_ldexp_f32 v4, v2, v1
	v_add_f32_e32 v1, 1.0, v5
	v_cmp_ngt_f32_e64 s[4:5], 0.5, v4
	v_max_f32_e64 v2, |v1|, |v0|
	s_or_b64 s[4:5], vcc, s[4:5]
	s_and_saveexec_b64 s[6:7], s[4:5]
	s_xor_b64 s[6:7], exec, s[6:7]
	s_cbranch_execz .LBB267_41
; %bb.40:
	v_cvt_f64_f32_e32 v[3:4], v2
	v_cmp_neq_f32_e32 vcc, s8, v2
	s_mov_b32 s4, 0x800000
	v_frexp_exp_i32_f64_e32 v3, v[3:4]
	v_sub_u32_e32 v4, 0, v3
	v_ldexp_f32 v5, |v1|, v4
	v_ldexp_f32 v4, |v0|, v4
	v_mul_f32_e32 v4, v4, v4
	v_fmac_f32_e32 v4, v5, v5
	v_sqrt_f32_e32 v4, v4
	v_mov_b32_e32 v5, 0x7f800000
	v_ldexp_f32 v3, v4, v3
	v_cndmask_b32_e32 v3, v5, v3, vcc
	v_cmp_gt_f32_e32 vcc, s4, v3
	v_cndmask_b32_e64 v4, 0, 32, vcc
	v_ldexp_f32 v3, v3, v4
	v_log_f32_e32 v3, v3
	s_mov_b32 s4, 0x3f317217
	v_mov_b32_e32 v4, 0x41b17218
	v_cndmask_b32_e32 v4, 0, v4, vcc
	v_mul_f32_e32 v5, 0x3f317217, v3
	v_fma_f32 v5, v3, s4, -v5
	v_fmac_f32_e32 v5, 0x3377d1cf, v3
	v_fmac_f32_e32 v5, 0x3f317217, v3
	v_cmp_lt_f32_e64 s[4:5], |v3|, s8
	v_cndmask_b32_e64 v3, v3, v5, s[4:5]
	v_sub_f32_e32 v5, v3, v4
.LBB267_41:
	s_andn2_saveexec_b64 s[4:5], s[6:7]
	s_cbranch_execz .LBB267_45
; %bb.42:
	v_add_f32_e32 v3, 2.0, v5
	v_mul_f32_e32 v3, v5, v3
	v_fmac_f32_e32 v3, v0, v0
	v_cmp_neq_f32_e32 vcc, 0, v3
	s_and_saveexec_b64 s[6:7], vcc
	s_cbranch_execz .LBB267_44
; %bb.43:
	v_add_f32_e32 v6, 1.0, v3
	v_cvt_f64_f32_e32 v[4:5], v6
	s_mov_b32 s8, 0x3f2aaaab
	v_add_f32_e32 v7, -1.0, v6
	v_sub_f32_e32 v8, v7, v6
	v_frexp_exp_i32_f64_e32 v4, v[4:5]
	v_frexp_mant_f32_e32 v5, v6
	v_cmp_gt_f32_e32 vcc, s8, v5
	v_sub_f32_e32 v7, v3, v7
	v_add_f32_e32 v8, 1.0, v8
	v_add_f32_e32 v7, v7, v8
	s_mov_b32 s8, 0x3f317218
	v_subbrev_co_u32_e32 v4, vcc, 0, v4, vcc
	v_sub_u32_e32 v5, 0, v4
	v_ldexp_f32 v6, v6, v5
	v_ldexp_f32 v5, v7, v5
	v_add_f32_e32 v7, -1.0, v6
	v_add_f32_e32 v10, 1.0, v6
	v_add_f32_e32 v8, 1.0, v7
	v_add_f32_e32 v11, -1.0, v10
	v_sub_f32_e32 v8, v6, v8
	v_sub_f32_e32 v6, v6, v11
	v_add_f32_e32 v8, v5, v8
	v_add_f32_e32 v5, v5, v6
	;; [unrolled: 1-line block ×3, first 2 shown]
	v_rcp_f32_e32 v11, v6
	v_add_f32_e32 v9, v7, v8
	v_sub_f32_e32 v7, v9, v7
	v_sub_f32_e32 v7, v8, v7
	;; [unrolled: 1-line block ×4, first 2 shown]
	v_mul_f32_e32 v8, v9, v11
	v_mul_f32_e32 v10, v6, v8
	v_fma_f32 v12, v8, v6, -v10
	v_fmac_f32_e32 v12, v8, v5
	v_add_f32_e32 v13, v10, v12
	v_sub_f32_e32 v14, v9, v13
	v_sub_f32_e32 v9, v9, v14
	;; [unrolled: 1-line block ×4, first 2 shown]
	v_add_f32_e32 v7, v7, v9
	v_sub_f32_e32 v9, v10, v12
	v_add_f32_e32 v7, v9, v7
	v_add_f32_e32 v9, v14, v7
	v_mul_f32_e32 v10, v11, v9
	v_mul_f32_e32 v12, v6, v10
	v_fma_f32 v6, v10, v6, -v12
	v_fmac_f32_e32 v6, v10, v5
	v_sub_f32_e32 v5, v14, v9
	v_add_f32_e32 v5, v7, v5
	v_add_f32_e32 v7, v12, v6
	v_sub_f32_e32 v13, v9, v7
	v_sub_f32_e32 v9, v9, v13
	;; [unrolled: 1-line block ×4, first 2 shown]
	v_add_f32_e32 v5, v5, v7
	v_sub_f32_e32 v6, v12, v6
	v_add_f32_e32 v5, v6, v5
	v_add_f32_e32 v6, v8, v10
	;; [unrolled: 1-line block ×3, first 2 shown]
	v_sub_f32_e32 v7, v6, v8
	v_mul_f32_e32 v5, v11, v5
	v_sub_f32_e32 v7, v10, v7
	v_add_f32_e32 v5, v7, v5
	v_cvt_f32_i32_e32 v4, v4
	v_add_f32_e32 v7, v6, v5
	v_mul_f32_e32 v8, v7, v7
	v_mov_b32_e32 v9, 0x3ecc95a3
	v_fmac_f32_e32 v9, 0x3e9b6dac, v8
	v_mov_b32_e32 v10, 0x3f2aaada
	v_fmac_f32_e32 v10, v8, v9
	v_mul_f32_e32 v9, 0x3f317218, v4
	v_fma_f32 v11, v4, s8, -v9
	v_fmac_f32_e32 v11, 0xb102e308, v4
	v_sub_f32_e32 v4, v7, v6
	v_sub_f32_e32 v4, v5, v4
	v_add_f32_e32 v5, v9, v11
	v_sub_f32_e32 v6, v5, v9
	v_ldexp_f32 v9, v7, 1
	v_mul_f32_e32 v7, v7, v8
	v_mul_f32_e32 v7, v7, v10
	v_add_f32_e32 v8, v9, v7
	v_sub_f32_e32 v9, v8, v9
	v_ldexp_f32 v4, v4, 1
	v_sub_f32_e32 v7, v7, v9
	v_add_f32_e32 v4, v4, v7
	v_add_f32_e32 v7, v8, v4
	v_sub_f32_e32 v8, v7, v8
	v_sub_f32_e32 v4, v4, v8
	v_add_f32_e32 v8, v5, v7
	v_sub_f32_e32 v9, v8, v5
	v_sub_f32_e32 v10, v8, v9
	;; [unrolled: 1-line block ×5, first 2 shown]
	v_add_f32_e32 v5, v7, v5
	v_add_f32_e32 v7, v6, v4
	v_sub_f32_e32 v9, v7, v6
	v_sub_f32_e32 v10, v7, v9
	;; [unrolled: 1-line block ×4, first 2 shown]
	v_add_f32_e32 v5, v7, v5
	v_add_f32_e32 v4, v4, v6
	;; [unrolled: 1-line block ×3, first 2 shown]
	v_sub_f32_e32 v7, v6, v8
	v_sub_f32_e32 v5, v5, v7
	v_add_f32_e32 v4, v4, v5
	s_mov_b32 s8, 0x7f800000
	v_add_f32_e32 v4, v6, v4
	v_mov_b32_e32 v5, 0x7f800000
	v_cmp_neq_f32_e32 vcc, s8, v3
	v_cndmask_b32_e32 v4, v5, v4, vcc
	v_mov_b32_e32 v5, 0x7fc00000
	v_cmp_ngt_f32_e32 vcc, -1.0, v3
	v_cndmask_b32_e32 v4, v5, v4, vcc
	v_mov_b32_e32 v5, 0xff800000
	v_cmp_neq_f32_e32 vcc, -1.0, v3
	s_mov_b32 s8, 0x33800000
	v_cndmask_b32_e32 v4, v5, v4, vcc
	v_cmp_lt_f32_e64 vcc, |v3|, s8
	v_cndmask_b32_e32 v3, v4, v3, vcc
	v_mul_f32_e32 v5, 0.5, v3
.LBB267_44:
	s_or_b64 exec, exec, s[6:7]
.LBB267_45:
	s_or_b64 exec, exec, s[4:5]
	v_max_f32_e64 v6, |v0|, |v0|
	v_max_f32_e64 v7, |v1|, |v1|
	v_min_f32_e32 v6, v7, v6
	v_frexp_mant_f32_e32 v7, v2
	v_rcp_f32_e32 v7, v7
	v_frexp_exp_i32_f32_e32 v2, v2
	v_frexp_exp_i32_f32_e32 v8, v6
	v_frexp_mant_f32_e32 v6, v6
	v_mul_f32_e32 v6, v6, v7
	v_sub_u32_e32 v2, v8, v2
	v_ldexp_f32 v2, v6, v2
	v_mul_f32_e32 v6, v2, v2
	v_mov_b32_e32 v7, 0xbc7a590c
	v_fmac_f32_e32 v7, 0x3b2d2a58, v6
	v_mov_b32_e32 v8, 0x3d29fb3f
	v_fmac_f32_e32 v8, v6, v7
	;; [unrolled: 2-line block ×7, first 2 shown]
	s_movk_i32 s4, 0x204
	v_mov_b32_e32 v3, 0x3f490fdb
	v_mov_b32_e32 v4, 0x4016cbe4
	v_cmp_gt_f32_e32 vcc, 0, v1
	v_mul_f32_e32 v6, v6, v7
	v_cmp_class_f32_e64 s[6:7], v0, s4
	v_cmp_class_f32_e64 s[8:9], v1, s4
	v_cndmask_b32_e32 v3, v3, v4, vcc
	v_mov_b32_e32 v4, 0x40490fdb
	v_cmp_gt_i32_e64 s[4:5], 0, v1
	v_fmac_f32_e32 v2, v2, v6
	v_cndmask_b32_e64 v4, 0, v4, s[4:5]
	v_sub_f32_e32 v6, 0x3fc90fdb, v2
	v_cmp_gt_f32_e64 s[4:5], |v0|, |v1|
	v_cndmask_b32_e64 v2, v2, v6, s[4:5]
	v_sub_f32_e32 v6, 0x40490fdb, v2
	v_cndmask_b32_e32 v2, v2, v6, vcc
	v_cmp_eq_f32_e32 vcc, 0, v0
	v_cndmask_b32_e32 v2, v2, v4, vcc
	s_and_b64 vcc, s[6:7], s[8:9]
	v_cndmask_b32_e32 v2, v2, v3, vcc
	v_mov_b32_e32 v3, 0x7fc00000
	v_cmp_o_f32_e32 vcc, v1, v0
	v_cndmask_b32_e32 v1, v3, v2, vcc
	s_brev_b32 s4, -2
	v_bfi_b32 v4, s4, v1, v0
.LBB267_46:
	s_or_b64 exec, exec, s[14:15]
.LBB267_47:
	s_or_b64 exec, exec, s[12:13]
	v_mov_b32_e32 v0, v5
	v_mov_b32_e32 v1, v4
.LBB267_48:
	s_or_b64 exec, exec, s[10:11]
	s_setpc_b64 s[30:31]
.Lfunc_end267:
	.size	_ZZZZN2at6native31launch_logcumsumexp_cuda_kernelERKNS_10TensorBaseES3_lENKUlvE_clEvENKUlvE2_clEvENKUlN3c107complexIfEES8_E_clES8_S8_, .Lfunc_end267-_ZZZZN2at6native31launch_logcumsumexp_cuda_kernelERKNS_10TensorBaseES3_lENKUlvE_clEvENKUlvE2_clEvENKUlN3c107complexIfEES8_E_clES8_S8_
                                        ; -- End function
	.set .L_ZZZZN2at6native31launch_logcumsumexp_cuda_kernelERKNS_10TensorBaseES3_lENKUlvE_clEvENKUlvE2_clEvENKUlN3c107complexIfEES8_E_clES8_S8_.num_vgpr, 22
	.set .L_ZZZZN2at6native31launch_logcumsumexp_cuda_kernelERKNS_10TensorBaseES3_lENKUlvE_clEvENKUlvE2_clEvENKUlN3c107complexIfEES8_E_clES8_S8_.num_agpr, 0
	.set .L_ZZZZN2at6native31launch_logcumsumexp_cuda_kernelERKNS_10TensorBaseES3_lENKUlvE_clEvENKUlvE2_clEvENKUlN3c107complexIfEES8_E_clES8_S8_.numbered_sgpr, 32
	.set .L_ZZZZN2at6native31launch_logcumsumexp_cuda_kernelERKNS_10TensorBaseES3_lENKUlvE_clEvENKUlvE2_clEvENKUlN3c107complexIfEES8_E_clES8_S8_.num_named_barrier, 0
	.set .L_ZZZZN2at6native31launch_logcumsumexp_cuda_kernelERKNS_10TensorBaseES3_lENKUlvE_clEvENKUlvE2_clEvENKUlN3c107complexIfEES8_E_clES8_S8_.private_seg_size, 0
	.set .L_ZZZZN2at6native31launch_logcumsumexp_cuda_kernelERKNS_10TensorBaseES3_lENKUlvE_clEvENKUlvE2_clEvENKUlN3c107complexIfEES8_E_clES8_S8_.uses_vcc, 1
	.set .L_ZZZZN2at6native31launch_logcumsumexp_cuda_kernelERKNS_10TensorBaseES3_lENKUlvE_clEvENKUlvE2_clEvENKUlN3c107complexIfEES8_E_clES8_S8_.uses_flat_scratch, 0
	.set .L_ZZZZN2at6native31launch_logcumsumexp_cuda_kernelERKNS_10TensorBaseES3_lENKUlvE_clEvENKUlvE2_clEvENKUlN3c107complexIfEES8_E_clES8_S8_.has_dyn_sized_stack, 0
	.set .L_ZZZZN2at6native31launch_logcumsumexp_cuda_kernelERKNS_10TensorBaseES3_lENKUlvE_clEvENKUlvE2_clEvENKUlN3c107complexIfEES8_E_clES8_S8_.has_recursion, 0
	.set .L_ZZZZN2at6native31launch_logcumsumexp_cuda_kernelERKNS_10TensorBaseES3_lENKUlvE_clEvENKUlvE2_clEvENKUlN3c107complexIfEES8_E_clES8_S8_.has_indirect_call, 0
	.section	.AMDGPU.csdata,"",@progbits
; Function info:
; codeLenInByte = 7692
; TotalNumSgprs: 36
; NumVgprs: 22
; ScratchSize: 0
; MemoryBound: 0
	.section	.text._ZN7rocprim17ROCPRIM_400000_NS6detail17trampoline_kernelINS0_14default_configENS1_20scan_config_selectorIN3c107complexIfEEEEZZNS1_9scan_implILNS1_25lookback_scan_determinismE0ELb0ELb0ES3_PKS7_PS7_S7_ZZZN2at6native31launch_logcumsumexp_cuda_kernelERKNSE_10TensorBaseESI_lENKUlvE_clEvENKUlvE2_clEvEUlS7_S7_E_S7_EEDaPvRmT3_T4_T5_mT6_P12ihipStream_tbENKUlT_T0_E_clISt17integral_constantIbLb0EESZ_EEDaSU_SV_EUlSU_E_NS1_11comp_targetILNS1_3genE2ELNS1_11target_archE906ELNS1_3gpuE6ELNS1_3repE0EEENS1_30default_config_static_selectorELNS0_4arch9wavefront6targetE1EEEvT1_,"axG",@progbits,_ZN7rocprim17ROCPRIM_400000_NS6detail17trampoline_kernelINS0_14default_configENS1_20scan_config_selectorIN3c107complexIfEEEEZZNS1_9scan_implILNS1_25lookback_scan_determinismE0ELb0ELb0ES3_PKS7_PS7_S7_ZZZN2at6native31launch_logcumsumexp_cuda_kernelERKNSE_10TensorBaseESI_lENKUlvE_clEvENKUlvE2_clEvEUlS7_S7_E_S7_EEDaPvRmT3_T4_T5_mT6_P12ihipStream_tbENKUlT_T0_E_clISt17integral_constantIbLb0EESZ_EEDaSU_SV_EUlSU_E_NS1_11comp_targetILNS1_3genE2ELNS1_11target_archE906ELNS1_3gpuE6ELNS1_3repE0EEENS1_30default_config_static_selectorELNS0_4arch9wavefront6targetE1EEEvT1_,comdat
	.globl	_ZN7rocprim17ROCPRIM_400000_NS6detail17trampoline_kernelINS0_14default_configENS1_20scan_config_selectorIN3c107complexIfEEEEZZNS1_9scan_implILNS1_25lookback_scan_determinismE0ELb0ELb0ES3_PKS7_PS7_S7_ZZZN2at6native31launch_logcumsumexp_cuda_kernelERKNSE_10TensorBaseESI_lENKUlvE_clEvENKUlvE2_clEvEUlS7_S7_E_S7_EEDaPvRmT3_T4_T5_mT6_P12ihipStream_tbENKUlT_T0_E_clISt17integral_constantIbLb0EESZ_EEDaSU_SV_EUlSU_E_NS1_11comp_targetILNS1_3genE2ELNS1_11target_archE906ELNS1_3gpuE6ELNS1_3repE0EEENS1_30default_config_static_selectorELNS0_4arch9wavefront6targetE1EEEvT1_ ; -- Begin function _ZN7rocprim17ROCPRIM_400000_NS6detail17trampoline_kernelINS0_14default_configENS1_20scan_config_selectorIN3c107complexIfEEEEZZNS1_9scan_implILNS1_25lookback_scan_determinismE0ELb0ELb0ES3_PKS7_PS7_S7_ZZZN2at6native31launch_logcumsumexp_cuda_kernelERKNSE_10TensorBaseESI_lENKUlvE_clEvENKUlvE2_clEvEUlS7_S7_E_S7_EEDaPvRmT3_T4_T5_mT6_P12ihipStream_tbENKUlT_T0_E_clISt17integral_constantIbLb0EESZ_EEDaSU_SV_EUlSU_E_NS1_11comp_targetILNS1_3genE2ELNS1_11target_archE906ELNS1_3gpuE6ELNS1_3repE0EEENS1_30default_config_static_selectorELNS0_4arch9wavefront6targetE1EEEvT1_
	.p2align	8
	.type	_ZN7rocprim17ROCPRIM_400000_NS6detail17trampoline_kernelINS0_14default_configENS1_20scan_config_selectorIN3c107complexIfEEEEZZNS1_9scan_implILNS1_25lookback_scan_determinismE0ELb0ELb0ES3_PKS7_PS7_S7_ZZZN2at6native31launch_logcumsumexp_cuda_kernelERKNSE_10TensorBaseESI_lENKUlvE_clEvENKUlvE2_clEvEUlS7_S7_E_S7_EEDaPvRmT3_T4_T5_mT6_P12ihipStream_tbENKUlT_T0_E_clISt17integral_constantIbLb0EESZ_EEDaSU_SV_EUlSU_E_NS1_11comp_targetILNS1_3genE2ELNS1_11target_archE906ELNS1_3gpuE6ELNS1_3repE0EEENS1_30default_config_static_selectorELNS0_4arch9wavefront6targetE1EEEvT1_,@function
_ZN7rocprim17ROCPRIM_400000_NS6detail17trampoline_kernelINS0_14default_configENS1_20scan_config_selectorIN3c107complexIfEEEEZZNS1_9scan_implILNS1_25lookback_scan_determinismE0ELb0ELb0ES3_PKS7_PS7_S7_ZZZN2at6native31launch_logcumsumexp_cuda_kernelERKNSE_10TensorBaseESI_lENKUlvE_clEvENKUlvE2_clEvEUlS7_S7_E_S7_EEDaPvRmT3_T4_T5_mT6_P12ihipStream_tbENKUlT_T0_E_clISt17integral_constantIbLb0EESZ_EEDaSU_SV_EUlSU_E_NS1_11comp_targetILNS1_3genE2ELNS1_11target_archE906ELNS1_3gpuE6ELNS1_3repE0EEENS1_30default_config_static_selectorELNS0_4arch9wavefront6targetE1EEEvT1_: ; @_ZN7rocprim17ROCPRIM_400000_NS6detail17trampoline_kernelINS0_14default_configENS1_20scan_config_selectorIN3c107complexIfEEEEZZNS1_9scan_implILNS1_25lookback_scan_determinismE0ELb0ELb0ES3_PKS7_PS7_S7_ZZZN2at6native31launch_logcumsumexp_cuda_kernelERKNSE_10TensorBaseESI_lENKUlvE_clEvENKUlvE2_clEvEUlS7_S7_E_S7_EEDaPvRmT3_T4_T5_mT6_P12ihipStream_tbENKUlT_T0_E_clISt17integral_constantIbLb0EESZ_EEDaSU_SV_EUlSU_E_NS1_11comp_targetILNS1_3genE2ELNS1_11target_archE906ELNS1_3gpuE6ELNS1_3repE0EEENS1_30default_config_static_selectorELNS0_4arch9wavefront6targetE1EEEvT1_
; %bb.0:
	s_mov_b64 s[20:21], s[4:5]
	s_load_dwordx8 s[36:43], s[4:5], 0x0
	s_nop 0
	s_load_dword s4, s[4:5], 0x38
	s_add_u32 s0, s0, s7
	s_addc_u32 s1, s1, 0
	s_mov_b32 s24, s6
	s_waitcnt lgkmcnt(0)
	s_lshl_b64 s[26:27], s[38:39], 3
	s_add_u32 s6, s36, s26
	s_addc_u32 s7, s37, s27
	s_add_i32 s8, s4, -1
	s_mul_i32 s9, s8, 0x380
	s_sub_u32 s33, s42, s9
	s_subb_u32 s52, s43, 0
	s_mov_b32 s5, 0
	s_mul_i32 s4, s24, 0x380
	s_cmp_lg_u32 s24, s8
	s_cselect_b64 s[28:29], -1, 0
	s_lshl_b64 s[34:35], s[4:5], 3
	v_mov_b32_e32 v78, v0
	s_add_u32 s6, s6, s34
	s_addc_u32 s7, s7, s35
	s_mov_b64 s[4:5], -1
	s_and_b64 vcc, exec, s[28:29]
	v_lshlrev_b32_e32 v80, 3, v78
	s_mov_b32 s32, 0
	s_cbranch_vccz .LBB268_2
; %bb.1:
	v_mov_b32_e32 v0, s7
	v_add_co_u32_e32 v16, vcc, s6, v80
	v_addc_co_u32_e32 v17, vcc, 0, v0, vcc
	v_add_co_u32_e32 v16, vcc, 0x1000, v16
	v_addc_co_u32_e32 v17, vcc, 0, v17, vcc
	global_load_dwordx2 v[0:1], v80, s[6:7]
	global_load_dwordx2 v[2:3], v80, s[6:7] offset:512
	global_load_dwordx2 v[4:5], v80, s[6:7] offset:1024
	;; [unrolled: 1-line block ×7, first 2 shown]
	global_load_dwordx2 v[18:19], v[16:17], off
	global_load_dwordx2 v[20:21], v[16:17], off offset:512
	global_load_dwordx2 v[22:23], v[16:17], off offset:1024
	;; [unrolled: 1-line block ×5, first 2 shown]
	s_mov_b64 s[4:5], 0
	s_waitcnt vmcnt(12)
	ds_write2st64_b64 v80, v[0:1], v[2:3] offset1:1
	s_waitcnt vmcnt(10)
	ds_write2st64_b64 v80, v[4:5], v[6:7] offset0:2 offset1:3
	s_waitcnt vmcnt(8)
	ds_write2st64_b64 v80, v[8:9], v[10:11] offset0:4 offset1:5
	;; [unrolled: 2-line block ×6, first 2 shown]
	s_waitcnt lgkmcnt(0)
	; wave barrier
.LBB268_2:
	s_load_dwordx2 s[36:37], s[20:21], 0x30
	s_andn2_b64 vcc, exec, s[4:5]
	v_cmp_gt_u32_e64 s[4:5], s33, v78
	s_cbranch_vccnz .LBB268_32
; %bb.3:
	s_load_dwordx2 s[8:9], s[6:7], 0x0
	s_waitcnt lgkmcnt(0)
	v_mov_b32_e32 v1, s9
	v_mov_b32_e32 v0, s8
	s_and_saveexec_b64 s[10:11], s[4:5]
	s_cbranch_execz .LBB268_5
; %bb.4:
	global_load_dwordx2 v[0:1], v80, s[6:7]
.LBB268_5:
	s_or_b64 exec, exec, s[10:11]
	v_or_b32_e32 v2, 64, v78
	v_cmp_gt_u32_e32 vcc, s33, v2
	v_mov_b32_e32 v3, s9
	v_mov_b32_e32 v2, s8
	s_and_saveexec_b64 s[4:5], vcc
	s_cbranch_execz .LBB268_7
; %bb.6:
	global_load_dwordx2 v[2:3], v80, s[6:7] offset:512
.LBB268_7:
	s_or_b64 exec, exec, s[4:5]
	v_or_b32_e32 v4, 0x80, v78
	v_cmp_gt_u32_e32 vcc, s33, v4
	v_mov_b32_e32 v5, s9
	v_mov_b32_e32 v4, s8
	s_and_saveexec_b64 s[4:5], vcc
	s_cbranch_execz .LBB268_9
; %bb.8:
	global_load_dwordx2 v[4:5], v80, s[6:7] offset:1024
.LBB268_9:
	;; [unrolled: 10-line block ×7, first 2 shown]
	s_or_b64 exec, exec, s[4:5]
	v_or_b32_e32 v18, 0x200, v78
	v_cmp_gt_u32_e32 vcc, s33, v18
	v_mov_b32_e32 v17, s9
	v_mov_b32_e32 v16, s8
	s_and_saveexec_b64 s[4:5], vcc
	s_cbranch_execz .LBB268_21
; %bb.20:
	v_lshlrev_b32_e32 v16, 3, v18
	global_load_dwordx2 v[16:17], v16, s[6:7]
.LBB268_21:
	s_or_b64 exec, exec, s[4:5]
	v_or_b32_e32 v20, 0x240, v78
	v_cmp_gt_u32_e32 vcc, s33, v20
	v_mov_b32_e32 v19, s9
	v_mov_b32_e32 v18, s8
	s_and_saveexec_b64 s[4:5], vcc
	s_cbranch_execz .LBB268_23
; %bb.22:
	v_lshlrev_b32_e32 v18, 3, v20
	global_load_dwordx2 v[18:19], v18, s[6:7]
.LBB268_23:
	;; [unrolled: 11-line block ×6, first 2 shown]
	s_or_b64 exec, exec, s[4:5]
	s_waitcnt vmcnt(0)
	ds_write2st64_b64 v80, v[0:1], v[2:3] offset1:1
	ds_write2st64_b64 v80, v[4:5], v[6:7] offset0:2 offset1:3
	ds_write2st64_b64 v80, v[8:9], v[10:11] offset0:4 offset1:5
	;; [unrolled: 1-line block ×6, first 2 shown]
	s_waitcnt lgkmcnt(0)
	; wave barrier
.LBB268_32:
	v_mul_u32_u24_e32 v81, 0x70, v78
	s_waitcnt lgkmcnt(0)
	ds_read_b128 v[22:25], v81
	ds_read_b128 v[46:49], v81 offset:16
	ds_read_b128 v[42:45], v81 offset:32
	;; [unrolled: 1-line block ×6, first 2 shown]
	s_cmp_lg_u32 s24, 0
	s_waitcnt lgkmcnt(0)
	; wave barrier
	s_cbranch_scc0 .LBB268_93
; %bb.33:
	s_getpc_b64 s[22:23]
	s_add_u32 s22, s22, _ZZZZN2at6native31launch_logcumsumexp_cuda_kernelERKNS_10TensorBaseES3_lENKUlvE_clEvENKUlvE2_clEvENKUlN3c107complexIfEES8_E_clES8_S8_@rel32@lo+4
	s_addc_u32 s23, s23, _ZZZZN2at6native31launch_logcumsumexp_cuda_kernelERKNS_10TensorBaseES3_lENKUlvE_clEvENKUlvE2_clEvENKUlN3c107complexIfEES8_E_clES8_S8_@rel32@hi+12
	v_mov_b32_e32 v0, v22
	v_mov_b32_e32 v1, v23
	;; [unrolled: 1-line block ×4, first 2 shown]
	s_swappc_b64 s[30:31], s[22:23]
	v_mov_b32_e32 v2, v46
	v_mov_b32_e32 v3, v47
	s_swappc_b64 s[30:31], s[22:23]
	v_mov_b32_e32 v2, v48
	v_mov_b32_e32 v3, v49
	;; [unrolled: 3-line block ×12, first 2 shown]
	s_swappc_b64 s[30:31], s[22:23]
	v_mov_b32_e32 v2, v0
	v_mbcnt_lo_u32_b32 v0, -1, 0
	v_mbcnt_hi_u32_b32 v58, -1, v0
	v_mov_b32_e32 v3, v1
	v_and_b32_e32 v50, 15, v58
	v_mov_b32_dpp v0, v2 row_shr:1 row_mask:0xf bank_mask:0xf
	v_mov_b32_dpp v1, v3 row_shr:1 row_mask:0xf bank_mask:0xf
	v_cmp_ne_u32_e32 vcc, 0, v50
	s_and_saveexec_b64 s[38:39], vcc
	s_cbranch_execz .LBB268_35
; %bb.34:
	s_swappc_b64 s[30:31], s[22:23]
	v_mov_b32_e32 v2, v0
	v_mov_b32_e32 v3, v1
.LBB268_35:
	s_or_b64 exec, exec, s[38:39]
	v_mov_b32_dpp v0, v2 row_shr:2 row_mask:0xf bank_mask:0xf
	v_mov_b32_dpp v1, v3 row_shr:2 row_mask:0xf bank_mask:0xf
	v_cmp_lt_u32_e32 vcc, 1, v50
	s_and_saveexec_b64 s[22:23], vcc
	s_cbranch_execz .LBB268_37
; %bb.36:
	s_getpc_b64 s[4:5]
	s_add_u32 s4, s4, _ZZZZN2at6native31launch_logcumsumexp_cuda_kernelERKNS_10TensorBaseES3_lENKUlvE_clEvENKUlvE2_clEvENKUlN3c107complexIfEES8_E_clES8_S8_@rel32@lo+4
	s_addc_u32 s5, s5, _ZZZZN2at6native31launch_logcumsumexp_cuda_kernelERKNS_10TensorBaseES3_lENKUlvE_clEvENKUlvE2_clEvENKUlN3c107complexIfEES8_E_clES8_S8_@rel32@hi+12
	s_swappc_b64 s[30:31], s[4:5]
	v_mov_b32_e32 v2, v0
	v_mov_b32_e32 v3, v1
.LBB268_37:
	s_or_b64 exec, exec, s[22:23]
	v_mov_b32_dpp v0, v2 row_shr:4 row_mask:0xf bank_mask:0xf
	v_mov_b32_dpp v1, v3 row_shr:4 row_mask:0xf bank_mask:0xf
	v_cmp_lt_u32_e32 vcc, 3, v50
	s_and_saveexec_b64 s[22:23], vcc
	s_cbranch_execz .LBB268_39
; %bb.38:
	s_getpc_b64 s[4:5]
	s_add_u32 s4, s4, _ZZZZN2at6native31launch_logcumsumexp_cuda_kernelERKNS_10TensorBaseES3_lENKUlvE_clEvENKUlvE2_clEvENKUlN3c107complexIfEES8_E_clES8_S8_@rel32@lo+4
	s_addc_u32 s5, s5, _ZZZZN2at6native31launch_logcumsumexp_cuda_kernelERKNS_10TensorBaseES3_lENKUlvE_clEvENKUlvE2_clEvENKUlN3c107complexIfEES8_E_clES8_S8_@rel32@hi+12
	s_swappc_b64 s[30:31], s[4:5]
	v_mov_b32_e32 v2, v0
	v_mov_b32_e32 v3, v1
.LBB268_39:
	;; [unrolled: 14-line block ×3, first 2 shown]
	s_or_b64 exec, exec, s[22:23]
	v_and_b32_e32 v4, 16, v58
	v_mov_b32_dpp v0, v2 row_bcast:15 row_mask:0xf bank_mask:0xf
	v_mov_b32_dpp v1, v3 row_bcast:15 row_mask:0xf bank_mask:0xf
	v_cmp_ne_u32_e32 vcc, 0, v4
	s_and_saveexec_b64 s[22:23], vcc
	s_cbranch_execz .LBB268_43
; %bb.42:
	s_getpc_b64 s[4:5]
	s_add_u32 s4, s4, _ZZZZN2at6native31launch_logcumsumexp_cuda_kernelERKNS_10TensorBaseES3_lENKUlvE_clEvENKUlvE2_clEvENKUlN3c107complexIfEES8_E_clES8_S8_@rel32@lo+4
	s_addc_u32 s5, s5, _ZZZZN2at6native31launch_logcumsumexp_cuda_kernelERKNS_10TensorBaseES3_lENKUlvE_clEvENKUlvE2_clEvENKUlN3c107complexIfEES8_E_clES8_S8_@rel32@hi+12
	s_swappc_b64 s[30:31], s[4:5]
	v_mov_b32_e32 v2, v0
	v_mov_b32_e32 v3, v1
.LBB268_43:
	s_or_b64 exec, exec, s[22:23]
	v_mov_b32_dpp v0, v2 row_bcast:31 row_mask:0xf bank_mask:0xf
	v_mov_b32_dpp v1, v3 row_bcast:31 row_mask:0xf bank_mask:0xf
	v_cmp_lt_u32_e32 vcc, 31, v58
	s_and_saveexec_b64 s[22:23], vcc
	s_cbranch_execz .LBB268_45
; %bb.44:
	s_getpc_b64 s[4:5]
	s_add_u32 s4, s4, _ZZZZN2at6native31launch_logcumsumexp_cuda_kernelERKNS_10TensorBaseES3_lENKUlvE_clEvENKUlvE2_clEvENKUlN3c107complexIfEES8_E_clES8_S8_@rel32@lo+4
	s_addc_u32 s5, s5, _ZZZZN2at6native31launch_logcumsumexp_cuda_kernelERKNS_10TensorBaseES3_lENKUlvE_clEvENKUlvE2_clEvENKUlN3c107complexIfEES8_E_clES8_S8_@rel32@hi+12
	s_swappc_b64 s[30:31], s[4:5]
	v_mov_b32_e32 v2, v0
	v_mov_b32_e32 v3, v1
.LBB268_45:
	s_or_b64 exec, exec, s[22:23]
	v_cmp_eq_u32_e32 vcc, 63, v78
	s_and_saveexec_b64 s[4:5], vcc
; %bb.46:
	v_mov_b32_e32 v0, 0
	ds_write_b64 v0, v[2:3]
; %bb.47:
	s_or_b64 exec, exec, s[4:5]
	v_subrev_co_u32_e64 v0, s[22:23], 1, v58
	v_and_b32_e32 v1, 64, v58
	v_cmp_lt_i32_e32 vcc, v0, v1
	v_cndmask_b32_e32 v0, v0, v58, vcc
	v_lshlrev_b32_e32 v0, 2, v0
	v_mov_b32_e32 v53, 0
	s_waitcnt lgkmcnt(0)
	; wave barrier
	ds_bpermute_b32 v61, v0, v2
	ds_bpermute_b32 v62, v0, v3
	ds_read_b64 v[50:51], v53
	s_and_saveexec_b64 s[4:5], s[22:23]
	s_cbranch_execz .LBB268_49
; %bb.48:
	s_add_i32 s6, s24, 64
	s_mov_b32 s7, 0
	s_lshl_b64 s[6:7], s[6:7], 4
	s_add_u32 s6, s36, s6
	s_addc_u32 s7, s37, s7
	v_mov_b32_e32 v0, s6
	v_mov_b32_e32 v52, 1
	;; [unrolled: 1-line block ×3, first 2 shown]
	s_waitcnt lgkmcnt(0)
	;;#ASMSTART
	global_store_dwordx4 v[0:1], v[50:53] off	
s_waitcnt vmcnt(0)
	;;#ASMEND
.LBB268_49:
	s_or_b64 exec, exec, s[4:5]
	v_xad_u32 v69, v58, -1, s24
	v_add_u32_e32 v52, 64, v69
	v_lshlrev_b64 v[0:1], 4, v[52:53]
	v_mov_b32_e32 v2, s37
	v_add_co_u32_e32 v0, vcc, s36, v0
	v_addc_co_u32_e32 v1, vcc, v2, v1, vcc
	;;#ASMSTART
	global_load_dwordx4 v[54:57], v[0:1] off glc	
s_waitcnt vmcnt(0)
	;;#ASMEND
	v_cmp_eq_u16_sdwa s[6:7], v56, v53 src0_sel:BYTE_0 src1_sel:DWORD
	s_and_saveexec_b64 s[4:5], s[6:7]
	s_cbranch_execz .LBB268_53
; %bb.50:
	s_mov_b64 s[6:7], 0
	v_mov_b32_e32 v2, 0
.LBB268_51:                             ; =>This Inner Loop Header: Depth=1
	;;#ASMSTART
	global_load_dwordx4 v[54:57], v[0:1] off glc	
s_waitcnt vmcnt(0)
	;;#ASMEND
	v_cmp_ne_u16_sdwa s[8:9], v56, v2 src0_sel:BYTE_0 src1_sel:DWORD
	s_or_b64 s[6:7], s[8:9], s[6:7]
	s_andn2_b64 exec, exec, s[6:7]
	s_cbranch_execnz .LBB268_51
; %bb.52:
	s_or_b64 exec, exec, s[6:7]
.LBB268_53:
	s_or_b64 exec, exec, s[4:5]
	v_mov_b32_e32 v0, 2
	v_lshlrev_b64 v[65:66], v58, -1
	v_cmp_eq_u16_sdwa s[4:5], v56, v0 src0_sel:BYTE_0 src1_sel:DWORD
	v_and_b32_e32 v0, s5, v66
	v_and_b32_e32 v70, 63, v58
	v_or_b32_e32 v0, 0x80000000, v0
	v_cmp_ne_u32_e32 vcc, 63, v70
	v_ffbl_b32_e32 v3, v0
	v_addc_co_u32_e32 v0, vcc, 0, v58, vcc
	v_lshlrev_b32_e32 v71, 2, v0
	ds_bpermute_b32 v0, v71, v54
	ds_bpermute_b32 v1, v71, v55
	v_and_b32_e32 v2, s4, v65
	v_add_u32_e32 v3, 32, v3
	v_ffbl_b32_e32 v2, v2
	v_min_u32_e32 v52, v2, v3
	v_mov_b32_e32 v63, v23
	v_mov_b32_e32 v64, v22
	v_cmp_lt_u32_e32 vcc, v70, v52
	s_and_saveexec_b64 s[38:39], vcc
	s_cbranch_execz .LBB268_55
; %bb.54:
	s_getpc_b64 s[4:5]
	s_add_u32 s4, s4, _ZZZZN2at6native31launch_logcumsumexp_cuda_kernelERKNS_10TensorBaseES3_lENKUlvE_clEvENKUlvE2_clEvENKUlN3c107complexIfEES8_E_clES8_S8_@rel32@lo+4
	s_addc_u32 s5, s5, _ZZZZN2at6native31launch_logcumsumexp_cuda_kernelERKNS_10TensorBaseES3_lENKUlvE_clEvENKUlvE2_clEvENKUlN3c107complexIfEES8_E_clES8_S8_@rel32@hi+12
	v_mov_b32_e32 v2, v54
	v_mov_b32_e32 v3, v55
	s_swappc_b64 s[30:31], s[4:5]
	v_mov_b32_e32 v54, v0
	v_mov_b32_e32 v55, v1
.LBB268_55:
	s_or_b64 exec, exec, s[38:39]
	v_cmp_gt_u32_e32 vcc, 62, v70
	s_waitcnt lgkmcnt(1)
	v_cndmask_b32_e64 v0, 0, 2, vcc
	v_add_lshl_u32 v72, v0, v58, 2
	ds_bpermute_b32 v0, v72, v54
	s_waitcnt lgkmcnt(1)
	ds_bpermute_b32 v1, v72, v55
	v_add_u32_e32 v73, 2, v70
	v_cmp_le_u32_e32 vcc, v73, v52
	s_and_saveexec_b64 s[38:39], vcc
	s_cbranch_execz .LBB268_57
; %bb.56:
	s_getpc_b64 s[4:5]
	s_add_u32 s4, s4, _ZZZZN2at6native31launch_logcumsumexp_cuda_kernelERKNS_10TensorBaseES3_lENKUlvE_clEvENKUlvE2_clEvENKUlN3c107complexIfEES8_E_clES8_S8_@rel32@lo+4
	s_addc_u32 s5, s5, _ZZZZN2at6native31launch_logcumsumexp_cuda_kernelERKNS_10TensorBaseES3_lENKUlvE_clEvENKUlvE2_clEvENKUlN3c107complexIfEES8_E_clES8_S8_@rel32@hi+12
	v_mov_b32_e32 v2, v54
	v_mov_b32_e32 v3, v55
	s_swappc_b64 s[30:31], s[4:5]
	v_mov_b32_e32 v54, v0
	v_mov_b32_e32 v55, v1
.LBB268_57:
	s_or_b64 exec, exec, s[38:39]
	v_cmp_gt_u32_e32 vcc, 60, v70
	s_waitcnt lgkmcnt(1)
	v_cndmask_b32_e64 v0, 0, 4, vcc
	v_add_lshl_u32 v74, v0, v58, 2
	ds_bpermute_b32 v0, v74, v54
	s_waitcnt lgkmcnt(1)
	ds_bpermute_b32 v1, v74, v55
	v_add_u32_e32 v75, 4, v70
	v_cmp_le_u32_e32 vcc, v75, v52
	;; [unrolled: 22-line block ×4, first 2 shown]
	s_and_saveexec_b64 s[38:39], vcc
	s_cbranch_execz .LBB268_63
; %bb.62:
	s_getpc_b64 s[4:5]
	s_add_u32 s4, s4, _ZZZZN2at6native31launch_logcumsumexp_cuda_kernelERKNS_10TensorBaseES3_lENKUlvE_clEvENKUlvE2_clEvENKUlN3c107complexIfEES8_E_clES8_S8_@rel32@lo+4
	s_addc_u32 s5, s5, _ZZZZN2at6native31launch_logcumsumexp_cuda_kernelERKNS_10TensorBaseES3_lENKUlvE_clEvENKUlvE2_clEvENKUlN3c107complexIfEES8_E_clES8_S8_@rel32@hi+12
	v_mov_b32_e32 v2, v54
	v_mov_b32_e32 v3, v55
	s_swappc_b64 s[30:31], s[4:5]
	v_mov_b32_e32 v54, v0
	v_mov_b32_e32 v55, v1
.LBB268_63:
	s_or_b64 exec, exec, s[38:39]
	s_waitcnt lgkmcnt(1)
	v_mov_b32_e32 v0, 0x80
	v_lshl_or_b32 v84, v58, 2, v0
	ds_bpermute_b32 v57, v84, v54
	ds_bpermute_b32 v58, v84, v55
	v_add_u32_e32 v83, 32, v70
	v_cmp_le_u32_e64 s[38:39], v83, v52
	v_mov_b32_e32 v68, 0
	v_mov_b32_e32 v85, 2
	;; [unrolled: 1-line block ×6, first 2 shown]
.LBB268_64:                             ; =>This Loop Header: Depth=1
                                        ;     Child Loop BB268_69 Depth 2
	s_waitcnt lgkmcnt(1)
	v_mov_b32_e32 v0, v56
	v_mov_b32_e32 v67, v69
	;; [unrolled: 1-line block ×4, first 2 shown]
	s_and_saveexec_b64 s[4:5], s[38:39]
	s_xor_b64 s[38:39], exec, s[4:5]
	s_cbranch_execz .LBB268_66
; %bb.65:                               ;   in Loop: Header=BB268_64 Depth=1
	s_getpc_b64 s[4:5]
	s_add_u32 s4, s4, _ZZZZN2at6native31launch_logcumsumexp_cuda_kernelERKNS_10TensorBaseES3_lENKUlvE_clEvENKUlvE2_clEvENKUlN3c107complexIfEES8_E_clES8_S8_@rel32@lo+4
	s_addc_u32 s5, s5, _ZZZZN2at6native31launch_logcumsumexp_cuda_kernelERKNS_10TensorBaseES3_lENKUlvE_clEvENKUlvE2_clEvENKUlN3c107complexIfEES8_E_clES8_S8_@rel32@hi+12
	s_waitcnt lgkmcnt(1)
	v_mov_b32_e32 v0, v57
	s_waitcnt lgkmcnt(0)
	v_mov_b32_e32 v1, v58
	s_swappc_b64 s[30:31], s[4:5]
	v_mov_b32_e32 v52, v0
	v_mov_b32_e32 v53, v1
	;; [unrolled: 1-line block ×4, first 2 shown]
.LBB268_66:                             ;   in Loop: Header=BB268_64 Depth=1
	s_or_b64 exec, exec, s[38:39]
	v_cmp_ne_u16_sdwa s[4:5], v0, v85 src0_sel:BYTE_0 src1_sel:DWORD
	s_mov_b64 s[38:39], -1
	s_cmp_lg_u64 s[4:5], exec
	s_mov_b64 s[4:5], -1
                                        ; implicit-def: $vgpr57
                                        ; implicit-def: $vgpr60
	s_cbranch_scc1 .LBB268_84
; %bb.67:                               ;   in Loop: Header=BB268_64 Depth=1
	s_waitcnt lgkmcnt(0)
	v_lshlrev_b64 v[0:1], 4, v[67:68]
	v_mov_b32_e32 v2, s37
	v_add_co_u32_e32 v0, vcc, s36, v0
	v_addc_co_u32_e32 v1, vcc, v2, v1, vcc
	s_waitcnt lgkmcnt(0)
	;;#ASMSTART
	global_load_dwordx4 v[57:60], v[0:1] off glc	
s_waitcnt vmcnt(0)
	;;#ASMEND
	v_cmp_eq_u16_sdwa s[6:7], v59, v68 src0_sel:BYTE_0 src1_sel:DWORD
	s_and_saveexec_b64 s[4:5], s[6:7]
	s_cbranch_execz .LBB268_71
; %bb.68:                               ;   in Loop: Header=BB268_64 Depth=1
	s_mov_b64 s[6:7], 0
.LBB268_69:                             ;   Parent Loop BB268_64 Depth=1
                                        ; =>  This Inner Loop Header: Depth=2
	;;#ASMSTART
	global_load_dwordx4 v[57:60], v[0:1] off glc	
s_waitcnt vmcnt(0)
	;;#ASMEND
	v_cmp_ne_u16_sdwa s[8:9], v59, v68 src0_sel:BYTE_0 src1_sel:DWORD
	s_or_b64 s[6:7], s[8:9], s[6:7]
	s_andn2_b64 exec, exec, s[6:7]
	s_cbranch_execnz .LBB268_69
; %bb.70:                               ;   in Loop: Header=BB268_64 Depth=1
	s_or_b64 exec, exec, s[6:7]
.LBB268_71:                             ;   in Loop: Header=BB268_64 Depth=1
	s_or_b64 exec, exec, s[4:5]
	v_cmp_eq_u16_sdwa s[4:5], v59, v85 src0_sel:BYTE_0 src1_sel:DWORD
	v_and_b32_e32 v0, s5, v66
	v_or_b32_e32 v0, 0x80000000, v0
	v_ffbl_b32_e32 v3, v0
	ds_bpermute_b32 v0, v71, v57
	ds_bpermute_b32 v1, v71, v58
	v_and_b32_e32 v2, s4, v65
	v_add_u32_e32 v3, 32, v3
	v_ffbl_b32_e32 v2, v2
	v_min_u32_e32 v60, v2, v3
	v_cmp_lt_u32_e32 vcc, v70, v60
	s_and_saveexec_b64 s[42:43], vcc
	s_cbranch_execz .LBB268_73
; %bb.72:                               ;   in Loop: Header=BB268_64 Depth=1
	s_getpc_b64 s[4:5]
	s_add_u32 s4, s4, _ZZZZN2at6native31launch_logcumsumexp_cuda_kernelERKNS_10TensorBaseES3_lENKUlvE_clEvENKUlvE2_clEvENKUlN3c107complexIfEES8_E_clES8_S8_@rel32@lo+4
	s_addc_u32 s5, s5, _ZZZZN2at6native31launch_logcumsumexp_cuda_kernelERKNS_10TensorBaseES3_lENKUlvE_clEvENKUlvE2_clEvENKUlN3c107complexIfEES8_E_clES8_S8_@rel32@hi+12
	v_mov_b32_e32 v2, v57
	v_mov_b32_e32 v3, v58
	s_swappc_b64 s[30:31], s[4:5]
	v_mov_b32_e32 v57, v0
	v_mov_b32_e32 v58, v1
.LBB268_73:                             ;   in Loop: Header=BB268_64 Depth=1
	s_or_b64 exec, exec, s[42:43]
	s_waitcnt lgkmcnt(1)
	ds_bpermute_b32 v0, v72, v57
	s_waitcnt lgkmcnt(1)
	ds_bpermute_b32 v1, v72, v58
	v_cmp_le_u32_e32 vcc, v73, v60
	s_and_saveexec_b64 s[42:43], vcc
	s_cbranch_execz .LBB268_75
; %bb.74:                               ;   in Loop: Header=BB268_64 Depth=1
	s_getpc_b64 s[4:5]
	s_add_u32 s4, s4, _ZZZZN2at6native31launch_logcumsumexp_cuda_kernelERKNS_10TensorBaseES3_lENKUlvE_clEvENKUlvE2_clEvENKUlN3c107complexIfEES8_E_clES8_S8_@rel32@lo+4
	s_addc_u32 s5, s5, _ZZZZN2at6native31launch_logcumsumexp_cuda_kernelERKNS_10TensorBaseES3_lENKUlvE_clEvENKUlvE2_clEvENKUlN3c107complexIfEES8_E_clES8_S8_@rel32@hi+12
	v_mov_b32_e32 v2, v57
	v_mov_b32_e32 v3, v58
	s_swappc_b64 s[30:31], s[4:5]
	v_mov_b32_e32 v57, v0
	v_mov_b32_e32 v58, v1
.LBB268_75:                             ;   in Loop: Header=BB268_64 Depth=1
	s_or_b64 exec, exec, s[42:43]
	s_waitcnt lgkmcnt(1)
	ds_bpermute_b32 v0, v74, v57
	s_waitcnt lgkmcnt(1)
	ds_bpermute_b32 v1, v74, v58
	v_cmp_le_u32_e32 vcc, v75, v60
	;; [unrolled: 18-line block ×5, first 2 shown]
	s_and_saveexec_b64 s[42:43], vcc
	s_cbranch_execz .LBB268_83
; %bb.82:                               ;   in Loop: Header=BB268_64 Depth=1
	s_getpc_b64 s[4:5]
	s_add_u32 s4, s4, _ZZZZN2at6native31launch_logcumsumexp_cuda_kernelERKNS_10TensorBaseES3_lENKUlvE_clEvENKUlvE2_clEvENKUlN3c107complexIfEES8_E_clES8_S8_@rel32@lo+4
	s_addc_u32 s5, s5, _ZZZZN2at6native31launch_logcumsumexp_cuda_kernelERKNS_10TensorBaseES3_lENKUlvE_clEvENKUlvE2_clEvENKUlN3c107complexIfEES8_E_clES8_S8_@rel32@hi+12
	v_mov_b32_e32 v2, v57
	v_mov_b32_e32 v3, v58
	s_swappc_b64 s[30:31], s[4:5]
	v_mov_b32_e32 v57, v0
	v_mov_b32_e32 v58, v1
.LBB268_83:                             ;   in Loop: Header=BB268_64 Depth=1
	s_or_b64 exec, exec, s[42:43]
	v_subrev_u32_e32 v60, 64, v67
	s_mov_b64 s[4:5], 0
.LBB268_84:                             ;   in Loop: Header=BB268_64 Depth=1
	s_and_b64 vcc, exec, s[4:5]
	s_cbranch_vccnz .LBB268_86
; %bb.85:                               ;   in Loop: Header=BB268_64 Depth=1
	v_mov_b32_e32 v3, v53
	v_mov_b32_e32 v2, v52
	s_branch .LBB268_64
.LBB268_86:
	s_and_saveexec_b64 s[38:39], s[22:23]
	s_cbranch_execz .LBB268_88
; %bb.87:
	s_getpc_b64 s[4:5]
	s_add_u32 s4, s4, _ZZZZN2at6native31launch_logcumsumexp_cuda_kernelERKNS_10TensorBaseES3_lENKUlvE_clEvENKUlvE2_clEvENKUlN3c107complexIfEES8_E_clES8_S8_@rel32@lo+4
	s_addc_u32 s5, s5, _ZZZZN2at6native31launch_logcumsumexp_cuda_kernelERKNS_10TensorBaseES3_lENKUlvE_clEvENKUlvE2_clEvENKUlN3c107complexIfEES8_E_clES8_S8_@rel32@hi+12
	s_waitcnt lgkmcnt(1)
	v_mov_b32_e32 v0, v52
	s_waitcnt lgkmcnt(0)
	v_mov_b32_e32 v1, v53
	v_mov_b32_e32 v2, v50
	;; [unrolled: 1-line block ×3, first 2 shown]
	s_swappc_b64 s[30:31], s[4:5]
	s_add_i32 s4, s24, 64
	s_mov_b32 s5, 0
	s_lshl_b64 s[4:5], s[4:5], 4
	s_add_u32 s4, s36, s4
	s_addc_u32 s5, s37, s5
	v_mov_b32_e32 v4, s4
	v_mov_b32_e32 v2, 2
	;; [unrolled: 1-line block ×4, first 2 shown]
	;;#ASMSTART
	global_store_dwordx4 v[4:5], v[0:3] off	
s_waitcnt vmcnt(0)
	;;#ASMEND
.LBB268_88:
	s_or_b64 exec, exec, s[38:39]
	v_cmp_ne_u32_e32 vcc, 0, v78
	v_cmp_eq_u32_e64 s[4:5], 0, v78
	s_and_saveexec_b64 s[6:7], s[4:5]
	s_cbranch_execz .LBB268_90
; %bb.89:
	s_waitcnt lgkmcnt(1)
	v_mov_b32_e32 v0, 0
	ds_write_b64 v0, v[52:53]
.LBB268_90:
	s_or_b64 exec, exec, s[6:7]
	s_waitcnt lgkmcnt(1)
	v_mov_b32_e32 v0, 0
	s_waitcnt lgkmcnt(0)
	; wave barrier
	ds_read_b64 v[50:51], v0
	s_and_saveexec_b64 s[22:23], vcc
	s_cbranch_execz .LBB268_92
; %bb.91:
	s_getpc_b64 s[4:5]
	s_add_u32 s4, s4, _ZZZZN2at6native31launch_logcumsumexp_cuda_kernelERKNS_10TensorBaseES3_lENKUlvE_clEvENKUlvE2_clEvENKUlN3c107complexIfEES8_E_clES8_S8_@rel32@lo+4
	s_addc_u32 s5, s5, _ZZZZN2at6native31launch_logcumsumexp_cuda_kernelERKNS_10TensorBaseES3_lENKUlvE_clEvENKUlvE2_clEvENKUlN3c107complexIfEES8_E_clES8_S8_@rel32@hi+12
	v_mov_b32_e32 v0, v61
	v_mov_b32_e32 v1, v62
	;; [unrolled: 1-line block ×4, first 2 shown]
	s_swappc_b64 s[30:31], s[4:5]
	v_mov_b32_e32 v64, v0
	v_mov_b32_e32 v63, v1
.LBB268_92:
	s_or_b64 exec, exec, s[22:23]
	s_getpc_b64 s[22:23]
	s_add_u32 s22, s22, _ZZZZN2at6native31launch_logcumsumexp_cuda_kernelERKNS_10TensorBaseES3_lENKUlvE_clEvENKUlvE2_clEvENKUlN3c107complexIfEES8_E_clES8_S8_@rel32@lo+4
	s_addc_u32 s23, s23, _ZZZZN2at6native31launch_logcumsumexp_cuda_kernelERKNS_10TensorBaseES3_lENKUlvE_clEvENKUlvE2_clEvENKUlN3c107complexIfEES8_E_clES8_S8_@rel32@hi+12
	s_waitcnt lgkmcnt(0)
	v_mov_b32_e32 v0, v50
	v_mov_b32_e32 v1, v51
	v_mov_b32_e32 v2, v64
	v_mov_b32_e32 v3, v63
	s_swappc_b64 s[30:31], s[22:23]
	v_mov_b32_e32 v2, v24
	v_mov_b32_e32 v3, v25
	v_mov_b32_e32 v50, v0
	v_mov_b32_e32 v51, v1
	s_swappc_b64 s[30:31], s[22:23]
	;; [unrolled: 5-line block ×14, first 2 shown]
	v_mov_b32_e32 v76, v0
	v_mov_b32_e32 v77, v1
	s_load_dwordx8 s[44:51], s[20:21], 0x40
	s_branch .LBB268_115
.LBB268_93:
                                        ; implicit-def: $vgpr52
                                        ; implicit-def: $vgpr54
                                        ; implicit-def: $vgpr58
                                        ; implicit-def: $vgpr62
                                        ; implicit-def: $vgpr66
                                        ; implicit-def: $vgpr70
                                        ; implicit-def: $vgpr74
	s_load_dwordx8 s[44:51], s[20:21], 0x40
	s_cbranch_execz .LBB268_115
; %bb.94:
	s_waitcnt lgkmcnt(0)
	s_cmp_lg_u64 s[48:49], 0
	s_cselect_b64 s[4:5], -1, 0
	v_cmp_eq_u32_e32 vcc, 0, v78
	v_cmp_ne_u32_e64 s[20:21], 0, v78
	s_and_b64 s[4:5], vcc, s[4:5]
	s_and_saveexec_b64 s[22:23], s[4:5]
	s_cbranch_execz .LBB268_96
; %bb.95:
	v_mov_b32_e32 v0, 0
	global_load_dwordx2 v[0:1], v0, s[44:45]
	s_getpc_b64 s[4:5]
	s_add_u32 s4, s4, _ZZZZN2at6native31launch_logcumsumexp_cuda_kernelERKNS_10TensorBaseES3_lENKUlvE_clEvENKUlvE2_clEvENKUlN3c107complexIfEES8_E_clES8_S8_@rel32@lo+4
	s_addc_u32 s5, s5, _ZZZZN2at6native31launch_logcumsumexp_cuda_kernelERKNS_10TensorBaseES3_lENKUlvE_clEvENKUlvE2_clEvENKUlN3c107complexIfEES8_E_clES8_S8_@rel32@hi+12
	v_mov_b32_e32 v2, v22
	v_mov_b32_e32 v3, v23
	s_swappc_b64 s[30:31], s[4:5]
	v_mov_b32_e32 v22, v0
	v_mov_b32_e32 v23, v1
.LBB268_96:
	s_or_b64 exec, exec, s[22:23]
	s_getpc_b64 s[22:23]
	s_add_u32 s22, s22, _ZZZZN2at6native31launch_logcumsumexp_cuda_kernelERKNS_10TensorBaseES3_lENKUlvE_clEvENKUlvE2_clEvENKUlN3c107complexIfEES8_E_clES8_S8_@rel32@lo+4
	s_addc_u32 s23, s23, _ZZZZN2at6native31launch_logcumsumexp_cuda_kernelERKNS_10TensorBaseES3_lENKUlvE_clEvENKUlvE2_clEvENKUlN3c107complexIfEES8_E_clES8_S8_@rel32@hi+12
	v_mov_b32_e32 v0, v22
	v_mov_b32_e32 v1, v23
	v_mov_b32_e32 v2, v24
	v_mov_b32_e32 v3, v25
	s_swappc_b64 s[30:31], s[22:23]
	v_mov_b32_e32 v2, v46
	v_mov_b32_e32 v3, v47
	v_mov_b32_e32 v52, v0
	v_mov_b32_e32 v53, v1
	s_swappc_b64 s[30:31], s[22:23]
	;; [unrolled: 5-line block ×13, first 2 shown]
	v_mov_b32_e32 v76, v0
	v_mbcnt_lo_u32_b32 v0, -1, 0
	v_mbcnt_hi_u32_b32 v50, -1, v0
	v_mov_b32_e32 v77, v1
	v_and_b32_e32 v51, 15, v50
	v_mov_b32_dpp v0, v76 row_shr:1 row_mask:0xf bank_mask:0xf
	v_mov_b32_dpp v1, v77 row_shr:1 row_mask:0xf bank_mask:0xf
	v_cmp_ne_u32_e32 vcc, 0, v51
	v_mov_b32_e32 v5, v77
	v_mov_b32_e32 v4, v76
	;; [unrolled: 1-line block ×4, first 2 shown]
	s_and_saveexec_b64 s[24:25], vcc
	s_cbranch_execz .LBB268_98
; %bb.97:
	v_mov_b32_e32 v2, v76
	v_mov_b32_e32 v3, v77
	s_swappc_b64 s[30:31], s[22:23]
	v_mov_b32_e32 v4, v0
	v_mov_b32_e32 v5, v1
	;; [unrolled: 1-line block ×4, first 2 shown]
.LBB268_98:
	s_or_b64 exec, exec, s[24:25]
	v_mov_b32_dpp v0, v4 row_shr:2 row_mask:0xf bank_mask:0xf
	v_mov_b32_dpp v1, v5 row_shr:2 row_mask:0xf bank_mask:0xf
	v_cmp_lt_u32_e32 vcc, 1, v51
	s_and_saveexec_b64 s[22:23], vcc
	s_cbranch_execz .LBB268_100
; %bb.99:
	s_getpc_b64 s[4:5]
	s_add_u32 s4, s4, _ZZZZN2at6native31launch_logcumsumexp_cuda_kernelERKNS_10TensorBaseES3_lENKUlvE_clEvENKUlvE2_clEvENKUlN3c107complexIfEES8_E_clES8_S8_@rel32@lo+4
	s_addc_u32 s5, s5, _ZZZZN2at6native31launch_logcumsumexp_cuda_kernelERKNS_10TensorBaseES3_lENKUlvE_clEvENKUlvE2_clEvENKUlN3c107complexIfEES8_E_clES8_S8_@rel32@hi+12
	s_swappc_b64 s[30:31], s[4:5]
	v_mov_b32_e32 v4, v0
	v_mov_b32_e32 v5, v1
.LBB268_100:
	s_or_b64 exec, exec, s[22:23]
	v_mov_b32_dpp v0, v4 row_shr:4 row_mask:0xf bank_mask:0xf
	v_mov_b32_dpp v1, v5 row_shr:4 row_mask:0xf bank_mask:0xf
	v_cmp_lt_u32_e32 vcc, 3, v51
	s_and_saveexec_b64 s[22:23], vcc
	s_cbranch_execz .LBB268_102
; %bb.101:
	s_getpc_b64 s[4:5]
	s_add_u32 s4, s4, _ZZZZN2at6native31launch_logcumsumexp_cuda_kernelERKNS_10TensorBaseES3_lENKUlvE_clEvENKUlvE2_clEvENKUlN3c107complexIfEES8_E_clES8_S8_@rel32@lo+4
	s_addc_u32 s5, s5, _ZZZZN2at6native31launch_logcumsumexp_cuda_kernelERKNS_10TensorBaseES3_lENKUlvE_clEvENKUlvE2_clEvENKUlN3c107complexIfEES8_E_clES8_S8_@rel32@hi+12
	v_mov_b32_e32 v2, v4
	v_mov_b32_e32 v3, v5
	s_swappc_b64 s[30:31], s[4:5]
	v_mov_b32_e32 v4, v0
	v_mov_b32_e32 v5, v1
.LBB268_102:
	s_or_b64 exec, exec, s[22:23]
	v_mov_b32_dpp v0, v4 row_shr:8 row_mask:0xf bank_mask:0xf
	v_mov_b32_dpp v1, v5 row_shr:8 row_mask:0xf bank_mask:0xf
	v_cmp_lt_u32_e32 vcc, 7, v51
	s_and_saveexec_b64 s[22:23], vcc
	s_cbranch_execz .LBB268_104
; %bb.103:
	s_getpc_b64 s[4:5]
	s_add_u32 s4, s4, _ZZZZN2at6native31launch_logcumsumexp_cuda_kernelERKNS_10TensorBaseES3_lENKUlvE_clEvENKUlvE2_clEvENKUlN3c107complexIfEES8_E_clES8_S8_@rel32@lo+4
	s_addc_u32 s5, s5, _ZZZZN2at6native31launch_logcumsumexp_cuda_kernelERKNS_10TensorBaseES3_lENKUlvE_clEvENKUlvE2_clEvENKUlN3c107complexIfEES8_E_clES8_S8_@rel32@hi+12
	v_mov_b32_e32 v2, v4
	v_mov_b32_e32 v3, v5
	s_swappc_b64 s[30:31], s[4:5]
	v_mov_b32_e32 v4, v0
	v_mov_b32_e32 v5, v1
.LBB268_104:
	s_or_b64 exec, exec, s[22:23]
	v_and_b32_e32 v2, 16, v50
	v_mov_b32_dpp v0, v4 row_bcast:15 row_mask:0xf bank_mask:0xf
	v_mov_b32_dpp v1, v5 row_bcast:15 row_mask:0xf bank_mask:0xf
	v_cmp_ne_u32_e32 vcc, 0, v2
	s_and_saveexec_b64 s[22:23], vcc
	s_cbranch_execz .LBB268_106
; %bb.105:
	s_getpc_b64 s[4:5]
	s_add_u32 s4, s4, _ZZZZN2at6native31launch_logcumsumexp_cuda_kernelERKNS_10TensorBaseES3_lENKUlvE_clEvENKUlvE2_clEvENKUlN3c107complexIfEES8_E_clES8_S8_@rel32@lo+4
	s_addc_u32 s5, s5, _ZZZZN2at6native31launch_logcumsumexp_cuda_kernelERKNS_10TensorBaseES3_lENKUlvE_clEvENKUlvE2_clEvENKUlN3c107complexIfEES8_E_clES8_S8_@rel32@hi+12
	v_mov_b32_e32 v2, v4
	v_mov_b32_e32 v3, v5
	s_swappc_b64 s[30:31], s[4:5]
	v_mov_b32_e32 v4, v0
	v_mov_b32_e32 v5, v1
.LBB268_106:
	s_or_b64 exec, exec, s[22:23]
	v_mov_b32_dpp v0, v4 row_bcast:31 row_mask:0xf bank_mask:0xf
	v_mov_b32_dpp v1, v5 row_bcast:31 row_mask:0xf bank_mask:0xf
	v_cmp_lt_u32_e32 vcc, 31, v50
	s_and_saveexec_b64 s[22:23], vcc
	s_cbranch_execz .LBB268_108
; %bb.107:
	s_getpc_b64 s[4:5]
	s_add_u32 s4, s4, _ZZZZN2at6native31launch_logcumsumexp_cuda_kernelERKNS_10TensorBaseES3_lENKUlvE_clEvENKUlvE2_clEvENKUlN3c107complexIfEES8_E_clES8_S8_@rel32@lo+4
	s_addc_u32 s5, s5, _ZZZZN2at6native31launch_logcumsumexp_cuda_kernelERKNS_10TensorBaseES3_lENKUlvE_clEvENKUlvE2_clEvENKUlN3c107complexIfEES8_E_clES8_S8_@rel32@hi+12
	v_mov_b32_e32 v2, v4
	v_mov_b32_e32 v3, v5
	s_swappc_b64 s[30:31], s[4:5]
	v_mov_b32_e32 v4, v0
	v_mov_b32_e32 v5, v1
.LBB268_108:
	s_or_b64 exec, exec, s[22:23]
	v_cmp_eq_u32_e64 s[22:23], 63, v78
	s_and_saveexec_b64 s[4:5], s[22:23]
; %bb.109:
	v_mov_b32_e32 v0, 0
	ds_write_b64 v0, v[4:5]
; %bb.110:
	s_or_b64 exec, exec, s[4:5]
	v_add_u32_e32 v0, -1, v50
	v_and_b32_e32 v1, 64, v50
	v_cmp_lt_i32_e32 vcc, v0, v1
	v_cndmask_b32_e32 v0, v0, v50, vcc
	v_lshlrev_b32_e32 v1, 2, v0
	ds_bpermute_b32 v0, v1, v4
	ds_bpermute_b32 v1, v1, v5
	s_waitcnt lgkmcnt(0)
	; wave barrier
	s_and_saveexec_b64 s[24:25], s[20:21]
	s_cbranch_execz .LBB268_112
; %bb.111:
	s_getpc_b64 s[20:21]
	s_add_u32 s20, s20, _ZZZZN2at6native31launch_logcumsumexp_cuda_kernelERKNS_10TensorBaseES3_lENKUlvE_clEvENKUlvE2_clEvENKUlN3c107complexIfEES8_E_clES8_S8_@rel32@lo+4
	s_addc_u32 s21, s21, _ZZZZN2at6native31launch_logcumsumexp_cuda_kernelERKNS_10TensorBaseES3_lENKUlvE_clEvENKUlvE2_clEvENKUlN3c107complexIfEES8_E_clES8_S8_@rel32@hi+12
	v_mov_b32_e32 v2, v22
	v_mov_b32_e32 v3, v23
	s_swappc_b64 s[30:31], s[20:21]
	v_mov_b32_e32 v2, v24
	v_mov_b32_e32 v3, v25
	;; [unrolled: 1-line block ×4, first 2 shown]
	;;#ASMSTART
	;;#ASMEND
	s_swappc_b64 s[30:31], s[20:21]
	v_mov_b32_e32 v2, v46
	v_mov_b32_e32 v3, v47
	v_mov_b32_e32 v52, v0
	v_mov_b32_e32 v53, v1
	s_swappc_b64 s[30:31], s[20:21]
	v_mov_b32_e32 v2, v48
	v_mov_b32_e32 v3, v49
	v_mov_b32_e32 v54, v0
	v_mov_b32_e32 v55, v1
	;; [unrolled: 5-line block ×12, first 2 shown]
	s_swappc_b64 s[30:31], s[20:21]
	v_mov_b32_e32 v76, v0
	v_mov_b32_e32 v77, v1
.LBB268_112:
	s_or_b64 exec, exec, s[24:25]
	s_and_saveexec_b64 s[4:5], s[22:23]
	s_cbranch_execz .LBB268_114
; %bb.113:
	s_add_u32 s6, s36, 0x400
	s_addc_u32 s7, s37, 0
	v_mov_b32_e32 v4, s6
	v_mov_b32_e32 v2, 2
	;; [unrolled: 1-line block ×6, first 2 shown]
	;;#ASMSTART
	global_store_dwordx4 v[4:5], v[0:3] off	
s_waitcnt vmcnt(0)
	;;#ASMEND
.LBB268_114:
	s_or_b64 exec, exec, s[4:5]
	v_mov_b32_e32 v50, v22
	v_mov_b32_e32 v51, v23
.LBB268_115:
	s_add_u32 s4, s40, s26
	s_addc_u32 s5, s41, s27
	s_add_u32 s4, s4, s34
	s_addc_u32 s5, s5, s35
	s_mov_b64 s[6:7], -1
	s_and_b64 vcc, exec, s[28:29]
	s_waitcnt lgkmcnt(0)
	; wave barrier
	s_cbranch_vccz .LBB268_117
; %bb.116:
	ds_write_b128 v81, v[50:53]
	ds_write_b128 v81, v[54:57] offset:16
	ds_write_b128 v81, v[58:61] offset:32
	ds_write_b128 v81, v[62:65] offset:48
	ds_write_b128 v81, v[66:69] offset:64
	ds_write_b128 v81, v[70:73] offset:80
	ds_write_b128 v81, v[74:77] offset:96
	s_waitcnt lgkmcnt(0)
	; wave barrier
	ds_read2st64_b64 v[0:3], v80 offset1:1
	ds_read2st64_b64 v[4:7], v80 offset0:2 offset1:3
	ds_read2st64_b64 v[8:11], v80 offset0:4 offset1:5
	;; [unrolled: 1-line block ×6, first 2 shown]
	v_mov_b32_e32 v28, s5
	v_add_co_u32_e32 v29, vcc, s4, v80
	v_addc_co_u32_e32 v28, vcc, 0, v28, vcc
	s_waitcnt lgkmcnt(6)
	global_store_dwordx2 v80, v[0:1], s[4:5]
	global_store_dwordx2 v80, v[2:3], s[4:5] offset:512
	s_waitcnt lgkmcnt(5)
	global_store_dwordx2 v80, v[4:5], s[4:5] offset:1024
	global_store_dwordx2 v80, v[6:7], s[4:5] offset:1536
	s_waitcnt lgkmcnt(4)
	global_store_dwordx2 v80, v[8:9], s[4:5] offset:2048
	;; [unrolled: 3-line block ×3, first 2 shown]
	global_store_dwordx2 v80, v[14:15], s[4:5] offset:3584
	v_add_co_u32_e32 v0, vcc, 0x1000, v29
	v_addc_co_u32_e32 v1, vcc, 0, v28, vcc
	s_waitcnt lgkmcnt(2)
	global_store_dwordx2 v[0:1], v[16:17], off
	global_store_dwordx2 v[0:1], v[18:19], off offset:512
	s_waitcnt lgkmcnt(1)
	global_store_dwordx2 v[0:1], v[20:21], off offset:1024
	global_store_dwordx2 v[0:1], v[22:23], off offset:1536
	s_waitcnt lgkmcnt(0)
	global_store_dwordx2 v[0:1], v[24:25], off offset:2048
	global_store_dwordx2 v[0:1], v[26:27], off offset:2560
	s_mov_b64 s[6:7], 0
.LBB268_117:
	s_andn2_b64 vcc, exec, s[6:7]
	s_cbranch_vccnz .LBB268_197
; %bb.118:
	s_movk_i32 s6, 0xff98
	v_mad_i32_i24 v24, v78, s6, v81
	ds_write_b128 v81, v[50:53]
	ds_write_b128 v81, v[54:57] offset:16
	ds_write_b128 v81, v[58:61] offset:32
	;; [unrolled: 1-line block ×6, first 2 shown]
	s_waitcnt lgkmcnt(0)
	; wave barrier
	ds_read2st64_b64 v[4:7], v24 offset1:1
	ds_read2st64_b64 v[8:11], v24 offset0:2 offset1:3
	ds_read2st64_b64 v[12:15], v24 offset0:4 offset1:5
	;; [unrolled: 1-line block ×6, first 2 shown]
	v_mov_b32_e32 v29, s5
	v_add_co_u32_e32 v28, vcc, s4, v80
	v_addc_co_u32_e32 v29, vcc, 0, v29, vcc
	v_mov_b32_e32 v79, 0
	v_cmp_gt_u32_e32 vcc, s33, v78
	s_and_saveexec_b64 s[4:5], vcc
	s_cbranch_execz .LBB268_120
; %bb.119:
	v_mul_i32_i24_e32 v30, 0xffffff98, v78
	v_add_u32_e32 v30, v81, v30
	ds_read_b64 v[30:31], v30
	s_waitcnt lgkmcnt(0)
	global_store_dwordx2 v[28:29], v[30:31], off
.LBB268_120:
	s_or_b64 exec, exec, s[4:5]
	v_or_b32_e32 v30, 64, v78
	v_cmp_gt_u32_e32 vcc, s33, v30
	s_and_saveexec_b64 s[4:5], vcc
	s_cbranch_execz .LBB268_122
; %bb.121:
	s_waitcnt lgkmcnt(6)
	global_store_dwordx2 v[28:29], v[6:7], off offset:512
.LBB268_122:
	s_or_b64 exec, exec, s[4:5]
	v_or_b32_e32 v30, 0x80, v78
	v_cmp_gt_u32_e32 vcc, s33, v30
	s_and_saveexec_b64 s[4:5], vcc
	s_cbranch_execz .LBB268_124
; %bb.123:
	s_waitcnt lgkmcnt(5)
	global_store_dwordx2 v[28:29], v[8:9], off offset:1024
.LBB268_124:
	;; [unrolled: 9-line block ×7, first 2 shown]
	s_or_b64 exec, exec, s[4:5]
	v_or_b32_e32 v30, 0x200, v78
	v_cmp_gt_u32_e32 vcc, s33, v30
	s_and_saveexec_b64 s[4:5], vcc
	s_cbranch_execz .LBB268_136
; %bb.135:
	v_add_co_u32_e32 v30, vcc, 0x1000, v28
	v_addc_co_u32_e32 v31, vcc, 0, v29, vcc
	s_waitcnt lgkmcnt(2)
	global_store_dwordx2 v[30:31], v[20:21], off
.LBB268_136:
	s_or_b64 exec, exec, s[4:5]
	v_or_b32_e32 v30, 0x240, v78
	v_cmp_gt_u32_e32 vcc, s33, v30
	s_and_saveexec_b64 s[4:5], vcc
	s_cbranch_execz .LBB268_138
; %bb.137:
	v_add_co_u32_e32 v30, vcc, 0x1000, v28
	v_addc_co_u32_e32 v31, vcc, 0, v29, vcc
	s_waitcnt lgkmcnt(2)
	global_store_dwordx2 v[30:31], v[22:23], off offset:512
.LBB268_138:
	s_or_b64 exec, exec, s[4:5]
	v_or_b32_e32 v30, 0x280, v78
	v_cmp_gt_u32_e32 vcc, s33, v30
	s_and_saveexec_b64 s[4:5], vcc
	s_cbranch_execz .LBB268_140
; %bb.139:
	v_add_co_u32_e32 v30, vcc, 0x1000, v28
	v_addc_co_u32_e32 v31, vcc, 0, v29, vcc
	s_waitcnt lgkmcnt(1)
	global_store_dwordx2 v[30:31], v[16:17], off offset:1024
.LBB268_140:
	;; [unrolled: 11-line block ×5, first 2 shown]
	s_or_b64 exec, exec, s[4:5]
	v_cmp_lt_u64_e64 s[4:5], s[50:51], 2
	s_and_b64 vcc, exec, s[4:5]
	s_cbranch_vccnz .LBB268_197
; %bb.147:
	s_add_u32 s4, s33, -1
	s_addc_u32 s5, s52, -1
	s_lshr_b64 s[6:7], s[4:5], 1
	s_lshr_b32 s9, s5, 1
	s_mul_hi_u32 s7, s6, 0x49249249
	s_mul_i32 s8, s6, 0x49249249
	s_mul_i32 s11, s9, 0x24924925
	s_mul_hi_u32 s6, s6, 0x24924925
	s_mul_hi_u32 s10, s9, 0x24924925
	s_add_u32 s6, s11, s6
	s_addc_u32 s10, s10, 0
	s_add_u32 s6, s8, s6
	s_addc_u32 s6, s7, 0
	;; [unrolled: 2-line block ×3, first 2 shown]
	s_mul_hi_u32 s8, s9, 0x49249249
	s_mul_i32 s9, s9, 0x49249249
	s_add_u32 s6, s9, s6
	s_addc_u32 s7, s8, s7
	s_lshr_b64 s[6:7], s[6:7], 1
	v_cmp_eq_u64_e32 vcc, s[6:7], v[78:79]
	s_and_saveexec_b64 s[6:7], vcc
	s_cbranch_execz .LBB268_197
; %bb.148:
	v_mul_u32_u24_e32 v28, 14, v78
	v_mul_hi_u32_u24_e32 v29, 14, v78
	v_mov_b32_e32 v30, s5
	v_sub_co_u32_e32 v28, vcc, s4, v28
	v_subb_co_u32_e32 v29, vcc, v30, v29, vcc
	v_cmp_lt_i64_e32 vcc, 6, v[28:29]
	s_and_saveexec_b64 s[4:5], vcc
	s_xor_b64 s[4:5], exec, s[4:5]
	s_cbranch_execz .LBB268_174
; %bb.149:
	v_cmp_lt_i64_e32 vcc, 9, v[28:29]
	s_and_saveexec_b64 s[6:7], vcc
	s_xor_b64 s[6:7], exec, s[6:7]
	s_cbranch_execz .LBB268_163
; %bb.150:
	;; [unrolled: 5-line block ×4, first 2 shown]
	s_waitcnt lgkmcnt(3)
	v_mov_b32_e32 v0, 0
	s_waitcnt lgkmcnt(0)
	global_store_dwordx2 v0, v[26:27], s[46:47]
                                        ; implicit-def: $vgpr24_vgpr25_vgpr26_vgpr27
.LBB268_153:
	s_andn2_saveexec_b64 s[10:11], s[10:11]
	s_cbranch_execz .LBB268_155
; %bb.154:
	s_waitcnt lgkmcnt(3)
	v_mov_b32_e32 v0, 0
	s_waitcnt lgkmcnt(0)
	global_store_dwordx2 v0, v[24:25], s[46:47]
.LBB268_155:
	s_or_b64 exec, exec, s[10:11]
                                        ; implicit-def: $vgpr16_vgpr17_vgpr18_vgpr19
                                        ; implicit-def: $vgpr28_vgpr29
.LBB268_156:
	s_andn2_saveexec_b64 s[8:9], s[8:9]
	s_cbranch_execz .LBB268_162
; %bb.157:
	v_cmp_lt_i64_e32 vcc, 10, v[28:29]
	s_and_saveexec_b64 s[10:11], vcc
	s_xor_b64 s[10:11], exec, s[10:11]
	s_cbranch_execz .LBB268_159
; %bb.158:
	s_waitcnt lgkmcnt(3)
	v_mov_b32_e32 v0, 0
	s_waitcnt lgkmcnt(1)
	global_store_dwordx2 v0, v[18:19], s[46:47]
                                        ; implicit-def: $vgpr16_vgpr17_vgpr18_vgpr19
.LBB268_159:
	s_andn2_saveexec_b64 s[10:11], s[10:11]
	s_cbranch_execz .LBB268_161
; %bb.160:
	s_waitcnt lgkmcnt(3)
	v_mov_b32_e32 v0, 0
	s_waitcnt lgkmcnt(1)
	global_store_dwordx2 v0, v[16:17], s[46:47]
.LBB268_161:
	s_or_b64 exec, exec, s[10:11]
.LBB268_162:
	s_or_b64 exec, exec, s[8:9]
                                        ; implicit-def: $vgpr0_vgpr1_vgpr2_vgpr3
                                        ; implicit-def: $vgpr28_vgpr29
                                        ; implicit-def: $vgpr20_vgpr21_vgpr22_vgpr23
.LBB268_163:
	s_andn2_saveexec_b64 s[6:7], s[6:7]
	s_cbranch_execz .LBB268_173
; %bb.164:
	v_cmp_lt_i64_e32 vcc, 7, v[28:29]
	s_and_saveexec_b64 s[8:9], vcc
	s_xor_b64 s[8:9], exec, s[8:9]
	s_cbranch_execz .LBB268_170
; %bb.165:
	v_cmp_lt_i64_e32 vcc, 8, v[28:29]
	s_and_saveexec_b64 s[10:11], vcc
	s_xor_b64 s[10:11], exec, s[10:11]
	s_cbranch_execz .LBB268_167
; %bb.166:
	s_waitcnt lgkmcnt(3)
	v_mov_b32_e32 v0, 0
	s_waitcnt lgkmcnt(2)
	global_store_dwordx2 v0, v[22:23], s[46:47]
                                        ; implicit-def: $vgpr20_vgpr21_vgpr22_vgpr23
.LBB268_167:
	s_andn2_saveexec_b64 s[10:11], s[10:11]
	s_cbranch_execz .LBB268_169
; %bb.168:
	s_waitcnt lgkmcnt(3)
	v_mov_b32_e32 v0, 0
	s_waitcnt lgkmcnt(2)
	global_store_dwordx2 v0, v[20:21], s[46:47]
.LBB268_169:
	s_or_b64 exec, exec, s[10:11]
                                        ; implicit-def: $vgpr0_vgpr1_vgpr2_vgpr3
.LBB268_170:
	s_andn2_saveexec_b64 s[8:9], s[8:9]
	s_cbranch_execz .LBB268_172
; %bb.171:
	s_waitcnt lgkmcnt(3)
	v_mov_b32_e32 v0, 0
	global_store_dwordx2 v0, v[2:3], s[46:47]
.LBB268_172:
	s_or_b64 exec, exec, s[8:9]
.LBB268_173:
	s_or_b64 exec, exec, s[6:7]
                                        ; implicit-def: $vgpr28_vgpr29
                                        ; implicit-def: $vgpr12_vgpr13_vgpr14_vgpr15
                                        ; implicit-def: $vgpr4_vgpr5_vgpr6_vgpr7
                                        ; implicit-def: $vgpr8_vgpr9_vgpr10_vgpr11
                                        ; implicit-def: $vgpr0_vgpr1_vgpr2_vgpr3
.LBB268_174:
	s_andn2_saveexec_b64 s[4:5], s[4:5]
	s_cbranch_execz .LBB268_197
; %bb.175:
	v_cmp_lt_i64_e32 vcc, 3, v[28:29]
	s_and_saveexec_b64 s[4:5], vcc
	s_xor_b64 s[4:5], exec, s[4:5]
	s_cbranch_execz .LBB268_185
; %bb.176:
	v_cmp_lt_i64_e32 vcc, 4, v[28:29]
	s_and_saveexec_b64 s[6:7], vcc
	s_xor_b64 s[6:7], exec, s[6:7]
	;; [unrolled: 5-line block ×3, first 2 shown]
	s_cbranch_execz .LBB268_179
; %bb.178:
	s_waitcnt lgkmcnt(3)
	v_mov_b32_e32 v2, 0
	global_store_dwordx2 v2, v[0:1], s[46:47]
                                        ; implicit-def: $vgpr12_vgpr13_vgpr14_vgpr15
.LBB268_179:
	s_andn2_saveexec_b64 s[8:9], s[8:9]
	s_cbranch_execz .LBB268_181
; %bb.180:
	s_waitcnt lgkmcnt(3)
	v_mov_b32_e32 v0, 0
	global_store_dwordx2 v0, v[14:15], s[46:47]
.LBB268_181:
	s_or_b64 exec, exec, s[8:9]
                                        ; implicit-def: $vgpr12_vgpr13_vgpr14_vgpr15
.LBB268_182:
	s_andn2_saveexec_b64 s[6:7], s[6:7]
	s_cbranch_execz .LBB268_184
; %bb.183:
	s_waitcnt lgkmcnt(3)
	v_mov_b32_e32 v0, 0
	global_store_dwordx2 v0, v[12:13], s[46:47]
.LBB268_184:
	s_or_b64 exec, exec, s[6:7]
                                        ; implicit-def: $vgpr28_vgpr29
                                        ; implicit-def: $vgpr4_vgpr5_vgpr6_vgpr7
                                        ; implicit-def: $vgpr8_vgpr9_vgpr10_vgpr11
.LBB268_185:
	s_andn2_saveexec_b64 s[4:5], s[4:5]
	s_cbranch_execz .LBB268_197
; %bb.186:
	v_cmp_lt_i64_e32 vcc, 1, v[28:29]
	s_and_saveexec_b64 s[4:5], vcc
	s_xor_b64 s[4:5], exec, s[4:5]
	s_cbranch_execz .LBB268_192
; %bb.187:
	v_cmp_lt_i64_e32 vcc, 2, v[28:29]
	s_and_saveexec_b64 s[6:7], vcc
	s_xor_b64 s[6:7], exec, s[6:7]
	s_cbranch_execz .LBB268_189
; %bb.188:
	s_waitcnt lgkmcnt(3)
	v_mov_b32_e32 v0, 0
	global_store_dwordx2 v0, v[10:11], s[46:47]
                                        ; implicit-def: $vgpr8_vgpr9_vgpr10_vgpr11
.LBB268_189:
	s_andn2_saveexec_b64 s[6:7], s[6:7]
	s_cbranch_execz .LBB268_191
; %bb.190:
	s_waitcnt lgkmcnt(3)
	v_mov_b32_e32 v0, 0
	global_store_dwordx2 v0, v[8:9], s[46:47]
.LBB268_191:
	s_or_b64 exec, exec, s[6:7]
                                        ; implicit-def: $vgpr4_vgpr5_vgpr6_vgpr7
                                        ; implicit-def: $vgpr28_vgpr29
.LBB268_192:
	s_andn2_saveexec_b64 s[4:5], s[4:5]
	s_cbranch_execz .LBB268_197
; %bb.193:
	v_cmp_ne_u64_e32 vcc, 1, v[28:29]
	s_and_saveexec_b64 s[4:5], vcc
	s_xor_b64 s[4:5], exec, s[4:5]
	s_cbranch_execz .LBB268_195
; %bb.194:
	s_waitcnt lgkmcnt(3)
	v_mov_b32_e32 v0, 0
	global_store_dwordx2 v0, v[4:5], s[46:47]
                                        ; implicit-def: $vgpr4_vgpr5_vgpr6_vgpr7
.LBB268_195:
	s_andn2_saveexec_b64 s[4:5], s[4:5]
	s_cbranch_execz .LBB268_197
; %bb.196:
	s_waitcnt lgkmcnt(3)
	v_mov_b32_e32 v0, 0
	global_store_dwordx2 v0, v[6:7], s[46:47]
.LBB268_197:
	s_endpgm
	.section	.rodata,"a",@progbits
	.p2align	6, 0x0
	.amdhsa_kernel _ZN7rocprim17ROCPRIM_400000_NS6detail17trampoline_kernelINS0_14default_configENS1_20scan_config_selectorIN3c107complexIfEEEEZZNS1_9scan_implILNS1_25lookback_scan_determinismE0ELb0ELb0ES3_PKS7_PS7_S7_ZZZN2at6native31launch_logcumsumexp_cuda_kernelERKNSE_10TensorBaseESI_lENKUlvE_clEvENKUlvE2_clEvEUlS7_S7_E_S7_EEDaPvRmT3_T4_T5_mT6_P12ihipStream_tbENKUlT_T0_E_clISt17integral_constantIbLb0EESZ_EEDaSU_SV_EUlSU_E_NS1_11comp_targetILNS1_3genE2ELNS1_11target_archE906ELNS1_3gpuE6ELNS1_3repE0EEENS1_30default_config_static_selectorELNS0_4arch9wavefront6targetE1EEEvT1_
		.amdhsa_group_segment_fixed_size 7168
		.amdhsa_private_segment_fixed_size 0
		.amdhsa_kernarg_size 104
		.amdhsa_user_sgpr_count 6
		.amdhsa_user_sgpr_private_segment_buffer 1
		.amdhsa_user_sgpr_dispatch_ptr 0
		.amdhsa_user_sgpr_queue_ptr 0
		.amdhsa_user_sgpr_kernarg_segment_ptr 1
		.amdhsa_user_sgpr_dispatch_id 0
		.amdhsa_user_sgpr_flat_scratch_init 0
		.amdhsa_user_sgpr_private_segment_size 0
		.amdhsa_uses_dynamic_stack 0
		.amdhsa_system_sgpr_private_segment_wavefront_offset 0
		.amdhsa_system_sgpr_workgroup_id_x 1
		.amdhsa_system_sgpr_workgroup_id_y 0
		.amdhsa_system_sgpr_workgroup_id_z 0
		.amdhsa_system_sgpr_workgroup_info 0
		.amdhsa_system_vgpr_workitem_id 0
		.amdhsa_next_free_vgpr 86
		.amdhsa_next_free_sgpr 98
		.amdhsa_reserve_vcc 1
		.amdhsa_reserve_flat_scratch 0
		.amdhsa_float_round_mode_32 0
		.amdhsa_float_round_mode_16_64 0
		.amdhsa_float_denorm_mode_32 3
		.amdhsa_float_denorm_mode_16_64 3
		.amdhsa_dx10_clamp 1
		.amdhsa_ieee_mode 1
		.amdhsa_fp16_overflow 0
		.amdhsa_exception_fp_ieee_invalid_op 0
		.amdhsa_exception_fp_denorm_src 0
		.amdhsa_exception_fp_ieee_div_zero 0
		.amdhsa_exception_fp_ieee_overflow 0
		.amdhsa_exception_fp_ieee_underflow 0
		.amdhsa_exception_fp_ieee_inexact 0
		.amdhsa_exception_int_div_zero 0
	.end_amdhsa_kernel
	.section	.text._ZN7rocprim17ROCPRIM_400000_NS6detail17trampoline_kernelINS0_14default_configENS1_20scan_config_selectorIN3c107complexIfEEEEZZNS1_9scan_implILNS1_25lookback_scan_determinismE0ELb0ELb0ES3_PKS7_PS7_S7_ZZZN2at6native31launch_logcumsumexp_cuda_kernelERKNSE_10TensorBaseESI_lENKUlvE_clEvENKUlvE2_clEvEUlS7_S7_E_S7_EEDaPvRmT3_T4_T5_mT6_P12ihipStream_tbENKUlT_T0_E_clISt17integral_constantIbLb0EESZ_EEDaSU_SV_EUlSU_E_NS1_11comp_targetILNS1_3genE2ELNS1_11target_archE906ELNS1_3gpuE6ELNS1_3repE0EEENS1_30default_config_static_selectorELNS0_4arch9wavefront6targetE1EEEvT1_,"axG",@progbits,_ZN7rocprim17ROCPRIM_400000_NS6detail17trampoline_kernelINS0_14default_configENS1_20scan_config_selectorIN3c107complexIfEEEEZZNS1_9scan_implILNS1_25lookback_scan_determinismE0ELb0ELb0ES3_PKS7_PS7_S7_ZZZN2at6native31launch_logcumsumexp_cuda_kernelERKNSE_10TensorBaseESI_lENKUlvE_clEvENKUlvE2_clEvEUlS7_S7_E_S7_EEDaPvRmT3_T4_T5_mT6_P12ihipStream_tbENKUlT_T0_E_clISt17integral_constantIbLb0EESZ_EEDaSU_SV_EUlSU_E_NS1_11comp_targetILNS1_3genE2ELNS1_11target_archE906ELNS1_3gpuE6ELNS1_3repE0EEENS1_30default_config_static_selectorELNS0_4arch9wavefront6targetE1EEEvT1_,comdat
.Lfunc_end268:
	.size	_ZN7rocprim17ROCPRIM_400000_NS6detail17trampoline_kernelINS0_14default_configENS1_20scan_config_selectorIN3c107complexIfEEEEZZNS1_9scan_implILNS1_25lookback_scan_determinismE0ELb0ELb0ES3_PKS7_PS7_S7_ZZZN2at6native31launch_logcumsumexp_cuda_kernelERKNSE_10TensorBaseESI_lENKUlvE_clEvENKUlvE2_clEvEUlS7_S7_E_S7_EEDaPvRmT3_T4_T5_mT6_P12ihipStream_tbENKUlT_T0_E_clISt17integral_constantIbLb0EESZ_EEDaSU_SV_EUlSU_E_NS1_11comp_targetILNS1_3genE2ELNS1_11target_archE906ELNS1_3gpuE6ELNS1_3repE0EEENS1_30default_config_static_selectorELNS0_4arch9wavefront6targetE1EEEvT1_, .Lfunc_end268-_ZN7rocprim17ROCPRIM_400000_NS6detail17trampoline_kernelINS0_14default_configENS1_20scan_config_selectorIN3c107complexIfEEEEZZNS1_9scan_implILNS1_25lookback_scan_determinismE0ELb0ELb0ES3_PKS7_PS7_S7_ZZZN2at6native31launch_logcumsumexp_cuda_kernelERKNSE_10TensorBaseESI_lENKUlvE_clEvENKUlvE2_clEvEUlS7_S7_E_S7_EEDaPvRmT3_T4_T5_mT6_P12ihipStream_tbENKUlT_T0_E_clISt17integral_constantIbLb0EESZ_EEDaSU_SV_EUlSU_E_NS1_11comp_targetILNS1_3genE2ELNS1_11target_archE906ELNS1_3gpuE6ELNS1_3repE0EEENS1_30default_config_static_selectorELNS0_4arch9wavefront6targetE1EEEvT1_
                                        ; -- End function
	.set _ZN7rocprim17ROCPRIM_400000_NS6detail17trampoline_kernelINS0_14default_configENS1_20scan_config_selectorIN3c107complexIfEEEEZZNS1_9scan_implILNS1_25lookback_scan_determinismE0ELb0ELb0ES3_PKS7_PS7_S7_ZZZN2at6native31launch_logcumsumexp_cuda_kernelERKNSE_10TensorBaseESI_lENKUlvE_clEvENKUlvE2_clEvEUlS7_S7_E_S7_EEDaPvRmT3_T4_T5_mT6_P12ihipStream_tbENKUlT_T0_E_clISt17integral_constantIbLb0EESZ_EEDaSU_SV_EUlSU_E_NS1_11comp_targetILNS1_3genE2ELNS1_11target_archE906ELNS1_3gpuE6ELNS1_3repE0EEENS1_30default_config_static_selectorELNS0_4arch9wavefront6targetE1EEEvT1_.num_vgpr, max(86, .L_ZZZZN2at6native31launch_logcumsumexp_cuda_kernelERKNS_10TensorBaseES3_lENKUlvE_clEvENKUlvE2_clEvENKUlN3c107complexIfEES8_E_clES8_S8_.num_vgpr)
	.set _ZN7rocprim17ROCPRIM_400000_NS6detail17trampoline_kernelINS0_14default_configENS1_20scan_config_selectorIN3c107complexIfEEEEZZNS1_9scan_implILNS1_25lookback_scan_determinismE0ELb0ELb0ES3_PKS7_PS7_S7_ZZZN2at6native31launch_logcumsumexp_cuda_kernelERKNSE_10TensorBaseESI_lENKUlvE_clEvENKUlvE2_clEvEUlS7_S7_E_S7_EEDaPvRmT3_T4_T5_mT6_P12ihipStream_tbENKUlT_T0_E_clISt17integral_constantIbLb0EESZ_EEDaSU_SV_EUlSU_E_NS1_11comp_targetILNS1_3genE2ELNS1_11target_archE906ELNS1_3gpuE6ELNS1_3repE0EEENS1_30default_config_static_selectorELNS0_4arch9wavefront6targetE1EEEvT1_.num_agpr, max(0, .L_ZZZZN2at6native31launch_logcumsumexp_cuda_kernelERKNS_10TensorBaseES3_lENKUlvE_clEvENKUlvE2_clEvENKUlN3c107complexIfEES8_E_clES8_S8_.num_agpr)
	.set _ZN7rocprim17ROCPRIM_400000_NS6detail17trampoline_kernelINS0_14default_configENS1_20scan_config_selectorIN3c107complexIfEEEEZZNS1_9scan_implILNS1_25lookback_scan_determinismE0ELb0ELb0ES3_PKS7_PS7_S7_ZZZN2at6native31launch_logcumsumexp_cuda_kernelERKNSE_10TensorBaseESI_lENKUlvE_clEvENKUlvE2_clEvEUlS7_S7_E_S7_EEDaPvRmT3_T4_T5_mT6_P12ihipStream_tbENKUlT_T0_E_clISt17integral_constantIbLb0EESZ_EEDaSU_SV_EUlSU_E_NS1_11comp_targetILNS1_3genE2ELNS1_11target_archE906ELNS1_3gpuE6ELNS1_3repE0EEENS1_30default_config_static_selectorELNS0_4arch9wavefront6targetE1EEEvT1_.numbered_sgpr, max(53, .L_ZZZZN2at6native31launch_logcumsumexp_cuda_kernelERKNS_10TensorBaseES3_lENKUlvE_clEvENKUlvE2_clEvENKUlN3c107complexIfEES8_E_clES8_S8_.numbered_sgpr)
	.set _ZN7rocprim17ROCPRIM_400000_NS6detail17trampoline_kernelINS0_14default_configENS1_20scan_config_selectorIN3c107complexIfEEEEZZNS1_9scan_implILNS1_25lookback_scan_determinismE0ELb0ELb0ES3_PKS7_PS7_S7_ZZZN2at6native31launch_logcumsumexp_cuda_kernelERKNSE_10TensorBaseESI_lENKUlvE_clEvENKUlvE2_clEvEUlS7_S7_E_S7_EEDaPvRmT3_T4_T5_mT6_P12ihipStream_tbENKUlT_T0_E_clISt17integral_constantIbLb0EESZ_EEDaSU_SV_EUlSU_E_NS1_11comp_targetILNS1_3genE2ELNS1_11target_archE906ELNS1_3gpuE6ELNS1_3repE0EEENS1_30default_config_static_selectorELNS0_4arch9wavefront6targetE1EEEvT1_.num_named_barrier, max(0, .L_ZZZZN2at6native31launch_logcumsumexp_cuda_kernelERKNS_10TensorBaseES3_lENKUlvE_clEvENKUlvE2_clEvENKUlN3c107complexIfEES8_E_clES8_S8_.num_named_barrier)
	.set _ZN7rocprim17ROCPRIM_400000_NS6detail17trampoline_kernelINS0_14default_configENS1_20scan_config_selectorIN3c107complexIfEEEEZZNS1_9scan_implILNS1_25lookback_scan_determinismE0ELb0ELb0ES3_PKS7_PS7_S7_ZZZN2at6native31launch_logcumsumexp_cuda_kernelERKNSE_10TensorBaseESI_lENKUlvE_clEvENKUlvE2_clEvEUlS7_S7_E_S7_EEDaPvRmT3_T4_T5_mT6_P12ihipStream_tbENKUlT_T0_E_clISt17integral_constantIbLb0EESZ_EEDaSU_SV_EUlSU_E_NS1_11comp_targetILNS1_3genE2ELNS1_11target_archE906ELNS1_3gpuE6ELNS1_3repE0EEENS1_30default_config_static_selectorELNS0_4arch9wavefront6targetE1EEEvT1_.private_seg_size, 0+max(.L_ZZZZN2at6native31launch_logcumsumexp_cuda_kernelERKNS_10TensorBaseES3_lENKUlvE_clEvENKUlvE2_clEvENKUlN3c107complexIfEES8_E_clES8_S8_.private_seg_size)
	.set _ZN7rocprim17ROCPRIM_400000_NS6detail17trampoline_kernelINS0_14default_configENS1_20scan_config_selectorIN3c107complexIfEEEEZZNS1_9scan_implILNS1_25lookback_scan_determinismE0ELb0ELb0ES3_PKS7_PS7_S7_ZZZN2at6native31launch_logcumsumexp_cuda_kernelERKNSE_10TensorBaseESI_lENKUlvE_clEvENKUlvE2_clEvEUlS7_S7_E_S7_EEDaPvRmT3_T4_T5_mT6_P12ihipStream_tbENKUlT_T0_E_clISt17integral_constantIbLb0EESZ_EEDaSU_SV_EUlSU_E_NS1_11comp_targetILNS1_3genE2ELNS1_11target_archE906ELNS1_3gpuE6ELNS1_3repE0EEENS1_30default_config_static_selectorELNS0_4arch9wavefront6targetE1EEEvT1_.uses_vcc, or(1, .L_ZZZZN2at6native31launch_logcumsumexp_cuda_kernelERKNS_10TensorBaseES3_lENKUlvE_clEvENKUlvE2_clEvENKUlN3c107complexIfEES8_E_clES8_S8_.uses_vcc)
	.set _ZN7rocprim17ROCPRIM_400000_NS6detail17trampoline_kernelINS0_14default_configENS1_20scan_config_selectorIN3c107complexIfEEEEZZNS1_9scan_implILNS1_25lookback_scan_determinismE0ELb0ELb0ES3_PKS7_PS7_S7_ZZZN2at6native31launch_logcumsumexp_cuda_kernelERKNSE_10TensorBaseESI_lENKUlvE_clEvENKUlvE2_clEvEUlS7_S7_E_S7_EEDaPvRmT3_T4_T5_mT6_P12ihipStream_tbENKUlT_T0_E_clISt17integral_constantIbLb0EESZ_EEDaSU_SV_EUlSU_E_NS1_11comp_targetILNS1_3genE2ELNS1_11target_archE906ELNS1_3gpuE6ELNS1_3repE0EEENS1_30default_config_static_selectorELNS0_4arch9wavefront6targetE1EEEvT1_.uses_flat_scratch, or(0, .L_ZZZZN2at6native31launch_logcumsumexp_cuda_kernelERKNS_10TensorBaseES3_lENKUlvE_clEvENKUlvE2_clEvENKUlN3c107complexIfEES8_E_clES8_S8_.uses_flat_scratch)
	.set _ZN7rocprim17ROCPRIM_400000_NS6detail17trampoline_kernelINS0_14default_configENS1_20scan_config_selectorIN3c107complexIfEEEEZZNS1_9scan_implILNS1_25lookback_scan_determinismE0ELb0ELb0ES3_PKS7_PS7_S7_ZZZN2at6native31launch_logcumsumexp_cuda_kernelERKNSE_10TensorBaseESI_lENKUlvE_clEvENKUlvE2_clEvEUlS7_S7_E_S7_EEDaPvRmT3_T4_T5_mT6_P12ihipStream_tbENKUlT_T0_E_clISt17integral_constantIbLb0EESZ_EEDaSU_SV_EUlSU_E_NS1_11comp_targetILNS1_3genE2ELNS1_11target_archE906ELNS1_3gpuE6ELNS1_3repE0EEENS1_30default_config_static_selectorELNS0_4arch9wavefront6targetE1EEEvT1_.has_dyn_sized_stack, or(0, .L_ZZZZN2at6native31launch_logcumsumexp_cuda_kernelERKNS_10TensorBaseES3_lENKUlvE_clEvENKUlvE2_clEvENKUlN3c107complexIfEES8_E_clES8_S8_.has_dyn_sized_stack)
	.set _ZN7rocprim17ROCPRIM_400000_NS6detail17trampoline_kernelINS0_14default_configENS1_20scan_config_selectorIN3c107complexIfEEEEZZNS1_9scan_implILNS1_25lookback_scan_determinismE0ELb0ELb0ES3_PKS7_PS7_S7_ZZZN2at6native31launch_logcumsumexp_cuda_kernelERKNSE_10TensorBaseESI_lENKUlvE_clEvENKUlvE2_clEvEUlS7_S7_E_S7_EEDaPvRmT3_T4_T5_mT6_P12ihipStream_tbENKUlT_T0_E_clISt17integral_constantIbLb0EESZ_EEDaSU_SV_EUlSU_E_NS1_11comp_targetILNS1_3genE2ELNS1_11target_archE906ELNS1_3gpuE6ELNS1_3repE0EEENS1_30default_config_static_selectorELNS0_4arch9wavefront6targetE1EEEvT1_.has_recursion, or(0, .L_ZZZZN2at6native31launch_logcumsumexp_cuda_kernelERKNS_10TensorBaseES3_lENKUlvE_clEvENKUlvE2_clEvENKUlN3c107complexIfEES8_E_clES8_S8_.has_recursion)
	.set _ZN7rocprim17ROCPRIM_400000_NS6detail17trampoline_kernelINS0_14default_configENS1_20scan_config_selectorIN3c107complexIfEEEEZZNS1_9scan_implILNS1_25lookback_scan_determinismE0ELb0ELb0ES3_PKS7_PS7_S7_ZZZN2at6native31launch_logcumsumexp_cuda_kernelERKNSE_10TensorBaseESI_lENKUlvE_clEvENKUlvE2_clEvEUlS7_S7_E_S7_EEDaPvRmT3_T4_T5_mT6_P12ihipStream_tbENKUlT_T0_E_clISt17integral_constantIbLb0EESZ_EEDaSU_SV_EUlSU_E_NS1_11comp_targetILNS1_3genE2ELNS1_11target_archE906ELNS1_3gpuE6ELNS1_3repE0EEENS1_30default_config_static_selectorELNS0_4arch9wavefront6targetE1EEEvT1_.has_indirect_call, or(0, .L_ZZZZN2at6native31launch_logcumsumexp_cuda_kernelERKNS_10TensorBaseES3_lENKUlvE_clEvENKUlvE2_clEvENKUlN3c107complexIfEES8_E_clES8_S8_.has_indirect_call)
	.section	.AMDGPU.csdata,"",@progbits
; Kernel info:
; codeLenInByte = 7004
; TotalNumSgprs: 57
; NumVgprs: 86
; ScratchSize: 0
; MemoryBound: 0
; FloatMode: 240
; IeeeMode: 1
; LDSByteSize: 7168 bytes/workgroup (compile time only)
; SGPRBlocks: 12
; VGPRBlocks: 21
; NumSGPRsForWavesPerEU: 102
; NumVGPRsForWavesPerEU: 86
; Occupancy: 2
; WaveLimiterHint : 0
; COMPUTE_PGM_RSRC2:SCRATCH_EN: 0
; COMPUTE_PGM_RSRC2:USER_SGPR: 6
; COMPUTE_PGM_RSRC2:TRAP_HANDLER: 0
; COMPUTE_PGM_RSRC2:TGID_X_EN: 1
; COMPUTE_PGM_RSRC2:TGID_Y_EN: 0
; COMPUTE_PGM_RSRC2:TGID_Z_EN: 0
; COMPUTE_PGM_RSRC2:TIDIG_COMP_CNT: 0
	.section	.text._ZN7rocprim17ROCPRIM_400000_NS6detail17trampoline_kernelINS0_14default_configENS1_20scan_config_selectorIN3c107complexIfEEEEZZNS1_9scan_implILNS1_25lookback_scan_determinismE0ELb0ELb0ES3_PKS7_PS7_S7_ZZZN2at6native31launch_logcumsumexp_cuda_kernelERKNSE_10TensorBaseESI_lENKUlvE_clEvENKUlvE2_clEvEUlS7_S7_E_S7_EEDaPvRmT3_T4_T5_mT6_P12ihipStream_tbENKUlT_T0_E_clISt17integral_constantIbLb0EESZ_EEDaSU_SV_EUlSU_E_NS1_11comp_targetILNS1_3genE10ELNS1_11target_archE1201ELNS1_3gpuE5ELNS1_3repE0EEENS1_30default_config_static_selectorELNS0_4arch9wavefront6targetE1EEEvT1_,"axG",@progbits,_ZN7rocprim17ROCPRIM_400000_NS6detail17trampoline_kernelINS0_14default_configENS1_20scan_config_selectorIN3c107complexIfEEEEZZNS1_9scan_implILNS1_25lookback_scan_determinismE0ELb0ELb0ES3_PKS7_PS7_S7_ZZZN2at6native31launch_logcumsumexp_cuda_kernelERKNSE_10TensorBaseESI_lENKUlvE_clEvENKUlvE2_clEvEUlS7_S7_E_S7_EEDaPvRmT3_T4_T5_mT6_P12ihipStream_tbENKUlT_T0_E_clISt17integral_constantIbLb0EESZ_EEDaSU_SV_EUlSU_E_NS1_11comp_targetILNS1_3genE10ELNS1_11target_archE1201ELNS1_3gpuE5ELNS1_3repE0EEENS1_30default_config_static_selectorELNS0_4arch9wavefront6targetE1EEEvT1_,comdat
	.globl	_ZN7rocprim17ROCPRIM_400000_NS6detail17trampoline_kernelINS0_14default_configENS1_20scan_config_selectorIN3c107complexIfEEEEZZNS1_9scan_implILNS1_25lookback_scan_determinismE0ELb0ELb0ES3_PKS7_PS7_S7_ZZZN2at6native31launch_logcumsumexp_cuda_kernelERKNSE_10TensorBaseESI_lENKUlvE_clEvENKUlvE2_clEvEUlS7_S7_E_S7_EEDaPvRmT3_T4_T5_mT6_P12ihipStream_tbENKUlT_T0_E_clISt17integral_constantIbLb0EESZ_EEDaSU_SV_EUlSU_E_NS1_11comp_targetILNS1_3genE10ELNS1_11target_archE1201ELNS1_3gpuE5ELNS1_3repE0EEENS1_30default_config_static_selectorELNS0_4arch9wavefront6targetE1EEEvT1_ ; -- Begin function _ZN7rocprim17ROCPRIM_400000_NS6detail17trampoline_kernelINS0_14default_configENS1_20scan_config_selectorIN3c107complexIfEEEEZZNS1_9scan_implILNS1_25lookback_scan_determinismE0ELb0ELb0ES3_PKS7_PS7_S7_ZZZN2at6native31launch_logcumsumexp_cuda_kernelERKNSE_10TensorBaseESI_lENKUlvE_clEvENKUlvE2_clEvEUlS7_S7_E_S7_EEDaPvRmT3_T4_T5_mT6_P12ihipStream_tbENKUlT_T0_E_clISt17integral_constantIbLb0EESZ_EEDaSU_SV_EUlSU_E_NS1_11comp_targetILNS1_3genE10ELNS1_11target_archE1201ELNS1_3gpuE5ELNS1_3repE0EEENS1_30default_config_static_selectorELNS0_4arch9wavefront6targetE1EEEvT1_
	.p2align	8
	.type	_ZN7rocprim17ROCPRIM_400000_NS6detail17trampoline_kernelINS0_14default_configENS1_20scan_config_selectorIN3c107complexIfEEEEZZNS1_9scan_implILNS1_25lookback_scan_determinismE0ELb0ELb0ES3_PKS7_PS7_S7_ZZZN2at6native31launch_logcumsumexp_cuda_kernelERKNSE_10TensorBaseESI_lENKUlvE_clEvENKUlvE2_clEvEUlS7_S7_E_S7_EEDaPvRmT3_T4_T5_mT6_P12ihipStream_tbENKUlT_T0_E_clISt17integral_constantIbLb0EESZ_EEDaSU_SV_EUlSU_E_NS1_11comp_targetILNS1_3genE10ELNS1_11target_archE1201ELNS1_3gpuE5ELNS1_3repE0EEENS1_30default_config_static_selectorELNS0_4arch9wavefront6targetE1EEEvT1_,@function
_ZN7rocprim17ROCPRIM_400000_NS6detail17trampoline_kernelINS0_14default_configENS1_20scan_config_selectorIN3c107complexIfEEEEZZNS1_9scan_implILNS1_25lookback_scan_determinismE0ELb0ELb0ES3_PKS7_PS7_S7_ZZZN2at6native31launch_logcumsumexp_cuda_kernelERKNSE_10TensorBaseESI_lENKUlvE_clEvENKUlvE2_clEvEUlS7_S7_E_S7_EEDaPvRmT3_T4_T5_mT6_P12ihipStream_tbENKUlT_T0_E_clISt17integral_constantIbLb0EESZ_EEDaSU_SV_EUlSU_E_NS1_11comp_targetILNS1_3genE10ELNS1_11target_archE1201ELNS1_3gpuE5ELNS1_3repE0EEENS1_30default_config_static_selectorELNS0_4arch9wavefront6targetE1EEEvT1_: ; @_ZN7rocprim17ROCPRIM_400000_NS6detail17trampoline_kernelINS0_14default_configENS1_20scan_config_selectorIN3c107complexIfEEEEZZNS1_9scan_implILNS1_25lookback_scan_determinismE0ELb0ELb0ES3_PKS7_PS7_S7_ZZZN2at6native31launch_logcumsumexp_cuda_kernelERKNSE_10TensorBaseESI_lENKUlvE_clEvENKUlvE2_clEvEUlS7_S7_E_S7_EEDaPvRmT3_T4_T5_mT6_P12ihipStream_tbENKUlT_T0_E_clISt17integral_constantIbLb0EESZ_EEDaSU_SV_EUlSU_E_NS1_11comp_targetILNS1_3genE10ELNS1_11target_archE1201ELNS1_3gpuE5ELNS1_3repE0EEENS1_30default_config_static_selectorELNS0_4arch9wavefront6targetE1EEEvT1_
; %bb.0:
	.section	.rodata,"a",@progbits
	.p2align	6, 0x0
	.amdhsa_kernel _ZN7rocprim17ROCPRIM_400000_NS6detail17trampoline_kernelINS0_14default_configENS1_20scan_config_selectorIN3c107complexIfEEEEZZNS1_9scan_implILNS1_25lookback_scan_determinismE0ELb0ELb0ES3_PKS7_PS7_S7_ZZZN2at6native31launch_logcumsumexp_cuda_kernelERKNSE_10TensorBaseESI_lENKUlvE_clEvENKUlvE2_clEvEUlS7_S7_E_S7_EEDaPvRmT3_T4_T5_mT6_P12ihipStream_tbENKUlT_T0_E_clISt17integral_constantIbLb0EESZ_EEDaSU_SV_EUlSU_E_NS1_11comp_targetILNS1_3genE10ELNS1_11target_archE1201ELNS1_3gpuE5ELNS1_3repE0EEENS1_30default_config_static_selectorELNS0_4arch9wavefront6targetE1EEEvT1_
		.amdhsa_group_segment_fixed_size 0
		.amdhsa_private_segment_fixed_size 0
		.amdhsa_kernarg_size 104
		.amdhsa_user_sgpr_count 6
		.amdhsa_user_sgpr_private_segment_buffer 1
		.amdhsa_user_sgpr_dispatch_ptr 0
		.amdhsa_user_sgpr_queue_ptr 0
		.amdhsa_user_sgpr_kernarg_segment_ptr 1
		.amdhsa_user_sgpr_dispatch_id 0
		.amdhsa_user_sgpr_flat_scratch_init 0
		.amdhsa_user_sgpr_private_segment_size 0
		.amdhsa_uses_dynamic_stack 0
		.amdhsa_system_sgpr_private_segment_wavefront_offset 0
		.amdhsa_system_sgpr_workgroup_id_x 1
		.amdhsa_system_sgpr_workgroup_id_y 0
		.amdhsa_system_sgpr_workgroup_id_z 0
		.amdhsa_system_sgpr_workgroup_info 0
		.amdhsa_system_vgpr_workitem_id 0
		.amdhsa_next_free_vgpr 1
		.amdhsa_next_free_sgpr 0
		.amdhsa_reserve_vcc 0
		.amdhsa_reserve_flat_scratch 0
		.amdhsa_float_round_mode_32 0
		.amdhsa_float_round_mode_16_64 0
		.amdhsa_float_denorm_mode_32 3
		.amdhsa_float_denorm_mode_16_64 3
		.amdhsa_dx10_clamp 1
		.amdhsa_ieee_mode 1
		.amdhsa_fp16_overflow 0
		.amdhsa_exception_fp_ieee_invalid_op 0
		.amdhsa_exception_fp_denorm_src 0
		.amdhsa_exception_fp_ieee_div_zero 0
		.amdhsa_exception_fp_ieee_overflow 0
		.amdhsa_exception_fp_ieee_underflow 0
		.amdhsa_exception_fp_ieee_inexact 0
		.amdhsa_exception_int_div_zero 0
	.end_amdhsa_kernel
	.section	.text._ZN7rocprim17ROCPRIM_400000_NS6detail17trampoline_kernelINS0_14default_configENS1_20scan_config_selectorIN3c107complexIfEEEEZZNS1_9scan_implILNS1_25lookback_scan_determinismE0ELb0ELb0ES3_PKS7_PS7_S7_ZZZN2at6native31launch_logcumsumexp_cuda_kernelERKNSE_10TensorBaseESI_lENKUlvE_clEvENKUlvE2_clEvEUlS7_S7_E_S7_EEDaPvRmT3_T4_T5_mT6_P12ihipStream_tbENKUlT_T0_E_clISt17integral_constantIbLb0EESZ_EEDaSU_SV_EUlSU_E_NS1_11comp_targetILNS1_3genE10ELNS1_11target_archE1201ELNS1_3gpuE5ELNS1_3repE0EEENS1_30default_config_static_selectorELNS0_4arch9wavefront6targetE1EEEvT1_,"axG",@progbits,_ZN7rocprim17ROCPRIM_400000_NS6detail17trampoline_kernelINS0_14default_configENS1_20scan_config_selectorIN3c107complexIfEEEEZZNS1_9scan_implILNS1_25lookback_scan_determinismE0ELb0ELb0ES3_PKS7_PS7_S7_ZZZN2at6native31launch_logcumsumexp_cuda_kernelERKNSE_10TensorBaseESI_lENKUlvE_clEvENKUlvE2_clEvEUlS7_S7_E_S7_EEDaPvRmT3_T4_T5_mT6_P12ihipStream_tbENKUlT_T0_E_clISt17integral_constantIbLb0EESZ_EEDaSU_SV_EUlSU_E_NS1_11comp_targetILNS1_3genE10ELNS1_11target_archE1201ELNS1_3gpuE5ELNS1_3repE0EEENS1_30default_config_static_selectorELNS0_4arch9wavefront6targetE1EEEvT1_,comdat
.Lfunc_end269:
	.size	_ZN7rocprim17ROCPRIM_400000_NS6detail17trampoline_kernelINS0_14default_configENS1_20scan_config_selectorIN3c107complexIfEEEEZZNS1_9scan_implILNS1_25lookback_scan_determinismE0ELb0ELb0ES3_PKS7_PS7_S7_ZZZN2at6native31launch_logcumsumexp_cuda_kernelERKNSE_10TensorBaseESI_lENKUlvE_clEvENKUlvE2_clEvEUlS7_S7_E_S7_EEDaPvRmT3_T4_T5_mT6_P12ihipStream_tbENKUlT_T0_E_clISt17integral_constantIbLb0EESZ_EEDaSU_SV_EUlSU_E_NS1_11comp_targetILNS1_3genE10ELNS1_11target_archE1201ELNS1_3gpuE5ELNS1_3repE0EEENS1_30default_config_static_selectorELNS0_4arch9wavefront6targetE1EEEvT1_, .Lfunc_end269-_ZN7rocprim17ROCPRIM_400000_NS6detail17trampoline_kernelINS0_14default_configENS1_20scan_config_selectorIN3c107complexIfEEEEZZNS1_9scan_implILNS1_25lookback_scan_determinismE0ELb0ELb0ES3_PKS7_PS7_S7_ZZZN2at6native31launch_logcumsumexp_cuda_kernelERKNSE_10TensorBaseESI_lENKUlvE_clEvENKUlvE2_clEvEUlS7_S7_E_S7_EEDaPvRmT3_T4_T5_mT6_P12ihipStream_tbENKUlT_T0_E_clISt17integral_constantIbLb0EESZ_EEDaSU_SV_EUlSU_E_NS1_11comp_targetILNS1_3genE10ELNS1_11target_archE1201ELNS1_3gpuE5ELNS1_3repE0EEENS1_30default_config_static_selectorELNS0_4arch9wavefront6targetE1EEEvT1_
                                        ; -- End function
	.set _ZN7rocprim17ROCPRIM_400000_NS6detail17trampoline_kernelINS0_14default_configENS1_20scan_config_selectorIN3c107complexIfEEEEZZNS1_9scan_implILNS1_25lookback_scan_determinismE0ELb0ELb0ES3_PKS7_PS7_S7_ZZZN2at6native31launch_logcumsumexp_cuda_kernelERKNSE_10TensorBaseESI_lENKUlvE_clEvENKUlvE2_clEvEUlS7_S7_E_S7_EEDaPvRmT3_T4_T5_mT6_P12ihipStream_tbENKUlT_T0_E_clISt17integral_constantIbLb0EESZ_EEDaSU_SV_EUlSU_E_NS1_11comp_targetILNS1_3genE10ELNS1_11target_archE1201ELNS1_3gpuE5ELNS1_3repE0EEENS1_30default_config_static_selectorELNS0_4arch9wavefront6targetE1EEEvT1_.num_vgpr, 0
	.set _ZN7rocprim17ROCPRIM_400000_NS6detail17trampoline_kernelINS0_14default_configENS1_20scan_config_selectorIN3c107complexIfEEEEZZNS1_9scan_implILNS1_25lookback_scan_determinismE0ELb0ELb0ES3_PKS7_PS7_S7_ZZZN2at6native31launch_logcumsumexp_cuda_kernelERKNSE_10TensorBaseESI_lENKUlvE_clEvENKUlvE2_clEvEUlS7_S7_E_S7_EEDaPvRmT3_T4_T5_mT6_P12ihipStream_tbENKUlT_T0_E_clISt17integral_constantIbLb0EESZ_EEDaSU_SV_EUlSU_E_NS1_11comp_targetILNS1_3genE10ELNS1_11target_archE1201ELNS1_3gpuE5ELNS1_3repE0EEENS1_30default_config_static_selectorELNS0_4arch9wavefront6targetE1EEEvT1_.num_agpr, 0
	.set _ZN7rocprim17ROCPRIM_400000_NS6detail17trampoline_kernelINS0_14default_configENS1_20scan_config_selectorIN3c107complexIfEEEEZZNS1_9scan_implILNS1_25lookback_scan_determinismE0ELb0ELb0ES3_PKS7_PS7_S7_ZZZN2at6native31launch_logcumsumexp_cuda_kernelERKNSE_10TensorBaseESI_lENKUlvE_clEvENKUlvE2_clEvEUlS7_S7_E_S7_EEDaPvRmT3_T4_T5_mT6_P12ihipStream_tbENKUlT_T0_E_clISt17integral_constantIbLb0EESZ_EEDaSU_SV_EUlSU_E_NS1_11comp_targetILNS1_3genE10ELNS1_11target_archE1201ELNS1_3gpuE5ELNS1_3repE0EEENS1_30default_config_static_selectorELNS0_4arch9wavefront6targetE1EEEvT1_.numbered_sgpr, 0
	.set _ZN7rocprim17ROCPRIM_400000_NS6detail17trampoline_kernelINS0_14default_configENS1_20scan_config_selectorIN3c107complexIfEEEEZZNS1_9scan_implILNS1_25lookback_scan_determinismE0ELb0ELb0ES3_PKS7_PS7_S7_ZZZN2at6native31launch_logcumsumexp_cuda_kernelERKNSE_10TensorBaseESI_lENKUlvE_clEvENKUlvE2_clEvEUlS7_S7_E_S7_EEDaPvRmT3_T4_T5_mT6_P12ihipStream_tbENKUlT_T0_E_clISt17integral_constantIbLb0EESZ_EEDaSU_SV_EUlSU_E_NS1_11comp_targetILNS1_3genE10ELNS1_11target_archE1201ELNS1_3gpuE5ELNS1_3repE0EEENS1_30default_config_static_selectorELNS0_4arch9wavefront6targetE1EEEvT1_.num_named_barrier, 0
	.set _ZN7rocprim17ROCPRIM_400000_NS6detail17trampoline_kernelINS0_14default_configENS1_20scan_config_selectorIN3c107complexIfEEEEZZNS1_9scan_implILNS1_25lookback_scan_determinismE0ELb0ELb0ES3_PKS7_PS7_S7_ZZZN2at6native31launch_logcumsumexp_cuda_kernelERKNSE_10TensorBaseESI_lENKUlvE_clEvENKUlvE2_clEvEUlS7_S7_E_S7_EEDaPvRmT3_T4_T5_mT6_P12ihipStream_tbENKUlT_T0_E_clISt17integral_constantIbLb0EESZ_EEDaSU_SV_EUlSU_E_NS1_11comp_targetILNS1_3genE10ELNS1_11target_archE1201ELNS1_3gpuE5ELNS1_3repE0EEENS1_30default_config_static_selectorELNS0_4arch9wavefront6targetE1EEEvT1_.private_seg_size, 0
	.set _ZN7rocprim17ROCPRIM_400000_NS6detail17trampoline_kernelINS0_14default_configENS1_20scan_config_selectorIN3c107complexIfEEEEZZNS1_9scan_implILNS1_25lookback_scan_determinismE0ELb0ELb0ES3_PKS7_PS7_S7_ZZZN2at6native31launch_logcumsumexp_cuda_kernelERKNSE_10TensorBaseESI_lENKUlvE_clEvENKUlvE2_clEvEUlS7_S7_E_S7_EEDaPvRmT3_T4_T5_mT6_P12ihipStream_tbENKUlT_T0_E_clISt17integral_constantIbLb0EESZ_EEDaSU_SV_EUlSU_E_NS1_11comp_targetILNS1_3genE10ELNS1_11target_archE1201ELNS1_3gpuE5ELNS1_3repE0EEENS1_30default_config_static_selectorELNS0_4arch9wavefront6targetE1EEEvT1_.uses_vcc, 0
	.set _ZN7rocprim17ROCPRIM_400000_NS6detail17trampoline_kernelINS0_14default_configENS1_20scan_config_selectorIN3c107complexIfEEEEZZNS1_9scan_implILNS1_25lookback_scan_determinismE0ELb0ELb0ES3_PKS7_PS7_S7_ZZZN2at6native31launch_logcumsumexp_cuda_kernelERKNSE_10TensorBaseESI_lENKUlvE_clEvENKUlvE2_clEvEUlS7_S7_E_S7_EEDaPvRmT3_T4_T5_mT6_P12ihipStream_tbENKUlT_T0_E_clISt17integral_constantIbLb0EESZ_EEDaSU_SV_EUlSU_E_NS1_11comp_targetILNS1_3genE10ELNS1_11target_archE1201ELNS1_3gpuE5ELNS1_3repE0EEENS1_30default_config_static_selectorELNS0_4arch9wavefront6targetE1EEEvT1_.uses_flat_scratch, 0
	.set _ZN7rocprim17ROCPRIM_400000_NS6detail17trampoline_kernelINS0_14default_configENS1_20scan_config_selectorIN3c107complexIfEEEEZZNS1_9scan_implILNS1_25lookback_scan_determinismE0ELb0ELb0ES3_PKS7_PS7_S7_ZZZN2at6native31launch_logcumsumexp_cuda_kernelERKNSE_10TensorBaseESI_lENKUlvE_clEvENKUlvE2_clEvEUlS7_S7_E_S7_EEDaPvRmT3_T4_T5_mT6_P12ihipStream_tbENKUlT_T0_E_clISt17integral_constantIbLb0EESZ_EEDaSU_SV_EUlSU_E_NS1_11comp_targetILNS1_3genE10ELNS1_11target_archE1201ELNS1_3gpuE5ELNS1_3repE0EEENS1_30default_config_static_selectorELNS0_4arch9wavefront6targetE1EEEvT1_.has_dyn_sized_stack, 0
	.set _ZN7rocprim17ROCPRIM_400000_NS6detail17trampoline_kernelINS0_14default_configENS1_20scan_config_selectorIN3c107complexIfEEEEZZNS1_9scan_implILNS1_25lookback_scan_determinismE0ELb0ELb0ES3_PKS7_PS7_S7_ZZZN2at6native31launch_logcumsumexp_cuda_kernelERKNSE_10TensorBaseESI_lENKUlvE_clEvENKUlvE2_clEvEUlS7_S7_E_S7_EEDaPvRmT3_T4_T5_mT6_P12ihipStream_tbENKUlT_T0_E_clISt17integral_constantIbLb0EESZ_EEDaSU_SV_EUlSU_E_NS1_11comp_targetILNS1_3genE10ELNS1_11target_archE1201ELNS1_3gpuE5ELNS1_3repE0EEENS1_30default_config_static_selectorELNS0_4arch9wavefront6targetE1EEEvT1_.has_recursion, 0
	.set _ZN7rocprim17ROCPRIM_400000_NS6detail17trampoline_kernelINS0_14default_configENS1_20scan_config_selectorIN3c107complexIfEEEEZZNS1_9scan_implILNS1_25lookback_scan_determinismE0ELb0ELb0ES3_PKS7_PS7_S7_ZZZN2at6native31launch_logcumsumexp_cuda_kernelERKNSE_10TensorBaseESI_lENKUlvE_clEvENKUlvE2_clEvEUlS7_S7_E_S7_EEDaPvRmT3_T4_T5_mT6_P12ihipStream_tbENKUlT_T0_E_clISt17integral_constantIbLb0EESZ_EEDaSU_SV_EUlSU_E_NS1_11comp_targetILNS1_3genE10ELNS1_11target_archE1201ELNS1_3gpuE5ELNS1_3repE0EEENS1_30default_config_static_selectorELNS0_4arch9wavefront6targetE1EEEvT1_.has_indirect_call, 0
	.section	.AMDGPU.csdata,"",@progbits
; Kernel info:
; codeLenInByte = 0
; TotalNumSgprs: 4
; NumVgprs: 0
; ScratchSize: 0
; MemoryBound: 0
; FloatMode: 240
; IeeeMode: 1
; LDSByteSize: 0 bytes/workgroup (compile time only)
; SGPRBlocks: 0
; VGPRBlocks: 0
; NumSGPRsForWavesPerEU: 4
; NumVGPRsForWavesPerEU: 1
; Occupancy: 10
; WaveLimiterHint : 0
; COMPUTE_PGM_RSRC2:SCRATCH_EN: 0
; COMPUTE_PGM_RSRC2:USER_SGPR: 6
; COMPUTE_PGM_RSRC2:TRAP_HANDLER: 0
; COMPUTE_PGM_RSRC2:TGID_X_EN: 1
; COMPUTE_PGM_RSRC2:TGID_Y_EN: 0
; COMPUTE_PGM_RSRC2:TGID_Z_EN: 0
; COMPUTE_PGM_RSRC2:TIDIG_COMP_CNT: 0
	.section	.text._ZN7rocprim17ROCPRIM_400000_NS6detail17trampoline_kernelINS0_14default_configENS1_20scan_config_selectorIN3c107complexIfEEEEZZNS1_9scan_implILNS1_25lookback_scan_determinismE0ELb0ELb0ES3_PKS7_PS7_S7_ZZZN2at6native31launch_logcumsumexp_cuda_kernelERKNSE_10TensorBaseESI_lENKUlvE_clEvENKUlvE2_clEvEUlS7_S7_E_S7_EEDaPvRmT3_T4_T5_mT6_P12ihipStream_tbENKUlT_T0_E_clISt17integral_constantIbLb0EESZ_EEDaSU_SV_EUlSU_E_NS1_11comp_targetILNS1_3genE10ELNS1_11target_archE1200ELNS1_3gpuE4ELNS1_3repE0EEENS1_30default_config_static_selectorELNS0_4arch9wavefront6targetE1EEEvT1_,"axG",@progbits,_ZN7rocprim17ROCPRIM_400000_NS6detail17trampoline_kernelINS0_14default_configENS1_20scan_config_selectorIN3c107complexIfEEEEZZNS1_9scan_implILNS1_25lookback_scan_determinismE0ELb0ELb0ES3_PKS7_PS7_S7_ZZZN2at6native31launch_logcumsumexp_cuda_kernelERKNSE_10TensorBaseESI_lENKUlvE_clEvENKUlvE2_clEvEUlS7_S7_E_S7_EEDaPvRmT3_T4_T5_mT6_P12ihipStream_tbENKUlT_T0_E_clISt17integral_constantIbLb0EESZ_EEDaSU_SV_EUlSU_E_NS1_11comp_targetILNS1_3genE10ELNS1_11target_archE1200ELNS1_3gpuE4ELNS1_3repE0EEENS1_30default_config_static_selectorELNS0_4arch9wavefront6targetE1EEEvT1_,comdat
	.globl	_ZN7rocprim17ROCPRIM_400000_NS6detail17trampoline_kernelINS0_14default_configENS1_20scan_config_selectorIN3c107complexIfEEEEZZNS1_9scan_implILNS1_25lookback_scan_determinismE0ELb0ELb0ES3_PKS7_PS7_S7_ZZZN2at6native31launch_logcumsumexp_cuda_kernelERKNSE_10TensorBaseESI_lENKUlvE_clEvENKUlvE2_clEvEUlS7_S7_E_S7_EEDaPvRmT3_T4_T5_mT6_P12ihipStream_tbENKUlT_T0_E_clISt17integral_constantIbLb0EESZ_EEDaSU_SV_EUlSU_E_NS1_11comp_targetILNS1_3genE10ELNS1_11target_archE1200ELNS1_3gpuE4ELNS1_3repE0EEENS1_30default_config_static_selectorELNS0_4arch9wavefront6targetE1EEEvT1_ ; -- Begin function _ZN7rocprim17ROCPRIM_400000_NS6detail17trampoline_kernelINS0_14default_configENS1_20scan_config_selectorIN3c107complexIfEEEEZZNS1_9scan_implILNS1_25lookback_scan_determinismE0ELb0ELb0ES3_PKS7_PS7_S7_ZZZN2at6native31launch_logcumsumexp_cuda_kernelERKNSE_10TensorBaseESI_lENKUlvE_clEvENKUlvE2_clEvEUlS7_S7_E_S7_EEDaPvRmT3_T4_T5_mT6_P12ihipStream_tbENKUlT_T0_E_clISt17integral_constantIbLb0EESZ_EEDaSU_SV_EUlSU_E_NS1_11comp_targetILNS1_3genE10ELNS1_11target_archE1200ELNS1_3gpuE4ELNS1_3repE0EEENS1_30default_config_static_selectorELNS0_4arch9wavefront6targetE1EEEvT1_
	.p2align	8
	.type	_ZN7rocprim17ROCPRIM_400000_NS6detail17trampoline_kernelINS0_14default_configENS1_20scan_config_selectorIN3c107complexIfEEEEZZNS1_9scan_implILNS1_25lookback_scan_determinismE0ELb0ELb0ES3_PKS7_PS7_S7_ZZZN2at6native31launch_logcumsumexp_cuda_kernelERKNSE_10TensorBaseESI_lENKUlvE_clEvENKUlvE2_clEvEUlS7_S7_E_S7_EEDaPvRmT3_T4_T5_mT6_P12ihipStream_tbENKUlT_T0_E_clISt17integral_constantIbLb0EESZ_EEDaSU_SV_EUlSU_E_NS1_11comp_targetILNS1_3genE10ELNS1_11target_archE1200ELNS1_3gpuE4ELNS1_3repE0EEENS1_30default_config_static_selectorELNS0_4arch9wavefront6targetE1EEEvT1_,@function
_ZN7rocprim17ROCPRIM_400000_NS6detail17trampoline_kernelINS0_14default_configENS1_20scan_config_selectorIN3c107complexIfEEEEZZNS1_9scan_implILNS1_25lookback_scan_determinismE0ELb0ELb0ES3_PKS7_PS7_S7_ZZZN2at6native31launch_logcumsumexp_cuda_kernelERKNSE_10TensorBaseESI_lENKUlvE_clEvENKUlvE2_clEvEUlS7_S7_E_S7_EEDaPvRmT3_T4_T5_mT6_P12ihipStream_tbENKUlT_T0_E_clISt17integral_constantIbLb0EESZ_EEDaSU_SV_EUlSU_E_NS1_11comp_targetILNS1_3genE10ELNS1_11target_archE1200ELNS1_3gpuE4ELNS1_3repE0EEENS1_30default_config_static_selectorELNS0_4arch9wavefront6targetE1EEEvT1_: ; @_ZN7rocprim17ROCPRIM_400000_NS6detail17trampoline_kernelINS0_14default_configENS1_20scan_config_selectorIN3c107complexIfEEEEZZNS1_9scan_implILNS1_25lookback_scan_determinismE0ELb0ELb0ES3_PKS7_PS7_S7_ZZZN2at6native31launch_logcumsumexp_cuda_kernelERKNSE_10TensorBaseESI_lENKUlvE_clEvENKUlvE2_clEvEUlS7_S7_E_S7_EEDaPvRmT3_T4_T5_mT6_P12ihipStream_tbENKUlT_T0_E_clISt17integral_constantIbLb0EESZ_EEDaSU_SV_EUlSU_E_NS1_11comp_targetILNS1_3genE10ELNS1_11target_archE1200ELNS1_3gpuE4ELNS1_3repE0EEENS1_30default_config_static_selectorELNS0_4arch9wavefront6targetE1EEEvT1_
; %bb.0:
	.section	.rodata,"a",@progbits
	.p2align	6, 0x0
	.amdhsa_kernel _ZN7rocprim17ROCPRIM_400000_NS6detail17trampoline_kernelINS0_14default_configENS1_20scan_config_selectorIN3c107complexIfEEEEZZNS1_9scan_implILNS1_25lookback_scan_determinismE0ELb0ELb0ES3_PKS7_PS7_S7_ZZZN2at6native31launch_logcumsumexp_cuda_kernelERKNSE_10TensorBaseESI_lENKUlvE_clEvENKUlvE2_clEvEUlS7_S7_E_S7_EEDaPvRmT3_T4_T5_mT6_P12ihipStream_tbENKUlT_T0_E_clISt17integral_constantIbLb0EESZ_EEDaSU_SV_EUlSU_E_NS1_11comp_targetILNS1_3genE10ELNS1_11target_archE1200ELNS1_3gpuE4ELNS1_3repE0EEENS1_30default_config_static_selectorELNS0_4arch9wavefront6targetE1EEEvT1_
		.amdhsa_group_segment_fixed_size 0
		.amdhsa_private_segment_fixed_size 0
		.amdhsa_kernarg_size 104
		.amdhsa_user_sgpr_count 6
		.amdhsa_user_sgpr_private_segment_buffer 1
		.amdhsa_user_sgpr_dispatch_ptr 0
		.amdhsa_user_sgpr_queue_ptr 0
		.amdhsa_user_sgpr_kernarg_segment_ptr 1
		.amdhsa_user_sgpr_dispatch_id 0
		.amdhsa_user_sgpr_flat_scratch_init 0
		.amdhsa_user_sgpr_private_segment_size 0
		.amdhsa_uses_dynamic_stack 0
		.amdhsa_system_sgpr_private_segment_wavefront_offset 0
		.amdhsa_system_sgpr_workgroup_id_x 1
		.amdhsa_system_sgpr_workgroup_id_y 0
		.amdhsa_system_sgpr_workgroup_id_z 0
		.amdhsa_system_sgpr_workgroup_info 0
		.amdhsa_system_vgpr_workitem_id 0
		.amdhsa_next_free_vgpr 1
		.amdhsa_next_free_sgpr 0
		.amdhsa_reserve_vcc 0
		.amdhsa_reserve_flat_scratch 0
		.amdhsa_float_round_mode_32 0
		.amdhsa_float_round_mode_16_64 0
		.amdhsa_float_denorm_mode_32 3
		.amdhsa_float_denorm_mode_16_64 3
		.amdhsa_dx10_clamp 1
		.amdhsa_ieee_mode 1
		.amdhsa_fp16_overflow 0
		.amdhsa_exception_fp_ieee_invalid_op 0
		.amdhsa_exception_fp_denorm_src 0
		.amdhsa_exception_fp_ieee_div_zero 0
		.amdhsa_exception_fp_ieee_overflow 0
		.amdhsa_exception_fp_ieee_underflow 0
		.amdhsa_exception_fp_ieee_inexact 0
		.amdhsa_exception_int_div_zero 0
	.end_amdhsa_kernel
	.section	.text._ZN7rocprim17ROCPRIM_400000_NS6detail17trampoline_kernelINS0_14default_configENS1_20scan_config_selectorIN3c107complexIfEEEEZZNS1_9scan_implILNS1_25lookback_scan_determinismE0ELb0ELb0ES3_PKS7_PS7_S7_ZZZN2at6native31launch_logcumsumexp_cuda_kernelERKNSE_10TensorBaseESI_lENKUlvE_clEvENKUlvE2_clEvEUlS7_S7_E_S7_EEDaPvRmT3_T4_T5_mT6_P12ihipStream_tbENKUlT_T0_E_clISt17integral_constantIbLb0EESZ_EEDaSU_SV_EUlSU_E_NS1_11comp_targetILNS1_3genE10ELNS1_11target_archE1200ELNS1_3gpuE4ELNS1_3repE0EEENS1_30default_config_static_selectorELNS0_4arch9wavefront6targetE1EEEvT1_,"axG",@progbits,_ZN7rocprim17ROCPRIM_400000_NS6detail17trampoline_kernelINS0_14default_configENS1_20scan_config_selectorIN3c107complexIfEEEEZZNS1_9scan_implILNS1_25lookback_scan_determinismE0ELb0ELb0ES3_PKS7_PS7_S7_ZZZN2at6native31launch_logcumsumexp_cuda_kernelERKNSE_10TensorBaseESI_lENKUlvE_clEvENKUlvE2_clEvEUlS7_S7_E_S7_EEDaPvRmT3_T4_T5_mT6_P12ihipStream_tbENKUlT_T0_E_clISt17integral_constantIbLb0EESZ_EEDaSU_SV_EUlSU_E_NS1_11comp_targetILNS1_3genE10ELNS1_11target_archE1200ELNS1_3gpuE4ELNS1_3repE0EEENS1_30default_config_static_selectorELNS0_4arch9wavefront6targetE1EEEvT1_,comdat
.Lfunc_end270:
	.size	_ZN7rocprim17ROCPRIM_400000_NS6detail17trampoline_kernelINS0_14default_configENS1_20scan_config_selectorIN3c107complexIfEEEEZZNS1_9scan_implILNS1_25lookback_scan_determinismE0ELb0ELb0ES3_PKS7_PS7_S7_ZZZN2at6native31launch_logcumsumexp_cuda_kernelERKNSE_10TensorBaseESI_lENKUlvE_clEvENKUlvE2_clEvEUlS7_S7_E_S7_EEDaPvRmT3_T4_T5_mT6_P12ihipStream_tbENKUlT_T0_E_clISt17integral_constantIbLb0EESZ_EEDaSU_SV_EUlSU_E_NS1_11comp_targetILNS1_3genE10ELNS1_11target_archE1200ELNS1_3gpuE4ELNS1_3repE0EEENS1_30default_config_static_selectorELNS0_4arch9wavefront6targetE1EEEvT1_, .Lfunc_end270-_ZN7rocprim17ROCPRIM_400000_NS6detail17trampoline_kernelINS0_14default_configENS1_20scan_config_selectorIN3c107complexIfEEEEZZNS1_9scan_implILNS1_25lookback_scan_determinismE0ELb0ELb0ES3_PKS7_PS7_S7_ZZZN2at6native31launch_logcumsumexp_cuda_kernelERKNSE_10TensorBaseESI_lENKUlvE_clEvENKUlvE2_clEvEUlS7_S7_E_S7_EEDaPvRmT3_T4_T5_mT6_P12ihipStream_tbENKUlT_T0_E_clISt17integral_constantIbLb0EESZ_EEDaSU_SV_EUlSU_E_NS1_11comp_targetILNS1_3genE10ELNS1_11target_archE1200ELNS1_3gpuE4ELNS1_3repE0EEENS1_30default_config_static_selectorELNS0_4arch9wavefront6targetE1EEEvT1_
                                        ; -- End function
	.set _ZN7rocprim17ROCPRIM_400000_NS6detail17trampoline_kernelINS0_14default_configENS1_20scan_config_selectorIN3c107complexIfEEEEZZNS1_9scan_implILNS1_25lookback_scan_determinismE0ELb0ELb0ES3_PKS7_PS7_S7_ZZZN2at6native31launch_logcumsumexp_cuda_kernelERKNSE_10TensorBaseESI_lENKUlvE_clEvENKUlvE2_clEvEUlS7_S7_E_S7_EEDaPvRmT3_T4_T5_mT6_P12ihipStream_tbENKUlT_T0_E_clISt17integral_constantIbLb0EESZ_EEDaSU_SV_EUlSU_E_NS1_11comp_targetILNS1_3genE10ELNS1_11target_archE1200ELNS1_3gpuE4ELNS1_3repE0EEENS1_30default_config_static_selectorELNS0_4arch9wavefront6targetE1EEEvT1_.num_vgpr, 0
	.set _ZN7rocprim17ROCPRIM_400000_NS6detail17trampoline_kernelINS0_14default_configENS1_20scan_config_selectorIN3c107complexIfEEEEZZNS1_9scan_implILNS1_25lookback_scan_determinismE0ELb0ELb0ES3_PKS7_PS7_S7_ZZZN2at6native31launch_logcumsumexp_cuda_kernelERKNSE_10TensorBaseESI_lENKUlvE_clEvENKUlvE2_clEvEUlS7_S7_E_S7_EEDaPvRmT3_T4_T5_mT6_P12ihipStream_tbENKUlT_T0_E_clISt17integral_constantIbLb0EESZ_EEDaSU_SV_EUlSU_E_NS1_11comp_targetILNS1_3genE10ELNS1_11target_archE1200ELNS1_3gpuE4ELNS1_3repE0EEENS1_30default_config_static_selectorELNS0_4arch9wavefront6targetE1EEEvT1_.num_agpr, 0
	.set _ZN7rocprim17ROCPRIM_400000_NS6detail17trampoline_kernelINS0_14default_configENS1_20scan_config_selectorIN3c107complexIfEEEEZZNS1_9scan_implILNS1_25lookback_scan_determinismE0ELb0ELb0ES3_PKS7_PS7_S7_ZZZN2at6native31launch_logcumsumexp_cuda_kernelERKNSE_10TensorBaseESI_lENKUlvE_clEvENKUlvE2_clEvEUlS7_S7_E_S7_EEDaPvRmT3_T4_T5_mT6_P12ihipStream_tbENKUlT_T0_E_clISt17integral_constantIbLb0EESZ_EEDaSU_SV_EUlSU_E_NS1_11comp_targetILNS1_3genE10ELNS1_11target_archE1200ELNS1_3gpuE4ELNS1_3repE0EEENS1_30default_config_static_selectorELNS0_4arch9wavefront6targetE1EEEvT1_.numbered_sgpr, 0
	.set _ZN7rocprim17ROCPRIM_400000_NS6detail17trampoline_kernelINS0_14default_configENS1_20scan_config_selectorIN3c107complexIfEEEEZZNS1_9scan_implILNS1_25lookback_scan_determinismE0ELb0ELb0ES3_PKS7_PS7_S7_ZZZN2at6native31launch_logcumsumexp_cuda_kernelERKNSE_10TensorBaseESI_lENKUlvE_clEvENKUlvE2_clEvEUlS7_S7_E_S7_EEDaPvRmT3_T4_T5_mT6_P12ihipStream_tbENKUlT_T0_E_clISt17integral_constantIbLb0EESZ_EEDaSU_SV_EUlSU_E_NS1_11comp_targetILNS1_3genE10ELNS1_11target_archE1200ELNS1_3gpuE4ELNS1_3repE0EEENS1_30default_config_static_selectorELNS0_4arch9wavefront6targetE1EEEvT1_.num_named_barrier, 0
	.set _ZN7rocprim17ROCPRIM_400000_NS6detail17trampoline_kernelINS0_14default_configENS1_20scan_config_selectorIN3c107complexIfEEEEZZNS1_9scan_implILNS1_25lookback_scan_determinismE0ELb0ELb0ES3_PKS7_PS7_S7_ZZZN2at6native31launch_logcumsumexp_cuda_kernelERKNSE_10TensorBaseESI_lENKUlvE_clEvENKUlvE2_clEvEUlS7_S7_E_S7_EEDaPvRmT3_T4_T5_mT6_P12ihipStream_tbENKUlT_T0_E_clISt17integral_constantIbLb0EESZ_EEDaSU_SV_EUlSU_E_NS1_11comp_targetILNS1_3genE10ELNS1_11target_archE1200ELNS1_3gpuE4ELNS1_3repE0EEENS1_30default_config_static_selectorELNS0_4arch9wavefront6targetE1EEEvT1_.private_seg_size, 0
	.set _ZN7rocprim17ROCPRIM_400000_NS6detail17trampoline_kernelINS0_14default_configENS1_20scan_config_selectorIN3c107complexIfEEEEZZNS1_9scan_implILNS1_25lookback_scan_determinismE0ELb0ELb0ES3_PKS7_PS7_S7_ZZZN2at6native31launch_logcumsumexp_cuda_kernelERKNSE_10TensorBaseESI_lENKUlvE_clEvENKUlvE2_clEvEUlS7_S7_E_S7_EEDaPvRmT3_T4_T5_mT6_P12ihipStream_tbENKUlT_T0_E_clISt17integral_constantIbLb0EESZ_EEDaSU_SV_EUlSU_E_NS1_11comp_targetILNS1_3genE10ELNS1_11target_archE1200ELNS1_3gpuE4ELNS1_3repE0EEENS1_30default_config_static_selectorELNS0_4arch9wavefront6targetE1EEEvT1_.uses_vcc, 0
	.set _ZN7rocprim17ROCPRIM_400000_NS6detail17trampoline_kernelINS0_14default_configENS1_20scan_config_selectorIN3c107complexIfEEEEZZNS1_9scan_implILNS1_25lookback_scan_determinismE0ELb0ELb0ES3_PKS7_PS7_S7_ZZZN2at6native31launch_logcumsumexp_cuda_kernelERKNSE_10TensorBaseESI_lENKUlvE_clEvENKUlvE2_clEvEUlS7_S7_E_S7_EEDaPvRmT3_T4_T5_mT6_P12ihipStream_tbENKUlT_T0_E_clISt17integral_constantIbLb0EESZ_EEDaSU_SV_EUlSU_E_NS1_11comp_targetILNS1_3genE10ELNS1_11target_archE1200ELNS1_3gpuE4ELNS1_3repE0EEENS1_30default_config_static_selectorELNS0_4arch9wavefront6targetE1EEEvT1_.uses_flat_scratch, 0
	.set _ZN7rocprim17ROCPRIM_400000_NS6detail17trampoline_kernelINS0_14default_configENS1_20scan_config_selectorIN3c107complexIfEEEEZZNS1_9scan_implILNS1_25lookback_scan_determinismE0ELb0ELb0ES3_PKS7_PS7_S7_ZZZN2at6native31launch_logcumsumexp_cuda_kernelERKNSE_10TensorBaseESI_lENKUlvE_clEvENKUlvE2_clEvEUlS7_S7_E_S7_EEDaPvRmT3_T4_T5_mT6_P12ihipStream_tbENKUlT_T0_E_clISt17integral_constantIbLb0EESZ_EEDaSU_SV_EUlSU_E_NS1_11comp_targetILNS1_3genE10ELNS1_11target_archE1200ELNS1_3gpuE4ELNS1_3repE0EEENS1_30default_config_static_selectorELNS0_4arch9wavefront6targetE1EEEvT1_.has_dyn_sized_stack, 0
	.set _ZN7rocprim17ROCPRIM_400000_NS6detail17trampoline_kernelINS0_14default_configENS1_20scan_config_selectorIN3c107complexIfEEEEZZNS1_9scan_implILNS1_25lookback_scan_determinismE0ELb0ELb0ES3_PKS7_PS7_S7_ZZZN2at6native31launch_logcumsumexp_cuda_kernelERKNSE_10TensorBaseESI_lENKUlvE_clEvENKUlvE2_clEvEUlS7_S7_E_S7_EEDaPvRmT3_T4_T5_mT6_P12ihipStream_tbENKUlT_T0_E_clISt17integral_constantIbLb0EESZ_EEDaSU_SV_EUlSU_E_NS1_11comp_targetILNS1_3genE10ELNS1_11target_archE1200ELNS1_3gpuE4ELNS1_3repE0EEENS1_30default_config_static_selectorELNS0_4arch9wavefront6targetE1EEEvT1_.has_recursion, 0
	.set _ZN7rocprim17ROCPRIM_400000_NS6detail17trampoline_kernelINS0_14default_configENS1_20scan_config_selectorIN3c107complexIfEEEEZZNS1_9scan_implILNS1_25lookback_scan_determinismE0ELb0ELb0ES3_PKS7_PS7_S7_ZZZN2at6native31launch_logcumsumexp_cuda_kernelERKNSE_10TensorBaseESI_lENKUlvE_clEvENKUlvE2_clEvEUlS7_S7_E_S7_EEDaPvRmT3_T4_T5_mT6_P12ihipStream_tbENKUlT_T0_E_clISt17integral_constantIbLb0EESZ_EEDaSU_SV_EUlSU_E_NS1_11comp_targetILNS1_3genE10ELNS1_11target_archE1200ELNS1_3gpuE4ELNS1_3repE0EEENS1_30default_config_static_selectorELNS0_4arch9wavefront6targetE1EEEvT1_.has_indirect_call, 0
	.section	.AMDGPU.csdata,"",@progbits
; Kernel info:
; codeLenInByte = 0
; TotalNumSgprs: 4
; NumVgprs: 0
; ScratchSize: 0
; MemoryBound: 0
; FloatMode: 240
; IeeeMode: 1
; LDSByteSize: 0 bytes/workgroup (compile time only)
; SGPRBlocks: 0
; VGPRBlocks: 0
; NumSGPRsForWavesPerEU: 4
; NumVGPRsForWavesPerEU: 1
; Occupancy: 10
; WaveLimiterHint : 0
; COMPUTE_PGM_RSRC2:SCRATCH_EN: 0
; COMPUTE_PGM_RSRC2:USER_SGPR: 6
; COMPUTE_PGM_RSRC2:TRAP_HANDLER: 0
; COMPUTE_PGM_RSRC2:TGID_X_EN: 1
; COMPUTE_PGM_RSRC2:TGID_Y_EN: 0
; COMPUTE_PGM_RSRC2:TGID_Z_EN: 0
; COMPUTE_PGM_RSRC2:TIDIG_COMP_CNT: 0
	.section	.text._ZN7rocprim17ROCPRIM_400000_NS6detail17trampoline_kernelINS0_14default_configENS1_20scan_config_selectorIN3c107complexIfEEEEZZNS1_9scan_implILNS1_25lookback_scan_determinismE0ELb0ELb0ES3_PKS7_PS7_S7_ZZZN2at6native31launch_logcumsumexp_cuda_kernelERKNSE_10TensorBaseESI_lENKUlvE_clEvENKUlvE2_clEvEUlS7_S7_E_S7_EEDaPvRmT3_T4_T5_mT6_P12ihipStream_tbENKUlT_T0_E_clISt17integral_constantIbLb0EESZ_EEDaSU_SV_EUlSU_E_NS1_11comp_targetILNS1_3genE9ELNS1_11target_archE1100ELNS1_3gpuE3ELNS1_3repE0EEENS1_30default_config_static_selectorELNS0_4arch9wavefront6targetE1EEEvT1_,"axG",@progbits,_ZN7rocprim17ROCPRIM_400000_NS6detail17trampoline_kernelINS0_14default_configENS1_20scan_config_selectorIN3c107complexIfEEEEZZNS1_9scan_implILNS1_25lookback_scan_determinismE0ELb0ELb0ES3_PKS7_PS7_S7_ZZZN2at6native31launch_logcumsumexp_cuda_kernelERKNSE_10TensorBaseESI_lENKUlvE_clEvENKUlvE2_clEvEUlS7_S7_E_S7_EEDaPvRmT3_T4_T5_mT6_P12ihipStream_tbENKUlT_T0_E_clISt17integral_constantIbLb0EESZ_EEDaSU_SV_EUlSU_E_NS1_11comp_targetILNS1_3genE9ELNS1_11target_archE1100ELNS1_3gpuE3ELNS1_3repE0EEENS1_30default_config_static_selectorELNS0_4arch9wavefront6targetE1EEEvT1_,comdat
	.globl	_ZN7rocprim17ROCPRIM_400000_NS6detail17trampoline_kernelINS0_14default_configENS1_20scan_config_selectorIN3c107complexIfEEEEZZNS1_9scan_implILNS1_25lookback_scan_determinismE0ELb0ELb0ES3_PKS7_PS7_S7_ZZZN2at6native31launch_logcumsumexp_cuda_kernelERKNSE_10TensorBaseESI_lENKUlvE_clEvENKUlvE2_clEvEUlS7_S7_E_S7_EEDaPvRmT3_T4_T5_mT6_P12ihipStream_tbENKUlT_T0_E_clISt17integral_constantIbLb0EESZ_EEDaSU_SV_EUlSU_E_NS1_11comp_targetILNS1_3genE9ELNS1_11target_archE1100ELNS1_3gpuE3ELNS1_3repE0EEENS1_30default_config_static_selectorELNS0_4arch9wavefront6targetE1EEEvT1_ ; -- Begin function _ZN7rocprim17ROCPRIM_400000_NS6detail17trampoline_kernelINS0_14default_configENS1_20scan_config_selectorIN3c107complexIfEEEEZZNS1_9scan_implILNS1_25lookback_scan_determinismE0ELb0ELb0ES3_PKS7_PS7_S7_ZZZN2at6native31launch_logcumsumexp_cuda_kernelERKNSE_10TensorBaseESI_lENKUlvE_clEvENKUlvE2_clEvEUlS7_S7_E_S7_EEDaPvRmT3_T4_T5_mT6_P12ihipStream_tbENKUlT_T0_E_clISt17integral_constantIbLb0EESZ_EEDaSU_SV_EUlSU_E_NS1_11comp_targetILNS1_3genE9ELNS1_11target_archE1100ELNS1_3gpuE3ELNS1_3repE0EEENS1_30default_config_static_selectorELNS0_4arch9wavefront6targetE1EEEvT1_
	.p2align	8
	.type	_ZN7rocprim17ROCPRIM_400000_NS6detail17trampoline_kernelINS0_14default_configENS1_20scan_config_selectorIN3c107complexIfEEEEZZNS1_9scan_implILNS1_25lookback_scan_determinismE0ELb0ELb0ES3_PKS7_PS7_S7_ZZZN2at6native31launch_logcumsumexp_cuda_kernelERKNSE_10TensorBaseESI_lENKUlvE_clEvENKUlvE2_clEvEUlS7_S7_E_S7_EEDaPvRmT3_T4_T5_mT6_P12ihipStream_tbENKUlT_T0_E_clISt17integral_constantIbLb0EESZ_EEDaSU_SV_EUlSU_E_NS1_11comp_targetILNS1_3genE9ELNS1_11target_archE1100ELNS1_3gpuE3ELNS1_3repE0EEENS1_30default_config_static_selectorELNS0_4arch9wavefront6targetE1EEEvT1_,@function
_ZN7rocprim17ROCPRIM_400000_NS6detail17trampoline_kernelINS0_14default_configENS1_20scan_config_selectorIN3c107complexIfEEEEZZNS1_9scan_implILNS1_25lookback_scan_determinismE0ELb0ELb0ES3_PKS7_PS7_S7_ZZZN2at6native31launch_logcumsumexp_cuda_kernelERKNSE_10TensorBaseESI_lENKUlvE_clEvENKUlvE2_clEvEUlS7_S7_E_S7_EEDaPvRmT3_T4_T5_mT6_P12ihipStream_tbENKUlT_T0_E_clISt17integral_constantIbLb0EESZ_EEDaSU_SV_EUlSU_E_NS1_11comp_targetILNS1_3genE9ELNS1_11target_archE1100ELNS1_3gpuE3ELNS1_3repE0EEENS1_30default_config_static_selectorELNS0_4arch9wavefront6targetE1EEEvT1_: ; @_ZN7rocprim17ROCPRIM_400000_NS6detail17trampoline_kernelINS0_14default_configENS1_20scan_config_selectorIN3c107complexIfEEEEZZNS1_9scan_implILNS1_25lookback_scan_determinismE0ELb0ELb0ES3_PKS7_PS7_S7_ZZZN2at6native31launch_logcumsumexp_cuda_kernelERKNSE_10TensorBaseESI_lENKUlvE_clEvENKUlvE2_clEvEUlS7_S7_E_S7_EEDaPvRmT3_T4_T5_mT6_P12ihipStream_tbENKUlT_T0_E_clISt17integral_constantIbLb0EESZ_EEDaSU_SV_EUlSU_E_NS1_11comp_targetILNS1_3genE9ELNS1_11target_archE1100ELNS1_3gpuE3ELNS1_3repE0EEENS1_30default_config_static_selectorELNS0_4arch9wavefront6targetE1EEEvT1_
; %bb.0:
	.section	.rodata,"a",@progbits
	.p2align	6, 0x0
	.amdhsa_kernel _ZN7rocprim17ROCPRIM_400000_NS6detail17trampoline_kernelINS0_14default_configENS1_20scan_config_selectorIN3c107complexIfEEEEZZNS1_9scan_implILNS1_25lookback_scan_determinismE0ELb0ELb0ES3_PKS7_PS7_S7_ZZZN2at6native31launch_logcumsumexp_cuda_kernelERKNSE_10TensorBaseESI_lENKUlvE_clEvENKUlvE2_clEvEUlS7_S7_E_S7_EEDaPvRmT3_T4_T5_mT6_P12ihipStream_tbENKUlT_T0_E_clISt17integral_constantIbLb0EESZ_EEDaSU_SV_EUlSU_E_NS1_11comp_targetILNS1_3genE9ELNS1_11target_archE1100ELNS1_3gpuE3ELNS1_3repE0EEENS1_30default_config_static_selectorELNS0_4arch9wavefront6targetE1EEEvT1_
		.amdhsa_group_segment_fixed_size 0
		.amdhsa_private_segment_fixed_size 0
		.amdhsa_kernarg_size 104
		.amdhsa_user_sgpr_count 6
		.amdhsa_user_sgpr_private_segment_buffer 1
		.amdhsa_user_sgpr_dispatch_ptr 0
		.amdhsa_user_sgpr_queue_ptr 0
		.amdhsa_user_sgpr_kernarg_segment_ptr 1
		.amdhsa_user_sgpr_dispatch_id 0
		.amdhsa_user_sgpr_flat_scratch_init 0
		.amdhsa_user_sgpr_private_segment_size 0
		.amdhsa_uses_dynamic_stack 0
		.amdhsa_system_sgpr_private_segment_wavefront_offset 0
		.amdhsa_system_sgpr_workgroup_id_x 1
		.amdhsa_system_sgpr_workgroup_id_y 0
		.amdhsa_system_sgpr_workgroup_id_z 0
		.amdhsa_system_sgpr_workgroup_info 0
		.amdhsa_system_vgpr_workitem_id 0
		.amdhsa_next_free_vgpr 1
		.amdhsa_next_free_sgpr 0
		.amdhsa_reserve_vcc 0
		.amdhsa_reserve_flat_scratch 0
		.amdhsa_float_round_mode_32 0
		.amdhsa_float_round_mode_16_64 0
		.amdhsa_float_denorm_mode_32 3
		.amdhsa_float_denorm_mode_16_64 3
		.amdhsa_dx10_clamp 1
		.amdhsa_ieee_mode 1
		.amdhsa_fp16_overflow 0
		.amdhsa_exception_fp_ieee_invalid_op 0
		.amdhsa_exception_fp_denorm_src 0
		.amdhsa_exception_fp_ieee_div_zero 0
		.amdhsa_exception_fp_ieee_overflow 0
		.amdhsa_exception_fp_ieee_underflow 0
		.amdhsa_exception_fp_ieee_inexact 0
		.amdhsa_exception_int_div_zero 0
	.end_amdhsa_kernel
	.section	.text._ZN7rocprim17ROCPRIM_400000_NS6detail17trampoline_kernelINS0_14default_configENS1_20scan_config_selectorIN3c107complexIfEEEEZZNS1_9scan_implILNS1_25lookback_scan_determinismE0ELb0ELb0ES3_PKS7_PS7_S7_ZZZN2at6native31launch_logcumsumexp_cuda_kernelERKNSE_10TensorBaseESI_lENKUlvE_clEvENKUlvE2_clEvEUlS7_S7_E_S7_EEDaPvRmT3_T4_T5_mT6_P12ihipStream_tbENKUlT_T0_E_clISt17integral_constantIbLb0EESZ_EEDaSU_SV_EUlSU_E_NS1_11comp_targetILNS1_3genE9ELNS1_11target_archE1100ELNS1_3gpuE3ELNS1_3repE0EEENS1_30default_config_static_selectorELNS0_4arch9wavefront6targetE1EEEvT1_,"axG",@progbits,_ZN7rocprim17ROCPRIM_400000_NS6detail17trampoline_kernelINS0_14default_configENS1_20scan_config_selectorIN3c107complexIfEEEEZZNS1_9scan_implILNS1_25lookback_scan_determinismE0ELb0ELb0ES3_PKS7_PS7_S7_ZZZN2at6native31launch_logcumsumexp_cuda_kernelERKNSE_10TensorBaseESI_lENKUlvE_clEvENKUlvE2_clEvEUlS7_S7_E_S7_EEDaPvRmT3_T4_T5_mT6_P12ihipStream_tbENKUlT_T0_E_clISt17integral_constantIbLb0EESZ_EEDaSU_SV_EUlSU_E_NS1_11comp_targetILNS1_3genE9ELNS1_11target_archE1100ELNS1_3gpuE3ELNS1_3repE0EEENS1_30default_config_static_selectorELNS0_4arch9wavefront6targetE1EEEvT1_,comdat
.Lfunc_end271:
	.size	_ZN7rocprim17ROCPRIM_400000_NS6detail17trampoline_kernelINS0_14default_configENS1_20scan_config_selectorIN3c107complexIfEEEEZZNS1_9scan_implILNS1_25lookback_scan_determinismE0ELb0ELb0ES3_PKS7_PS7_S7_ZZZN2at6native31launch_logcumsumexp_cuda_kernelERKNSE_10TensorBaseESI_lENKUlvE_clEvENKUlvE2_clEvEUlS7_S7_E_S7_EEDaPvRmT3_T4_T5_mT6_P12ihipStream_tbENKUlT_T0_E_clISt17integral_constantIbLb0EESZ_EEDaSU_SV_EUlSU_E_NS1_11comp_targetILNS1_3genE9ELNS1_11target_archE1100ELNS1_3gpuE3ELNS1_3repE0EEENS1_30default_config_static_selectorELNS0_4arch9wavefront6targetE1EEEvT1_, .Lfunc_end271-_ZN7rocprim17ROCPRIM_400000_NS6detail17trampoline_kernelINS0_14default_configENS1_20scan_config_selectorIN3c107complexIfEEEEZZNS1_9scan_implILNS1_25lookback_scan_determinismE0ELb0ELb0ES3_PKS7_PS7_S7_ZZZN2at6native31launch_logcumsumexp_cuda_kernelERKNSE_10TensorBaseESI_lENKUlvE_clEvENKUlvE2_clEvEUlS7_S7_E_S7_EEDaPvRmT3_T4_T5_mT6_P12ihipStream_tbENKUlT_T0_E_clISt17integral_constantIbLb0EESZ_EEDaSU_SV_EUlSU_E_NS1_11comp_targetILNS1_3genE9ELNS1_11target_archE1100ELNS1_3gpuE3ELNS1_3repE0EEENS1_30default_config_static_selectorELNS0_4arch9wavefront6targetE1EEEvT1_
                                        ; -- End function
	.set _ZN7rocprim17ROCPRIM_400000_NS6detail17trampoline_kernelINS0_14default_configENS1_20scan_config_selectorIN3c107complexIfEEEEZZNS1_9scan_implILNS1_25lookback_scan_determinismE0ELb0ELb0ES3_PKS7_PS7_S7_ZZZN2at6native31launch_logcumsumexp_cuda_kernelERKNSE_10TensorBaseESI_lENKUlvE_clEvENKUlvE2_clEvEUlS7_S7_E_S7_EEDaPvRmT3_T4_T5_mT6_P12ihipStream_tbENKUlT_T0_E_clISt17integral_constantIbLb0EESZ_EEDaSU_SV_EUlSU_E_NS1_11comp_targetILNS1_3genE9ELNS1_11target_archE1100ELNS1_3gpuE3ELNS1_3repE0EEENS1_30default_config_static_selectorELNS0_4arch9wavefront6targetE1EEEvT1_.num_vgpr, 0
	.set _ZN7rocprim17ROCPRIM_400000_NS6detail17trampoline_kernelINS0_14default_configENS1_20scan_config_selectorIN3c107complexIfEEEEZZNS1_9scan_implILNS1_25lookback_scan_determinismE0ELb0ELb0ES3_PKS7_PS7_S7_ZZZN2at6native31launch_logcumsumexp_cuda_kernelERKNSE_10TensorBaseESI_lENKUlvE_clEvENKUlvE2_clEvEUlS7_S7_E_S7_EEDaPvRmT3_T4_T5_mT6_P12ihipStream_tbENKUlT_T0_E_clISt17integral_constantIbLb0EESZ_EEDaSU_SV_EUlSU_E_NS1_11comp_targetILNS1_3genE9ELNS1_11target_archE1100ELNS1_3gpuE3ELNS1_3repE0EEENS1_30default_config_static_selectorELNS0_4arch9wavefront6targetE1EEEvT1_.num_agpr, 0
	.set _ZN7rocprim17ROCPRIM_400000_NS6detail17trampoline_kernelINS0_14default_configENS1_20scan_config_selectorIN3c107complexIfEEEEZZNS1_9scan_implILNS1_25lookback_scan_determinismE0ELb0ELb0ES3_PKS7_PS7_S7_ZZZN2at6native31launch_logcumsumexp_cuda_kernelERKNSE_10TensorBaseESI_lENKUlvE_clEvENKUlvE2_clEvEUlS7_S7_E_S7_EEDaPvRmT3_T4_T5_mT6_P12ihipStream_tbENKUlT_T0_E_clISt17integral_constantIbLb0EESZ_EEDaSU_SV_EUlSU_E_NS1_11comp_targetILNS1_3genE9ELNS1_11target_archE1100ELNS1_3gpuE3ELNS1_3repE0EEENS1_30default_config_static_selectorELNS0_4arch9wavefront6targetE1EEEvT1_.numbered_sgpr, 0
	.set _ZN7rocprim17ROCPRIM_400000_NS6detail17trampoline_kernelINS0_14default_configENS1_20scan_config_selectorIN3c107complexIfEEEEZZNS1_9scan_implILNS1_25lookback_scan_determinismE0ELb0ELb0ES3_PKS7_PS7_S7_ZZZN2at6native31launch_logcumsumexp_cuda_kernelERKNSE_10TensorBaseESI_lENKUlvE_clEvENKUlvE2_clEvEUlS7_S7_E_S7_EEDaPvRmT3_T4_T5_mT6_P12ihipStream_tbENKUlT_T0_E_clISt17integral_constantIbLb0EESZ_EEDaSU_SV_EUlSU_E_NS1_11comp_targetILNS1_3genE9ELNS1_11target_archE1100ELNS1_3gpuE3ELNS1_3repE0EEENS1_30default_config_static_selectorELNS0_4arch9wavefront6targetE1EEEvT1_.num_named_barrier, 0
	.set _ZN7rocprim17ROCPRIM_400000_NS6detail17trampoline_kernelINS0_14default_configENS1_20scan_config_selectorIN3c107complexIfEEEEZZNS1_9scan_implILNS1_25lookback_scan_determinismE0ELb0ELb0ES3_PKS7_PS7_S7_ZZZN2at6native31launch_logcumsumexp_cuda_kernelERKNSE_10TensorBaseESI_lENKUlvE_clEvENKUlvE2_clEvEUlS7_S7_E_S7_EEDaPvRmT3_T4_T5_mT6_P12ihipStream_tbENKUlT_T0_E_clISt17integral_constantIbLb0EESZ_EEDaSU_SV_EUlSU_E_NS1_11comp_targetILNS1_3genE9ELNS1_11target_archE1100ELNS1_3gpuE3ELNS1_3repE0EEENS1_30default_config_static_selectorELNS0_4arch9wavefront6targetE1EEEvT1_.private_seg_size, 0
	.set _ZN7rocprim17ROCPRIM_400000_NS6detail17trampoline_kernelINS0_14default_configENS1_20scan_config_selectorIN3c107complexIfEEEEZZNS1_9scan_implILNS1_25lookback_scan_determinismE0ELb0ELb0ES3_PKS7_PS7_S7_ZZZN2at6native31launch_logcumsumexp_cuda_kernelERKNSE_10TensorBaseESI_lENKUlvE_clEvENKUlvE2_clEvEUlS7_S7_E_S7_EEDaPvRmT3_T4_T5_mT6_P12ihipStream_tbENKUlT_T0_E_clISt17integral_constantIbLb0EESZ_EEDaSU_SV_EUlSU_E_NS1_11comp_targetILNS1_3genE9ELNS1_11target_archE1100ELNS1_3gpuE3ELNS1_3repE0EEENS1_30default_config_static_selectorELNS0_4arch9wavefront6targetE1EEEvT1_.uses_vcc, 0
	.set _ZN7rocprim17ROCPRIM_400000_NS6detail17trampoline_kernelINS0_14default_configENS1_20scan_config_selectorIN3c107complexIfEEEEZZNS1_9scan_implILNS1_25lookback_scan_determinismE0ELb0ELb0ES3_PKS7_PS7_S7_ZZZN2at6native31launch_logcumsumexp_cuda_kernelERKNSE_10TensorBaseESI_lENKUlvE_clEvENKUlvE2_clEvEUlS7_S7_E_S7_EEDaPvRmT3_T4_T5_mT6_P12ihipStream_tbENKUlT_T0_E_clISt17integral_constantIbLb0EESZ_EEDaSU_SV_EUlSU_E_NS1_11comp_targetILNS1_3genE9ELNS1_11target_archE1100ELNS1_3gpuE3ELNS1_3repE0EEENS1_30default_config_static_selectorELNS0_4arch9wavefront6targetE1EEEvT1_.uses_flat_scratch, 0
	.set _ZN7rocprim17ROCPRIM_400000_NS6detail17trampoline_kernelINS0_14default_configENS1_20scan_config_selectorIN3c107complexIfEEEEZZNS1_9scan_implILNS1_25lookback_scan_determinismE0ELb0ELb0ES3_PKS7_PS7_S7_ZZZN2at6native31launch_logcumsumexp_cuda_kernelERKNSE_10TensorBaseESI_lENKUlvE_clEvENKUlvE2_clEvEUlS7_S7_E_S7_EEDaPvRmT3_T4_T5_mT6_P12ihipStream_tbENKUlT_T0_E_clISt17integral_constantIbLb0EESZ_EEDaSU_SV_EUlSU_E_NS1_11comp_targetILNS1_3genE9ELNS1_11target_archE1100ELNS1_3gpuE3ELNS1_3repE0EEENS1_30default_config_static_selectorELNS0_4arch9wavefront6targetE1EEEvT1_.has_dyn_sized_stack, 0
	.set _ZN7rocprim17ROCPRIM_400000_NS6detail17trampoline_kernelINS0_14default_configENS1_20scan_config_selectorIN3c107complexIfEEEEZZNS1_9scan_implILNS1_25lookback_scan_determinismE0ELb0ELb0ES3_PKS7_PS7_S7_ZZZN2at6native31launch_logcumsumexp_cuda_kernelERKNSE_10TensorBaseESI_lENKUlvE_clEvENKUlvE2_clEvEUlS7_S7_E_S7_EEDaPvRmT3_T4_T5_mT6_P12ihipStream_tbENKUlT_T0_E_clISt17integral_constantIbLb0EESZ_EEDaSU_SV_EUlSU_E_NS1_11comp_targetILNS1_3genE9ELNS1_11target_archE1100ELNS1_3gpuE3ELNS1_3repE0EEENS1_30default_config_static_selectorELNS0_4arch9wavefront6targetE1EEEvT1_.has_recursion, 0
	.set _ZN7rocprim17ROCPRIM_400000_NS6detail17trampoline_kernelINS0_14default_configENS1_20scan_config_selectorIN3c107complexIfEEEEZZNS1_9scan_implILNS1_25lookback_scan_determinismE0ELb0ELb0ES3_PKS7_PS7_S7_ZZZN2at6native31launch_logcumsumexp_cuda_kernelERKNSE_10TensorBaseESI_lENKUlvE_clEvENKUlvE2_clEvEUlS7_S7_E_S7_EEDaPvRmT3_T4_T5_mT6_P12ihipStream_tbENKUlT_T0_E_clISt17integral_constantIbLb0EESZ_EEDaSU_SV_EUlSU_E_NS1_11comp_targetILNS1_3genE9ELNS1_11target_archE1100ELNS1_3gpuE3ELNS1_3repE0EEENS1_30default_config_static_selectorELNS0_4arch9wavefront6targetE1EEEvT1_.has_indirect_call, 0
	.section	.AMDGPU.csdata,"",@progbits
; Kernel info:
; codeLenInByte = 0
; TotalNumSgprs: 4
; NumVgprs: 0
; ScratchSize: 0
; MemoryBound: 0
; FloatMode: 240
; IeeeMode: 1
; LDSByteSize: 0 bytes/workgroup (compile time only)
; SGPRBlocks: 0
; VGPRBlocks: 0
; NumSGPRsForWavesPerEU: 4
; NumVGPRsForWavesPerEU: 1
; Occupancy: 10
; WaveLimiterHint : 0
; COMPUTE_PGM_RSRC2:SCRATCH_EN: 0
; COMPUTE_PGM_RSRC2:USER_SGPR: 6
; COMPUTE_PGM_RSRC2:TRAP_HANDLER: 0
; COMPUTE_PGM_RSRC2:TGID_X_EN: 1
; COMPUTE_PGM_RSRC2:TGID_Y_EN: 0
; COMPUTE_PGM_RSRC2:TGID_Z_EN: 0
; COMPUTE_PGM_RSRC2:TIDIG_COMP_CNT: 0
	.section	.text._ZN7rocprim17ROCPRIM_400000_NS6detail17trampoline_kernelINS0_14default_configENS1_20scan_config_selectorIN3c107complexIfEEEEZZNS1_9scan_implILNS1_25lookback_scan_determinismE0ELb0ELb0ES3_PKS7_PS7_S7_ZZZN2at6native31launch_logcumsumexp_cuda_kernelERKNSE_10TensorBaseESI_lENKUlvE_clEvENKUlvE2_clEvEUlS7_S7_E_S7_EEDaPvRmT3_T4_T5_mT6_P12ihipStream_tbENKUlT_T0_E_clISt17integral_constantIbLb0EESZ_EEDaSU_SV_EUlSU_E_NS1_11comp_targetILNS1_3genE8ELNS1_11target_archE1030ELNS1_3gpuE2ELNS1_3repE0EEENS1_30default_config_static_selectorELNS0_4arch9wavefront6targetE1EEEvT1_,"axG",@progbits,_ZN7rocprim17ROCPRIM_400000_NS6detail17trampoline_kernelINS0_14default_configENS1_20scan_config_selectorIN3c107complexIfEEEEZZNS1_9scan_implILNS1_25lookback_scan_determinismE0ELb0ELb0ES3_PKS7_PS7_S7_ZZZN2at6native31launch_logcumsumexp_cuda_kernelERKNSE_10TensorBaseESI_lENKUlvE_clEvENKUlvE2_clEvEUlS7_S7_E_S7_EEDaPvRmT3_T4_T5_mT6_P12ihipStream_tbENKUlT_T0_E_clISt17integral_constantIbLb0EESZ_EEDaSU_SV_EUlSU_E_NS1_11comp_targetILNS1_3genE8ELNS1_11target_archE1030ELNS1_3gpuE2ELNS1_3repE0EEENS1_30default_config_static_selectorELNS0_4arch9wavefront6targetE1EEEvT1_,comdat
	.globl	_ZN7rocprim17ROCPRIM_400000_NS6detail17trampoline_kernelINS0_14default_configENS1_20scan_config_selectorIN3c107complexIfEEEEZZNS1_9scan_implILNS1_25lookback_scan_determinismE0ELb0ELb0ES3_PKS7_PS7_S7_ZZZN2at6native31launch_logcumsumexp_cuda_kernelERKNSE_10TensorBaseESI_lENKUlvE_clEvENKUlvE2_clEvEUlS7_S7_E_S7_EEDaPvRmT3_T4_T5_mT6_P12ihipStream_tbENKUlT_T0_E_clISt17integral_constantIbLb0EESZ_EEDaSU_SV_EUlSU_E_NS1_11comp_targetILNS1_3genE8ELNS1_11target_archE1030ELNS1_3gpuE2ELNS1_3repE0EEENS1_30default_config_static_selectorELNS0_4arch9wavefront6targetE1EEEvT1_ ; -- Begin function _ZN7rocprim17ROCPRIM_400000_NS6detail17trampoline_kernelINS0_14default_configENS1_20scan_config_selectorIN3c107complexIfEEEEZZNS1_9scan_implILNS1_25lookback_scan_determinismE0ELb0ELb0ES3_PKS7_PS7_S7_ZZZN2at6native31launch_logcumsumexp_cuda_kernelERKNSE_10TensorBaseESI_lENKUlvE_clEvENKUlvE2_clEvEUlS7_S7_E_S7_EEDaPvRmT3_T4_T5_mT6_P12ihipStream_tbENKUlT_T0_E_clISt17integral_constantIbLb0EESZ_EEDaSU_SV_EUlSU_E_NS1_11comp_targetILNS1_3genE8ELNS1_11target_archE1030ELNS1_3gpuE2ELNS1_3repE0EEENS1_30default_config_static_selectorELNS0_4arch9wavefront6targetE1EEEvT1_
	.p2align	8
	.type	_ZN7rocprim17ROCPRIM_400000_NS6detail17trampoline_kernelINS0_14default_configENS1_20scan_config_selectorIN3c107complexIfEEEEZZNS1_9scan_implILNS1_25lookback_scan_determinismE0ELb0ELb0ES3_PKS7_PS7_S7_ZZZN2at6native31launch_logcumsumexp_cuda_kernelERKNSE_10TensorBaseESI_lENKUlvE_clEvENKUlvE2_clEvEUlS7_S7_E_S7_EEDaPvRmT3_T4_T5_mT6_P12ihipStream_tbENKUlT_T0_E_clISt17integral_constantIbLb0EESZ_EEDaSU_SV_EUlSU_E_NS1_11comp_targetILNS1_3genE8ELNS1_11target_archE1030ELNS1_3gpuE2ELNS1_3repE0EEENS1_30default_config_static_selectorELNS0_4arch9wavefront6targetE1EEEvT1_,@function
_ZN7rocprim17ROCPRIM_400000_NS6detail17trampoline_kernelINS0_14default_configENS1_20scan_config_selectorIN3c107complexIfEEEEZZNS1_9scan_implILNS1_25lookback_scan_determinismE0ELb0ELb0ES3_PKS7_PS7_S7_ZZZN2at6native31launch_logcumsumexp_cuda_kernelERKNSE_10TensorBaseESI_lENKUlvE_clEvENKUlvE2_clEvEUlS7_S7_E_S7_EEDaPvRmT3_T4_T5_mT6_P12ihipStream_tbENKUlT_T0_E_clISt17integral_constantIbLb0EESZ_EEDaSU_SV_EUlSU_E_NS1_11comp_targetILNS1_3genE8ELNS1_11target_archE1030ELNS1_3gpuE2ELNS1_3repE0EEENS1_30default_config_static_selectorELNS0_4arch9wavefront6targetE1EEEvT1_: ; @_ZN7rocprim17ROCPRIM_400000_NS6detail17trampoline_kernelINS0_14default_configENS1_20scan_config_selectorIN3c107complexIfEEEEZZNS1_9scan_implILNS1_25lookback_scan_determinismE0ELb0ELb0ES3_PKS7_PS7_S7_ZZZN2at6native31launch_logcumsumexp_cuda_kernelERKNSE_10TensorBaseESI_lENKUlvE_clEvENKUlvE2_clEvEUlS7_S7_E_S7_EEDaPvRmT3_T4_T5_mT6_P12ihipStream_tbENKUlT_T0_E_clISt17integral_constantIbLb0EESZ_EEDaSU_SV_EUlSU_E_NS1_11comp_targetILNS1_3genE8ELNS1_11target_archE1030ELNS1_3gpuE2ELNS1_3repE0EEENS1_30default_config_static_selectorELNS0_4arch9wavefront6targetE1EEEvT1_
; %bb.0:
	.section	.rodata,"a",@progbits
	.p2align	6, 0x0
	.amdhsa_kernel _ZN7rocprim17ROCPRIM_400000_NS6detail17trampoline_kernelINS0_14default_configENS1_20scan_config_selectorIN3c107complexIfEEEEZZNS1_9scan_implILNS1_25lookback_scan_determinismE0ELb0ELb0ES3_PKS7_PS7_S7_ZZZN2at6native31launch_logcumsumexp_cuda_kernelERKNSE_10TensorBaseESI_lENKUlvE_clEvENKUlvE2_clEvEUlS7_S7_E_S7_EEDaPvRmT3_T4_T5_mT6_P12ihipStream_tbENKUlT_T0_E_clISt17integral_constantIbLb0EESZ_EEDaSU_SV_EUlSU_E_NS1_11comp_targetILNS1_3genE8ELNS1_11target_archE1030ELNS1_3gpuE2ELNS1_3repE0EEENS1_30default_config_static_selectorELNS0_4arch9wavefront6targetE1EEEvT1_
		.amdhsa_group_segment_fixed_size 0
		.amdhsa_private_segment_fixed_size 0
		.amdhsa_kernarg_size 104
		.amdhsa_user_sgpr_count 6
		.amdhsa_user_sgpr_private_segment_buffer 1
		.amdhsa_user_sgpr_dispatch_ptr 0
		.amdhsa_user_sgpr_queue_ptr 0
		.amdhsa_user_sgpr_kernarg_segment_ptr 1
		.amdhsa_user_sgpr_dispatch_id 0
		.amdhsa_user_sgpr_flat_scratch_init 0
		.amdhsa_user_sgpr_private_segment_size 0
		.amdhsa_uses_dynamic_stack 0
		.amdhsa_system_sgpr_private_segment_wavefront_offset 0
		.amdhsa_system_sgpr_workgroup_id_x 1
		.amdhsa_system_sgpr_workgroup_id_y 0
		.amdhsa_system_sgpr_workgroup_id_z 0
		.amdhsa_system_sgpr_workgroup_info 0
		.amdhsa_system_vgpr_workitem_id 0
		.amdhsa_next_free_vgpr 1
		.amdhsa_next_free_sgpr 0
		.amdhsa_reserve_vcc 0
		.amdhsa_reserve_flat_scratch 0
		.amdhsa_float_round_mode_32 0
		.amdhsa_float_round_mode_16_64 0
		.amdhsa_float_denorm_mode_32 3
		.amdhsa_float_denorm_mode_16_64 3
		.amdhsa_dx10_clamp 1
		.amdhsa_ieee_mode 1
		.amdhsa_fp16_overflow 0
		.amdhsa_exception_fp_ieee_invalid_op 0
		.amdhsa_exception_fp_denorm_src 0
		.amdhsa_exception_fp_ieee_div_zero 0
		.amdhsa_exception_fp_ieee_overflow 0
		.amdhsa_exception_fp_ieee_underflow 0
		.amdhsa_exception_fp_ieee_inexact 0
		.amdhsa_exception_int_div_zero 0
	.end_amdhsa_kernel
	.section	.text._ZN7rocprim17ROCPRIM_400000_NS6detail17trampoline_kernelINS0_14default_configENS1_20scan_config_selectorIN3c107complexIfEEEEZZNS1_9scan_implILNS1_25lookback_scan_determinismE0ELb0ELb0ES3_PKS7_PS7_S7_ZZZN2at6native31launch_logcumsumexp_cuda_kernelERKNSE_10TensorBaseESI_lENKUlvE_clEvENKUlvE2_clEvEUlS7_S7_E_S7_EEDaPvRmT3_T4_T5_mT6_P12ihipStream_tbENKUlT_T0_E_clISt17integral_constantIbLb0EESZ_EEDaSU_SV_EUlSU_E_NS1_11comp_targetILNS1_3genE8ELNS1_11target_archE1030ELNS1_3gpuE2ELNS1_3repE0EEENS1_30default_config_static_selectorELNS0_4arch9wavefront6targetE1EEEvT1_,"axG",@progbits,_ZN7rocprim17ROCPRIM_400000_NS6detail17trampoline_kernelINS0_14default_configENS1_20scan_config_selectorIN3c107complexIfEEEEZZNS1_9scan_implILNS1_25lookback_scan_determinismE0ELb0ELb0ES3_PKS7_PS7_S7_ZZZN2at6native31launch_logcumsumexp_cuda_kernelERKNSE_10TensorBaseESI_lENKUlvE_clEvENKUlvE2_clEvEUlS7_S7_E_S7_EEDaPvRmT3_T4_T5_mT6_P12ihipStream_tbENKUlT_T0_E_clISt17integral_constantIbLb0EESZ_EEDaSU_SV_EUlSU_E_NS1_11comp_targetILNS1_3genE8ELNS1_11target_archE1030ELNS1_3gpuE2ELNS1_3repE0EEENS1_30default_config_static_selectorELNS0_4arch9wavefront6targetE1EEEvT1_,comdat
.Lfunc_end272:
	.size	_ZN7rocprim17ROCPRIM_400000_NS6detail17trampoline_kernelINS0_14default_configENS1_20scan_config_selectorIN3c107complexIfEEEEZZNS1_9scan_implILNS1_25lookback_scan_determinismE0ELb0ELb0ES3_PKS7_PS7_S7_ZZZN2at6native31launch_logcumsumexp_cuda_kernelERKNSE_10TensorBaseESI_lENKUlvE_clEvENKUlvE2_clEvEUlS7_S7_E_S7_EEDaPvRmT3_T4_T5_mT6_P12ihipStream_tbENKUlT_T0_E_clISt17integral_constantIbLb0EESZ_EEDaSU_SV_EUlSU_E_NS1_11comp_targetILNS1_3genE8ELNS1_11target_archE1030ELNS1_3gpuE2ELNS1_3repE0EEENS1_30default_config_static_selectorELNS0_4arch9wavefront6targetE1EEEvT1_, .Lfunc_end272-_ZN7rocprim17ROCPRIM_400000_NS6detail17trampoline_kernelINS0_14default_configENS1_20scan_config_selectorIN3c107complexIfEEEEZZNS1_9scan_implILNS1_25lookback_scan_determinismE0ELb0ELb0ES3_PKS7_PS7_S7_ZZZN2at6native31launch_logcumsumexp_cuda_kernelERKNSE_10TensorBaseESI_lENKUlvE_clEvENKUlvE2_clEvEUlS7_S7_E_S7_EEDaPvRmT3_T4_T5_mT6_P12ihipStream_tbENKUlT_T0_E_clISt17integral_constantIbLb0EESZ_EEDaSU_SV_EUlSU_E_NS1_11comp_targetILNS1_3genE8ELNS1_11target_archE1030ELNS1_3gpuE2ELNS1_3repE0EEENS1_30default_config_static_selectorELNS0_4arch9wavefront6targetE1EEEvT1_
                                        ; -- End function
	.set _ZN7rocprim17ROCPRIM_400000_NS6detail17trampoline_kernelINS0_14default_configENS1_20scan_config_selectorIN3c107complexIfEEEEZZNS1_9scan_implILNS1_25lookback_scan_determinismE0ELb0ELb0ES3_PKS7_PS7_S7_ZZZN2at6native31launch_logcumsumexp_cuda_kernelERKNSE_10TensorBaseESI_lENKUlvE_clEvENKUlvE2_clEvEUlS7_S7_E_S7_EEDaPvRmT3_T4_T5_mT6_P12ihipStream_tbENKUlT_T0_E_clISt17integral_constantIbLb0EESZ_EEDaSU_SV_EUlSU_E_NS1_11comp_targetILNS1_3genE8ELNS1_11target_archE1030ELNS1_3gpuE2ELNS1_3repE0EEENS1_30default_config_static_selectorELNS0_4arch9wavefront6targetE1EEEvT1_.num_vgpr, 0
	.set _ZN7rocprim17ROCPRIM_400000_NS6detail17trampoline_kernelINS0_14default_configENS1_20scan_config_selectorIN3c107complexIfEEEEZZNS1_9scan_implILNS1_25lookback_scan_determinismE0ELb0ELb0ES3_PKS7_PS7_S7_ZZZN2at6native31launch_logcumsumexp_cuda_kernelERKNSE_10TensorBaseESI_lENKUlvE_clEvENKUlvE2_clEvEUlS7_S7_E_S7_EEDaPvRmT3_T4_T5_mT6_P12ihipStream_tbENKUlT_T0_E_clISt17integral_constantIbLb0EESZ_EEDaSU_SV_EUlSU_E_NS1_11comp_targetILNS1_3genE8ELNS1_11target_archE1030ELNS1_3gpuE2ELNS1_3repE0EEENS1_30default_config_static_selectorELNS0_4arch9wavefront6targetE1EEEvT1_.num_agpr, 0
	.set _ZN7rocprim17ROCPRIM_400000_NS6detail17trampoline_kernelINS0_14default_configENS1_20scan_config_selectorIN3c107complexIfEEEEZZNS1_9scan_implILNS1_25lookback_scan_determinismE0ELb0ELb0ES3_PKS7_PS7_S7_ZZZN2at6native31launch_logcumsumexp_cuda_kernelERKNSE_10TensorBaseESI_lENKUlvE_clEvENKUlvE2_clEvEUlS7_S7_E_S7_EEDaPvRmT3_T4_T5_mT6_P12ihipStream_tbENKUlT_T0_E_clISt17integral_constantIbLb0EESZ_EEDaSU_SV_EUlSU_E_NS1_11comp_targetILNS1_3genE8ELNS1_11target_archE1030ELNS1_3gpuE2ELNS1_3repE0EEENS1_30default_config_static_selectorELNS0_4arch9wavefront6targetE1EEEvT1_.numbered_sgpr, 0
	.set _ZN7rocprim17ROCPRIM_400000_NS6detail17trampoline_kernelINS0_14default_configENS1_20scan_config_selectorIN3c107complexIfEEEEZZNS1_9scan_implILNS1_25lookback_scan_determinismE0ELb0ELb0ES3_PKS7_PS7_S7_ZZZN2at6native31launch_logcumsumexp_cuda_kernelERKNSE_10TensorBaseESI_lENKUlvE_clEvENKUlvE2_clEvEUlS7_S7_E_S7_EEDaPvRmT3_T4_T5_mT6_P12ihipStream_tbENKUlT_T0_E_clISt17integral_constantIbLb0EESZ_EEDaSU_SV_EUlSU_E_NS1_11comp_targetILNS1_3genE8ELNS1_11target_archE1030ELNS1_3gpuE2ELNS1_3repE0EEENS1_30default_config_static_selectorELNS0_4arch9wavefront6targetE1EEEvT1_.num_named_barrier, 0
	.set _ZN7rocprim17ROCPRIM_400000_NS6detail17trampoline_kernelINS0_14default_configENS1_20scan_config_selectorIN3c107complexIfEEEEZZNS1_9scan_implILNS1_25lookback_scan_determinismE0ELb0ELb0ES3_PKS7_PS7_S7_ZZZN2at6native31launch_logcumsumexp_cuda_kernelERKNSE_10TensorBaseESI_lENKUlvE_clEvENKUlvE2_clEvEUlS7_S7_E_S7_EEDaPvRmT3_T4_T5_mT6_P12ihipStream_tbENKUlT_T0_E_clISt17integral_constantIbLb0EESZ_EEDaSU_SV_EUlSU_E_NS1_11comp_targetILNS1_3genE8ELNS1_11target_archE1030ELNS1_3gpuE2ELNS1_3repE0EEENS1_30default_config_static_selectorELNS0_4arch9wavefront6targetE1EEEvT1_.private_seg_size, 0
	.set _ZN7rocprim17ROCPRIM_400000_NS6detail17trampoline_kernelINS0_14default_configENS1_20scan_config_selectorIN3c107complexIfEEEEZZNS1_9scan_implILNS1_25lookback_scan_determinismE0ELb0ELb0ES3_PKS7_PS7_S7_ZZZN2at6native31launch_logcumsumexp_cuda_kernelERKNSE_10TensorBaseESI_lENKUlvE_clEvENKUlvE2_clEvEUlS7_S7_E_S7_EEDaPvRmT3_T4_T5_mT6_P12ihipStream_tbENKUlT_T0_E_clISt17integral_constantIbLb0EESZ_EEDaSU_SV_EUlSU_E_NS1_11comp_targetILNS1_3genE8ELNS1_11target_archE1030ELNS1_3gpuE2ELNS1_3repE0EEENS1_30default_config_static_selectorELNS0_4arch9wavefront6targetE1EEEvT1_.uses_vcc, 0
	.set _ZN7rocprim17ROCPRIM_400000_NS6detail17trampoline_kernelINS0_14default_configENS1_20scan_config_selectorIN3c107complexIfEEEEZZNS1_9scan_implILNS1_25lookback_scan_determinismE0ELb0ELb0ES3_PKS7_PS7_S7_ZZZN2at6native31launch_logcumsumexp_cuda_kernelERKNSE_10TensorBaseESI_lENKUlvE_clEvENKUlvE2_clEvEUlS7_S7_E_S7_EEDaPvRmT3_T4_T5_mT6_P12ihipStream_tbENKUlT_T0_E_clISt17integral_constantIbLb0EESZ_EEDaSU_SV_EUlSU_E_NS1_11comp_targetILNS1_3genE8ELNS1_11target_archE1030ELNS1_3gpuE2ELNS1_3repE0EEENS1_30default_config_static_selectorELNS0_4arch9wavefront6targetE1EEEvT1_.uses_flat_scratch, 0
	.set _ZN7rocprim17ROCPRIM_400000_NS6detail17trampoline_kernelINS0_14default_configENS1_20scan_config_selectorIN3c107complexIfEEEEZZNS1_9scan_implILNS1_25lookback_scan_determinismE0ELb0ELb0ES3_PKS7_PS7_S7_ZZZN2at6native31launch_logcumsumexp_cuda_kernelERKNSE_10TensorBaseESI_lENKUlvE_clEvENKUlvE2_clEvEUlS7_S7_E_S7_EEDaPvRmT3_T4_T5_mT6_P12ihipStream_tbENKUlT_T0_E_clISt17integral_constantIbLb0EESZ_EEDaSU_SV_EUlSU_E_NS1_11comp_targetILNS1_3genE8ELNS1_11target_archE1030ELNS1_3gpuE2ELNS1_3repE0EEENS1_30default_config_static_selectorELNS0_4arch9wavefront6targetE1EEEvT1_.has_dyn_sized_stack, 0
	.set _ZN7rocprim17ROCPRIM_400000_NS6detail17trampoline_kernelINS0_14default_configENS1_20scan_config_selectorIN3c107complexIfEEEEZZNS1_9scan_implILNS1_25lookback_scan_determinismE0ELb0ELb0ES3_PKS7_PS7_S7_ZZZN2at6native31launch_logcumsumexp_cuda_kernelERKNSE_10TensorBaseESI_lENKUlvE_clEvENKUlvE2_clEvEUlS7_S7_E_S7_EEDaPvRmT3_T4_T5_mT6_P12ihipStream_tbENKUlT_T0_E_clISt17integral_constantIbLb0EESZ_EEDaSU_SV_EUlSU_E_NS1_11comp_targetILNS1_3genE8ELNS1_11target_archE1030ELNS1_3gpuE2ELNS1_3repE0EEENS1_30default_config_static_selectorELNS0_4arch9wavefront6targetE1EEEvT1_.has_recursion, 0
	.set _ZN7rocprim17ROCPRIM_400000_NS6detail17trampoline_kernelINS0_14default_configENS1_20scan_config_selectorIN3c107complexIfEEEEZZNS1_9scan_implILNS1_25lookback_scan_determinismE0ELb0ELb0ES3_PKS7_PS7_S7_ZZZN2at6native31launch_logcumsumexp_cuda_kernelERKNSE_10TensorBaseESI_lENKUlvE_clEvENKUlvE2_clEvEUlS7_S7_E_S7_EEDaPvRmT3_T4_T5_mT6_P12ihipStream_tbENKUlT_T0_E_clISt17integral_constantIbLb0EESZ_EEDaSU_SV_EUlSU_E_NS1_11comp_targetILNS1_3genE8ELNS1_11target_archE1030ELNS1_3gpuE2ELNS1_3repE0EEENS1_30default_config_static_selectorELNS0_4arch9wavefront6targetE1EEEvT1_.has_indirect_call, 0
	.section	.AMDGPU.csdata,"",@progbits
; Kernel info:
; codeLenInByte = 0
; TotalNumSgprs: 4
; NumVgprs: 0
; ScratchSize: 0
; MemoryBound: 0
; FloatMode: 240
; IeeeMode: 1
; LDSByteSize: 0 bytes/workgroup (compile time only)
; SGPRBlocks: 0
; VGPRBlocks: 0
; NumSGPRsForWavesPerEU: 4
; NumVGPRsForWavesPerEU: 1
; Occupancy: 10
; WaveLimiterHint : 0
; COMPUTE_PGM_RSRC2:SCRATCH_EN: 0
; COMPUTE_PGM_RSRC2:USER_SGPR: 6
; COMPUTE_PGM_RSRC2:TRAP_HANDLER: 0
; COMPUTE_PGM_RSRC2:TGID_X_EN: 1
; COMPUTE_PGM_RSRC2:TGID_Y_EN: 0
; COMPUTE_PGM_RSRC2:TGID_Z_EN: 0
; COMPUTE_PGM_RSRC2:TIDIG_COMP_CNT: 0
	.section	.text._ZN7rocprim17ROCPRIM_400000_NS6detail17trampoline_kernelINS0_14default_configENS1_25transform_config_selectorIN3c107complexIfEELb1EEEZNS1_14transform_implILb1ES3_S8_PS7_SA_NS0_8identityIS7_EEEE10hipError_tT2_T3_mT4_P12ihipStream_tbEUlT_E_NS1_11comp_targetILNS1_3genE0ELNS1_11target_archE4294967295ELNS1_3gpuE0ELNS1_3repE0EEENS1_30default_config_static_selectorELNS0_4arch9wavefront6targetE1EEEvT1_,"axG",@progbits,_ZN7rocprim17ROCPRIM_400000_NS6detail17trampoline_kernelINS0_14default_configENS1_25transform_config_selectorIN3c107complexIfEELb1EEEZNS1_14transform_implILb1ES3_S8_PS7_SA_NS0_8identityIS7_EEEE10hipError_tT2_T3_mT4_P12ihipStream_tbEUlT_E_NS1_11comp_targetILNS1_3genE0ELNS1_11target_archE4294967295ELNS1_3gpuE0ELNS1_3repE0EEENS1_30default_config_static_selectorELNS0_4arch9wavefront6targetE1EEEvT1_,comdat
	.protected	_ZN7rocprim17ROCPRIM_400000_NS6detail17trampoline_kernelINS0_14default_configENS1_25transform_config_selectorIN3c107complexIfEELb1EEEZNS1_14transform_implILb1ES3_S8_PS7_SA_NS0_8identityIS7_EEEE10hipError_tT2_T3_mT4_P12ihipStream_tbEUlT_E_NS1_11comp_targetILNS1_3genE0ELNS1_11target_archE4294967295ELNS1_3gpuE0ELNS1_3repE0EEENS1_30default_config_static_selectorELNS0_4arch9wavefront6targetE1EEEvT1_ ; -- Begin function _ZN7rocprim17ROCPRIM_400000_NS6detail17trampoline_kernelINS0_14default_configENS1_25transform_config_selectorIN3c107complexIfEELb1EEEZNS1_14transform_implILb1ES3_S8_PS7_SA_NS0_8identityIS7_EEEE10hipError_tT2_T3_mT4_P12ihipStream_tbEUlT_E_NS1_11comp_targetILNS1_3genE0ELNS1_11target_archE4294967295ELNS1_3gpuE0ELNS1_3repE0EEENS1_30default_config_static_selectorELNS0_4arch9wavefront6targetE1EEEvT1_
	.globl	_ZN7rocprim17ROCPRIM_400000_NS6detail17trampoline_kernelINS0_14default_configENS1_25transform_config_selectorIN3c107complexIfEELb1EEEZNS1_14transform_implILb1ES3_S8_PS7_SA_NS0_8identityIS7_EEEE10hipError_tT2_T3_mT4_P12ihipStream_tbEUlT_E_NS1_11comp_targetILNS1_3genE0ELNS1_11target_archE4294967295ELNS1_3gpuE0ELNS1_3repE0EEENS1_30default_config_static_selectorELNS0_4arch9wavefront6targetE1EEEvT1_
	.p2align	8
	.type	_ZN7rocprim17ROCPRIM_400000_NS6detail17trampoline_kernelINS0_14default_configENS1_25transform_config_selectorIN3c107complexIfEELb1EEEZNS1_14transform_implILb1ES3_S8_PS7_SA_NS0_8identityIS7_EEEE10hipError_tT2_T3_mT4_P12ihipStream_tbEUlT_E_NS1_11comp_targetILNS1_3genE0ELNS1_11target_archE4294967295ELNS1_3gpuE0ELNS1_3repE0EEENS1_30default_config_static_selectorELNS0_4arch9wavefront6targetE1EEEvT1_,@function
_ZN7rocprim17ROCPRIM_400000_NS6detail17trampoline_kernelINS0_14default_configENS1_25transform_config_selectorIN3c107complexIfEELb1EEEZNS1_14transform_implILb1ES3_S8_PS7_SA_NS0_8identityIS7_EEEE10hipError_tT2_T3_mT4_P12ihipStream_tbEUlT_E_NS1_11comp_targetILNS1_3genE0ELNS1_11target_archE4294967295ELNS1_3gpuE0ELNS1_3repE0EEENS1_30default_config_static_selectorELNS0_4arch9wavefront6targetE1EEEvT1_: ; @_ZN7rocprim17ROCPRIM_400000_NS6detail17trampoline_kernelINS0_14default_configENS1_25transform_config_selectorIN3c107complexIfEELb1EEEZNS1_14transform_implILb1ES3_S8_PS7_SA_NS0_8identityIS7_EEEE10hipError_tT2_T3_mT4_P12ihipStream_tbEUlT_E_NS1_11comp_targetILNS1_3genE0ELNS1_11target_archE4294967295ELNS1_3gpuE0ELNS1_3repE0EEENS1_30default_config_static_selectorELNS0_4arch9wavefront6targetE1EEEvT1_
; %bb.0:
	.section	.rodata,"a",@progbits
	.p2align	6, 0x0
	.amdhsa_kernel _ZN7rocprim17ROCPRIM_400000_NS6detail17trampoline_kernelINS0_14default_configENS1_25transform_config_selectorIN3c107complexIfEELb1EEEZNS1_14transform_implILb1ES3_S8_PS7_SA_NS0_8identityIS7_EEEE10hipError_tT2_T3_mT4_P12ihipStream_tbEUlT_E_NS1_11comp_targetILNS1_3genE0ELNS1_11target_archE4294967295ELNS1_3gpuE0ELNS1_3repE0EEENS1_30default_config_static_selectorELNS0_4arch9wavefront6targetE1EEEvT1_
		.amdhsa_group_segment_fixed_size 0
		.amdhsa_private_segment_fixed_size 0
		.amdhsa_kernarg_size 40
		.amdhsa_user_sgpr_count 6
		.amdhsa_user_sgpr_private_segment_buffer 1
		.amdhsa_user_sgpr_dispatch_ptr 0
		.amdhsa_user_sgpr_queue_ptr 0
		.amdhsa_user_sgpr_kernarg_segment_ptr 1
		.amdhsa_user_sgpr_dispatch_id 0
		.amdhsa_user_sgpr_flat_scratch_init 0
		.amdhsa_user_sgpr_private_segment_size 0
		.amdhsa_uses_dynamic_stack 0
		.amdhsa_system_sgpr_private_segment_wavefront_offset 0
		.amdhsa_system_sgpr_workgroup_id_x 1
		.amdhsa_system_sgpr_workgroup_id_y 0
		.amdhsa_system_sgpr_workgroup_id_z 0
		.amdhsa_system_sgpr_workgroup_info 0
		.amdhsa_system_vgpr_workitem_id 0
		.amdhsa_next_free_vgpr 1
		.amdhsa_next_free_sgpr 0
		.amdhsa_reserve_vcc 0
		.amdhsa_reserve_flat_scratch 0
		.amdhsa_float_round_mode_32 0
		.amdhsa_float_round_mode_16_64 0
		.amdhsa_float_denorm_mode_32 3
		.amdhsa_float_denorm_mode_16_64 3
		.amdhsa_dx10_clamp 1
		.amdhsa_ieee_mode 1
		.amdhsa_fp16_overflow 0
		.amdhsa_exception_fp_ieee_invalid_op 0
		.amdhsa_exception_fp_denorm_src 0
		.amdhsa_exception_fp_ieee_div_zero 0
		.amdhsa_exception_fp_ieee_overflow 0
		.amdhsa_exception_fp_ieee_underflow 0
		.amdhsa_exception_fp_ieee_inexact 0
		.amdhsa_exception_int_div_zero 0
	.end_amdhsa_kernel
	.section	.text._ZN7rocprim17ROCPRIM_400000_NS6detail17trampoline_kernelINS0_14default_configENS1_25transform_config_selectorIN3c107complexIfEELb1EEEZNS1_14transform_implILb1ES3_S8_PS7_SA_NS0_8identityIS7_EEEE10hipError_tT2_T3_mT4_P12ihipStream_tbEUlT_E_NS1_11comp_targetILNS1_3genE0ELNS1_11target_archE4294967295ELNS1_3gpuE0ELNS1_3repE0EEENS1_30default_config_static_selectorELNS0_4arch9wavefront6targetE1EEEvT1_,"axG",@progbits,_ZN7rocprim17ROCPRIM_400000_NS6detail17trampoline_kernelINS0_14default_configENS1_25transform_config_selectorIN3c107complexIfEELb1EEEZNS1_14transform_implILb1ES3_S8_PS7_SA_NS0_8identityIS7_EEEE10hipError_tT2_T3_mT4_P12ihipStream_tbEUlT_E_NS1_11comp_targetILNS1_3genE0ELNS1_11target_archE4294967295ELNS1_3gpuE0ELNS1_3repE0EEENS1_30default_config_static_selectorELNS0_4arch9wavefront6targetE1EEEvT1_,comdat
.Lfunc_end273:
	.size	_ZN7rocprim17ROCPRIM_400000_NS6detail17trampoline_kernelINS0_14default_configENS1_25transform_config_selectorIN3c107complexIfEELb1EEEZNS1_14transform_implILb1ES3_S8_PS7_SA_NS0_8identityIS7_EEEE10hipError_tT2_T3_mT4_P12ihipStream_tbEUlT_E_NS1_11comp_targetILNS1_3genE0ELNS1_11target_archE4294967295ELNS1_3gpuE0ELNS1_3repE0EEENS1_30default_config_static_selectorELNS0_4arch9wavefront6targetE1EEEvT1_, .Lfunc_end273-_ZN7rocprim17ROCPRIM_400000_NS6detail17trampoline_kernelINS0_14default_configENS1_25transform_config_selectorIN3c107complexIfEELb1EEEZNS1_14transform_implILb1ES3_S8_PS7_SA_NS0_8identityIS7_EEEE10hipError_tT2_T3_mT4_P12ihipStream_tbEUlT_E_NS1_11comp_targetILNS1_3genE0ELNS1_11target_archE4294967295ELNS1_3gpuE0ELNS1_3repE0EEENS1_30default_config_static_selectorELNS0_4arch9wavefront6targetE1EEEvT1_
                                        ; -- End function
	.set _ZN7rocprim17ROCPRIM_400000_NS6detail17trampoline_kernelINS0_14default_configENS1_25transform_config_selectorIN3c107complexIfEELb1EEEZNS1_14transform_implILb1ES3_S8_PS7_SA_NS0_8identityIS7_EEEE10hipError_tT2_T3_mT4_P12ihipStream_tbEUlT_E_NS1_11comp_targetILNS1_3genE0ELNS1_11target_archE4294967295ELNS1_3gpuE0ELNS1_3repE0EEENS1_30default_config_static_selectorELNS0_4arch9wavefront6targetE1EEEvT1_.num_vgpr, 0
	.set _ZN7rocprim17ROCPRIM_400000_NS6detail17trampoline_kernelINS0_14default_configENS1_25transform_config_selectorIN3c107complexIfEELb1EEEZNS1_14transform_implILb1ES3_S8_PS7_SA_NS0_8identityIS7_EEEE10hipError_tT2_T3_mT4_P12ihipStream_tbEUlT_E_NS1_11comp_targetILNS1_3genE0ELNS1_11target_archE4294967295ELNS1_3gpuE0ELNS1_3repE0EEENS1_30default_config_static_selectorELNS0_4arch9wavefront6targetE1EEEvT1_.num_agpr, 0
	.set _ZN7rocprim17ROCPRIM_400000_NS6detail17trampoline_kernelINS0_14default_configENS1_25transform_config_selectorIN3c107complexIfEELb1EEEZNS1_14transform_implILb1ES3_S8_PS7_SA_NS0_8identityIS7_EEEE10hipError_tT2_T3_mT4_P12ihipStream_tbEUlT_E_NS1_11comp_targetILNS1_3genE0ELNS1_11target_archE4294967295ELNS1_3gpuE0ELNS1_3repE0EEENS1_30default_config_static_selectorELNS0_4arch9wavefront6targetE1EEEvT1_.numbered_sgpr, 0
	.set _ZN7rocprim17ROCPRIM_400000_NS6detail17trampoline_kernelINS0_14default_configENS1_25transform_config_selectorIN3c107complexIfEELb1EEEZNS1_14transform_implILb1ES3_S8_PS7_SA_NS0_8identityIS7_EEEE10hipError_tT2_T3_mT4_P12ihipStream_tbEUlT_E_NS1_11comp_targetILNS1_3genE0ELNS1_11target_archE4294967295ELNS1_3gpuE0ELNS1_3repE0EEENS1_30default_config_static_selectorELNS0_4arch9wavefront6targetE1EEEvT1_.num_named_barrier, 0
	.set _ZN7rocprim17ROCPRIM_400000_NS6detail17trampoline_kernelINS0_14default_configENS1_25transform_config_selectorIN3c107complexIfEELb1EEEZNS1_14transform_implILb1ES3_S8_PS7_SA_NS0_8identityIS7_EEEE10hipError_tT2_T3_mT4_P12ihipStream_tbEUlT_E_NS1_11comp_targetILNS1_3genE0ELNS1_11target_archE4294967295ELNS1_3gpuE0ELNS1_3repE0EEENS1_30default_config_static_selectorELNS0_4arch9wavefront6targetE1EEEvT1_.private_seg_size, 0
	.set _ZN7rocprim17ROCPRIM_400000_NS6detail17trampoline_kernelINS0_14default_configENS1_25transform_config_selectorIN3c107complexIfEELb1EEEZNS1_14transform_implILb1ES3_S8_PS7_SA_NS0_8identityIS7_EEEE10hipError_tT2_T3_mT4_P12ihipStream_tbEUlT_E_NS1_11comp_targetILNS1_3genE0ELNS1_11target_archE4294967295ELNS1_3gpuE0ELNS1_3repE0EEENS1_30default_config_static_selectorELNS0_4arch9wavefront6targetE1EEEvT1_.uses_vcc, 0
	.set _ZN7rocprim17ROCPRIM_400000_NS6detail17trampoline_kernelINS0_14default_configENS1_25transform_config_selectorIN3c107complexIfEELb1EEEZNS1_14transform_implILb1ES3_S8_PS7_SA_NS0_8identityIS7_EEEE10hipError_tT2_T3_mT4_P12ihipStream_tbEUlT_E_NS1_11comp_targetILNS1_3genE0ELNS1_11target_archE4294967295ELNS1_3gpuE0ELNS1_3repE0EEENS1_30default_config_static_selectorELNS0_4arch9wavefront6targetE1EEEvT1_.uses_flat_scratch, 0
	.set _ZN7rocprim17ROCPRIM_400000_NS6detail17trampoline_kernelINS0_14default_configENS1_25transform_config_selectorIN3c107complexIfEELb1EEEZNS1_14transform_implILb1ES3_S8_PS7_SA_NS0_8identityIS7_EEEE10hipError_tT2_T3_mT4_P12ihipStream_tbEUlT_E_NS1_11comp_targetILNS1_3genE0ELNS1_11target_archE4294967295ELNS1_3gpuE0ELNS1_3repE0EEENS1_30default_config_static_selectorELNS0_4arch9wavefront6targetE1EEEvT1_.has_dyn_sized_stack, 0
	.set _ZN7rocprim17ROCPRIM_400000_NS6detail17trampoline_kernelINS0_14default_configENS1_25transform_config_selectorIN3c107complexIfEELb1EEEZNS1_14transform_implILb1ES3_S8_PS7_SA_NS0_8identityIS7_EEEE10hipError_tT2_T3_mT4_P12ihipStream_tbEUlT_E_NS1_11comp_targetILNS1_3genE0ELNS1_11target_archE4294967295ELNS1_3gpuE0ELNS1_3repE0EEENS1_30default_config_static_selectorELNS0_4arch9wavefront6targetE1EEEvT1_.has_recursion, 0
	.set _ZN7rocprim17ROCPRIM_400000_NS6detail17trampoline_kernelINS0_14default_configENS1_25transform_config_selectorIN3c107complexIfEELb1EEEZNS1_14transform_implILb1ES3_S8_PS7_SA_NS0_8identityIS7_EEEE10hipError_tT2_T3_mT4_P12ihipStream_tbEUlT_E_NS1_11comp_targetILNS1_3genE0ELNS1_11target_archE4294967295ELNS1_3gpuE0ELNS1_3repE0EEENS1_30default_config_static_selectorELNS0_4arch9wavefront6targetE1EEEvT1_.has_indirect_call, 0
	.section	.AMDGPU.csdata,"",@progbits
; Kernel info:
; codeLenInByte = 0
; TotalNumSgprs: 4
; NumVgprs: 0
; ScratchSize: 0
; MemoryBound: 0
; FloatMode: 240
; IeeeMode: 1
; LDSByteSize: 0 bytes/workgroup (compile time only)
; SGPRBlocks: 0
; VGPRBlocks: 0
; NumSGPRsForWavesPerEU: 4
; NumVGPRsForWavesPerEU: 1
; Occupancy: 10
; WaveLimiterHint : 0
; COMPUTE_PGM_RSRC2:SCRATCH_EN: 0
; COMPUTE_PGM_RSRC2:USER_SGPR: 6
; COMPUTE_PGM_RSRC2:TRAP_HANDLER: 0
; COMPUTE_PGM_RSRC2:TGID_X_EN: 1
; COMPUTE_PGM_RSRC2:TGID_Y_EN: 0
; COMPUTE_PGM_RSRC2:TGID_Z_EN: 0
; COMPUTE_PGM_RSRC2:TIDIG_COMP_CNT: 0
	.section	.text._ZN7rocprim17ROCPRIM_400000_NS6detail17trampoline_kernelINS0_14default_configENS1_25transform_config_selectorIN3c107complexIfEELb1EEEZNS1_14transform_implILb1ES3_S8_PS7_SA_NS0_8identityIS7_EEEE10hipError_tT2_T3_mT4_P12ihipStream_tbEUlT_E_NS1_11comp_targetILNS1_3genE10ELNS1_11target_archE1201ELNS1_3gpuE5ELNS1_3repE0EEENS1_30default_config_static_selectorELNS0_4arch9wavefront6targetE1EEEvT1_,"axG",@progbits,_ZN7rocprim17ROCPRIM_400000_NS6detail17trampoline_kernelINS0_14default_configENS1_25transform_config_selectorIN3c107complexIfEELb1EEEZNS1_14transform_implILb1ES3_S8_PS7_SA_NS0_8identityIS7_EEEE10hipError_tT2_T3_mT4_P12ihipStream_tbEUlT_E_NS1_11comp_targetILNS1_3genE10ELNS1_11target_archE1201ELNS1_3gpuE5ELNS1_3repE0EEENS1_30default_config_static_selectorELNS0_4arch9wavefront6targetE1EEEvT1_,comdat
	.protected	_ZN7rocprim17ROCPRIM_400000_NS6detail17trampoline_kernelINS0_14default_configENS1_25transform_config_selectorIN3c107complexIfEELb1EEEZNS1_14transform_implILb1ES3_S8_PS7_SA_NS0_8identityIS7_EEEE10hipError_tT2_T3_mT4_P12ihipStream_tbEUlT_E_NS1_11comp_targetILNS1_3genE10ELNS1_11target_archE1201ELNS1_3gpuE5ELNS1_3repE0EEENS1_30default_config_static_selectorELNS0_4arch9wavefront6targetE1EEEvT1_ ; -- Begin function _ZN7rocprim17ROCPRIM_400000_NS6detail17trampoline_kernelINS0_14default_configENS1_25transform_config_selectorIN3c107complexIfEELb1EEEZNS1_14transform_implILb1ES3_S8_PS7_SA_NS0_8identityIS7_EEEE10hipError_tT2_T3_mT4_P12ihipStream_tbEUlT_E_NS1_11comp_targetILNS1_3genE10ELNS1_11target_archE1201ELNS1_3gpuE5ELNS1_3repE0EEENS1_30default_config_static_selectorELNS0_4arch9wavefront6targetE1EEEvT1_
	.globl	_ZN7rocprim17ROCPRIM_400000_NS6detail17trampoline_kernelINS0_14default_configENS1_25transform_config_selectorIN3c107complexIfEELb1EEEZNS1_14transform_implILb1ES3_S8_PS7_SA_NS0_8identityIS7_EEEE10hipError_tT2_T3_mT4_P12ihipStream_tbEUlT_E_NS1_11comp_targetILNS1_3genE10ELNS1_11target_archE1201ELNS1_3gpuE5ELNS1_3repE0EEENS1_30default_config_static_selectorELNS0_4arch9wavefront6targetE1EEEvT1_
	.p2align	8
	.type	_ZN7rocprim17ROCPRIM_400000_NS6detail17trampoline_kernelINS0_14default_configENS1_25transform_config_selectorIN3c107complexIfEELb1EEEZNS1_14transform_implILb1ES3_S8_PS7_SA_NS0_8identityIS7_EEEE10hipError_tT2_T3_mT4_P12ihipStream_tbEUlT_E_NS1_11comp_targetILNS1_3genE10ELNS1_11target_archE1201ELNS1_3gpuE5ELNS1_3repE0EEENS1_30default_config_static_selectorELNS0_4arch9wavefront6targetE1EEEvT1_,@function
_ZN7rocprim17ROCPRIM_400000_NS6detail17trampoline_kernelINS0_14default_configENS1_25transform_config_selectorIN3c107complexIfEELb1EEEZNS1_14transform_implILb1ES3_S8_PS7_SA_NS0_8identityIS7_EEEE10hipError_tT2_T3_mT4_P12ihipStream_tbEUlT_E_NS1_11comp_targetILNS1_3genE10ELNS1_11target_archE1201ELNS1_3gpuE5ELNS1_3repE0EEENS1_30default_config_static_selectorELNS0_4arch9wavefront6targetE1EEEvT1_: ; @_ZN7rocprim17ROCPRIM_400000_NS6detail17trampoline_kernelINS0_14default_configENS1_25transform_config_selectorIN3c107complexIfEELb1EEEZNS1_14transform_implILb1ES3_S8_PS7_SA_NS0_8identityIS7_EEEE10hipError_tT2_T3_mT4_P12ihipStream_tbEUlT_E_NS1_11comp_targetILNS1_3genE10ELNS1_11target_archE1201ELNS1_3gpuE5ELNS1_3repE0EEENS1_30default_config_static_selectorELNS0_4arch9wavefront6targetE1EEEvT1_
; %bb.0:
	.section	.rodata,"a",@progbits
	.p2align	6, 0x0
	.amdhsa_kernel _ZN7rocprim17ROCPRIM_400000_NS6detail17trampoline_kernelINS0_14default_configENS1_25transform_config_selectorIN3c107complexIfEELb1EEEZNS1_14transform_implILb1ES3_S8_PS7_SA_NS0_8identityIS7_EEEE10hipError_tT2_T3_mT4_P12ihipStream_tbEUlT_E_NS1_11comp_targetILNS1_3genE10ELNS1_11target_archE1201ELNS1_3gpuE5ELNS1_3repE0EEENS1_30default_config_static_selectorELNS0_4arch9wavefront6targetE1EEEvT1_
		.amdhsa_group_segment_fixed_size 0
		.amdhsa_private_segment_fixed_size 0
		.amdhsa_kernarg_size 40
		.amdhsa_user_sgpr_count 6
		.amdhsa_user_sgpr_private_segment_buffer 1
		.amdhsa_user_sgpr_dispatch_ptr 0
		.amdhsa_user_sgpr_queue_ptr 0
		.amdhsa_user_sgpr_kernarg_segment_ptr 1
		.amdhsa_user_sgpr_dispatch_id 0
		.amdhsa_user_sgpr_flat_scratch_init 0
		.amdhsa_user_sgpr_private_segment_size 0
		.amdhsa_uses_dynamic_stack 0
		.amdhsa_system_sgpr_private_segment_wavefront_offset 0
		.amdhsa_system_sgpr_workgroup_id_x 1
		.amdhsa_system_sgpr_workgroup_id_y 0
		.amdhsa_system_sgpr_workgroup_id_z 0
		.amdhsa_system_sgpr_workgroup_info 0
		.amdhsa_system_vgpr_workitem_id 0
		.amdhsa_next_free_vgpr 1
		.amdhsa_next_free_sgpr 0
		.amdhsa_reserve_vcc 0
		.amdhsa_reserve_flat_scratch 0
		.amdhsa_float_round_mode_32 0
		.amdhsa_float_round_mode_16_64 0
		.amdhsa_float_denorm_mode_32 3
		.amdhsa_float_denorm_mode_16_64 3
		.amdhsa_dx10_clamp 1
		.amdhsa_ieee_mode 1
		.amdhsa_fp16_overflow 0
		.amdhsa_exception_fp_ieee_invalid_op 0
		.amdhsa_exception_fp_denorm_src 0
		.amdhsa_exception_fp_ieee_div_zero 0
		.amdhsa_exception_fp_ieee_overflow 0
		.amdhsa_exception_fp_ieee_underflow 0
		.amdhsa_exception_fp_ieee_inexact 0
		.amdhsa_exception_int_div_zero 0
	.end_amdhsa_kernel
	.section	.text._ZN7rocprim17ROCPRIM_400000_NS6detail17trampoline_kernelINS0_14default_configENS1_25transform_config_selectorIN3c107complexIfEELb1EEEZNS1_14transform_implILb1ES3_S8_PS7_SA_NS0_8identityIS7_EEEE10hipError_tT2_T3_mT4_P12ihipStream_tbEUlT_E_NS1_11comp_targetILNS1_3genE10ELNS1_11target_archE1201ELNS1_3gpuE5ELNS1_3repE0EEENS1_30default_config_static_selectorELNS0_4arch9wavefront6targetE1EEEvT1_,"axG",@progbits,_ZN7rocprim17ROCPRIM_400000_NS6detail17trampoline_kernelINS0_14default_configENS1_25transform_config_selectorIN3c107complexIfEELb1EEEZNS1_14transform_implILb1ES3_S8_PS7_SA_NS0_8identityIS7_EEEE10hipError_tT2_T3_mT4_P12ihipStream_tbEUlT_E_NS1_11comp_targetILNS1_3genE10ELNS1_11target_archE1201ELNS1_3gpuE5ELNS1_3repE0EEENS1_30default_config_static_selectorELNS0_4arch9wavefront6targetE1EEEvT1_,comdat
.Lfunc_end274:
	.size	_ZN7rocprim17ROCPRIM_400000_NS6detail17trampoline_kernelINS0_14default_configENS1_25transform_config_selectorIN3c107complexIfEELb1EEEZNS1_14transform_implILb1ES3_S8_PS7_SA_NS0_8identityIS7_EEEE10hipError_tT2_T3_mT4_P12ihipStream_tbEUlT_E_NS1_11comp_targetILNS1_3genE10ELNS1_11target_archE1201ELNS1_3gpuE5ELNS1_3repE0EEENS1_30default_config_static_selectorELNS0_4arch9wavefront6targetE1EEEvT1_, .Lfunc_end274-_ZN7rocprim17ROCPRIM_400000_NS6detail17trampoline_kernelINS0_14default_configENS1_25transform_config_selectorIN3c107complexIfEELb1EEEZNS1_14transform_implILb1ES3_S8_PS7_SA_NS0_8identityIS7_EEEE10hipError_tT2_T3_mT4_P12ihipStream_tbEUlT_E_NS1_11comp_targetILNS1_3genE10ELNS1_11target_archE1201ELNS1_3gpuE5ELNS1_3repE0EEENS1_30default_config_static_selectorELNS0_4arch9wavefront6targetE1EEEvT1_
                                        ; -- End function
	.set _ZN7rocprim17ROCPRIM_400000_NS6detail17trampoline_kernelINS0_14default_configENS1_25transform_config_selectorIN3c107complexIfEELb1EEEZNS1_14transform_implILb1ES3_S8_PS7_SA_NS0_8identityIS7_EEEE10hipError_tT2_T3_mT4_P12ihipStream_tbEUlT_E_NS1_11comp_targetILNS1_3genE10ELNS1_11target_archE1201ELNS1_3gpuE5ELNS1_3repE0EEENS1_30default_config_static_selectorELNS0_4arch9wavefront6targetE1EEEvT1_.num_vgpr, 0
	.set _ZN7rocprim17ROCPRIM_400000_NS6detail17trampoline_kernelINS0_14default_configENS1_25transform_config_selectorIN3c107complexIfEELb1EEEZNS1_14transform_implILb1ES3_S8_PS7_SA_NS0_8identityIS7_EEEE10hipError_tT2_T3_mT4_P12ihipStream_tbEUlT_E_NS1_11comp_targetILNS1_3genE10ELNS1_11target_archE1201ELNS1_3gpuE5ELNS1_3repE0EEENS1_30default_config_static_selectorELNS0_4arch9wavefront6targetE1EEEvT1_.num_agpr, 0
	.set _ZN7rocprim17ROCPRIM_400000_NS6detail17trampoline_kernelINS0_14default_configENS1_25transform_config_selectorIN3c107complexIfEELb1EEEZNS1_14transform_implILb1ES3_S8_PS7_SA_NS0_8identityIS7_EEEE10hipError_tT2_T3_mT4_P12ihipStream_tbEUlT_E_NS1_11comp_targetILNS1_3genE10ELNS1_11target_archE1201ELNS1_3gpuE5ELNS1_3repE0EEENS1_30default_config_static_selectorELNS0_4arch9wavefront6targetE1EEEvT1_.numbered_sgpr, 0
	.set _ZN7rocprim17ROCPRIM_400000_NS6detail17trampoline_kernelINS0_14default_configENS1_25transform_config_selectorIN3c107complexIfEELb1EEEZNS1_14transform_implILb1ES3_S8_PS7_SA_NS0_8identityIS7_EEEE10hipError_tT2_T3_mT4_P12ihipStream_tbEUlT_E_NS1_11comp_targetILNS1_3genE10ELNS1_11target_archE1201ELNS1_3gpuE5ELNS1_3repE0EEENS1_30default_config_static_selectorELNS0_4arch9wavefront6targetE1EEEvT1_.num_named_barrier, 0
	.set _ZN7rocprim17ROCPRIM_400000_NS6detail17trampoline_kernelINS0_14default_configENS1_25transform_config_selectorIN3c107complexIfEELb1EEEZNS1_14transform_implILb1ES3_S8_PS7_SA_NS0_8identityIS7_EEEE10hipError_tT2_T3_mT4_P12ihipStream_tbEUlT_E_NS1_11comp_targetILNS1_3genE10ELNS1_11target_archE1201ELNS1_3gpuE5ELNS1_3repE0EEENS1_30default_config_static_selectorELNS0_4arch9wavefront6targetE1EEEvT1_.private_seg_size, 0
	.set _ZN7rocprim17ROCPRIM_400000_NS6detail17trampoline_kernelINS0_14default_configENS1_25transform_config_selectorIN3c107complexIfEELb1EEEZNS1_14transform_implILb1ES3_S8_PS7_SA_NS0_8identityIS7_EEEE10hipError_tT2_T3_mT4_P12ihipStream_tbEUlT_E_NS1_11comp_targetILNS1_3genE10ELNS1_11target_archE1201ELNS1_3gpuE5ELNS1_3repE0EEENS1_30default_config_static_selectorELNS0_4arch9wavefront6targetE1EEEvT1_.uses_vcc, 0
	.set _ZN7rocprim17ROCPRIM_400000_NS6detail17trampoline_kernelINS0_14default_configENS1_25transform_config_selectorIN3c107complexIfEELb1EEEZNS1_14transform_implILb1ES3_S8_PS7_SA_NS0_8identityIS7_EEEE10hipError_tT2_T3_mT4_P12ihipStream_tbEUlT_E_NS1_11comp_targetILNS1_3genE10ELNS1_11target_archE1201ELNS1_3gpuE5ELNS1_3repE0EEENS1_30default_config_static_selectorELNS0_4arch9wavefront6targetE1EEEvT1_.uses_flat_scratch, 0
	.set _ZN7rocprim17ROCPRIM_400000_NS6detail17trampoline_kernelINS0_14default_configENS1_25transform_config_selectorIN3c107complexIfEELb1EEEZNS1_14transform_implILb1ES3_S8_PS7_SA_NS0_8identityIS7_EEEE10hipError_tT2_T3_mT4_P12ihipStream_tbEUlT_E_NS1_11comp_targetILNS1_3genE10ELNS1_11target_archE1201ELNS1_3gpuE5ELNS1_3repE0EEENS1_30default_config_static_selectorELNS0_4arch9wavefront6targetE1EEEvT1_.has_dyn_sized_stack, 0
	.set _ZN7rocprim17ROCPRIM_400000_NS6detail17trampoline_kernelINS0_14default_configENS1_25transform_config_selectorIN3c107complexIfEELb1EEEZNS1_14transform_implILb1ES3_S8_PS7_SA_NS0_8identityIS7_EEEE10hipError_tT2_T3_mT4_P12ihipStream_tbEUlT_E_NS1_11comp_targetILNS1_3genE10ELNS1_11target_archE1201ELNS1_3gpuE5ELNS1_3repE0EEENS1_30default_config_static_selectorELNS0_4arch9wavefront6targetE1EEEvT1_.has_recursion, 0
	.set _ZN7rocprim17ROCPRIM_400000_NS6detail17trampoline_kernelINS0_14default_configENS1_25transform_config_selectorIN3c107complexIfEELb1EEEZNS1_14transform_implILb1ES3_S8_PS7_SA_NS0_8identityIS7_EEEE10hipError_tT2_T3_mT4_P12ihipStream_tbEUlT_E_NS1_11comp_targetILNS1_3genE10ELNS1_11target_archE1201ELNS1_3gpuE5ELNS1_3repE0EEENS1_30default_config_static_selectorELNS0_4arch9wavefront6targetE1EEEvT1_.has_indirect_call, 0
	.section	.AMDGPU.csdata,"",@progbits
; Kernel info:
; codeLenInByte = 0
; TotalNumSgprs: 4
; NumVgprs: 0
; ScratchSize: 0
; MemoryBound: 0
; FloatMode: 240
; IeeeMode: 1
; LDSByteSize: 0 bytes/workgroup (compile time only)
; SGPRBlocks: 0
; VGPRBlocks: 0
; NumSGPRsForWavesPerEU: 4
; NumVGPRsForWavesPerEU: 1
; Occupancy: 10
; WaveLimiterHint : 0
; COMPUTE_PGM_RSRC2:SCRATCH_EN: 0
; COMPUTE_PGM_RSRC2:USER_SGPR: 6
; COMPUTE_PGM_RSRC2:TRAP_HANDLER: 0
; COMPUTE_PGM_RSRC2:TGID_X_EN: 1
; COMPUTE_PGM_RSRC2:TGID_Y_EN: 0
; COMPUTE_PGM_RSRC2:TGID_Z_EN: 0
; COMPUTE_PGM_RSRC2:TIDIG_COMP_CNT: 0
	.section	.text._ZN7rocprim17ROCPRIM_400000_NS6detail17trampoline_kernelINS0_14default_configENS1_25transform_config_selectorIN3c107complexIfEELb1EEEZNS1_14transform_implILb1ES3_S8_PS7_SA_NS0_8identityIS7_EEEE10hipError_tT2_T3_mT4_P12ihipStream_tbEUlT_E_NS1_11comp_targetILNS1_3genE5ELNS1_11target_archE942ELNS1_3gpuE9ELNS1_3repE0EEENS1_30default_config_static_selectorELNS0_4arch9wavefront6targetE1EEEvT1_,"axG",@progbits,_ZN7rocprim17ROCPRIM_400000_NS6detail17trampoline_kernelINS0_14default_configENS1_25transform_config_selectorIN3c107complexIfEELb1EEEZNS1_14transform_implILb1ES3_S8_PS7_SA_NS0_8identityIS7_EEEE10hipError_tT2_T3_mT4_P12ihipStream_tbEUlT_E_NS1_11comp_targetILNS1_3genE5ELNS1_11target_archE942ELNS1_3gpuE9ELNS1_3repE0EEENS1_30default_config_static_selectorELNS0_4arch9wavefront6targetE1EEEvT1_,comdat
	.protected	_ZN7rocprim17ROCPRIM_400000_NS6detail17trampoline_kernelINS0_14default_configENS1_25transform_config_selectorIN3c107complexIfEELb1EEEZNS1_14transform_implILb1ES3_S8_PS7_SA_NS0_8identityIS7_EEEE10hipError_tT2_T3_mT4_P12ihipStream_tbEUlT_E_NS1_11comp_targetILNS1_3genE5ELNS1_11target_archE942ELNS1_3gpuE9ELNS1_3repE0EEENS1_30default_config_static_selectorELNS0_4arch9wavefront6targetE1EEEvT1_ ; -- Begin function _ZN7rocprim17ROCPRIM_400000_NS6detail17trampoline_kernelINS0_14default_configENS1_25transform_config_selectorIN3c107complexIfEELb1EEEZNS1_14transform_implILb1ES3_S8_PS7_SA_NS0_8identityIS7_EEEE10hipError_tT2_T3_mT4_P12ihipStream_tbEUlT_E_NS1_11comp_targetILNS1_3genE5ELNS1_11target_archE942ELNS1_3gpuE9ELNS1_3repE0EEENS1_30default_config_static_selectorELNS0_4arch9wavefront6targetE1EEEvT1_
	.globl	_ZN7rocprim17ROCPRIM_400000_NS6detail17trampoline_kernelINS0_14default_configENS1_25transform_config_selectorIN3c107complexIfEELb1EEEZNS1_14transform_implILb1ES3_S8_PS7_SA_NS0_8identityIS7_EEEE10hipError_tT2_T3_mT4_P12ihipStream_tbEUlT_E_NS1_11comp_targetILNS1_3genE5ELNS1_11target_archE942ELNS1_3gpuE9ELNS1_3repE0EEENS1_30default_config_static_selectorELNS0_4arch9wavefront6targetE1EEEvT1_
	.p2align	8
	.type	_ZN7rocprim17ROCPRIM_400000_NS6detail17trampoline_kernelINS0_14default_configENS1_25transform_config_selectorIN3c107complexIfEELb1EEEZNS1_14transform_implILb1ES3_S8_PS7_SA_NS0_8identityIS7_EEEE10hipError_tT2_T3_mT4_P12ihipStream_tbEUlT_E_NS1_11comp_targetILNS1_3genE5ELNS1_11target_archE942ELNS1_3gpuE9ELNS1_3repE0EEENS1_30default_config_static_selectorELNS0_4arch9wavefront6targetE1EEEvT1_,@function
_ZN7rocprim17ROCPRIM_400000_NS6detail17trampoline_kernelINS0_14default_configENS1_25transform_config_selectorIN3c107complexIfEELb1EEEZNS1_14transform_implILb1ES3_S8_PS7_SA_NS0_8identityIS7_EEEE10hipError_tT2_T3_mT4_P12ihipStream_tbEUlT_E_NS1_11comp_targetILNS1_3genE5ELNS1_11target_archE942ELNS1_3gpuE9ELNS1_3repE0EEENS1_30default_config_static_selectorELNS0_4arch9wavefront6targetE1EEEvT1_: ; @_ZN7rocprim17ROCPRIM_400000_NS6detail17trampoline_kernelINS0_14default_configENS1_25transform_config_selectorIN3c107complexIfEELb1EEEZNS1_14transform_implILb1ES3_S8_PS7_SA_NS0_8identityIS7_EEEE10hipError_tT2_T3_mT4_P12ihipStream_tbEUlT_E_NS1_11comp_targetILNS1_3genE5ELNS1_11target_archE942ELNS1_3gpuE9ELNS1_3repE0EEENS1_30default_config_static_selectorELNS0_4arch9wavefront6targetE1EEEvT1_
; %bb.0:
	.section	.rodata,"a",@progbits
	.p2align	6, 0x0
	.amdhsa_kernel _ZN7rocprim17ROCPRIM_400000_NS6detail17trampoline_kernelINS0_14default_configENS1_25transform_config_selectorIN3c107complexIfEELb1EEEZNS1_14transform_implILb1ES3_S8_PS7_SA_NS0_8identityIS7_EEEE10hipError_tT2_T3_mT4_P12ihipStream_tbEUlT_E_NS1_11comp_targetILNS1_3genE5ELNS1_11target_archE942ELNS1_3gpuE9ELNS1_3repE0EEENS1_30default_config_static_selectorELNS0_4arch9wavefront6targetE1EEEvT1_
		.amdhsa_group_segment_fixed_size 0
		.amdhsa_private_segment_fixed_size 0
		.amdhsa_kernarg_size 40
		.amdhsa_user_sgpr_count 6
		.amdhsa_user_sgpr_private_segment_buffer 1
		.amdhsa_user_sgpr_dispatch_ptr 0
		.amdhsa_user_sgpr_queue_ptr 0
		.amdhsa_user_sgpr_kernarg_segment_ptr 1
		.amdhsa_user_sgpr_dispatch_id 0
		.amdhsa_user_sgpr_flat_scratch_init 0
		.amdhsa_user_sgpr_private_segment_size 0
		.amdhsa_uses_dynamic_stack 0
		.amdhsa_system_sgpr_private_segment_wavefront_offset 0
		.amdhsa_system_sgpr_workgroup_id_x 1
		.amdhsa_system_sgpr_workgroup_id_y 0
		.amdhsa_system_sgpr_workgroup_id_z 0
		.amdhsa_system_sgpr_workgroup_info 0
		.amdhsa_system_vgpr_workitem_id 0
		.amdhsa_next_free_vgpr 1
		.amdhsa_next_free_sgpr 0
		.amdhsa_reserve_vcc 0
		.amdhsa_reserve_flat_scratch 0
		.amdhsa_float_round_mode_32 0
		.amdhsa_float_round_mode_16_64 0
		.amdhsa_float_denorm_mode_32 3
		.amdhsa_float_denorm_mode_16_64 3
		.amdhsa_dx10_clamp 1
		.amdhsa_ieee_mode 1
		.amdhsa_fp16_overflow 0
		.amdhsa_exception_fp_ieee_invalid_op 0
		.amdhsa_exception_fp_denorm_src 0
		.amdhsa_exception_fp_ieee_div_zero 0
		.amdhsa_exception_fp_ieee_overflow 0
		.amdhsa_exception_fp_ieee_underflow 0
		.amdhsa_exception_fp_ieee_inexact 0
		.amdhsa_exception_int_div_zero 0
	.end_amdhsa_kernel
	.section	.text._ZN7rocprim17ROCPRIM_400000_NS6detail17trampoline_kernelINS0_14default_configENS1_25transform_config_selectorIN3c107complexIfEELb1EEEZNS1_14transform_implILb1ES3_S8_PS7_SA_NS0_8identityIS7_EEEE10hipError_tT2_T3_mT4_P12ihipStream_tbEUlT_E_NS1_11comp_targetILNS1_3genE5ELNS1_11target_archE942ELNS1_3gpuE9ELNS1_3repE0EEENS1_30default_config_static_selectorELNS0_4arch9wavefront6targetE1EEEvT1_,"axG",@progbits,_ZN7rocprim17ROCPRIM_400000_NS6detail17trampoline_kernelINS0_14default_configENS1_25transform_config_selectorIN3c107complexIfEELb1EEEZNS1_14transform_implILb1ES3_S8_PS7_SA_NS0_8identityIS7_EEEE10hipError_tT2_T3_mT4_P12ihipStream_tbEUlT_E_NS1_11comp_targetILNS1_3genE5ELNS1_11target_archE942ELNS1_3gpuE9ELNS1_3repE0EEENS1_30default_config_static_selectorELNS0_4arch9wavefront6targetE1EEEvT1_,comdat
.Lfunc_end275:
	.size	_ZN7rocprim17ROCPRIM_400000_NS6detail17trampoline_kernelINS0_14default_configENS1_25transform_config_selectorIN3c107complexIfEELb1EEEZNS1_14transform_implILb1ES3_S8_PS7_SA_NS0_8identityIS7_EEEE10hipError_tT2_T3_mT4_P12ihipStream_tbEUlT_E_NS1_11comp_targetILNS1_3genE5ELNS1_11target_archE942ELNS1_3gpuE9ELNS1_3repE0EEENS1_30default_config_static_selectorELNS0_4arch9wavefront6targetE1EEEvT1_, .Lfunc_end275-_ZN7rocprim17ROCPRIM_400000_NS6detail17trampoline_kernelINS0_14default_configENS1_25transform_config_selectorIN3c107complexIfEELb1EEEZNS1_14transform_implILb1ES3_S8_PS7_SA_NS0_8identityIS7_EEEE10hipError_tT2_T3_mT4_P12ihipStream_tbEUlT_E_NS1_11comp_targetILNS1_3genE5ELNS1_11target_archE942ELNS1_3gpuE9ELNS1_3repE0EEENS1_30default_config_static_selectorELNS0_4arch9wavefront6targetE1EEEvT1_
                                        ; -- End function
	.set _ZN7rocprim17ROCPRIM_400000_NS6detail17trampoline_kernelINS0_14default_configENS1_25transform_config_selectorIN3c107complexIfEELb1EEEZNS1_14transform_implILb1ES3_S8_PS7_SA_NS0_8identityIS7_EEEE10hipError_tT2_T3_mT4_P12ihipStream_tbEUlT_E_NS1_11comp_targetILNS1_3genE5ELNS1_11target_archE942ELNS1_3gpuE9ELNS1_3repE0EEENS1_30default_config_static_selectorELNS0_4arch9wavefront6targetE1EEEvT1_.num_vgpr, 0
	.set _ZN7rocprim17ROCPRIM_400000_NS6detail17trampoline_kernelINS0_14default_configENS1_25transform_config_selectorIN3c107complexIfEELb1EEEZNS1_14transform_implILb1ES3_S8_PS7_SA_NS0_8identityIS7_EEEE10hipError_tT2_T3_mT4_P12ihipStream_tbEUlT_E_NS1_11comp_targetILNS1_3genE5ELNS1_11target_archE942ELNS1_3gpuE9ELNS1_3repE0EEENS1_30default_config_static_selectorELNS0_4arch9wavefront6targetE1EEEvT1_.num_agpr, 0
	.set _ZN7rocprim17ROCPRIM_400000_NS6detail17trampoline_kernelINS0_14default_configENS1_25transform_config_selectorIN3c107complexIfEELb1EEEZNS1_14transform_implILb1ES3_S8_PS7_SA_NS0_8identityIS7_EEEE10hipError_tT2_T3_mT4_P12ihipStream_tbEUlT_E_NS1_11comp_targetILNS1_3genE5ELNS1_11target_archE942ELNS1_3gpuE9ELNS1_3repE0EEENS1_30default_config_static_selectorELNS0_4arch9wavefront6targetE1EEEvT1_.numbered_sgpr, 0
	.set _ZN7rocprim17ROCPRIM_400000_NS6detail17trampoline_kernelINS0_14default_configENS1_25transform_config_selectorIN3c107complexIfEELb1EEEZNS1_14transform_implILb1ES3_S8_PS7_SA_NS0_8identityIS7_EEEE10hipError_tT2_T3_mT4_P12ihipStream_tbEUlT_E_NS1_11comp_targetILNS1_3genE5ELNS1_11target_archE942ELNS1_3gpuE9ELNS1_3repE0EEENS1_30default_config_static_selectorELNS0_4arch9wavefront6targetE1EEEvT1_.num_named_barrier, 0
	.set _ZN7rocprim17ROCPRIM_400000_NS6detail17trampoline_kernelINS0_14default_configENS1_25transform_config_selectorIN3c107complexIfEELb1EEEZNS1_14transform_implILb1ES3_S8_PS7_SA_NS0_8identityIS7_EEEE10hipError_tT2_T3_mT4_P12ihipStream_tbEUlT_E_NS1_11comp_targetILNS1_3genE5ELNS1_11target_archE942ELNS1_3gpuE9ELNS1_3repE0EEENS1_30default_config_static_selectorELNS0_4arch9wavefront6targetE1EEEvT1_.private_seg_size, 0
	.set _ZN7rocprim17ROCPRIM_400000_NS6detail17trampoline_kernelINS0_14default_configENS1_25transform_config_selectorIN3c107complexIfEELb1EEEZNS1_14transform_implILb1ES3_S8_PS7_SA_NS0_8identityIS7_EEEE10hipError_tT2_T3_mT4_P12ihipStream_tbEUlT_E_NS1_11comp_targetILNS1_3genE5ELNS1_11target_archE942ELNS1_3gpuE9ELNS1_3repE0EEENS1_30default_config_static_selectorELNS0_4arch9wavefront6targetE1EEEvT1_.uses_vcc, 0
	.set _ZN7rocprim17ROCPRIM_400000_NS6detail17trampoline_kernelINS0_14default_configENS1_25transform_config_selectorIN3c107complexIfEELb1EEEZNS1_14transform_implILb1ES3_S8_PS7_SA_NS0_8identityIS7_EEEE10hipError_tT2_T3_mT4_P12ihipStream_tbEUlT_E_NS1_11comp_targetILNS1_3genE5ELNS1_11target_archE942ELNS1_3gpuE9ELNS1_3repE0EEENS1_30default_config_static_selectorELNS0_4arch9wavefront6targetE1EEEvT1_.uses_flat_scratch, 0
	.set _ZN7rocprim17ROCPRIM_400000_NS6detail17trampoline_kernelINS0_14default_configENS1_25transform_config_selectorIN3c107complexIfEELb1EEEZNS1_14transform_implILb1ES3_S8_PS7_SA_NS0_8identityIS7_EEEE10hipError_tT2_T3_mT4_P12ihipStream_tbEUlT_E_NS1_11comp_targetILNS1_3genE5ELNS1_11target_archE942ELNS1_3gpuE9ELNS1_3repE0EEENS1_30default_config_static_selectorELNS0_4arch9wavefront6targetE1EEEvT1_.has_dyn_sized_stack, 0
	.set _ZN7rocprim17ROCPRIM_400000_NS6detail17trampoline_kernelINS0_14default_configENS1_25transform_config_selectorIN3c107complexIfEELb1EEEZNS1_14transform_implILb1ES3_S8_PS7_SA_NS0_8identityIS7_EEEE10hipError_tT2_T3_mT4_P12ihipStream_tbEUlT_E_NS1_11comp_targetILNS1_3genE5ELNS1_11target_archE942ELNS1_3gpuE9ELNS1_3repE0EEENS1_30default_config_static_selectorELNS0_4arch9wavefront6targetE1EEEvT1_.has_recursion, 0
	.set _ZN7rocprim17ROCPRIM_400000_NS6detail17trampoline_kernelINS0_14default_configENS1_25transform_config_selectorIN3c107complexIfEELb1EEEZNS1_14transform_implILb1ES3_S8_PS7_SA_NS0_8identityIS7_EEEE10hipError_tT2_T3_mT4_P12ihipStream_tbEUlT_E_NS1_11comp_targetILNS1_3genE5ELNS1_11target_archE942ELNS1_3gpuE9ELNS1_3repE0EEENS1_30default_config_static_selectorELNS0_4arch9wavefront6targetE1EEEvT1_.has_indirect_call, 0
	.section	.AMDGPU.csdata,"",@progbits
; Kernel info:
; codeLenInByte = 0
; TotalNumSgprs: 4
; NumVgprs: 0
; ScratchSize: 0
; MemoryBound: 0
; FloatMode: 240
; IeeeMode: 1
; LDSByteSize: 0 bytes/workgroup (compile time only)
; SGPRBlocks: 0
; VGPRBlocks: 0
; NumSGPRsForWavesPerEU: 4
; NumVGPRsForWavesPerEU: 1
; Occupancy: 10
; WaveLimiterHint : 0
; COMPUTE_PGM_RSRC2:SCRATCH_EN: 0
; COMPUTE_PGM_RSRC2:USER_SGPR: 6
; COMPUTE_PGM_RSRC2:TRAP_HANDLER: 0
; COMPUTE_PGM_RSRC2:TGID_X_EN: 1
; COMPUTE_PGM_RSRC2:TGID_Y_EN: 0
; COMPUTE_PGM_RSRC2:TGID_Z_EN: 0
; COMPUTE_PGM_RSRC2:TIDIG_COMP_CNT: 0
	.section	.text._ZN7rocprim17ROCPRIM_400000_NS6detail17trampoline_kernelINS0_14default_configENS1_25transform_config_selectorIN3c107complexIfEELb1EEEZNS1_14transform_implILb1ES3_S8_PS7_SA_NS0_8identityIS7_EEEE10hipError_tT2_T3_mT4_P12ihipStream_tbEUlT_E_NS1_11comp_targetILNS1_3genE4ELNS1_11target_archE910ELNS1_3gpuE8ELNS1_3repE0EEENS1_30default_config_static_selectorELNS0_4arch9wavefront6targetE1EEEvT1_,"axG",@progbits,_ZN7rocprim17ROCPRIM_400000_NS6detail17trampoline_kernelINS0_14default_configENS1_25transform_config_selectorIN3c107complexIfEELb1EEEZNS1_14transform_implILb1ES3_S8_PS7_SA_NS0_8identityIS7_EEEE10hipError_tT2_T3_mT4_P12ihipStream_tbEUlT_E_NS1_11comp_targetILNS1_3genE4ELNS1_11target_archE910ELNS1_3gpuE8ELNS1_3repE0EEENS1_30default_config_static_selectorELNS0_4arch9wavefront6targetE1EEEvT1_,comdat
	.protected	_ZN7rocprim17ROCPRIM_400000_NS6detail17trampoline_kernelINS0_14default_configENS1_25transform_config_selectorIN3c107complexIfEELb1EEEZNS1_14transform_implILb1ES3_S8_PS7_SA_NS0_8identityIS7_EEEE10hipError_tT2_T3_mT4_P12ihipStream_tbEUlT_E_NS1_11comp_targetILNS1_3genE4ELNS1_11target_archE910ELNS1_3gpuE8ELNS1_3repE0EEENS1_30default_config_static_selectorELNS0_4arch9wavefront6targetE1EEEvT1_ ; -- Begin function _ZN7rocprim17ROCPRIM_400000_NS6detail17trampoline_kernelINS0_14default_configENS1_25transform_config_selectorIN3c107complexIfEELb1EEEZNS1_14transform_implILb1ES3_S8_PS7_SA_NS0_8identityIS7_EEEE10hipError_tT2_T3_mT4_P12ihipStream_tbEUlT_E_NS1_11comp_targetILNS1_3genE4ELNS1_11target_archE910ELNS1_3gpuE8ELNS1_3repE0EEENS1_30default_config_static_selectorELNS0_4arch9wavefront6targetE1EEEvT1_
	.globl	_ZN7rocprim17ROCPRIM_400000_NS6detail17trampoline_kernelINS0_14default_configENS1_25transform_config_selectorIN3c107complexIfEELb1EEEZNS1_14transform_implILb1ES3_S8_PS7_SA_NS0_8identityIS7_EEEE10hipError_tT2_T3_mT4_P12ihipStream_tbEUlT_E_NS1_11comp_targetILNS1_3genE4ELNS1_11target_archE910ELNS1_3gpuE8ELNS1_3repE0EEENS1_30default_config_static_selectorELNS0_4arch9wavefront6targetE1EEEvT1_
	.p2align	8
	.type	_ZN7rocprim17ROCPRIM_400000_NS6detail17trampoline_kernelINS0_14default_configENS1_25transform_config_selectorIN3c107complexIfEELb1EEEZNS1_14transform_implILb1ES3_S8_PS7_SA_NS0_8identityIS7_EEEE10hipError_tT2_T3_mT4_P12ihipStream_tbEUlT_E_NS1_11comp_targetILNS1_3genE4ELNS1_11target_archE910ELNS1_3gpuE8ELNS1_3repE0EEENS1_30default_config_static_selectorELNS0_4arch9wavefront6targetE1EEEvT1_,@function
_ZN7rocprim17ROCPRIM_400000_NS6detail17trampoline_kernelINS0_14default_configENS1_25transform_config_selectorIN3c107complexIfEELb1EEEZNS1_14transform_implILb1ES3_S8_PS7_SA_NS0_8identityIS7_EEEE10hipError_tT2_T3_mT4_P12ihipStream_tbEUlT_E_NS1_11comp_targetILNS1_3genE4ELNS1_11target_archE910ELNS1_3gpuE8ELNS1_3repE0EEENS1_30default_config_static_selectorELNS0_4arch9wavefront6targetE1EEEvT1_: ; @_ZN7rocprim17ROCPRIM_400000_NS6detail17trampoline_kernelINS0_14default_configENS1_25transform_config_selectorIN3c107complexIfEELb1EEEZNS1_14transform_implILb1ES3_S8_PS7_SA_NS0_8identityIS7_EEEE10hipError_tT2_T3_mT4_P12ihipStream_tbEUlT_E_NS1_11comp_targetILNS1_3genE4ELNS1_11target_archE910ELNS1_3gpuE8ELNS1_3repE0EEENS1_30default_config_static_selectorELNS0_4arch9wavefront6targetE1EEEvT1_
; %bb.0:
	.section	.rodata,"a",@progbits
	.p2align	6, 0x0
	.amdhsa_kernel _ZN7rocprim17ROCPRIM_400000_NS6detail17trampoline_kernelINS0_14default_configENS1_25transform_config_selectorIN3c107complexIfEELb1EEEZNS1_14transform_implILb1ES3_S8_PS7_SA_NS0_8identityIS7_EEEE10hipError_tT2_T3_mT4_P12ihipStream_tbEUlT_E_NS1_11comp_targetILNS1_3genE4ELNS1_11target_archE910ELNS1_3gpuE8ELNS1_3repE0EEENS1_30default_config_static_selectorELNS0_4arch9wavefront6targetE1EEEvT1_
		.amdhsa_group_segment_fixed_size 0
		.amdhsa_private_segment_fixed_size 0
		.amdhsa_kernarg_size 40
		.amdhsa_user_sgpr_count 6
		.amdhsa_user_sgpr_private_segment_buffer 1
		.amdhsa_user_sgpr_dispatch_ptr 0
		.amdhsa_user_sgpr_queue_ptr 0
		.amdhsa_user_sgpr_kernarg_segment_ptr 1
		.amdhsa_user_sgpr_dispatch_id 0
		.amdhsa_user_sgpr_flat_scratch_init 0
		.amdhsa_user_sgpr_private_segment_size 0
		.amdhsa_uses_dynamic_stack 0
		.amdhsa_system_sgpr_private_segment_wavefront_offset 0
		.amdhsa_system_sgpr_workgroup_id_x 1
		.amdhsa_system_sgpr_workgroup_id_y 0
		.amdhsa_system_sgpr_workgroup_id_z 0
		.amdhsa_system_sgpr_workgroup_info 0
		.amdhsa_system_vgpr_workitem_id 0
		.amdhsa_next_free_vgpr 1
		.amdhsa_next_free_sgpr 0
		.amdhsa_reserve_vcc 0
		.amdhsa_reserve_flat_scratch 0
		.amdhsa_float_round_mode_32 0
		.amdhsa_float_round_mode_16_64 0
		.amdhsa_float_denorm_mode_32 3
		.amdhsa_float_denorm_mode_16_64 3
		.amdhsa_dx10_clamp 1
		.amdhsa_ieee_mode 1
		.amdhsa_fp16_overflow 0
		.amdhsa_exception_fp_ieee_invalid_op 0
		.amdhsa_exception_fp_denorm_src 0
		.amdhsa_exception_fp_ieee_div_zero 0
		.amdhsa_exception_fp_ieee_overflow 0
		.amdhsa_exception_fp_ieee_underflow 0
		.amdhsa_exception_fp_ieee_inexact 0
		.amdhsa_exception_int_div_zero 0
	.end_amdhsa_kernel
	.section	.text._ZN7rocprim17ROCPRIM_400000_NS6detail17trampoline_kernelINS0_14default_configENS1_25transform_config_selectorIN3c107complexIfEELb1EEEZNS1_14transform_implILb1ES3_S8_PS7_SA_NS0_8identityIS7_EEEE10hipError_tT2_T3_mT4_P12ihipStream_tbEUlT_E_NS1_11comp_targetILNS1_3genE4ELNS1_11target_archE910ELNS1_3gpuE8ELNS1_3repE0EEENS1_30default_config_static_selectorELNS0_4arch9wavefront6targetE1EEEvT1_,"axG",@progbits,_ZN7rocprim17ROCPRIM_400000_NS6detail17trampoline_kernelINS0_14default_configENS1_25transform_config_selectorIN3c107complexIfEELb1EEEZNS1_14transform_implILb1ES3_S8_PS7_SA_NS0_8identityIS7_EEEE10hipError_tT2_T3_mT4_P12ihipStream_tbEUlT_E_NS1_11comp_targetILNS1_3genE4ELNS1_11target_archE910ELNS1_3gpuE8ELNS1_3repE0EEENS1_30default_config_static_selectorELNS0_4arch9wavefront6targetE1EEEvT1_,comdat
.Lfunc_end276:
	.size	_ZN7rocprim17ROCPRIM_400000_NS6detail17trampoline_kernelINS0_14default_configENS1_25transform_config_selectorIN3c107complexIfEELb1EEEZNS1_14transform_implILb1ES3_S8_PS7_SA_NS0_8identityIS7_EEEE10hipError_tT2_T3_mT4_P12ihipStream_tbEUlT_E_NS1_11comp_targetILNS1_3genE4ELNS1_11target_archE910ELNS1_3gpuE8ELNS1_3repE0EEENS1_30default_config_static_selectorELNS0_4arch9wavefront6targetE1EEEvT1_, .Lfunc_end276-_ZN7rocprim17ROCPRIM_400000_NS6detail17trampoline_kernelINS0_14default_configENS1_25transform_config_selectorIN3c107complexIfEELb1EEEZNS1_14transform_implILb1ES3_S8_PS7_SA_NS0_8identityIS7_EEEE10hipError_tT2_T3_mT4_P12ihipStream_tbEUlT_E_NS1_11comp_targetILNS1_3genE4ELNS1_11target_archE910ELNS1_3gpuE8ELNS1_3repE0EEENS1_30default_config_static_selectorELNS0_4arch9wavefront6targetE1EEEvT1_
                                        ; -- End function
	.set _ZN7rocprim17ROCPRIM_400000_NS6detail17trampoline_kernelINS0_14default_configENS1_25transform_config_selectorIN3c107complexIfEELb1EEEZNS1_14transform_implILb1ES3_S8_PS7_SA_NS0_8identityIS7_EEEE10hipError_tT2_T3_mT4_P12ihipStream_tbEUlT_E_NS1_11comp_targetILNS1_3genE4ELNS1_11target_archE910ELNS1_3gpuE8ELNS1_3repE0EEENS1_30default_config_static_selectorELNS0_4arch9wavefront6targetE1EEEvT1_.num_vgpr, 0
	.set _ZN7rocprim17ROCPRIM_400000_NS6detail17trampoline_kernelINS0_14default_configENS1_25transform_config_selectorIN3c107complexIfEELb1EEEZNS1_14transform_implILb1ES3_S8_PS7_SA_NS0_8identityIS7_EEEE10hipError_tT2_T3_mT4_P12ihipStream_tbEUlT_E_NS1_11comp_targetILNS1_3genE4ELNS1_11target_archE910ELNS1_3gpuE8ELNS1_3repE0EEENS1_30default_config_static_selectorELNS0_4arch9wavefront6targetE1EEEvT1_.num_agpr, 0
	.set _ZN7rocprim17ROCPRIM_400000_NS6detail17trampoline_kernelINS0_14default_configENS1_25transform_config_selectorIN3c107complexIfEELb1EEEZNS1_14transform_implILb1ES3_S8_PS7_SA_NS0_8identityIS7_EEEE10hipError_tT2_T3_mT4_P12ihipStream_tbEUlT_E_NS1_11comp_targetILNS1_3genE4ELNS1_11target_archE910ELNS1_3gpuE8ELNS1_3repE0EEENS1_30default_config_static_selectorELNS0_4arch9wavefront6targetE1EEEvT1_.numbered_sgpr, 0
	.set _ZN7rocprim17ROCPRIM_400000_NS6detail17trampoline_kernelINS0_14default_configENS1_25transform_config_selectorIN3c107complexIfEELb1EEEZNS1_14transform_implILb1ES3_S8_PS7_SA_NS0_8identityIS7_EEEE10hipError_tT2_T3_mT4_P12ihipStream_tbEUlT_E_NS1_11comp_targetILNS1_3genE4ELNS1_11target_archE910ELNS1_3gpuE8ELNS1_3repE0EEENS1_30default_config_static_selectorELNS0_4arch9wavefront6targetE1EEEvT1_.num_named_barrier, 0
	.set _ZN7rocprim17ROCPRIM_400000_NS6detail17trampoline_kernelINS0_14default_configENS1_25transform_config_selectorIN3c107complexIfEELb1EEEZNS1_14transform_implILb1ES3_S8_PS7_SA_NS0_8identityIS7_EEEE10hipError_tT2_T3_mT4_P12ihipStream_tbEUlT_E_NS1_11comp_targetILNS1_3genE4ELNS1_11target_archE910ELNS1_3gpuE8ELNS1_3repE0EEENS1_30default_config_static_selectorELNS0_4arch9wavefront6targetE1EEEvT1_.private_seg_size, 0
	.set _ZN7rocprim17ROCPRIM_400000_NS6detail17trampoline_kernelINS0_14default_configENS1_25transform_config_selectorIN3c107complexIfEELb1EEEZNS1_14transform_implILb1ES3_S8_PS7_SA_NS0_8identityIS7_EEEE10hipError_tT2_T3_mT4_P12ihipStream_tbEUlT_E_NS1_11comp_targetILNS1_3genE4ELNS1_11target_archE910ELNS1_3gpuE8ELNS1_3repE0EEENS1_30default_config_static_selectorELNS0_4arch9wavefront6targetE1EEEvT1_.uses_vcc, 0
	.set _ZN7rocprim17ROCPRIM_400000_NS6detail17trampoline_kernelINS0_14default_configENS1_25transform_config_selectorIN3c107complexIfEELb1EEEZNS1_14transform_implILb1ES3_S8_PS7_SA_NS0_8identityIS7_EEEE10hipError_tT2_T3_mT4_P12ihipStream_tbEUlT_E_NS1_11comp_targetILNS1_3genE4ELNS1_11target_archE910ELNS1_3gpuE8ELNS1_3repE0EEENS1_30default_config_static_selectorELNS0_4arch9wavefront6targetE1EEEvT1_.uses_flat_scratch, 0
	.set _ZN7rocprim17ROCPRIM_400000_NS6detail17trampoline_kernelINS0_14default_configENS1_25transform_config_selectorIN3c107complexIfEELb1EEEZNS1_14transform_implILb1ES3_S8_PS7_SA_NS0_8identityIS7_EEEE10hipError_tT2_T3_mT4_P12ihipStream_tbEUlT_E_NS1_11comp_targetILNS1_3genE4ELNS1_11target_archE910ELNS1_3gpuE8ELNS1_3repE0EEENS1_30default_config_static_selectorELNS0_4arch9wavefront6targetE1EEEvT1_.has_dyn_sized_stack, 0
	.set _ZN7rocprim17ROCPRIM_400000_NS6detail17trampoline_kernelINS0_14default_configENS1_25transform_config_selectorIN3c107complexIfEELb1EEEZNS1_14transform_implILb1ES3_S8_PS7_SA_NS0_8identityIS7_EEEE10hipError_tT2_T3_mT4_P12ihipStream_tbEUlT_E_NS1_11comp_targetILNS1_3genE4ELNS1_11target_archE910ELNS1_3gpuE8ELNS1_3repE0EEENS1_30default_config_static_selectorELNS0_4arch9wavefront6targetE1EEEvT1_.has_recursion, 0
	.set _ZN7rocprim17ROCPRIM_400000_NS6detail17trampoline_kernelINS0_14default_configENS1_25transform_config_selectorIN3c107complexIfEELb1EEEZNS1_14transform_implILb1ES3_S8_PS7_SA_NS0_8identityIS7_EEEE10hipError_tT2_T3_mT4_P12ihipStream_tbEUlT_E_NS1_11comp_targetILNS1_3genE4ELNS1_11target_archE910ELNS1_3gpuE8ELNS1_3repE0EEENS1_30default_config_static_selectorELNS0_4arch9wavefront6targetE1EEEvT1_.has_indirect_call, 0
	.section	.AMDGPU.csdata,"",@progbits
; Kernel info:
; codeLenInByte = 0
; TotalNumSgprs: 4
; NumVgprs: 0
; ScratchSize: 0
; MemoryBound: 0
; FloatMode: 240
; IeeeMode: 1
; LDSByteSize: 0 bytes/workgroup (compile time only)
; SGPRBlocks: 0
; VGPRBlocks: 0
; NumSGPRsForWavesPerEU: 4
; NumVGPRsForWavesPerEU: 1
; Occupancy: 10
; WaveLimiterHint : 0
; COMPUTE_PGM_RSRC2:SCRATCH_EN: 0
; COMPUTE_PGM_RSRC2:USER_SGPR: 6
; COMPUTE_PGM_RSRC2:TRAP_HANDLER: 0
; COMPUTE_PGM_RSRC2:TGID_X_EN: 1
; COMPUTE_PGM_RSRC2:TGID_Y_EN: 0
; COMPUTE_PGM_RSRC2:TGID_Z_EN: 0
; COMPUTE_PGM_RSRC2:TIDIG_COMP_CNT: 0
	.section	.text._ZN7rocprim17ROCPRIM_400000_NS6detail17trampoline_kernelINS0_14default_configENS1_25transform_config_selectorIN3c107complexIfEELb1EEEZNS1_14transform_implILb1ES3_S8_PS7_SA_NS0_8identityIS7_EEEE10hipError_tT2_T3_mT4_P12ihipStream_tbEUlT_E_NS1_11comp_targetILNS1_3genE3ELNS1_11target_archE908ELNS1_3gpuE7ELNS1_3repE0EEENS1_30default_config_static_selectorELNS0_4arch9wavefront6targetE1EEEvT1_,"axG",@progbits,_ZN7rocprim17ROCPRIM_400000_NS6detail17trampoline_kernelINS0_14default_configENS1_25transform_config_selectorIN3c107complexIfEELb1EEEZNS1_14transform_implILb1ES3_S8_PS7_SA_NS0_8identityIS7_EEEE10hipError_tT2_T3_mT4_P12ihipStream_tbEUlT_E_NS1_11comp_targetILNS1_3genE3ELNS1_11target_archE908ELNS1_3gpuE7ELNS1_3repE0EEENS1_30default_config_static_selectorELNS0_4arch9wavefront6targetE1EEEvT1_,comdat
	.protected	_ZN7rocprim17ROCPRIM_400000_NS6detail17trampoline_kernelINS0_14default_configENS1_25transform_config_selectorIN3c107complexIfEELb1EEEZNS1_14transform_implILb1ES3_S8_PS7_SA_NS0_8identityIS7_EEEE10hipError_tT2_T3_mT4_P12ihipStream_tbEUlT_E_NS1_11comp_targetILNS1_3genE3ELNS1_11target_archE908ELNS1_3gpuE7ELNS1_3repE0EEENS1_30default_config_static_selectorELNS0_4arch9wavefront6targetE1EEEvT1_ ; -- Begin function _ZN7rocprim17ROCPRIM_400000_NS6detail17trampoline_kernelINS0_14default_configENS1_25transform_config_selectorIN3c107complexIfEELb1EEEZNS1_14transform_implILb1ES3_S8_PS7_SA_NS0_8identityIS7_EEEE10hipError_tT2_T3_mT4_P12ihipStream_tbEUlT_E_NS1_11comp_targetILNS1_3genE3ELNS1_11target_archE908ELNS1_3gpuE7ELNS1_3repE0EEENS1_30default_config_static_selectorELNS0_4arch9wavefront6targetE1EEEvT1_
	.globl	_ZN7rocprim17ROCPRIM_400000_NS6detail17trampoline_kernelINS0_14default_configENS1_25transform_config_selectorIN3c107complexIfEELb1EEEZNS1_14transform_implILb1ES3_S8_PS7_SA_NS0_8identityIS7_EEEE10hipError_tT2_T3_mT4_P12ihipStream_tbEUlT_E_NS1_11comp_targetILNS1_3genE3ELNS1_11target_archE908ELNS1_3gpuE7ELNS1_3repE0EEENS1_30default_config_static_selectorELNS0_4arch9wavefront6targetE1EEEvT1_
	.p2align	8
	.type	_ZN7rocprim17ROCPRIM_400000_NS6detail17trampoline_kernelINS0_14default_configENS1_25transform_config_selectorIN3c107complexIfEELb1EEEZNS1_14transform_implILb1ES3_S8_PS7_SA_NS0_8identityIS7_EEEE10hipError_tT2_T3_mT4_P12ihipStream_tbEUlT_E_NS1_11comp_targetILNS1_3genE3ELNS1_11target_archE908ELNS1_3gpuE7ELNS1_3repE0EEENS1_30default_config_static_selectorELNS0_4arch9wavefront6targetE1EEEvT1_,@function
_ZN7rocprim17ROCPRIM_400000_NS6detail17trampoline_kernelINS0_14default_configENS1_25transform_config_selectorIN3c107complexIfEELb1EEEZNS1_14transform_implILb1ES3_S8_PS7_SA_NS0_8identityIS7_EEEE10hipError_tT2_T3_mT4_P12ihipStream_tbEUlT_E_NS1_11comp_targetILNS1_3genE3ELNS1_11target_archE908ELNS1_3gpuE7ELNS1_3repE0EEENS1_30default_config_static_selectorELNS0_4arch9wavefront6targetE1EEEvT1_: ; @_ZN7rocprim17ROCPRIM_400000_NS6detail17trampoline_kernelINS0_14default_configENS1_25transform_config_selectorIN3c107complexIfEELb1EEEZNS1_14transform_implILb1ES3_S8_PS7_SA_NS0_8identityIS7_EEEE10hipError_tT2_T3_mT4_P12ihipStream_tbEUlT_E_NS1_11comp_targetILNS1_3genE3ELNS1_11target_archE908ELNS1_3gpuE7ELNS1_3repE0EEENS1_30default_config_static_selectorELNS0_4arch9wavefront6targetE1EEEvT1_
; %bb.0:
	.section	.rodata,"a",@progbits
	.p2align	6, 0x0
	.amdhsa_kernel _ZN7rocprim17ROCPRIM_400000_NS6detail17trampoline_kernelINS0_14default_configENS1_25transform_config_selectorIN3c107complexIfEELb1EEEZNS1_14transform_implILb1ES3_S8_PS7_SA_NS0_8identityIS7_EEEE10hipError_tT2_T3_mT4_P12ihipStream_tbEUlT_E_NS1_11comp_targetILNS1_3genE3ELNS1_11target_archE908ELNS1_3gpuE7ELNS1_3repE0EEENS1_30default_config_static_selectorELNS0_4arch9wavefront6targetE1EEEvT1_
		.amdhsa_group_segment_fixed_size 0
		.amdhsa_private_segment_fixed_size 0
		.amdhsa_kernarg_size 40
		.amdhsa_user_sgpr_count 6
		.amdhsa_user_sgpr_private_segment_buffer 1
		.amdhsa_user_sgpr_dispatch_ptr 0
		.amdhsa_user_sgpr_queue_ptr 0
		.amdhsa_user_sgpr_kernarg_segment_ptr 1
		.amdhsa_user_sgpr_dispatch_id 0
		.amdhsa_user_sgpr_flat_scratch_init 0
		.amdhsa_user_sgpr_private_segment_size 0
		.amdhsa_uses_dynamic_stack 0
		.amdhsa_system_sgpr_private_segment_wavefront_offset 0
		.amdhsa_system_sgpr_workgroup_id_x 1
		.amdhsa_system_sgpr_workgroup_id_y 0
		.amdhsa_system_sgpr_workgroup_id_z 0
		.amdhsa_system_sgpr_workgroup_info 0
		.amdhsa_system_vgpr_workitem_id 0
		.amdhsa_next_free_vgpr 1
		.amdhsa_next_free_sgpr 0
		.amdhsa_reserve_vcc 0
		.amdhsa_reserve_flat_scratch 0
		.amdhsa_float_round_mode_32 0
		.amdhsa_float_round_mode_16_64 0
		.amdhsa_float_denorm_mode_32 3
		.amdhsa_float_denorm_mode_16_64 3
		.amdhsa_dx10_clamp 1
		.amdhsa_ieee_mode 1
		.amdhsa_fp16_overflow 0
		.amdhsa_exception_fp_ieee_invalid_op 0
		.amdhsa_exception_fp_denorm_src 0
		.amdhsa_exception_fp_ieee_div_zero 0
		.amdhsa_exception_fp_ieee_overflow 0
		.amdhsa_exception_fp_ieee_underflow 0
		.amdhsa_exception_fp_ieee_inexact 0
		.amdhsa_exception_int_div_zero 0
	.end_amdhsa_kernel
	.section	.text._ZN7rocprim17ROCPRIM_400000_NS6detail17trampoline_kernelINS0_14default_configENS1_25transform_config_selectorIN3c107complexIfEELb1EEEZNS1_14transform_implILb1ES3_S8_PS7_SA_NS0_8identityIS7_EEEE10hipError_tT2_T3_mT4_P12ihipStream_tbEUlT_E_NS1_11comp_targetILNS1_3genE3ELNS1_11target_archE908ELNS1_3gpuE7ELNS1_3repE0EEENS1_30default_config_static_selectorELNS0_4arch9wavefront6targetE1EEEvT1_,"axG",@progbits,_ZN7rocprim17ROCPRIM_400000_NS6detail17trampoline_kernelINS0_14default_configENS1_25transform_config_selectorIN3c107complexIfEELb1EEEZNS1_14transform_implILb1ES3_S8_PS7_SA_NS0_8identityIS7_EEEE10hipError_tT2_T3_mT4_P12ihipStream_tbEUlT_E_NS1_11comp_targetILNS1_3genE3ELNS1_11target_archE908ELNS1_3gpuE7ELNS1_3repE0EEENS1_30default_config_static_selectorELNS0_4arch9wavefront6targetE1EEEvT1_,comdat
.Lfunc_end277:
	.size	_ZN7rocprim17ROCPRIM_400000_NS6detail17trampoline_kernelINS0_14default_configENS1_25transform_config_selectorIN3c107complexIfEELb1EEEZNS1_14transform_implILb1ES3_S8_PS7_SA_NS0_8identityIS7_EEEE10hipError_tT2_T3_mT4_P12ihipStream_tbEUlT_E_NS1_11comp_targetILNS1_3genE3ELNS1_11target_archE908ELNS1_3gpuE7ELNS1_3repE0EEENS1_30default_config_static_selectorELNS0_4arch9wavefront6targetE1EEEvT1_, .Lfunc_end277-_ZN7rocprim17ROCPRIM_400000_NS6detail17trampoline_kernelINS0_14default_configENS1_25transform_config_selectorIN3c107complexIfEELb1EEEZNS1_14transform_implILb1ES3_S8_PS7_SA_NS0_8identityIS7_EEEE10hipError_tT2_T3_mT4_P12ihipStream_tbEUlT_E_NS1_11comp_targetILNS1_3genE3ELNS1_11target_archE908ELNS1_3gpuE7ELNS1_3repE0EEENS1_30default_config_static_selectorELNS0_4arch9wavefront6targetE1EEEvT1_
                                        ; -- End function
	.set _ZN7rocprim17ROCPRIM_400000_NS6detail17trampoline_kernelINS0_14default_configENS1_25transform_config_selectorIN3c107complexIfEELb1EEEZNS1_14transform_implILb1ES3_S8_PS7_SA_NS0_8identityIS7_EEEE10hipError_tT2_T3_mT4_P12ihipStream_tbEUlT_E_NS1_11comp_targetILNS1_3genE3ELNS1_11target_archE908ELNS1_3gpuE7ELNS1_3repE0EEENS1_30default_config_static_selectorELNS0_4arch9wavefront6targetE1EEEvT1_.num_vgpr, 0
	.set _ZN7rocprim17ROCPRIM_400000_NS6detail17trampoline_kernelINS0_14default_configENS1_25transform_config_selectorIN3c107complexIfEELb1EEEZNS1_14transform_implILb1ES3_S8_PS7_SA_NS0_8identityIS7_EEEE10hipError_tT2_T3_mT4_P12ihipStream_tbEUlT_E_NS1_11comp_targetILNS1_3genE3ELNS1_11target_archE908ELNS1_3gpuE7ELNS1_3repE0EEENS1_30default_config_static_selectorELNS0_4arch9wavefront6targetE1EEEvT1_.num_agpr, 0
	.set _ZN7rocprim17ROCPRIM_400000_NS6detail17trampoline_kernelINS0_14default_configENS1_25transform_config_selectorIN3c107complexIfEELb1EEEZNS1_14transform_implILb1ES3_S8_PS7_SA_NS0_8identityIS7_EEEE10hipError_tT2_T3_mT4_P12ihipStream_tbEUlT_E_NS1_11comp_targetILNS1_3genE3ELNS1_11target_archE908ELNS1_3gpuE7ELNS1_3repE0EEENS1_30default_config_static_selectorELNS0_4arch9wavefront6targetE1EEEvT1_.numbered_sgpr, 0
	.set _ZN7rocprim17ROCPRIM_400000_NS6detail17trampoline_kernelINS0_14default_configENS1_25transform_config_selectorIN3c107complexIfEELb1EEEZNS1_14transform_implILb1ES3_S8_PS7_SA_NS0_8identityIS7_EEEE10hipError_tT2_T3_mT4_P12ihipStream_tbEUlT_E_NS1_11comp_targetILNS1_3genE3ELNS1_11target_archE908ELNS1_3gpuE7ELNS1_3repE0EEENS1_30default_config_static_selectorELNS0_4arch9wavefront6targetE1EEEvT1_.num_named_barrier, 0
	.set _ZN7rocprim17ROCPRIM_400000_NS6detail17trampoline_kernelINS0_14default_configENS1_25transform_config_selectorIN3c107complexIfEELb1EEEZNS1_14transform_implILb1ES3_S8_PS7_SA_NS0_8identityIS7_EEEE10hipError_tT2_T3_mT4_P12ihipStream_tbEUlT_E_NS1_11comp_targetILNS1_3genE3ELNS1_11target_archE908ELNS1_3gpuE7ELNS1_3repE0EEENS1_30default_config_static_selectorELNS0_4arch9wavefront6targetE1EEEvT1_.private_seg_size, 0
	.set _ZN7rocprim17ROCPRIM_400000_NS6detail17trampoline_kernelINS0_14default_configENS1_25transform_config_selectorIN3c107complexIfEELb1EEEZNS1_14transform_implILb1ES3_S8_PS7_SA_NS0_8identityIS7_EEEE10hipError_tT2_T3_mT4_P12ihipStream_tbEUlT_E_NS1_11comp_targetILNS1_3genE3ELNS1_11target_archE908ELNS1_3gpuE7ELNS1_3repE0EEENS1_30default_config_static_selectorELNS0_4arch9wavefront6targetE1EEEvT1_.uses_vcc, 0
	.set _ZN7rocprim17ROCPRIM_400000_NS6detail17trampoline_kernelINS0_14default_configENS1_25transform_config_selectorIN3c107complexIfEELb1EEEZNS1_14transform_implILb1ES3_S8_PS7_SA_NS0_8identityIS7_EEEE10hipError_tT2_T3_mT4_P12ihipStream_tbEUlT_E_NS1_11comp_targetILNS1_3genE3ELNS1_11target_archE908ELNS1_3gpuE7ELNS1_3repE0EEENS1_30default_config_static_selectorELNS0_4arch9wavefront6targetE1EEEvT1_.uses_flat_scratch, 0
	.set _ZN7rocprim17ROCPRIM_400000_NS6detail17trampoline_kernelINS0_14default_configENS1_25transform_config_selectorIN3c107complexIfEELb1EEEZNS1_14transform_implILb1ES3_S8_PS7_SA_NS0_8identityIS7_EEEE10hipError_tT2_T3_mT4_P12ihipStream_tbEUlT_E_NS1_11comp_targetILNS1_3genE3ELNS1_11target_archE908ELNS1_3gpuE7ELNS1_3repE0EEENS1_30default_config_static_selectorELNS0_4arch9wavefront6targetE1EEEvT1_.has_dyn_sized_stack, 0
	.set _ZN7rocprim17ROCPRIM_400000_NS6detail17trampoline_kernelINS0_14default_configENS1_25transform_config_selectorIN3c107complexIfEELb1EEEZNS1_14transform_implILb1ES3_S8_PS7_SA_NS0_8identityIS7_EEEE10hipError_tT2_T3_mT4_P12ihipStream_tbEUlT_E_NS1_11comp_targetILNS1_3genE3ELNS1_11target_archE908ELNS1_3gpuE7ELNS1_3repE0EEENS1_30default_config_static_selectorELNS0_4arch9wavefront6targetE1EEEvT1_.has_recursion, 0
	.set _ZN7rocprim17ROCPRIM_400000_NS6detail17trampoline_kernelINS0_14default_configENS1_25transform_config_selectorIN3c107complexIfEELb1EEEZNS1_14transform_implILb1ES3_S8_PS7_SA_NS0_8identityIS7_EEEE10hipError_tT2_T3_mT4_P12ihipStream_tbEUlT_E_NS1_11comp_targetILNS1_3genE3ELNS1_11target_archE908ELNS1_3gpuE7ELNS1_3repE0EEENS1_30default_config_static_selectorELNS0_4arch9wavefront6targetE1EEEvT1_.has_indirect_call, 0
	.section	.AMDGPU.csdata,"",@progbits
; Kernel info:
; codeLenInByte = 0
; TotalNumSgprs: 4
; NumVgprs: 0
; ScratchSize: 0
; MemoryBound: 0
; FloatMode: 240
; IeeeMode: 1
; LDSByteSize: 0 bytes/workgroup (compile time only)
; SGPRBlocks: 0
; VGPRBlocks: 0
; NumSGPRsForWavesPerEU: 4
; NumVGPRsForWavesPerEU: 1
; Occupancy: 10
; WaveLimiterHint : 0
; COMPUTE_PGM_RSRC2:SCRATCH_EN: 0
; COMPUTE_PGM_RSRC2:USER_SGPR: 6
; COMPUTE_PGM_RSRC2:TRAP_HANDLER: 0
; COMPUTE_PGM_RSRC2:TGID_X_EN: 1
; COMPUTE_PGM_RSRC2:TGID_Y_EN: 0
; COMPUTE_PGM_RSRC2:TGID_Z_EN: 0
; COMPUTE_PGM_RSRC2:TIDIG_COMP_CNT: 0
	.section	.text._ZN7rocprim17ROCPRIM_400000_NS6detail17trampoline_kernelINS0_14default_configENS1_25transform_config_selectorIN3c107complexIfEELb1EEEZNS1_14transform_implILb1ES3_S8_PS7_SA_NS0_8identityIS7_EEEE10hipError_tT2_T3_mT4_P12ihipStream_tbEUlT_E_NS1_11comp_targetILNS1_3genE2ELNS1_11target_archE906ELNS1_3gpuE6ELNS1_3repE0EEENS1_30default_config_static_selectorELNS0_4arch9wavefront6targetE1EEEvT1_,"axG",@progbits,_ZN7rocprim17ROCPRIM_400000_NS6detail17trampoline_kernelINS0_14default_configENS1_25transform_config_selectorIN3c107complexIfEELb1EEEZNS1_14transform_implILb1ES3_S8_PS7_SA_NS0_8identityIS7_EEEE10hipError_tT2_T3_mT4_P12ihipStream_tbEUlT_E_NS1_11comp_targetILNS1_3genE2ELNS1_11target_archE906ELNS1_3gpuE6ELNS1_3repE0EEENS1_30default_config_static_selectorELNS0_4arch9wavefront6targetE1EEEvT1_,comdat
	.protected	_ZN7rocprim17ROCPRIM_400000_NS6detail17trampoline_kernelINS0_14default_configENS1_25transform_config_selectorIN3c107complexIfEELb1EEEZNS1_14transform_implILb1ES3_S8_PS7_SA_NS0_8identityIS7_EEEE10hipError_tT2_T3_mT4_P12ihipStream_tbEUlT_E_NS1_11comp_targetILNS1_3genE2ELNS1_11target_archE906ELNS1_3gpuE6ELNS1_3repE0EEENS1_30default_config_static_selectorELNS0_4arch9wavefront6targetE1EEEvT1_ ; -- Begin function _ZN7rocprim17ROCPRIM_400000_NS6detail17trampoline_kernelINS0_14default_configENS1_25transform_config_selectorIN3c107complexIfEELb1EEEZNS1_14transform_implILb1ES3_S8_PS7_SA_NS0_8identityIS7_EEEE10hipError_tT2_T3_mT4_P12ihipStream_tbEUlT_E_NS1_11comp_targetILNS1_3genE2ELNS1_11target_archE906ELNS1_3gpuE6ELNS1_3repE0EEENS1_30default_config_static_selectorELNS0_4arch9wavefront6targetE1EEEvT1_
	.globl	_ZN7rocprim17ROCPRIM_400000_NS6detail17trampoline_kernelINS0_14default_configENS1_25transform_config_selectorIN3c107complexIfEELb1EEEZNS1_14transform_implILb1ES3_S8_PS7_SA_NS0_8identityIS7_EEEE10hipError_tT2_T3_mT4_P12ihipStream_tbEUlT_E_NS1_11comp_targetILNS1_3genE2ELNS1_11target_archE906ELNS1_3gpuE6ELNS1_3repE0EEENS1_30default_config_static_selectorELNS0_4arch9wavefront6targetE1EEEvT1_
	.p2align	8
	.type	_ZN7rocprim17ROCPRIM_400000_NS6detail17trampoline_kernelINS0_14default_configENS1_25transform_config_selectorIN3c107complexIfEELb1EEEZNS1_14transform_implILb1ES3_S8_PS7_SA_NS0_8identityIS7_EEEE10hipError_tT2_T3_mT4_P12ihipStream_tbEUlT_E_NS1_11comp_targetILNS1_3genE2ELNS1_11target_archE906ELNS1_3gpuE6ELNS1_3repE0EEENS1_30default_config_static_selectorELNS0_4arch9wavefront6targetE1EEEvT1_,@function
_ZN7rocprim17ROCPRIM_400000_NS6detail17trampoline_kernelINS0_14default_configENS1_25transform_config_selectorIN3c107complexIfEELb1EEEZNS1_14transform_implILb1ES3_S8_PS7_SA_NS0_8identityIS7_EEEE10hipError_tT2_T3_mT4_P12ihipStream_tbEUlT_E_NS1_11comp_targetILNS1_3genE2ELNS1_11target_archE906ELNS1_3gpuE6ELNS1_3repE0EEENS1_30default_config_static_selectorELNS0_4arch9wavefront6targetE1EEEvT1_: ; @_ZN7rocprim17ROCPRIM_400000_NS6detail17trampoline_kernelINS0_14default_configENS1_25transform_config_selectorIN3c107complexIfEELb1EEEZNS1_14transform_implILb1ES3_S8_PS7_SA_NS0_8identityIS7_EEEE10hipError_tT2_T3_mT4_P12ihipStream_tbEUlT_E_NS1_11comp_targetILNS1_3genE2ELNS1_11target_archE906ELNS1_3gpuE6ELNS1_3repE0EEENS1_30default_config_static_selectorELNS0_4arch9wavefront6targetE1EEEvT1_
; %bb.0:
	s_load_dword s1, s[4:5], 0x28
	s_load_dword s7, s[4:5], 0x10
	s_lshl_b32 s0, s6, 9
	s_waitcnt lgkmcnt(0)
	s_add_i32 s1, s1, -1
	s_cmp_lg_u32 s6, s1
	s_cselect_b64 s[2:3], -1, 0
	s_sub_i32 s1, s7, s0
	v_cmp_gt_u32_e32 vcc, s1, v0
	s_or_b64 s[2:3], vcc, s[2:3]
	s_and_saveexec_b64 s[6:7], s[2:3]
	s_cbranch_execz .LBB278_2
; %bb.1:
	s_load_dwordx4 s[8:11], s[4:5], 0x0
	s_load_dwordx2 s[2:3], s[4:5], 0x18
	s_mov_b32 s1, 0
	v_lshlrev_b32_e32 v2, 3, v0
	s_waitcnt lgkmcnt(0)
	s_lshl_b64 s[4:5], s[10:11], 3
	s_add_u32 s6, s8, s4
	s_addc_u32 s7, s9, s5
	s_lshl_b64 s[0:1], s[0:1], 3
	s_add_u32 s6, s6, s0
	s_addc_u32 s7, s7, s1
	global_load_dwordx2 v[0:1], v2, s[6:7]
	s_add_u32 s2, s2, s4
	s_addc_u32 s3, s3, s5
	s_add_u32 s0, s2, s0
	s_addc_u32 s1, s3, s1
	s_waitcnt vmcnt(0)
	global_store_dwordx2 v2, v[0:1], s[0:1]
.LBB278_2:
	s_endpgm
	.section	.rodata,"a",@progbits
	.p2align	6, 0x0
	.amdhsa_kernel _ZN7rocprim17ROCPRIM_400000_NS6detail17trampoline_kernelINS0_14default_configENS1_25transform_config_selectorIN3c107complexIfEELb1EEEZNS1_14transform_implILb1ES3_S8_PS7_SA_NS0_8identityIS7_EEEE10hipError_tT2_T3_mT4_P12ihipStream_tbEUlT_E_NS1_11comp_targetILNS1_3genE2ELNS1_11target_archE906ELNS1_3gpuE6ELNS1_3repE0EEENS1_30default_config_static_selectorELNS0_4arch9wavefront6targetE1EEEvT1_
		.amdhsa_group_segment_fixed_size 0
		.amdhsa_private_segment_fixed_size 0
		.amdhsa_kernarg_size 296
		.amdhsa_user_sgpr_count 6
		.amdhsa_user_sgpr_private_segment_buffer 1
		.amdhsa_user_sgpr_dispatch_ptr 0
		.amdhsa_user_sgpr_queue_ptr 0
		.amdhsa_user_sgpr_kernarg_segment_ptr 1
		.amdhsa_user_sgpr_dispatch_id 0
		.amdhsa_user_sgpr_flat_scratch_init 0
		.amdhsa_user_sgpr_private_segment_size 0
		.amdhsa_uses_dynamic_stack 0
		.amdhsa_system_sgpr_private_segment_wavefront_offset 0
		.amdhsa_system_sgpr_workgroup_id_x 1
		.amdhsa_system_sgpr_workgroup_id_y 0
		.amdhsa_system_sgpr_workgroup_id_z 0
		.amdhsa_system_sgpr_workgroup_info 0
		.amdhsa_system_vgpr_workitem_id 0
		.amdhsa_next_free_vgpr 3
		.amdhsa_next_free_sgpr 12
		.amdhsa_reserve_vcc 1
		.amdhsa_reserve_flat_scratch 0
		.amdhsa_float_round_mode_32 0
		.amdhsa_float_round_mode_16_64 0
		.amdhsa_float_denorm_mode_32 3
		.amdhsa_float_denorm_mode_16_64 3
		.amdhsa_dx10_clamp 1
		.amdhsa_ieee_mode 1
		.amdhsa_fp16_overflow 0
		.amdhsa_exception_fp_ieee_invalid_op 0
		.amdhsa_exception_fp_denorm_src 0
		.amdhsa_exception_fp_ieee_div_zero 0
		.amdhsa_exception_fp_ieee_overflow 0
		.amdhsa_exception_fp_ieee_underflow 0
		.amdhsa_exception_fp_ieee_inexact 0
		.amdhsa_exception_int_div_zero 0
	.end_amdhsa_kernel
	.section	.text._ZN7rocprim17ROCPRIM_400000_NS6detail17trampoline_kernelINS0_14default_configENS1_25transform_config_selectorIN3c107complexIfEELb1EEEZNS1_14transform_implILb1ES3_S8_PS7_SA_NS0_8identityIS7_EEEE10hipError_tT2_T3_mT4_P12ihipStream_tbEUlT_E_NS1_11comp_targetILNS1_3genE2ELNS1_11target_archE906ELNS1_3gpuE6ELNS1_3repE0EEENS1_30default_config_static_selectorELNS0_4arch9wavefront6targetE1EEEvT1_,"axG",@progbits,_ZN7rocprim17ROCPRIM_400000_NS6detail17trampoline_kernelINS0_14default_configENS1_25transform_config_selectorIN3c107complexIfEELb1EEEZNS1_14transform_implILb1ES3_S8_PS7_SA_NS0_8identityIS7_EEEE10hipError_tT2_T3_mT4_P12ihipStream_tbEUlT_E_NS1_11comp_targetILNS1_3genE2ELNS1_11target_archE906ELNS1_3gpuE6ELNS1_3repE0EEENS1_30default_config_static_selectorELNS0_4arch9wavefront6targetE1EEEvT1_,comdat
.Lfunc_end278:
	.size	_ZN7rocprim17ROCPRIM_400000_NS6detail17trampoline_kernelINS0_14default_configENS1_25transform_config_selectorIN3c107complexIfEELb1EEEZNS1_14transform_implILb1ES3_S8_PS7_SA_NS0_8identityIS7_EEEE10hipError_tT2_T3_mT4_P12ihipStream_tbEUlT_E_NS1_11comp_targetILNS1_3genE2ELNS1_11target_archE906ELNS1_3gpuE6ELNS1_3repE0EEENS1_30default_config_static_selectorELNS0_4arch9wavefront6targetE1EEEvT1_, .Lfunc_end278-_ZN7rocprim17ROCPRIM_400000_NS6detail17trampoline_kernelINS0_14default_configENS1_25transform_config_selectorIN3c107complexIfEELb1EEEZNS1_14transform_implILb1ES3_S8_PS7_SA_NS0_8identityIS7_EEEE10hipError_tT2_T3_mT4_P12ihipStream_tbEUlT_E_NS1_11comp_targetILNS1_3genE2ELNS1_11target_archE906ELNS1_3gpuE6ELNS1_3repE0EEENS1_30default_config_static_selectorELNS0_4arch9wavefront6targetE1EEEvT1_
                                        ; -- End function
	.set _ZN7rocprim17ROCPRIM_400000_NS6detail17trampoline_kernelINS0_14default_configENS1_25transform_config_selectorIN3c107complexIfEELb1EEEZNS1_14transform_implILb1ES3_S8_PS7_SA_NS0_8identityIS7_EEEE10hipError_tT2_T3_mT4_P12ihipStream_tbEUlT_E_NS1_11comp_targetILNS1_3genE2ELNS1_11target_archE906ELNS1_3gpuE6ELNS1_3repE0EEENS1_30default_config_static_selectorELNS0_4arch9wavefront6targetE1EEEvT1_.num_vgpr, 3
	.set _ZN7rocprim17ROCPRIM_400000_NS6detail17trampoline_kernelINS0_14default_configENS1_25transform_config_selectorIN3c107complexIfEELb1EEEZNS1_14transform_implILb1ES3_S8_PS7_SA_NS0_8identityIS7_EEEE10hipError_tT2_T3_mT4_P12ihipStream_tbEUlT_E_NS1_11comp_targetILNS1_3genE2ELNS1_11target_archE906ELNS1_3gpuE6ELNS1_3repE0EEENS1_30default_config_static_selectorELNS0_4arch9wavefront6targetE1EEEvT1_.num_agpr, 0
	.set _ZN7rocprim17ROCPRIM_400000_NS6detail17trampoline_kernelINS0_14default_configENS1_25transform_config_selectorIN3c107complexIfEELb1EEEZNS1_14transform_implILb1ES3_S8_PS7_SA_NS0_8identityIS7_EEEE10hipError_tT2_T3_mT4_P12ihipStream_tbEUlT_E_NS1_11comp_targetILNS1_3genE2ELNS1_11target_archE906ELNS1_3gpuE6ELNS1_3repE0EEENS1_30default_config_static_selectorELNS0_4arch9wavefront6targetE1EEEvT1_.numbered_sgpr, 12
	.set _ZN7rocprim17ROCPRIM_400000_NS6detail17trampoline_kernelINS0_14default_configENS1_25transform_config_selectorIN3c107complexIfEELb1EEEZNS1_14transform_implILb1ES3_S8_PS7_SA_NS0_8identityIS7_EEEE10hipError_tT2_T3_mT4_P12ihipStream_tbEUlT_E_NS1_11comp_targetILNS1_3genE2ELNS1_11target_archE906ELNS1_3gpuE6ELNS1_3repE0EEENS1_30default_config_static_selectorELNS0_4arch9wavefront6targetE1EEEvT1_.num_named_barrier, 0
	.set _ZN7rocprim17ROCPRIM_400000_NS6detail17trampoline_kernelINS0_14default_configENS1_25transform_config_selectorIN3c107complexIfEELb1EEEZNS1_14transform_implILb1ES3_S8_PS7_SA_NS0_8identityIS7_EEEE10hipError_tT2_T3_mT4_P12ihipStream_tbEUlT_E_NS1_11comp_targetILNS1_3genE2ELNS1_11target_archE906ELNS1_3gpuE6ELNS1_3repE0EEENS1_30default_config_static_selectorELNS0_4arch9wavefront6targetE1EEEvT1_.private_seg_size, 0
	.set _ZN7rocprim17ROCPRIM_400000_NS6detail17trampoline_kernelINS0_14default_configENS1_25transform_config_selectorIN3c107complexIfEELb1EEEZNS1_14transform_implILb1ES3_S8_PS7_SA_NS0_8identityIS7_EEEE10hipError_tT2_T3_mT4_P12ihipStream_tbEUlT_E_NS1_11comp_targetILNS1_3genE2ELNS1_11target_archE906ELNS1_3gpuE6ELNS1_3repE0EEENS1_30default_config_static_selectorELNS0_4arch9wavefront6targetE1EEEvT1_.uses_vcc, 1
	.set _ZN7rocprim17ROCPRIM_400000_NS6detail17trampoline_kernelINS0_14default_configENS1_25transform_config_selectorIN3c107complexIfEELb1EEEZNS1_14transform_implILb1ES3_S8_PS7_SA_NS0_8identityIS7_EEEE10hipError_tT2_T3_mT4_P12ihipStream_tbEUlT_E_NS1_11comp_targetILNS1_3genE2ELNS1_11target_archE906ELNS1_3gpuE6ELNS1_3repE0EEENS1_30default_config_static_selectorELNS0_4arch9wavefront6targetE1EEEvT1_.uses_flat_scratch, 0
	.set _ZN7rocprim17ROCPRIM_400000_NS6detail17trampoline_kernelINS0_14default_configENS1_25transform_config_selectorIN3c107complexIfEELb1EEEZNS1_14transform_implILb1ES3_S8_PS7_SA_NS0_8identityIS7_EEEE10hipError_tT2_T3_mT4_P12ihipStream_tbEUlT_E_NS1_11comp_targetILNS1_3genE2ELNS1_11target_archE906ELNS1_3gpuE6ELNS1_3repE0EEENS1_30default_config_static_selectorELNS0_4arch9wavefront6targetE1EEEvT1_.has_dyn_sized_stack, 0
	.set _ZN7rocprim17ROCPRIM_400000_NS6detail17trampoline_kernelINS0_14default_configENS1_25transform_config_selectorIN3c107complexIfEELb1EEEZNS1_14transform_implILb1ES3_S8_PS7_SA_NS0_8identityIS7_EEEE10hipError_tT2_T3_mT4_P12ihipStream_tbEUlT_E_NS1_11comp_targetILNS1_3genE2ELNS1_11target_archE906ELNS1_3gpuE6ELNS1_3repE0EEENS1_30default_config_static_selectorELNS0_4arch9wavefront6targetE1EEEvT1_.has_recursion, 0
	.set _ZN7rocprim17ROCPRIM_400000_NS6detail17trampoline_kernelINS0_14default_configENS1_25transform_config_selectorIN3c107complexIfEELb1EEEZNS1_14transform_implILb1ES3_S8_PS7_SA_NS0_8identityIS7_EEEE10hipError_tT2_T3_mT4_P12ihipStream_tbEUlT_E_NS1_11comp_targetILNS1_3genE2ELNS1_11target_archE906ELNS1_3gpuE6ELNS1_3repE0EEENS1_30default_config_static_selectorELNS0_4arch9wavefront6targetE1EEEvT1_.has_indirect_call, 0
	.section	.AMDGPU.csdata,"",@progbits
; Kernel info:
; codeLenInByte = 148
; TotalNumSgprs: 16
; NumVgprs: 3
; ScratchSize: 0
; MemoryBound: 0
; FloatMode: 240
; IeeeMode: 1
; LDSByteSize: 0 bytes/workgroup (compile time only)
; SGPRBlocks: 1
; VGPRBlocks: 0
; NumSGPRsForWavesPerEU: 16
; NumVGPRsForWavesPerEU: 3
; Occupancy: 10
; WaveLimiterHint : 0
; COMPUTE_PGM_RSRC2:SCRATCH_EN: 0
; COMPUTE_PGM_RSRC2:USER_SGPR: 6
; COMPUTE_PGM_RSRC2:TRAP_HANDLER: 0
; COMPUTE_PGM_RSRC2:TGID_X_EN: 1
; COMPUTE_PGM_RSRC2:TGID_Y_EN: 0
; COMPUTE_PGM_RSRC2:TGID_Z_EN: 0
; COMPUTE_PGM_RSRC2:TIDIG_COMP_CNT: 0
	.section	.text._ZN7rocprim17ROCPRIM_400000_NS6detail17trampoline_kernelINS0_14default_configENS1_25transform_config_selectorIN3c107complexIfEELb1EEEZNS1_14transform_implILb1ES3_S8_PS7_SA_NS0_8identityIS7_EEEE10hipError_tT2_T3_mT4_P12ihipStream_tbEUlT_E_NS1_11comp_targetILNS1_3genE9ELNS1_11target_archE1100ELNS1_3gpuE3ELNS1_3repE0EEENS1_30default_config_static_selectorELNS0_4arch9wavefront6targetE1EEEvT1_,"axG",@progbits,_ZN7rocprim17ROCPRIM_400000_NS6detail17trampoline_kernelINS0_14default_configENS1_25transform_config_selectorIN3c107complexIfEELb1EEEZNS1_14transform_implILb1ES3_S8_PS7_SA_NS0_8identityIS7_EEEE10hipError_tT2_T3_mT4_P12ihipStream_tbEUlT_E_NS1_11comp_targetILNS1_3genE9ELNS1_11target_archE1100ELNS1_3gpuE3ELNS1_3repE0EEENS1_30default_config_static_selectorELNS0_4arch9wavefront6targetE1EEEvT1_,comdat
	.protected	_ZN7rocprim17ROCPRIM_400000_NS6detail17trampoline_kernelINS0_14default_configENS1_25transform_config_selectorIN3c107complexIfEELb1EEEZNS1_14transform_implILb1ES3_S8_PS7_SA_NS0_8identityIS7_EEEE10hipError_tT2_T3_mT4_P12ihipStream_tbEUlT_E_NS1_11comp_targetILNS1_3genE9ELNS1_11target_archE1100ELNS1_3gpuE3ELNS1_3repE0EEENS1_30default_config_static_selectorELNS0_4arch9wavefront6targetE1EEEvT1_ ; -- Begin function _ZN7rocprim17ROCPRIM_400000_NS6detail17trampoline_kernelINS0_14default_configENS1_25transform_config_selectorIN3c107complexIfEELb1EEEZNS1_14transform_implILb1ES3_S8_PS7_SA_NS0_8identityIS7_EEEE10hipError_tT2_T3_mT4_P12ihipStream_tbEUlT_E_NS1_11comp_targetILNS1_3genE9ELNS1_11target_archE1100ELNS1_3gpuE3ELNS1_3repE0EEENS1_30default_config_static_selectorELNS0_4arch9wavefront6targetE1EEEvT1_
	.globl	_ZN7rocprim17ROCPRIM_400000_NS6detail17trampoline_kernelINS0_14default_configENS1_25transform_config_selectorIN3c107complexIfEELb1EEEZNS1_14transform_implILb1ES3_S8_PS7_SA_NS0_8identityIS7_EEEE10hipError_tT2_T3_mT4_P12ihipStream_tbEUlT_E_NS1_11comp_targetILNS1_3genE9ELNS1_11target_archE1100ELNS1_3gpuE3ELNS1_3repE0EEENS1_30default_config_static_selectorELNS0_4arch9wavefront6targetE1EEEvT1_
	.p2align	8
	.type	_ZN7rocprim17ROCPRIM_400000_NS6detail17trampoline_kernelINS0_14default_configENS1_25transform_config_selectorIN3c107complexIfEELb1EEEZNS1_14transform_implILb1ES3_S8_PS7_SA_NS0_8identityIS7_EEEE10hipError_tT2_T3_mT4_P12ihipStream_tbEUlT_E_NS1_11comp_targetILNS1_3genE9ELNS1_11target_archE1100ELNS1_3gpuE3ELNS1_3repE0EEENS1_30default_config_static_selectorELNS0_4arch9wavefront6targetE1EEEvT1_,@function
_ZN7rocprim17ROCPRIM_400000_NS6detail17trampoline_kernelINS0_14default_configENS1_25transform_config_selectorIN3c107complexIfEELb1EEEZNS1_14transform_implILb1ES3_S8_PS7_SA_NS0_8identityIS7_EEEE10hipError_tT2_T3_mT4_P12ihipStream_tbEUlT_E_NS1_11comp_targetILNS1_3genE9ELNS1_11target_archE1100ELNS1_3gpuE3ELNS1_3repE0EEENS1_30default_config_static_selectorELNS0_4arch9wavefront6targetE1EEEvT1_: ; @_ZN7rocprim17ROCPRIM_400000_NS6detail17trampoline_kernelINS0_14default_configENS1_25transform_config_selectorIN3c107complexIfEELb1EEEZNS1_14transform_implILb1ES3_S8_PS7_SA_NS0_8identityIS7_EEEE10hipError_tT2_T3_mT4_P12ihipStream_tbEUlT_E_NS1_11comp_targetILNS1_3genE9ELNS1_11target_archE1100ELNS1_3gpuE3ELNS1_3repE0EEENS1_30default_config_static_selectorELNS0_4arch9wavefront6targetE1EEEvT1_
; %bb.0:
	.section	.rodata,"a",@progbits
	.p2align	6, 0x0
	.amdhsa_kernel _ZN7rocprim17ROCPRIM_400000_NS6detail17trampoline_kernelINS0_14default_configENS1_25transform_config_selectorIN3c107complexIfEELb1EEEZNS1_14transform_implILb1ES3_S8_PS7_SA_NS0_8identityIS7_EEEE10hipError_tT2_T3_mT4_P12ihipStream_tbEUlT_E_NS1_11comp_targetILNS1_3genE9ELNS1_11target_archE1100ELNS1_3gpuE3ELNS1_3repE0EEENS1_30default_config_static_selectorELNS0_4arch9wavefront6targetE1EEEvT1_
		.amdhsa_group_segment_fixed_size 0
		.amdhsa_private_segment_fixed_size 0
		.amdhsa_kernarg_size 40
		.amdhsa_user_sgpr_count 6
		.amdhsa_user_sgpr_private_segment_buffer 1
		.amdhsa_user_sgpr_dispatch_ptr 0
		.amdhsa_user_sgpr_queue_ptr 0
		.amdhsa_user_sgpr_kernarg_segment_ptr 1
		.amdhsa_user_sgpr_dispatch_id 0
		.amdhsa_user_sgpr_flat_scratch_init 0
		.amdhsa_user_sgpr_private_segment_size 0
		.amdhsa_uses_dynamic_stack 0
		.amdhsa_system_sgpr_private_segment_wavefront_offset 0
		.amdhsa_system_sgpr_workgroup_id_x 1
		.amdhsa_system_sgpr_workgroup_id_y 0
		.amdhsa_system_sgpr_workgroup_id_z 0
		.amdhsa_system_sgpr_workgroup_info 0
		.amdhsa_system_vgpr_workitem_id 0
		.amdhsa_next_free_vgpr 1
		.amdhsa_next_free_sgpr 0
		.amdhsa_reserve_vcc 0
		.amdhsa_reserve_flat_scratch 0
		.amdhsa_float_round_mode_32 0
		.amdhsa_float_round_mode_16_64 0
		.amdhsa_float_denorm_mode_32 3
		.amdhsa_float_denorm_mode_16_64 3
		.amdhsa_dx10_clamp 1
		.amdhsa_ieee_mode 1
		.amdhsa_fp16_overflow 0
		.amdhsa_exception_fp_ieee_invalid_op 0
		.amdhsa_exception_fp_denorm_src 0
		.amdhsa_exception_fp_ieee_div_zero 0
		.amdhsa_exception_fp_ieee_overflow 0
		.amdhsa_exception_fp_ieee_underflow 0
		.amdhsa_exception_fp_ieee_inexact 0
		.amdhsa_exception_int_div_zero 0
	.end_amdhsa_kernel
	.section	.text._ZN7rocprim17ROCPRIM_400000_NS6detail17trampoline_kernelINS0_14default_configENS1_25transform_config_selectorIN3c107complexIfEELb1EEEZNS1_14transform_implILb1ES3_S8_PS7_SA_NS0_8identityIS7_EEEE10hipError_tT2_T3_mT4_P12ihipStream_tbEUlT_E_NS1_11comp_targetILNS1_3genE9ELNS1_11target_archE1100ELNS1_3gpuE3ELNS1_3repE0EEENS1_30default_config_static_selectorELNS0_4arch9wavefront6targetE1EEEvT1_,"axG",@progbits,_ZN7rocprim17ROCPRIM_400000_NS6detail17trampoline_kernelINS0_14default_configENS1_25transform_config_selectorIN3c107complexIfEELb1EEEZNS1_14transform_implILb1ES3_S8_PS7_SA_NS0_8identityIS7_EEEE10hipError_tT2_T3_mT4_P12ihipStream_tbEUlT_E_NS1_11comp_targetILNS1_3genE9ELNS1_11target_archE1100ELNS1_3gpuE3ELNS1_3repE0EEENS1_30default_config_static_selectorELNS0_4arch9wavefront6targetE1EEEvT1_,comdat
.Lfunc_end279:
	.size	_ZN7rocprim17ROCPRIM_400000_NS6detail17trampoline_kernelINS0_14default_configENS1_25transform_config_selectorIN3c107complexIfEELb1EEEZNS1_14transform_implILb1ES3_S8_PS7_SA_NS0_8identityIS7_EEEE10hipError_tT2_T3_mT4_P12ihipStream_tbEUlT_E_NS1_11comp_targetILNS1_3genE9ELNS1_11target_archE1100ELNS1_3gpuE3ELNS1_3repE0EEENS1_30default_config_static_selectorELNS0_4arch9wavefront6targetE1EEEvT1_, .Lfunc_end279-_ZN7rocprim17ROCPRIM_400000_NS6detail17trampoline_kernelINS0_14default_configENS1_25transform_config_selectorIN3c107complexIfEELb1EEEZNS1_14transform_implILb1ES3_S8_PS7_SA_NS0_8identityIS7_EEEE10hipError_tT2_T3_mT4_P12ihipStream_tbEUlT_E_NS1_11comp_targetILNS1_3genE9ELNS1_11target_archE1100ELNS1_3gpuE3ELNS1_3repE0EEENS1_30default_config_static_selectorELNS0_4arch9wavefront6targetE1EEEvT1_
                                        ; -- End function
	.set _ZN7rocprim17ROCPRIM_400000_NS6detail17trampoline_kernelINS0_14default_configENS1_25transform_config_selectorIN3c107complexIfEELb1EEEZNS1_14transform_implILb1ES3_S8_PS7_SA_NS0_8identityIS7_EEEE10hipError_tT2_T3_mT4_P12ihipStream_tbEUlT_E_NS1_11comp_targetILNS1_3genE9ELNS1_11target_archE1100ELNS1_3gpuE3ELNS1_3repE0EEENS1_30default_config_static_selectorELNS0_4arch9wavefront6targetE1EEEvT1_.num_vgpr, 0
	.set _ZN7rocprim17ROCPRIM_400000_NS6detail17trampoline_kernelINS0_14default_configENS1_25transform_config_selectorIN3c107complexIfEELb1EEEZNS1_14transform_implILb1ES3_S8_PS7_SA_NS0_8identityIS7_EEEE10hipError_tT2_T3_mT4_P12ihipStream_tbEUlT_E_NS1_11comp_targetILNS1_3genE9ELNS1_11target_archE1100ELNS1_3gpuE3ELNS1_3repE0EEENS1_30default_config_static_selectorELNS0_4arch9wavefront6targetE1EEEvT1_.num_agpr, 0
	.set _ZN7rocprim17ROCPRIM_400000_NS6detail17trampoline_kernelINS0_14default_configENS1_25transform_config_selectorIN3c107complexIfEELb1EEEZNS1_14transform_implILb1ES3_S8_PS7_SA_NS0_8identityIS7_EEEE10hipError_tT2_T3_mT4_P12ihipStream_tbEUlT_E_NS1_11comp_targetILNS1_3genE9ELNS1_11target_archE1100ELNS1_3gpuE3ELNS1_3repE0EEENS1_30default_config_static_selectorELNS0_4arch9wavefront6targetE1EEEvT1_.numbered_sgpr, 0
	.set _ZN7rocprim17ROCPRIM_400000_NS6detail17trampoline_kernelINS0_14default_configENS1_25transform_config_selectorIN3c107complexIfEELb1EEEZNS1_14transform_implILb1ES3_S8_PS7_SA_NS0_8identityIS7_EEEE10hipError_tT2_T3_mT4_P12ihipStream_tbEUlT_E_NS1_11comp_targetILNS1_3genE9ELNS1_11target_archE1100ELNS1_3gpuE3ELNS1_3repE0EEENS1_30default_config_static_selectorELNS0_4arch9wavefront6targetE1EEEvT1_.num_named_barrier, 0
	.set _ZN7rocprim17ROCPRIM_400000_NS6detail17trampoline_kernelINS0_14default_configENS1_25transform_config_selectorIN3c107complexIfEELb1EEEZNS1_14transform_implILb1ES3_S8_PS7_SA_NS0_8identityIS7_EEEE10hipError_tT2_T3_mT4_P12ihipStream_tbEUlT_E_NS1_11comp_targetILNS1_3genE9ELNS1_11target_archE1100ELNS1_3gpuE3ELNS1_3repE0EEENS1_30default_config_static_selectorELNS0_4arch9wavefront6targetE1EEEvT1_.private_seg_size, 0
	.set _ZN7rocprim17ROCPRIM_400000_NS6detail17trampoline_kernelINS0_14default_configENS1_25transform_config_selectorIN3c107complexIfEELb1EEEZNS1_14transform_implILb1ES3_S8_PS7_SA_NS0_8identityIS7_EEEE10hipError_tT2_T3_mT4_P12ihipStream_tbEUlT_E_NS1_11comp_targetILNS1_3genE9ELNS1_11target_archE1100ELNS1_3gpuE3ELNS1_3repE0EEENS1_30default_config_static_selectorELNS0_4arch9wavefront6targetE1EEEvT1_.uses_vcc, 0
	.set _ZN7rocprim17ROCPRIM_400000_NS6detail17trampoline_kernelINS0_14default_configENS1_25transform_config_selectorIN3c107complexIfEELb1EEEZNS1_14transform_implILb1ES3_S8_PS7_SA_NS0_8identityIS7_EEEE10hipError_tT2_T3_mT4_P12ihipStream_tbEUlT_E_NS1_11comp_targetILNS1_3genE9ELNS1_11target_archE1100ELNS1_3gpuE3ELNS1_3repE0EEENS1_30default_config_static_selectorELNS0_4arch9wavefront6targetE1EEEvT1_.uses_flat_scratch, 0
	.set _ZN7rocprim17ROCPRIM_400000_NS6detail17trampoline_kernelINS0_14default_configENS1_25transform_config_selectorIN3c107complexIfEELb1EEEZNS1_14transform_implILb1ES3_S8_PS7_SA_NS0_8identityIS7_EEEE10hipError_tT2_T3_mT4_P12ihipStream_tbEUlT_E_NS1_11comp_targetILNS1_3genE9ELNS1_11target_archE1100ELNS1_3gpuE3ELNS1_3repE0EEENS1_30default_config_static_selectorELNS0_4arch9wavefront6targetE1EEEvT1_.has_dyn_sized_stack, 0
	.set _ZN7rocprim17ROCPRIM_400000_NS6detail17trampoline_kernelINS0_14default_configENS1_25transform_config_selectorIN3c107complexIfEELb1EEEZNS1_14transform_implILb1ES3_S8_PS7_SA_NS0_8identityIS7_EEEE10hipError_tT2_T3_mT4_P12ihipStream_tbEUlT_E_NS1_11comp_targetILNS1_3genE9ELNS1_11target_archE1100ELNS1_3gpuE3ELNS1_3repE0EEENS1_30default_config_static_selectorELNS0_4arch9wavefront6targetE1EEEvT1_.has_recursion, 0
	.set _ZN7rocprim17ROCPRIM_400000_NS6detail17trampoline_kernelINS0_14default_configENS1_25transform_config_selectorIN3c107complexIfEELb1EEEZNS1_14transform_implILb1ES3_S8_PS7_SA_NS0_8identityIS7_EEEE10hipError_tT2_T3_mT4_P12ihipStream_tbEUlT_E_NS1_11comp_targetILNS1_3genE9ELNS1_11target_archE1100ELNS1_3gpuE3ELNS1_3repE0EEENS1_30default_config_static_selectorELNS0_4arch9wavefront6targetE1EEEvT1_.has_indirect_call, 0
	.section	.AMDGPU.csdata,"",@progbits
; Kernel info:
; codeLenInByte = 0
; TotalNumSgprs: 4
; NumVgprs: 0
; ScratchSize: 0
; MemoryBound: 0
; FloatMode: 240
; IeeeMode: 1
; LDSByteSize: 0 bytes/workgroup (compile time only)
; SGPRBlocks: 0
; VGPRBlocks: 0
; NumSGPRsForWavesPerEU: 4
; NumVGPRsForWavesPerEU: 1
; Occupancy: 10
; WaveLimiterHint : 0
; COMPUTE_PGM_RSRC2:SCRATCH_EN: 0
; COMPUTE_PGM_RSRC2:USER_SGPR: 6
; COMPUTE_PGM_RSRC2:TRAP_HANDLER: 0
; COMPUTE_PGM_RSRC2:TGID_X_EN: 1
; COMPUTE_PGM_RSRC2:TGID_Y_EN: 0
; COMPUTE_PGM_RSRC2:TGID_Z_EN: 0
; COMPUTE_PGM_RSRC2:TIDIG_COMP_CNT: 0
	.section	.text._ZN7rocprim17ROCPRIM_400000_NS6detail17trampoline_kernelINS0_14default_configENS1_25transform_config_selectorIN3c107complexIfEELb1EEEZNS1_14transform_implILb1ES3_S8_PS7_SA_NS0_8identityIS7_EEEE10hipError_tT2_T3_mT4_P12ihipStream_tbEUlT_E_NS1_11comp_targetILNS1_3genE8ELNS1_11target_archE1030ELNS1_3gpuE2ELNS1_3repE0EEENS1_30default_config_static_selectorELNS0_4arch9wavefront6targetE1EEEvT1_,"axG",@progbits,_ZN7rocprim17ROCPRIM_400000_NS6detail17trampoline_kernelINS0_14default_configENS1_25transform_config_selectorIN3c107complexIfEELb1EEEZNS1_14transform_implILb1ES3_S8_PS7_SA_NS0_8identityIS7_EEEE10hipError_tT2_T3_mT4_P12ihipStream_tbEUlT_E_NS1_11comp_targetILNS1_3genE8ELNS1_11target_archE1030ELNS1_3gpuE2ELNS1_3repE0EEENS1_30default_config_static_selectorELNS0_4arch9wavefront6targetE1EEEvT1_,comdat
	.protected	_ZN7rocprim17ROCPRIM_400000_NS6detail17trampoline_kernelINS0_14default_configENS1_25transform_config_selectorIN3c107complexIfEELb1EEEZNS1_14transform_implILb1ES3_S8_PS7_SA_NS0_8identityIS7_EEEE10hipError_tT2_T3_mT4_P12ihipStream_tbEUlT_E_NS1_11comp_targetILNS1_3genE8ELNS1_11target_archE1030ELNS1_3gpuE2ELNS1_3repE0EEENS1_30default_config_static_selectorELNS0_4arch9wavefront6targetE1EEEvT1_ ; -- Begin function _ZN7rocprim17ROCPRIM_400000_NS6detail17trampoline_kernelINS0_14default_configENS1_25transform_config_selectorIN3c107complexIfEELb1EEEZNS1_14transform_implILb1ES3_S8_PS7_SA_NS0_8identityIS7_EEEE10hipError_tT2_T3_mT4_P12ihipStream_tbEUlT_E_NS1_11comp_targetILNS1_3genE8ELNS1_11target_archE1030ELNS1_3gpuE2ELNS1_3repE0EEENS1_30default_config_static_selectorELNS0_4arch9wavefront6targetE1EEEvT1_
	.globl	_ZN7rocprim17ROCPRIM_400000_NS6detail17trampoline_kernelINS0_14default_configENS1_25transform_config_selectorIN3c107complexIfEELb1EEEZNS1_14transform_implILb1ES3_S8_PS7_SA_NS0_8identityIS7_EEEE10hipError_tT2_T3_mT4_P12ihipStream_tbEUlT_E_NS1_11comp_targetILNS1_3genE8ELNS1_11target_archE1030ELNS1_3gpuE2ELNS1_3repE0EEENS1_30default_config_static_selectorELNS0_4arch9wavefront6targetE1EEEvT1_
	.p2align	8
	.type	_ZN7rocprim17ROCPRIM_400000_NS6detail17trampoline_kernelINS0_14default_configENS1_25transform_config_selectorIN3c107complexIfEELb1EEEZNS1_14transform_implILb1ES3_S8_PS7_SA_NS0_8identityIS7_EEEE10hipError_tT2_T3_mT4_P12ihipStream_tbEUlT_E_NS1_11comp_targetILNS1_3genE8ELNS1_11target_archE1030ELNS1_3gpuE2ELNS1_3repE0EEENS1_30default_config_static_selectorELNS0_4arch9wavefront6targetE1EEEvT1_,@function
_ZN7rocprim17ROCPRIM_400000_NS6detail17trampoline_kernelINS0_14default_configENS1_25transform_config_selectorIN3c107complexIfEELb1EEEZNS1_14transform_implILb1ES3_S8_PS7_SA_NS0_8identityIS7_EEEE10hipError_tT2_T3_mT4_P12ihipStream_tbEUlT_E_NS1_11comp_targetILNS1_3genE8ELNS1_11target_archE1030ELNS1_3gpuE2ELNS1_3repE0EEENS1_30default_config_static_selectorELNS0_4arch9wavefront6targetE1EEEvT1_: ; @_ZN7rocprim17ROCPRIM_400000_NS6detail17trampoline_kernelINS0_14default_configENS1_25transform_config_selectorIN3c107complexIfEELb1EEEZNS1_14transform_implILb1ES3_S8_PS7_SA_NS0_8identityIS7_EEEE10hipError_tT2_T3_mT4_P12ihipStream_tbEUlT_E_NS1_11comp_targetILNS1_3genE8ELNS1_11target_archE1030ELNS1_3gpuE2ELNS1_3repE0EEENS1_30default_config_static_selectorELNS0_4arch9wavefront6targetE1EEEvT1_
; %bb.0:
	.section	.rodata,"a",@progbits
	.p2align	6, 0x0
	.amdhsa_kernel _ZN7rocprim17ROCPRIM_400000_NS6detail17trampoline_kernelINS0_14default_configENS1_25transform_config_selectorIN3c107complexIfEELb1EEEZNS1_14transform_implILb1ES3_S8_PS7_SA_NS0_8identityIS7_EEEE10hipError_tT2_T3_mT4_P12ihipStream_tbEUlT_E_NS1_11comp_targetILNS1_3genE8ELNS1_11target_archE1030ELNS1_3gpuE2ELNS1_3repE0EEENS1_30default_config_static_selectorELNS0_4arch9wavefront6targetE1EEEvT1_
		.amdhsa_group_segment_fixed_size 0
		.amdhsa_private_segment_fixed_size 0
		.amdhsa_kernarg_size 40
		.amdhsa_user_sgpr_count 6
		.amdhsa_user_sgpr_private_segment_buffer 1
		.amdhsa_user_sgpr_dispatch_ptr 0
		.amdhsa_user_sgpr_queue_ptr 0
		.amdhsa_user_sgpr_kernarg_segment_ptr 1
		.amdhsa_user_sgpr_dispatch_id 0
		.amdhsa_user_sgpr_flat_scratch_init 0
		.amdhsa_user_sgpr_private_segment_size 0
		.amdhsa_uses_dynamic_stack 0
		.amdhsa_system_sgpr_private_segment_wavefront_offset 0
		.amdhsa_system_sgpr_workgroup_id_x 1
		.amdhsa_system_sgpr_workgroup_id_y 0
		.amdhsa_system_sgpr_workgroup_id_z 0
		.amdhsa_system_sgpr_workgroup_info 0
		.amdhsa_system_vgpr_workitem_id 0
		.amdhsa_next_free_vgpr 1
		.amdhsa_next_free_sgpr 0
		.amdhsa_reserve_vcc 0
		.amdhsa_reserve_flat_scratch 0
		.amdhsa_float_round_mode_32 0
		.amdhsa_float_round_mode_16_64 0
		.amdhsa_float_denorm_mode_32 3
		.amdhsa_float_denorm_mode_16_64 3
		.amdhsa_dx10_clamp 1
		.amdhsa_ieee_mode 1
		.amdhsa_fp16_overflow 0
		.amdhsa_exception_fp_ieee_invalid_op 0
		.amdhsa_exception_fp_denorm_src 0
		.amdhsa_exception_fp_ieee_div_zero 0
		.amdhsa_exception_fp_ieee_overflow 0
		.amdhsa_exception_fp_ieee_underflow 0
		.amdhsa_exception_fp_ieee_inexact 0
		.amdhsa_exception_int_div_zero 0
	.end_amdhsa_kernel
	.section	.text._ZN7rocprim17ROCPRIM_400000_NS6detail17trampoline_kernelINS0_14default_configENS1_25transform_config_selectorIN3c107complexIfEELb1EEEZNS1_14transform_implILb1ES3_S8_PS7_SA_NS0_8identityIS7_EEEE10hipError_tT2_T3_mT4_P12ihipStream_tbEUlT_E_NS1_11comp_targetILNS1_3genE8ELNS1_11target_archE1030ELNS1_3gpuE2ELNS1_3repE0EEENS1_30default_config_static_selectorELNS0_4arch9wavefront6targetE1EEEvT1_,"axG",@progbits,_ZN7rocprim17ROCPRIM_400000_NS6detail17trampoline_kernelINS0_14default_configENS1_25transform_config_selectorIN3c107complexIfEELb1EEEZNS1_14transform_implILb1ES3_S8_PS7_SA_NS0_8identityIS7_EEEE10hipError_tT2_T3_mT4_P12ihipStream_tbEUlT_E_NS1_11comp_targetILNS1_3genE8ELNS1_11target_archE1030ELNS1_3gpuE2ELNS1_3repE0EEENS1_30default_config_static_selectorELNS0_4arch9wavefront6targetE1EEEvT1_,comdat
.Lfunc_end280:
	.size	_ZN7rocprim17ROCPRIM_400000_NS6detail17trampoline_kernelINS0_14default_configENS1_25transform_config_selectorIN3c107complexIfEELb1EEEZNS1_14transform_implILb1ES3_S8_PS7_SA_NS0_8identityIS7_EEEE10hipError_tT2_T3_mT4_P12ihipStream_tbEUlT_E_NS1_11comp_targetILNS1_3genE8ELNS1_11target_archE1030ELNS1_3gpuE2ELNS1_3repE0EEENS1_30default_config_static_selectorELNS0_4arch9wavefront6targetE1EEEvT1_, .Lfunc_end280-_ZN7rocprim17ROCPRIM_400000_NS6detail17trampoline_kernelINS0_14default_configENS1_25transform_config_selectorIN3c107complexIfEELb1EEEZNS1_14transform_implILb1ES3_S8_PS7_SA_NS0_8identityIS7_EEEE10hipError_tT2_T3_mT4_P12ihipStream_tbEUlT_E_NS1_11comp_targetILNS1_3genE8ELNS1_11target_archE1030ELNS1_3gpuE2ELNS1_3repE0EEENS1_30default_config_static_selectorELNS0_4arch9wavefront6targetE1EEEvT1_
                                        ; -- End function
	.set _ZN7rocprim17ROCPRIM_400000_NS6detail17trampoline_kernelINS0_14default_configENS1_25transform_config_selectorIN3c107complexIfEELb1EEEZNS1_14transform_implILb1ES3_S8_PS7_SA_NS0_8identityIS7_EEEE10hipError_tT2_T3_mT4_P12ihipStream_tbEUlT_E_NS1_11comp_targetILNS1_3genE8ELNS1_11target_archE1030ELNS1_3gpuE2ELNS1_3repE0EEENS1_30default_config_static_selectorELNS0_4arch9wavefront6targetE1EEEvT1_.num_vgpr, 0
	.set _ZN7rocprim17ROCPRIM_400000_NS6detail17trampoline_kernelINS0_14default_configENS1_25transform_config_selectorIN3c107complexIfEELb1EEEZNS1_14transform_implILb1ES3_S8_PS7_SA_NS0_8identityIS7_EEEE10hipError_tT2_T3_mT4_P12ihipStream_tbEUlT_E_NS1_11comp_targetILNS1_3genE8ELNS1_11target_archE1030ELNS1_3gpuE2ELNS1_3repE0EEENS1_30default_config_static_selectorELNS0_4arch9wavefront6targetE1EEEvT1_.num_agpr, 0
	.set _ZN7rocprim17ROCPRIM_400000_NS6detail17trampoline_kernelINS0_14default_configENS1_25transform_config_selectorIN3c107complexIfEELb1EEEZNS1_14transform_implILb1ES3_S8_PS7_SA_NS0_8identityIS7_EEEE10hipError_tT2_T3_mT4_P12ihipStream_tbEUlT_E_NS1_11comp_targetILNS1_3genE8ELNS1_11target_archE1030ELNS1_3gpuE2ELNS1_3repE0EEENS1_30default_config_static_selectorELNS0_4arch9wavefront6targetE1EEEvT1_.numbered_sgpr, 0
	.set _ZN7rocprim17ROCPRIM_400000_NS6detail17trampoline_kernelINS0_14default_configENS1_25transform_config_selectorIN3c107complexIfEELb1EEEZNS1_14transform_implILb1ES3_S8_PS7_SA_NS0_8identityIS7_EEEE10hipError_tT2_T3_mT4_P12ihipStream_tbEUlT_E_NS1_11comp_targetILNS1_3genE8ELNS1_11target_archE1030ELNS1_3gpuE2ELNS1_3repE0EEENS1_30default_config_static_selectorELNS0_4arch9wavefront6targetE1EEEvT1_.num_named_barrier, 0
	.set _ZN7rocprim17ROCPRIM_400000_NS6detail17trampoline_kernelINS0_14default_configENS1_25transform_config_selectorIN3c107complexIfEELb1EEEZNS1_14transform_implILb1ES3_S8_PS7_SA_NS0_8identityIS7_EEEE10hipError_tT2_T3_mT4_P12ihipStream_tbEUlT_E_NS1_11comp_targetILNS1_3genE8ELNS1_11target_archE1030ELNS1_3gpuE2ELNS1_3repE0EEENS1_30default_config_static_selectorELNS0_4arch9wavefront6targetE1EEEvT1_.private_seg_size, 0
	.set _ZN7rocprim17ROCPRIM_400000_NS6detail17trampoline_kernelINS0_14default_configENS1_25transform_config_selectorIN3c107complexIfEELb1EEEZNS1_14transform_implILb1ES3_S8_PS7_SA_NS0_8identityIS7_EEEE10hipError_tT2_T3_mT4_P12ihipStream_tbEUlT_E_NS1_11comp_targetILNS1_3genE8ELNS1_11target_archE1030ELNS1_3gpuE2ELNS1_3repE0EEENS1_30default_config_static_selectorELNS0_4arch9wavefront6targetE1EEEvT1_.uses_vcc, 0
	.set _ZN7rocprim17ROCPRIM_400000_NS6detail17trampoline_kernelINS0_14default_configENS1_25transform_config_selectorIN3c107complexIfEELb1EEEZNS1_14transform_implILb1ES3_S8_PS7_SA_NS0_8identityIS7_EEEE10hipError_tT2_T3_mT4_P12ihipStream_tbEUlT_E_NS1_11comp_targetILNS1_3genE8ELNS1_11target_archE1030ELNS1_3gpuE2ELNS1_3repE0EEENS1_30default_config_static_selectorELNS0_4arch9wavefront6targetE1EEEvT1_.uses_flat_scratch, 0
	.set _ZN7rocprim17ROCPRIM_400000_NS6detail17trampoline_kernelINS0_14default_configENS1_25transform_config_selectorIN3c107complexIfEELb1EEEZNS1_14transform_implILb1ES3_S8_PS7_SA_NS0_8identityIS7_EEEE10hipError_tT2_T3_mT4_P12ihipStream_tbEUlT_E_NS1_11comp_targetILNS1_3genE8ELNS1_11target_archE1030ELNS1_3gpuE2ELNS1_3repE0EEENS1_30default_config_static_selectorELNS0_4arch9wavefront6targetE1EEEvT1_.has_dyn_sized_stack, 0
	.set _ZN7rocprim17ROCPRIM_400000_NS6detail17trampoline_kernelINS0_14default_configENS1_25transform_config_selectorIN3c107complexIfEELb1EEEZNS1_14transform_implILb1ES3_S8_PS7_SA_NS0_8identityIS7_EEEE10hipError_tT2_T3_mT4_P12ihipStream_tbEUlT_E_NS1_11comp_targetILNS1_3genE8ELNS1_11target_archE1030ELNS1_3gpuE2ELNS1_3repE0EEENS1_30default_config_static_selectorELNS0_4arch9wavefront6targetE1EEEvT1_.has_recursion, 0
	.set _ZN7rocprim17ROCPRIM_400000_NS6detail17trampoline_kernelINS0_14default_configENS1_25transform_config_selectorIN3c107complexIfEELb1EEEZNS1_14transform_implILb1ES3_S8_PS7_SA_NS0_8identityIS7_EEEE10hipError_tT2_T3_mT4_P12ihipStream_tbEUlT_E_NS1_11comp_targetILNS1_3genE8ELNS1_11target_archE1030ELNS1_3gpuE2ELNS1_3repE0EEENS1_30default_config_static_selectorELNS0_4arch9wavefront6targetE1EEEvT1_.has_indirect_call, 0
	.section	.AMDGPU.csdata,"",@progbits
; Kernel info:
; codeLenInByte = 0
; TotalNumSgprs: 4
; NumVgprs: 0
; ScratchSize: 0
; MemoryBound: 0
; FloatMode: 240
; IeeeMode: 1
; LDSByteSize: 0 bytes/workgroup (compile time only)
; SGPRBlocks: 0
; VGPRBlocks: 0
; NumSGPRsForWavesPerEU: 4
; NumVGPRsForWavesPerEU: 1
; Occupancy: 10
; WaveLimiterHint : 0
; COMPUTE_PGM_RSRC2:SCRATCH_EN: 0
; COMPUTE_PGM_RSRC2:USER_SGPR: 6
; COMPUTE_PGM_RSRC2:TRAP_HANDLER: 0
; COMPUTE_PGM_RSRC2:TGID_X_EN: 1
; COMPUTE_PGM_RSRC2:TGID_Y_EN: 0
; COMPUTE_PGM_RSRC2:TGID_Z_EN: 0
; COMPUTE_PGM_RSRC2:TIDIG_COMP_CNT: 0
	.section	.text._ZN7rocprim17ROCPRIM_400000_NS6detail17trampoline_kernelINS0_14default_configENS1_20scan_config_selectorIN3c107complexIfEEEEZZNS1_9scan_implILNS1_25lookback_scan_determinismE0ELb0ELb0ES3_PKS7_PS7_S7_ZZZN2at6native31launch_logcumsumexp_cuda_kernelERKNSE_10TensorBaseESI_lENKUlvE_clEvENKUlvE2_clEvEUlS7_S7_E_S7_EEDaPvRmT3_T4_T5_mT6_P12ihipStream_tbENKUlT_T0_E_clISt17integral_constantIbLb0EESZ_EEDaSU_SV_EUlSU_E0_NS1_11comp_targetILNS1_3genE0ELNS1_11target_archE4294967295ELNS1_3gpuE0ELNS1_3repE0EEENS1_30default_config_static_selectorELNS0_4arch9wavefront6targetE1EEEvT1_,"axG",@progbits,_ZN7rocprim17ROCPRIM_400000_NS6detail17trampoline_kernelINS0_14default_configENS1_20scan_config_selectorIN3c107complexIfEEEEZZNS1_9scan_implILNS1_25lookback_scan_determinismE0ELb0ELb0ES3_PKS7_PS7_S7_ZZZN2at6native31launch_logcumsumexp_cuda_kernelERKNSE_10TensorBaseESI_lENKUlvE_clEvENKUlvE2_clEvEUlS7_S7_E_S7_EEDaPvRmT3_T4_T5_mT6_P12ihipStream_tbENKUlT_T0_E_clISt17integral_constantIbLb0EESZ_EEDaSU_SV_EUlSU_E0_NS1_11comp_targetILNS1_3genE0ELNS1_11target_archE4294967295ELNS1_3gpuE0ELNS1_3repE0EEENS1_30default_config_static_selectorELNS0_4arch9wavefront6targetE1EEEvT1_,comdat
	.globl	_ZN7rocprim17ROCPRIM_400000_NS6detail17trampoline_kernelINS0_14default_configENS1_20scan_config_selectorIN3c107complexIfEEEEZZNS1_9scan_implILNS1_25lookback_scan_determinismE0ELb0ELb0ES3_PKS7_PS7_S7_ZZZN2at6native31launch_logcumsumexp_cuda_kernelERKNSE_10TensorBaseESI_lENKUlvE_clEvENKUlvE2_clEvEUlS7_S7_E_S7_EEDaPvRmT3_T4_T5_mT6_P12ihipStream_tbENKUlT_T0_E_clISt17integral_constantIbLb0EESZ_EEDaSU_SV_EUlSU_E0_NS1_11comp_targetILNS1_3genE0ELNS1_11target_archE4294967295ELNS1_3gpuE0ELNS1_3repE0EEENS1_30default_config_static_selectorELNS0_4arch9wavefront6targetE1EEEvT1_ ; -- Begin function _ZN7rocprim17ROCPRIM_400000_NS6detail17trampoline_kernelINS0_14default_configENS1_20scan_config_selectorIN3c107complexIfEEEEZZNS1_9scan_implILNS1_25lookback_scan_determinismE0ELb0ELb0ES3_PKS7_PS7_S7_ZZZN2at6native31launch_logcumsumexp_cuda_kernelERKNSE_10TensorBaseESI_lENKUlvE_clEvENKUlvE2_clEvEUlS7_S7_E_S7_EEDaPvRmT3_T4_T5_mT6_P12ihipStream_tbENKUlT_T0_E_clISt17integral_constantIbLb0EESZ_EEDaSU_SV_EUlSU_E0_NS1_11comp_targetILNS1_3genE0ELNS1_11target_archE4294967295ELNS1_3gpuE0ELNS1_3repE0EEENS1_30default_config_static_selectorELNS0_4arch9wavefront6targetE1EEEvT1_
	.p2align	8
	.type	_ZN7rocprim17ROCPRIM_400000_NS6detail17trampoline_kernelINS0_14default_configENS1_20scan_config_selectorIN3c107complexIfEEEEZZNS1_9scan_implILNS1_25lookback_scan_determinismE0ELb0ELb0ES3_PKS7_PS7_S7_ZZZN2at6native31launch_logcumsumexp_cuda_kernelERKNSE_10TensorBaseESI_lENKUlvE_clEvENKUlvE2_clEvEUlS7_S7_E_S7_EEDaPvRmT3_T4_T5_mT6_P12ihipStream_tbENKUlT_T0_E_clISt17integral_constantIbLb0EESZ_EEDaSU_SV_EUlSU_E0_NS1_11comp_targetILNS1_3genE0ELNS1_11target_archE4294967295ELNS1_3gpuE0ELNS1_3repE0EEENS1_30default_config_static_selectorELNS0_4arch9wavefront6targetE1EEEvT1_,@function
_ZN7rocprim17ROCPRIM_400000_NS6detail17trampoline_kernelINS0_14default_configENS1_20scan_config_selectorIN3c107complexIfEEEEZZNS1_9scan_implILNS1_25lookback_scan_determinismE0ELb0ELb0ES3_PKS7_PS7_S7_ZZZN2at6native31launch_logcumsumexp_cuda_kernelERKNSE_10TensorBaseESI_lENKUlvE_clEvENKUlvE2_clEvEUlS7_S7_E_S7_EEDaPvRmT3_T4_T5_mT6_P12ihipStream_tbENKUlT_T0_E_clISt17integral_constantIbLb0EESZ_EEDaSU_SV_EUlSU_E0_NS1_11comp_targetILNS1_3genE0ELNS1_11target_archE4294967295ELNS1_3gpuE0ELNS1_3repE0EEENS1_30default_config_static_selectorELNS0_4arch9wavefront6targetE1EEEvT1_: ; @_ZN7rocprim17ROCPRIM_400000_NS6detail17trampoline_kernelINS0_14default_configENS1_20scan_config_selectorIN3c107complexIfEEEEZZNS1_9scan_implILNS1_25lookback_scan_determinismE0ELb0ELb0ES3_PKS7_PS7_S7_ZZZN2at6native31launch_logcumsumexp_cuda_kernelERKNSE_10TensorBaseESI_lENKUlvE_clEvENKUlvE2_clEvEUlS7_S7_E_S7_EEDaPvRmT3_T4_T5_mT6_P12ihipStream_tbENKUlT_T0_E_clISt17integral_constantIbLb0EESZ_EEDaSU_SV_EUlSU_E0_NS1_11comp_targetILNS1_3genE0ELNS1_11target_archE4294967295ELNS1_3gpuE0ELNS1_3repE0EEENS1_30default_config_static_selectorELNS0_4arch9wavefront6targetE1EEEvT1_
; %bb.0:
	.section	.rodata,"a",@progbits
	.p2align	6, 0x0
	.amdhsa_kernel _ZN7rocprim17ROCPRIM_400000_NS6detail17trampoline_kernelINS0_14default_configENS1_20scan_config_selectorIN3c107complexIfEEEEZZNS1_9scan_implILNS1_25lookback_scan_determinismE0ELb0ELb0ES3_PKS7_PS7_S7_ZZZN2at6native31launch_logcumsumexp_cuda_kernelERKNSE_10TensorBaseESI_lENKUlvE_clEvENKUlvE2_clEvEUlS7_S7_E_S7_EEDaPvRmT3_T4_T5_mT6_P12ihipStream_tbENKUlT_T0_E_clISt17integral_constantIbLb0EESZ_EEDaSU_SV_EUlSU_E0_NS1_11comp_targetILNS1_3genE0ELNS1_11target_archE4294967295ELNS1_3gpuE0ELNS1_3repE0EEENS1_30default_config_static_selectorELNS0_4arch9wavefront6targetE1EEEvT1_
		.amdhsa_group_segment_fixed_size 0
		.amdhsa_private_segment_fixed_size 0
		.amdhsa_kernarg_size 40
		.amdhsa_user_sgpr_count 6
		.amdhsa_user_sgpr_private_segment_buffer 1
		.amdhsa_user_sgpr_dispatch_ptr 0
		.amdhsa_user_sgpr_queue_ptr 0
		.amdhsa_user_sgpr_kernarg_segment_ptr 1
		.amdhsa_user_sgpr_dispatch_id 0
		.amdhsa_user_sgpr_flat_scratch_init 0
		.amdhsa_user_sgpr_private_segment_size 0
		.amdhsa_uses_dynamic_stack 0
		.amdhsa_system_sgpr_private_segment_wavefront_offset 0
		.amdhsa_system_sgpr_workgroup_id_x 1
		.amdhsa_system_sgpr_workgroup_id_y 0
		.amdhsa_system_sgpr_workgroup_id_z 0
		.amdhsa_system_sgpr_workgroup_info 0
		.amdhsa_system_vgpr_workitem_id 0
		.amdhsa_next_free_vgpr 1
		.amdhsa_next_free_sgpr 0
		.amdhsa_reserve_vcc 0
		.amdhsa_reserve_flat_scratch 0
		.amdhsa_float_round_mode_32 0
		.amdhsa_float_round_mode_16_64 0
		.amdhsa_float_denorm_mode_32 3
		.amdhsa_float_denorm_mode_16_64 3
		.amdhsa_dx10_clamp 1
		.amdhsa_ieee_mode 1
		.amdhsa_fp16_overflow 0
		.amdhsa_exception_fp_ieee_invalid_op 0
		.amdhsa_exception_fp_denorm_src 0
		.amdhsa_exception_fp_ieee_div_zero 0
		.amdhsa_exception_fp_ieee_overflow 0
		.amdhsa_exception_fp_ieee_underflow 0
		.amdhsa_exception_fp_ieee_inexact 0
		.amdhsa_exception_int_div_zero 0
	.end_amdhsa_kernel
	.section	.text._ZN7rocprim17ROCPRIM_400000_NS6detail17trampoline_kernelINS0_14default_configENS1_20scan_config_selectorIN3c107complexIfEEEEZZNS1_9scan_implILNS1_25lookback_scan_determinismE0ELb0ELb0ES3_PKS7_PS7_S7_ZZZN2at6native31launch_logcumsumexp_cuda_kernelERKNSE_10TensorBaseESI_lENKUlvE_clEvENKUlvE2_clEvEUlS7_S7_E_S7_EEDaPvRmT3_T4_T5_mT6_P12ihipStream_tbENKUlT_T0_E_clISt17integral_constantIbLb0EESZ_EEDaSU_SV_EUlSU_E0_NS1_11comp_targetILNS1_3genE0ELNS1_11target_archE4294967295ELNS1_3gpuE0ELNS1_3repE0EEENS1_30default_config_static_selectorELNS0_4arch9wavefront6targetE1EEEvT1_,"axG",@progbits,_ZN7rocprim17ROCPRIM_400000_NS6detail17trampoline_kernelINS0_14default_configENS1_20scan_config_selectorIN3c107complexIfEEEEZZNS1_9scan_implILNS1_25lookback_scan_determinismE0ELb0ELb0ES3_PKS7_PS7_S7_ZZZN2at6native31launch_logcumsumexp_cuda_kernelERKNSE_10TensorBaseESI_lENKUlvE_clEvENKUlvE2_clEvEUlS7_S7_E_S7_EEDaPvRmT3_T4_T5_mT6_P12ihipStream_tbENKUlT_T0_E_clISt17integral_constantIbLb0EESZ_EEDaSU_SV_EUlSU_E0_NS1_11comp_targetILNS1_3genE0ELNS1_11target_archE4294967295ELNS1_3gpuE0ELNS1_3repE0EEENS1_30default_config_static_selectorELNS0_4arch9wavefront6targetE1EEEvT1_,comdat
.Lfunc_end281:
	.size	_ZN7rocprim17ROCPRIM_400000_NS6detail17trampoline_kernelINS0_14default_configENS1_20scan_config_selectorIN3c107complexIfEEEEZZNS1_9scan_implILNS1_25lookback_scan_determinismE0ELb0ELb0ES3_PKS7_PS7_S7_ZZZN2at6native31launch_logcumsumexp_cuda_kernelERKNSE_10TensorBaseESI_lENKUlvE_clEvENKUlvE2_clEvEUlS7_S7_E_S7_EEDaPvRmT3_T4_T5_mT6_P12ihipStream_tbENKUlT_T0_E_clISt17integral_constantIbLb0EESZ_EEDaSU_SV_EUlSU_E0_NS1_11comp_targetILNS1_3genE0ELNS1_11target_archE4294967295ELNS1_3gpuE0ELNS1_3repE0EEENS1_30default_config_static_selectorELNS0_4arch9wavefront6targetE1EEEvT1_, .Lfunc_end281-_ZN7rocprim17ROCPRIM_400000_NS6detail17trampoline_kernelINS0_14default_configENS1_20scan_config_selectorIN3c107complexIfEEEEZZNS1_9scan_implILNS1_25lookback_scan_determinismE0ELb0ELb0ES3_PKS7_PS7_S7_ZZZN2at6native31launch_logcumsumexp_cuda_kernelERKNSE_10TensorBaseESI_lENKUlvE_clEvENKUlvE2_clEvEUlS7_S7_E_S7_EEDaPvRmT3_T4_T5_mT6_P12ihipStream_tbENKUlT_T0_E_clISt17integral_constantIbLb0EESZ_EEDaSU_SV_EUlSU_E0_NS1_11comp_targetILNS1_3genE0ELNS1_11target_archE4294967295ELNS1_3gpuE0ELNS1_3repE0EEENS1_30default_config_static_selectorELNS0_4arch9wavefront6targetE1EEEvT1_
                                        ; -- End function
	.set _ZN7rocprim17ROCPRIM_400000_NS6detail17trampoline_kernelINS0_14default_configENS1_20scan_config_selectorIN3c107complexIfEEEEZZNS1_9scan_implILNS1_25lookback_scan_determinismE0ELb0ELb0ES3_PKS7_PS7_S7_ZZZN2at6native31launch_logcumsumexp_cuda_kernelERKNSE_10TensorBaseESI_lENKUlvE_clEvENKUlvE2_clEvEUlS7_S7_E_S7_EEDaPvRmT3_T4_T5_mT6_P12ihipStream_tbENKUlT_T0_E_clISt17integral_constantIbLb0EESZ_EEDaSU_SV_EUlSU_E0_NS1_11comp_targetILNS1_3genE0ELNS1_11target_archE4294967295ELNS1_3gpuE0ELNS1_3repE0EEENS1_30default_config_static_selectorELNS0_4arch9wavefront6targetE1EEEvT1_.num_vgpr, 0
	.set _ZN7rocprim17ROCPRIM_400000_NS6detail17trampoline_kernelINS0_14default_configENS1_20scan_config_selectorIN3c107complexIfEEEEZZNS1_9scan_implILNS1_25lookback_scan_determinismE0ELb0ELb0ES3_PKS7_PS7_S7_ZZZN2at6native31launch_logcumsumexp_cuda_kernelERKNSE_10TensorBaseESI_lENKUlvE_clEvENKUlvE2_clEvEUlS7_S7_E_S7_EEDaPvRmT3_T4_T5_mT6_P12ihipStream_tbENKUlT_T0_E_clISt17integral_constantIbLb0EESZ_EEDaSU_SV_EUlSU_E0_NS1_11comp_targetILNS1_3genE0ELNS1_11target_archE4294967295ELNS1_3gpuE0ELNS1_3repE0EEENS1_30default_config_static_selectorELNS0_4arch9wavefront6targetE1EEEvT1_.num_agpr, 0
	.set _ZN7rocprim17ROCPRIM_400000_NS6detail17trampoline_kernelINS0_14default_configENS1_20scan_config_selectorIN3c107complexIfEEEEZZNS1_9scan_implILNS1_25lookback_scan_determinismE0ELb0ELb0ES3_PKS7_PS7_S7_ZZZN2at6native31launch_logcumsumexp_cuda_kernelERKNSE_10TensorBaseESI_lENKUlvE_clEvENKUlvE2_clEvEUlS7_S7_E_S7_EEDaPvRmT3_T4_T5_mT6_P12ihipStream_tbENKUlT_T0_E_clISt17integral_constantIbLb0EESZ_EEDaSU_SV_EUlSU_E0_NS1_11comp_targetILNS1_3genE0ELNS1_11target_archE4294967295ELNS1_3gpuE0ELNS1_3repE0EEENS1_30default_config_static_selectorELNS0_4arch9wavefront6targetE1EEEvT1_.numbered_sgpr, 0
	.set _ZN7rocprim17ROCPRIM_400000_NS6detail17trampoline_kernelINS0_14default_configENS1_20scan_config_selectorIN3c107complexIfEEEEZZNS1_9scan_implILNS1_25lookback_scan_determinismE0ELb0ELb0ES3_PKS7_PS7_S7_ZZZN2at6native31launch_logcumsumexp_cuda_kernelERKNSE_10TensorBaseESI_lENKUlvE_clEvENKUlvE2_clEvEUlS7_S7_E_S7_EEDaPvRmT3_T4_T5_mT6_P12ihipStream_tbENKUlT_T0_E_clISt17integral_constantIbLb0EESZ_EEDaSU_SV_EUlSU_E0_NS1_11comp_targetILNS1_3genE0ELNS1_11target_archE4294967295ELNS1_3gpuE0ELNS1_3repE0EEENS1_30default_config_static_selectorELNS0_4arch9wavefront6targetE1EEEvT1_.num_named_barrier, 0
	.set _ZN7rocprim17ROCPRIM_400000_NS6detail17trampoline_kernelINS0_14default_configENS1_20scan_config_selectorIN3c107complexIfEEEEZZNS1_9scan_implILNS1_25lookback_scan_determinismE0ELb0ELb0ES3_PKS7_PS7_S7_ZZZN2at6native31launch_logcumsumexp_cuda_kernelERKNSE_10TensorBaseESI_lENKUlvE_clEvENKUlvE2_clEvEUlS7_S7_E_S7_EEDaPvRmT3_T4_T5_mT6_P12ihipStream_tbENKUlT_T0_E_clISt17integral_constantIbLb0EESZ_EEDaSU_SV_EUlSU_E0_NS1_11comp_targetILNS1_3genE0ELNS1_11target_archE4294967295ELNS1_3gpuE0ELNS1_3repE0EEENS1_30default_config_static_selectorELNS0_4arch9wavefront6targetE1EEEvT1_.private_seg_size, 0
	.set _ZN7rocprim17ROCPRIM_400000_NS6detail17trampoline_kernelINS0_14default_configENS1_20scan_config_selectorIN3c107complexIfEEEEZZNS1_9scan_implILNS1_25lookback_scan_determinismE0ELb0ELb0ES3_PKS7_PS7_S7_ZZZN2at6native31launch_logcumsumexp_cuda_kernelERKNSE_10TensorBaseESI_lENKUlvE_clEvENKUlvE2_clEvEUlS7_S7_E_S7_EEDaPvRmT3_T4_T5_mT6_P12ihipStream_tbENKUlT_T0_E_clISt17integral_constantIbLb0EESZ_EEDaSU_SV_EUlSU_E0_NS1_11comp_targetILNS1_3genE0ELNS1_11target_archE4294967295ELNS1_3gpuE0ELNS1_3repE0EEENS1_30default_config_static_selectorELNS0_4arch9wavefront6targetE1EEEvT1_.uses_vcc, 0
	.set _ZN7rocprim17ROCPRIM_400000_NS6detail17trampoline_kernelINS0_14default_configENS1_20scan_config_selectorIN3c107complexIfEEEEZZNS1_9scan_implILNS1_25lookback_scan_determinismE0ELb0ELb0ES3_PKS7_PS7_S7_ZZZN2at6native31launch_logcumsumexp_cuda_kernelERKNSE_10TensorBaseESI_lENKUlvE_clEvENKUlvE2_clEvEUlS7_S7_E_S7_EEDaPvRmT3_T4_T5_mT6_P12ihipStream_tbENKUlT_T0_E_clISt17integral_constantIbLb0EESZ_EEDaSU_SV_EUlSU_E0_NS1_11comp_targetILNS1_3genE0ELNS1_11target_archE4294967295ELNS1_3gpuE0ELNS1_3repE0EEENS1_30default_config_static_selectorELNS0_4arch9wavefront6targetE1EEEvT1_.uses_flat_scratch, 0
	.set _ZN7rocprim17ROCPRIM_400000_NS6detail17trampoline_kernelINS0_14default_configENS1_20scan_config_selectorIN3c107complexIfEEEEZZNS1_9scan_implILNS1_25lookback_scan_determinismE0ELb0ELb0ES3_PKS7_PS7_S7_ZZZN2at6native31launch_logcumsumexp_cuda_kernelERKNSE_10TensorBaseESI_lENKUlvE_clEvENKUlvE2_clEvEUlS7_S7_E_S7_EEDaPvRmT3_T4_T5_mT6_P12ihipStream_tbENKUlT_T0_E_clISt17integral_constantIbLb0EESZ_EEDaSU_SV_EUlSU_E0_NS1_11comp_targetILNS1_3genE0ELNS1_11target_archE4294967295ELNS1_3gpuE0ELNS1_3repE0EEENS1_30default_config_static_selectorELNS0_4arch9wavefront6targetE1EEEvT1_.has_dyn_sized_stack, 0
	.set _ZN7rocprim17ROCPRIM_400000_NS6detail17trampoline_kernelINS0_14default_configENS1_20scan_config_selectorIN3c107complexIfEEEEZZNS1_9scan_implILNS1_25lookback_scan_determinismE0ELb0ELb0ES3_PKS7_PS7_S7_ZZZN2at6native31launch_logcumsumexp_cuda_kernelERKNSE_10TensorBaseESI_lENKUlvE_clEvENKUlvE2_clEvEUlS7_S7_E_S7_EEDaPvRmT3_T4_T5_mT6_P12ihipStream_tbENKUlT_T0_E_clISt17integral_constantIbLb0EESZ_EEDaSU_SV_EUlSU_E0_NS1_11comp_targetILNS1_3genE0ELNS1_11target_archE4294967295ELNS1_3gpuE0ELNS1_3repE0EEENS1_30default_config_static_selectorELNS0_4arch9wavefront6targetE1EEEvT1_.has_recursion, 0
	.set _ZN7rocprim17ROCPRIM_400000_NS6detail17trampoline_kernelINS0_14default_configENS1_20scan_config_selectorIN3c107complexIfEEEEZZNS1_9scan_implILNS1_25lookback_scan_determinismE0ELb0ELb0ES3_PKS7_PS7_S7_ZZZN2at6native31launch_logcumsumexp_cuda_kernelERKNSE_10TensorBaseESI_lENKUlvE_clEvENKUlvE2_clEvEUlS7_S7_E_S7_EEDaPvRmT3_T4_T5_mT6_P12ihipStream_tbENKUlT_T0_E_clISt17integral_constantIbLb0EESZ_EEDaSU_SV_EUlSU_E0_NS1_11comp_targetILNS1_3genE0ELNS1_11target_archE4294967295ELNS1_3gpuE0ELNS1_3repE0EEENS1_30default_config_static_selectorELNS0_4arch9wavefront6targetE1EEEvT1_.has_indirect_call, 0
	.section	.AMDGPU.csdata,"",@progbits
; Kernel info:
; codeLenInByte = 0
; TotalNumSgprs: 4
; NumVgprs: 0
; ScratchSize: 0
; MemoryBound: 0
; FloatMode: 240
; IeeeMode: 1
; LDSByteSize: 0 bytes/workgroup (compile time only)
; SGPRBlocks: 0
; VGPRBlocks: 0
; NumSGPRsForWavesPerEU: 4
; NumVGPRsForWavesPerEU: 1
; Occupancy: 10
; WaveLimiterHint : 0
; COMPUTE_PGM_RSRC2:SCRATCH_EN: 0
; COMPUTE_PGM_RSRC2:USER_SGPR: 6
; COMPUTE_PGM_RSRC2:TRAP_HANDLER: 0
; COMPUTE_PGM_RSRC2:TGID_X_EN: 1
; COMPUTE_PGM_RSRC2:TGID_Y_EN: 0
; COMPUTE_PGM_RSRC2:TGID_Z_EN: 0
; COMPUTE_PGM_RSRC2:TIDIG_COMP_CNT: 0
	.section	.text._ZN7rocprim17ROCPRIM_400000_NS6detail17trampoline_kernelINS0_14default_configENS1_20scan_config_selectorIN3c107complexIfEEEEZZNS1_9scan_implILNS1_25lookback_scan_determinismE0ELb0ELb0ES3_PKS7_PS7_S7_ZZZN2at6native31launch_logcumsumexp_cuda_kernelERKNSE_10TensorBaseESI_lENKUlvE_clEvENKUlvE2_clEvEUlS7_S7_E_S7_EEDaPvRmT3_T4_T5_mT6_P12ihipStream_tbENKUlT_T0_E_clISt17integral_constantIbLb0EESZ_EEDaSU_SV_EUlSU_E0_NS1_11comp_targetILNS1_3genE5ELNS1_11target_archE942ELNS1_3gpuE9ELNS1_3repE0EEENS1_30default_config_static_selectorELNS0_4arch9wavefront6targetE1EEEvT1_,"axG",@progbits,_ZN7rocprim17ROCPRIM_400000_NS6detail17trampoline_kernelINS0_14default_configENS1_20scan_config_selectorIN3c107complexIfEEEEZZNS1_9scan_implILNS1_25lookback_scan_determinismE0ELb0ELb0ES3_PKS7_PS7_S7_ZZZN2at6native31launch_logcumsumexp_cuda_kernelERKNSE_10TensorBaseESI_lENKUlvE_clEvENKUlvE2_clEvEUlS7_S7_E_S7_EEDaPvRmT3_T4_T5_mT6_P12ihipStream_tbENKUlT_T0_E_clISt17integral_constantIbLb0EESZ_EEDaSU_SV_EUlSU_E0_NS1_11comp_targetILNS1_3genE5ELNS1_11target_archE942ELNS1_3gpuE9ELNS1_3repE0EEENS1_30default_config_static_selectorELNS0_4arch9wavefront6targetE1EEEvT1_,comdat
	.globl	_ZN7rocprim17ROCPRIM_400000_NS6detail17trampoline_kernelINS0_14default_configENS1_20scan_config_selectorIN3c107complexIfEEEEZZNS1_9scan_implILNS1_25lookback_scan_determinismE0ELb0ELb0ES3_PKS7_PS7_S7_ZZZN2at6native31launch_logcumsumexp_cuda_kernelERKNSE_10TensorBaseESI_lENKUlvE_clEvENKUlvE2_clEvEUlS7_S7_E_S7_EEDaPvRmT3_T4_T5_mT6_P12ihipStream_tbENKUlT_T0_E_clISt17integral_constantIbLb0EESZ_EEDaSU_SV_EUlSU_E0_NS1_11comp_targetILNS1_3genE5ELNS1_11target_archE942ELNS1_3gpuE9ELNS1_3repE0EEENS1_30default_config_static_selectorELNS0_4arch9wavefront6targetE1EEEvT1_ ; -- Begin function _ZN7rocprim17ROCPRIM_400000_NS6detail17trampoline_kernelINS0_14default_configENS1_20scan_config_selectorIN3c107complexIfEEEEZZNS1_9scan_implILNS1_25lookback_scan_determinismE0ELb0ELb0ES3_PKS7_PS7_S7_ZZZN2at6native31launch_logcumsumexp_cuda_kernelERKNSE_10TensorBaseESI_lENKUlvE_clEvENKUlvE2_clEvEUlS7_S7_E_S7_EEDaPvRmT3_T4_T5_mT6_P12ihipStream_tbENKUlT_T0_E_clISt17integral_constantIbLb0EESZ_EEDaSU_SV_EUlSU_E0_NS1_11comp_targetILNS1_3genE5ELNS1_11target_archE942ELNS1_3gpuE9ELNS1_3repE0EEENS1_30default_config_static_selectorELNS0_4arch9wavefront6targetE1EEEvT1_
	.p2align	8
	.type	_ZN7rocprim17ROCPRIM_400000_NS6detail17trampoline_kernelINS0_14default_configENS1_20scan_config_selectorIN3c107complexIfEEEEZZNS1_9scan_implILNS1_25lookback_scan_determinismE0ELb0ELb0ES3_PKS7_PS7_S7_ZZZN2at6native31launch_logcumsumexp_cuda_kernelERKNSE_10TensorBaseESI_lENKUlvE_clEvENKUlvE2_clEvEUlS7_S7_E_S7_EEDaPvRmT3_T4_T5_mT6_P12ihipStream_tbENKUlT_T0_E_clISt17integral_constantIbLb0EESZ_EEDaSU_SV_EUlSU_E0_NS1_11comp_targetILNS1_3genE5ELNS1_11target_archE942ELNS1_3gpuE9ELNS1_3repE0EEENS1_30default_config_static_selectorELNS0_4arch9wavefront6targetE1EEEvT1_,@function
_ZN7rocprim17ROCPRIM_400000_NS6detail17trampoline_kernelINS0_14default_configENS1_20scan_config_selectorIN3c107complexIfEEEEZZNS1_9scan_implILNS1_25lookback_scan_determinismE0ELb0ELb0ES3_PKS7_PS7_S7_ZZZN2at6native31launch_logcumsumexp_cuda_kernelERKNSE_10TensorBaseESI_lENKUlvE_clEvENKUlvE2_clEvEUlS7_S7_E_S7_EEDaPvRmT3_T4_T5_mT6_P12ihipStream_tbENKUlT_T0_E_clISt17integral_constantIbLb0EESZ_EEDaSU_SV_EUlSU_E0_NS1_11comp_targetILNS1_3genE5ELNS1_11target_archE942ELNS1_3gpuE9ELNS1_3repE0EEENS1_30default_config_static_selectorELNS0_4arch9wavefront6targetE1EEEvT1_: ; @_ZN7rocprim17ROCPRIM_400000_NS6detail17trampoline_kernelINS0_14default_configENS1_20scan_config_selectorIN3c107complexIfEEEEZZNS1_9scan_implILNS1_25lookback_scan_determinismE0ELb0ELb0ES3_PKS7_PS7_S7_ZZZN2at6native31launch_logcumsumexp_cuda_kernelERKNSE_10TensorBaseESI_lENKUlvE_clEvENKUlvE2_clEvEUlS7_S7_E_S7_EEDaPvRmT3_T4_T5_mT6_P12ihipStream_tbENKUlT_T0_E_clISt17integral_constantIbLb0EESZ_EEDaSU_SV_EUlSU_E0_NS1_11comp_targetILNS1_3genE5ELNS1_11target_archE942ELNS1_3gpuE9ELNS1_3repE0EEENS1_30default_config_static_selectorELNS0_4arch9wavefront6targetE1EEEvT1_
; %bb.0:
	.section	.rodata,"a",@progbits
	.p2align	6, 0x0
	.amdhsa_kernel _ZN7rocprim17ROCPRIM_400000_NS6detail17trampoline_kernelINS0_14default_configENS1_20scan_config_selectorIN3c107complexIfEEEEZZNS1_9scan_implILNS1_25lookback_scan_determinismE0ELb0ELb0ES3_PKS7_PS7_S7_ZZZN2at6native31launch_logcumsumexp_cuda_kernelERKNSE_10TensorBaseESI_lENKUlvE_clEvENKUlvE2_clEvEUlS7_S7_E_S7_EEDaPvRmT3_T4_T5_mT6_P12ihipStream_tbENKUlT_T0_E_clISt17integral_constantIbLb0EESZ_EEDaSU_SV_EUlSU_E0_NS1_11comp_targetILNS1_3genE5ELNS1_11target_archE942ELNS1_3gpuE9ELNS1_3repE0EEENS1_30default_config_static_selectorELNS0_4arch9wavefront6targetE1EEEvT1_
		.amdhsa_group_segment_fixed_size 0
		.amdhsa_private_segment_fixed_size 0
		.amdhsa_kernarg_size 40
		.amdhsa_user_sgpr_count 6
		.amdhsa_user_sgpr_private_segment_buffer 1
		.amdhsa_user_sgpr_dispatch_ptr 0
		.amdhsa_user_sgpr_queue_ptr 0
		.amdhsa_user_sgpr_kernarg_segment_ptr 1
		.amdhsa_user_sgpr_dispatch_id 0
		.amdhsa_user_sgpr_flat_scratch_init 0
		.amdhsa_user_sgpr_private_segment_size 0
		.amdhsa_uses_dynamic_stack 0
		.amdhsa_system_sgpr_private_segment_wavefront_offset 0
		.amdhsa_system_sgpr_workgroup_id_x 1
		.amdhsa_system_sgpr_workgroup_id_y 0
		.amdhsa_system_sgpr_workgroup_id_z 0
		.amdhsa_system_sgpr_workgroup_info 0
		.amdhsa_system_vgpr_workitem_id 0
		.amdhsa_next_free_vgpr 1
		.amdhsa_next_free_sgpr 0
		.amdhsa_reserve_vcc 0
		.amdhsa_reserve_flat_scratch 0
		.amdhsa_float_round_mode_32 0
		.amdhsa_float_round_mode_16_64 0
		.amdhsa_float_denorm_mode_32 3
		.amdhsa_float_denorm_mode_16_64 3
		.amdhsa_dx10_clamp 1
		.amdhsa_ieee_mode 1
		.amdhsa_fp16_overflow 0
		.amdhsa_exception_fp_ieee_invalid_op 0
		.amdhsa_exception_fp_denorm_src 0
		.amdhsa_exception_fp_ieee_div_zero 0
		.amdhsa_exception_fp_ieee_overflow 0
		.amdhsa_exception_fp_ieee_underflow 0
		.amdhsa_exception_fp_ieee_inexact 0
		.amdhsa_exception_int_div_zero 0
	.end_amdhsa_kernel
	.section	.text._ZN7rocprim17ROCPRIM_400000_NS6detail17trampoline_kernelINS0_14default_configENS1_20scan_config_selectorIN3c107complexIfEEEEZZNS1_9scan_implILNS1_25lookback_scan_determinismE0ELb0ELb0ES3_PKS7_PS7_S7_ZZZN2at6native31launch_logcumsumexp_cuda_kernelERKNSE_10TensorBaseESI_lENKUlvE_clEvENKUlvE2_clEvEUlS7_S7_E_S7_EEDaPvRmT3_T4_T5_mT6_P12ihipStream_tbENKUlT_T0_E_clISt17integral_constantIbLb0EESZ_EEDaSU_SV_EUlSU_E0_NS1_11comp_targetILNS1_3genE5ELNS1_11target_archE942ELNS1_3gpuE9ELNS1_3repE0EEENS1_30default_config_static_selectorELNS0_4arch9wavefront6targetE1EEEvT1_,"axG",@progbits,_ZN7rocprim17ROCPRIM_400000_NS6detail17trampoline_kernelINS0_14default_configENS1_20scan_config_selectorIN3c107complexIfEEEEZZNS1_9scan_implILNS1_25lookback_scan_determinismE0ELb0ELb0ES3_PKS7_PS7_S7_ZZZN2at6native31launch_logcumsumexp_cuda_kernelERKNSE_10TensorBaseESI_lENKUlvE_clEvENKUlvE2_clEvEUlS7_S7_E_S7_EEDaPvRmT3_T4_T5_mT6_P12ihipStream_tbENKUlT_T0_E_clISt17integral_constantIbLb0EESZ_EEDaSU_SV_EUlSU_E0_NS1_11comp_targetILNS1_3genE5ELNS1_11target_archE942ELNS1_3gpuE9ELNS1_3repE0EEENS1_30default_config_static_selectorELNS0_4arch9wavefront6targetE1EEEvT1_,comdat
.Lfunc_end282:
	.size	_ZN7rocprim17ROCPRIM_400000_NS6detail17trampoline_kernelINS0_14default_configENS1_20scan_config_selectorIN3c107complexIfEEEEZZNS1_9scan_implILNS1_25lookback_scan_determinismE0ELb0ELb0ES3_PKS7_PS7_S7_ZZZN2at6native31launch_logcumsumexp_cuda_kernelERKNSE_10TensorBaseESI_lENKUlvE_clEvENKUlvE2_clEvEUlS7_S7_E_S7_EEDaPvRmT3_T4_T5_mT6_P12ihipStream_tbENKUlT_T0_E_clISt17integral_constantIbLb0EESZ_EEDaSU_SV_EUlSU_E0_NS1_11comp_targetILNS1_3genE5ELNS1_11target_archE942ELNS1_3gpuE9ELNS1_3repE0EEENS1_30default_config_static_selectorELNS0_4arch9wavefront6targetE1EEEvT1_, .Lfunc_end282-_ZN7rocprim17ROCPRIM_400000_NS6detail17trampoline_kernelINS0_14default_configENS1_20scan_config_selectorIN3c107complexIfEEEEZZNS1_9scan_implILNS1_25lookback_scan_determinismE0ELb0ELb0ES3_PKS7_PS7_S7_ZZZN2at6native31launch_logcumsumexp_cuda_kernelERKNSE_10TensorBaseESI_lENKUlvE_clEvENKUlvE2_clEvEUlS7_S7_E_S7_EEDaPvRmT3_T4_T5_mT6_P12ihipStream_tbENKUlT_T0_E_clISt17integral_constantIbLb0EESZ_EEDaSU_SV_EUlSU_E0_NS1_11comp_targetILNS1_3genE5ELNS1_11target_archE942ELNS1_3gpuE9ELNS1_3repE0EEENS1_30default_config_static_selectorELNS0_4arch9wavefront6targetE1EEEvT1_
                                        ; -- End function
	.set _ZN7rocprim17ROCPRIM_400000_NS6detail17trampoline_kernelINS0_14default_configENS1_20scan_config_selectorIN3c107complexIfEEEEZZNS1_9scan_implILNS1_25lookback_scan_determinismE0ELb0ELb0ES3_PKS7_PS7_S7_ZZZN2at6native31launch_logcumsumexp_cuda_kernelERKNSE_10TensorBaseESI_lENKUlvE_clEvENKUlvE2_clEvEUlS7_S7_E_S7_EEDaPvRmT3_T4_T5_mT6_P12ihipStream_tbENKUlT_T0_E_clISt17integral_constantIbLb0EESZ_EEDaSU_SV_EUlSU_E0_NS1_11comp_targetILNS1_3genE5ELNS1_11target_archE942ELNS1_3gpuE9ELNS1_3repE0EEENS1_30default_config_static_selectorELNS0_4arch9wavefront6targetE1EEEvT1_.num_vgpr, 0
	.set _ZN7rocprim17ROCPRIM_400000_NS6detail17trampoline_kernelINS0_14default_configENS1_20scan_config_selectorIN3c107complexIfEEEEZZNS1_9scan_implILNS1_25lookback_scan_determinismE0ELb0ELb0ES3_PKS7_PS7_S7_ZZZN2at6native31launch_logcumsumexp_cuda_kernelERKNSE_10TensorBaseESI_lENKUlvE_clEvENKUlvE2_clEvEUlS7_S7_E_S7_EEDaPvRmT3_T4_T5_mT6_P12ihipStream_tbENKUlT_T0_E_clISt17integral_constantIbLb0EESZ_EEDaSU_SV_EUlSU_E0_NS1_11comp_targetILNS1_3genE5ELNS1_11target_archE942ELNS1_3gpuE9ELNS1_3repE0EEENS1_30default_config_static_selectorELNS0_4arch9wavefront6targetE1EEEvT1_.num_agpr, 0
	.set _ZN7rocprim17ROCPRIM_400000_NS6detail17trampoline_kernelINS0_14default_configENS1_20scan_config_selectorIN3c107complexIfEEEEZZNS1_9scan_implILNS1_25lookback_scan_determinismE0ELb0ELb0ES3_PKS7_PS7_S7_ZZZN2at6native31launch_logcumsumexp_cuda_kernelERKNSE_10TensorBaseESI_lENKUlvE_clEvENKUlvE2_clEvEUlS7_S7_E_S7_EEDaPvRmT3_T4_T5_mT6_P12ihipStream_tbENKUlT_T0_E_clISt17integral_constantIbLb0EESZ_EEDaSU_SV_EUlSU_E0_NS1_11comp_targetILNS1_3genE5ELNS1_11target_archE942ELNS1_3gpuE9ELNS1_3repE0EEENS1_30default_config_static_selectorELNS0_4arch9wavefront6targetE1EEEvT1_.numbered_sgpr, 0
	.set _ZN7rocprim17ROCPRIM_400000_NS6detail17trampoline_kernelINS0_14default_configENS1_20scan_config_selectorIN3c107complexIfEEEEZZNS1_9scan_implILNS1_25lookback_scan_determinismE0ELb0ELb0ES3_PKS7_PS7_S7_ZZZN2at6native31launch_logcumsumexp_cuda_kernelERKNSE_10TensorBaseESI_lENKUlvE_clEvENKUlvE2_clEvEUlS7_S7_E_S7_EEDaPvRmT3_T4_T5_mT6_P12ihipStream_tbENKUlT_T0_E_clISt17integral_constantIbLb0EESZ_EEDaSU_SV_EUlSU_E0_NS1_11comp_targetILNS1_3genE5ELNS1_11target_archE942ELNS1_3gpuE9ELNS1_3repE0EEENS1_30default_config_static_selectorELNS0_4arch9wavefront6targetE1EEEvT1_.num_named_barrier, 0
	.set _ZN7rocprim17ROCPRIM_400000_NS6detail17trampoline_kernelINS0_14default_configENS1_20scan_config_selectorIN3c107complexIfEEEEZZNS1_9scan_implILNS1_25lookback_scan_determinismE0ELb0ELb0ES3_PKS7_PS7_S7_ZZZN2at6native31launch_logcumsumexp_cuda_kernelERKNSE_10TensorBaseESI_lENKUlvE_clEvENKUlvE2_clEvEUlS7_S7_E_S7_EEDaPvRmT3_T4_T5_mT6_P12ihipStream_tbENKUlT_T0_E_clISt17integral_constantIbLb0EESZ_EEDaSU_SV_EUlSU_E0_NS1_11comp_targetILNS1_3genE5ELNS1_11target_archE942ELNS1_3gpuE9ELNS1_3repE0EEENS1_30default_config_static_selectorELNS0_4arch9wavefront6targetE1EEEvT1_.private_seg_size, 0
	.set _ZN7rocprim17ROCPRIM_400000_NS6detail17trampoline_kernelINS0_14default_configENS1_20scan_config_selectorIN3c107complexIfEEEEZZNS1_9scan_implILNS1_25lookback_scan_determinismE0ELb0ELb0ES3_PKS7_PS7_S7_ZZZN2at6native31launch_logcumsumexp_cuda_kernelERKNSE_10TensorBaseESI_lENKUlvE_clEvENKUlvE2_clEvEUlS7_S7_E_S7_EEDaPvRmT3_T4_T5_mT6_P12ihipStream_tbENKUlT_T0_E_clISt17integral_constantIbLb0EESZ_EEDaSU_SV_EUlSU_E0_NS1_11comp_targetILNS1_3genE5ELNS1_11target_archE942ELNS1_3gpuE9ELNS1_3repE0EEENS1_30default_config_static_selectorELNS0_4arch9wavefront6targetE1EEEvT1_.uses_vcc, 0
	.set _ZN7rocprim17ROCPRIM_400000_NS6detail17trampoline_kernelINS0_14default_configENS1_20scan_config_selectorIN3c107complexIfEEEEZZNS1_9scan_implILNS1_25lookback_scan_determinismE0ELb0ELb0ES3_PKS7_PS7_S7_ZZZN2at6native31launch_logcumsumexp_cuda_kernelERKNSE_10TensorBaseESI_lENKUlvE_clEvENKUlvE2_clEvEUlS7_S7_E_S7_EEDaPvRmT3_T4_T5_mT6_P12ihipStream_tbENKUlT_T0_E_clISt17integral_constantIbLb0EESZ_EEDaSU_SV_EUlSU_E0_NS1_11comp_targetILNS1_3genE5ELNS1_11target_archE942ELNS1_3gpuE9ELNS1_3repE0EEENS1_30default_config_static_selectorELNS0_4arch9wavefront6targetE1EEEvT1_.uses_flat_scratch, 0
	.set _ZN7rocprim17ROCPRIM_400000_NS6detail17trampoline_kernelINS0_14default_configENS1_20scan_config_selectorIN3c107complexIfEEEEZZNS1_9scan_implILNS1_25lookback_scan_determinismE0ELb0ELb0ES3_PKS7_PS7_S7_ZZZN2at6native31launch_logcumsumexp_cuda_kernelERKNSE_10TensorBaseESI_lENKUlvE_clEvENKUlvE2_clEvEUlS7_S7_E_S7_EEDaPvRmT3_T4_T5_mT6_P12ihipStream_tbENKUlT_T0_E_clISt17integral_constantIbLb0EESZ_EEDaSU_SV_EUlSU_E0_NS1_11comp_targetILNS1_3genE5ELNS1_11target_archE942ELNS1_3gpuE9ELNS1_3repE0EEENS1_30default_config_static_selectorELNS0_4arch9wavefront6targetE1EEEvT1_.has_dyn_sized_stack, 0
	.set _ZN7rocprim17ROCPRIM_400000_NS6detail17trampoline_kernelINS0_14default_configENS1_20scan_config_selectorIN3c107complexIfEEEEZZNS1_9scan_implILNS1_25lookback_scan_determinismE0ELb0ELb0ES3_PKS7_PS7_S7_ZZZN2at6native31launch_logcumsumexp_cuda_kernelERKNSE_10TensorBaseESI_lENKUlvE_clEvENKUlvE2_clEvEUlS7_S7_E_S7_EEDaPvRmT3_T4_T5_mT6_P12ihipStream_tbENKUlT_T0_E_clISt17integral_constantIbLb0EESZ_EEDaSU_SV_EUlSU_E0_NS1_11comp_targetILNS1_3genE5ELNS1_11target_archE942ELNS1_3gpuE9ELNS1_3repE0EEENS1_30default_config_static_selectorELNS0_4arch9wavefront6targetE1EEEvT1_.has_recursion, 0
	.set _ZN7rocprim17ROCPRIM_400000_NS6detail17trampoline_kernelINS0_14default_configENS1_20scan_config_selectorIN3c107complexIfEEEEZZNS1_9scan_implILNS1_25lookback_scan_determinismE0ELb0ELb0ES3_PKS7_PS7_S7_ZZZN2at6native31launch_logcumsumexp_cuda_kernelERKNSE_10TensorBaseESI_lENKUlvE_clEvENKUlvE2_clEvEUlS7_S7_E_S7_EEDaPvRmT3_T4_T5_mT6_P12ihipStream_tbENKUlT_T0_E_clISt17integral_constantIbLb0EESZ_EEDaSU_SV_EUlSU_E0_NS1_11comp_targetILNS1_3genE5ELNS1_11target_archE942ELNS1_3gpuE9ELNS1_3repE0EEENS1_30default_config_static_selectorELNS0_4arch9wavefront6targetE1EEEvT1_.has_indirect_call, 0
	.section	.AMDGPU.csdata,"",@progbits
; Kernel info:
; codeLenInByte = 0
; TotalNumSgprs: 4
; NumVgprs: 0
; ScratchSize: 0
; MemoryBound: 0
; FloatMode: 240
; IeeeMode: 1
; LDSByteSize: 0 bytes/workgroup (compile time only)
; SGPRBlocks: 0
; VGPRBlocks: 0
; NumSGPRsForWavesPerEU: 4
; NumVGPRsForWavesPerEU: 1
; Occupancy: 10
; WaveLimiterHint : 0
; COMPUTE_PGM_RSRC2:SCRATCH_EN: 0
; COMPUTE_PGM_RSRC2:USER_SGPR: 6
; COMPUTE_PGM_RSRC2:TRAP_HANDLER: 0
; COMPUTE_PGM_RSRC2:TGID_X_EN: 1
; COMPUTE_PGM_RSRC2:TGID_Y_EN: 0
; COMPUTE_PGM_RSRC2:TGID_Z_EN: 0
; COMPUTE_PGM_RSRC2:TIDIG_COMP_CNT: 0
	.section	.text._ZN7rocprim17ROCPRIM_400000_NS6detail17trampoline_kernelINS0_14default_configENS1_20scan_config_selectorIN3c107complexIfEEEEZZNS1_9scan_implILNS1_25lookback_scan_determinismE0ELb0ELb0ES3_PKS7_PS7_S7_ZZZN2at6native31launch_logcumsumexp_cuda_kernelERKNSE_10TensorBaseESI_lENKUlvE_clEvENKUlvE2_clEvEUlS7_S7_E_S7_EEDaPvRmT3_T4_T5_mT6_P12ihipStream_tbENKUlT_T0_E_clISt17integral_constantIbLb0EESZ_EEDaSU_SV_EUlSU_E0_NS1_11comp_targetILNS1_3genE4ELNS1_11target_archE910ELNS1_3gpuE8ELNS1_3repE0EEENS1_30default_config_static_selectorELNS0_4arch9wavefront6targetE1EEEvT1_,"axG",@progbits,_ZN7rocprim17ROCPRIM_400000_NS6detail17trampoline_kernelINS0_14default_configENS1_20scan_config_selectorIN3c107complexIfEEEEZZNS1_9scan_implILNS1_25lookback_scan_determinismE0ELb0ELb0ES3_PKS7_PS7_S7_ZZZN2at6native31launch_logcumsumexp_cuda_kernelERKNSE_10TensorBaseESI_lENKUlvE_clEvENKUlvE2_clEvEUlS7_S7_E_S7_EEDaPvRmT3_T4_T5_mT6_P12ihipStream_tbENKUlT_T0_E_clISt17integral_constantIbLb0EESZ_EEDaSU_SV_EUlSU_E0_NS1_11comp_targetILNS1_3genE4ELNS1_11target_archE910ELNS1_3gpuE8ELNS1_3repE0EEENS1_30default_config_static_selectorELNS0_4arch9wavefront6targetE1EEEvT1_,comdat
	.globl	_ZN7rocprim17ROCPRIM_400000_NS6detail17trampoline_kernelINS0_14default_configENS1_20scan_config_selectorIN3c107complexIfEEEEZZNS1_9scan_implILNS1_25lookback_scan_determinismE0ELb0ELb0ES3_PKS7_PS7_S7_ZZZN2at6native31launch_logcumsumexp_cuda_kernelERKNSE_10TensorBaseESI_lENKUlvE_clEvENKUlvE2_clEvEUlS7_S7_E_S7_EEDaPvRmT3_T4_T5_mT6_P12ihipStream_tbENKUlT_T0_E_clISt17integral_constantIbLb0EESZ_EEDaSU_SV_EUlSU_E0_NS1_11comp_targetILNS1_3genE4ELNS1_11target_archE910ELNS1_3gpuE8ELNS1_3repE0EEENS1_30default_config_static_selectorELNS0_4arch9wavefront6targetE1EEEvT1_ ; -- Begin function _ZN7rocprim17ROCPRIM_400000_NS6detail17trampoline_kernelINS0_14default_configENS1_20scan_config_selectorIN3c107complexIfEEEEZZNS1_9scan_implILNS1_25lookback_scan_determinismE0ELb0ELb0ES3_PKS7_PS7_S7_ZZZN2at6native31launch_logcumsumexp_cuda_kernelERKNSE_10TensorBaseESI_lENKUlvE_clEvENKUlvE2_clEvEUlS7_S7_E_S7_EEDaPvRmT3_T4_T5_mT6_P12ihipStream_tbENKUlT_T0_E_clISt17integral_constantIbLb0EESZ_EEDaSU_SV_EUlSU_E0_NS1_11comp_targetILNS1_3genE4ELNS1_11target_archE910ELNS1_3gpuE8ELNS1_3repE0EEENS1_30default_config_static_selectorELNS0_4arch9wavefront6targetE1EEEvT1_
	.p2align	8
	.type	_ZN7rocprim17ROCPRIM_400000_NS6detail17trampoline_kernelINS0_14default_configENS1_20scan_config_selectorIN3c107complexIfEEEEZZNS1_9scan_implILNS1_25lookback_scan_determinismE0ELb0ELb0ES3_PKS7_PS7_S7_ZZZN2at6native31launch_logcumsumexp_cuda_kernelERKNSE_10TensorBaseESI_lENKUlvE_clEvENKUlvE2_clEvEUlS7_S7_E_S7_EEDaPvRmT3_T4_T5_mT6_P12ihipStream_tbENKUlT_T0_E_clISt17integral_constantIbLb0EESZ_EEDaSU_SV_EUlSU_E0_NS1_11comp_targetILNS1_3genE4ELNS1_11target_archE910ELNS1_3gpuE8ELNS1_3repE0EEENS1_30default_config_static_selectorELNS0_4arch9wavefront6targetE1EEEvT1_,@function
_ZN7rocprim17ROCPRIM_400000_NS6detail17trampoline_kernelINS0_14default_configENS1_20scan_config_selectorIN3c107complexIfEEEEZZNS1_9scan_implILNS1_25lookback_scan_determinismE0ELb0ELb0ES3_PKS7_PS7_S7_ZZZN2at6native31launch_logcumsumexp_cuda_kernelERKNSE_10TensorBaseESI_lENKUlvE_clEvENKUlvE2_clEvEUlS7_S7_E_S7_EEDaPvRmT3_T4_T5_mT6_P12ihipStream_tbENKUlT_T0_E_clISt17integral_constantIbLb0EESZ_EEDaSU_SV_EUlSU_E0_NS1_11comp_targetILNS1_3genE4ELNS1_11target_archE910ELNS1_3gpuE8ELNS1_3repE0EEENS1_30default_config_static_selectorELNS0_4arch9wavefront6targetE1EEEvT1_: ; @_ZN7rocprim17ROCPRIM_400000_NS6detail17trampoline_kernelINS0_14default_configENS1_20scan_config_selectorIN3c107complexIfEEEEZZNS1_9scan_implILNS1_25lookback_scan_determinismE0ELb0ELb0ES3_PKS7_PS7_S7_ZZZN2at6native31launch_logcumsumexp_cuda_kernelERKNSE_10TensorBaseESI_lENKUlvE_clEvENKUlvE2_clEvEUlS7_S7_E_S7_EEDaPvRmT3_T4_T5_mT6_P12ihipStream_tbENKUlT_T0_E_clISt17integral_constantIbLb0EESZ_EEDaSU_SV_EUlSU_E0_NS1_11comp_targetILNS1_3genE4ELNS1_11target_archE910ELNS1_3gpuE8ELNS1_3repE0EEENS1_30default_config_static_selectorELNS0_4arch9wavefront6targetE1EEEvT1_
; %bb.0:
	.section	.rodata,"a",@progbits
	.p2align	6, 0x0
	.amdhsa_kernel _ZN7rocprim17ROCPRIM_400000_NS6detail17trampoline_kernelINS0_14default_configENS1_20scan_config_selectorIN3c107complexIfEEEEZZNS1_9scan_implILNS1_25lookback_scan_determinismE0ELb0ELb0ES3_PKS7_PS7_S7_ZZZN2at6native31launch_logcumsumexp_cuda_kernelERKNSE_10TensorBaseESI_lENKUlvE_clEvENKUlvE2_clEvEUlS7_S7_E_S7_EEDaPvRmT3_T4_T5_mT6_P12ihipStream_tbENKUlT_T0_E_clISt17integral_constantIbLb0EESZ_EEDaSU_SV_EUlSU_E0_NS1_11comp_targetILNS1_3genE4ELNS1_11target_archE910ELNS1_3gpuE8ELNS1_3repE0EEENS1_30default_config_static_selectorELNS0_4arch9wavefront6targetE1EEEvT1_
		.amdhsa_group_segment_fixed_size 0
		.amdhsa_private_segment_fixed_size 0
		.amdhsa_kernarg_size 40
		.amdhsa_user_sgpr_count 6
		.amdhsa_user_sgpr_private_segment_buffer 1
		.amdhsa_user_sgpr_dispatch_ptr 0
		.amdhsa_user_sgpr_queue_ptr 0
		.amdhsa_user_sgpr_kernarg_segment_ptr 1
		.amdhsa_user_sgpr_dispatch_id 0
		.amdhsa_user_sgpr_flat_scratch_init 0
		.amdhsa_user_sgpr_private_segment_size 0
		.amdhsa_uses_dynamic_stack 0
		.amdhsa_system_sgpr_private_segment_wavefront_offset 0
		.amdhsa_system_sgpr_workgroup_id_x 1
		.amdhsa_system_sgpr_workgroup_id_y 0
		.amdhsa_system_sgpr_workgroup_id_z 0
		.amdhsa_system_sgpr_workgroup_info 0
		.amdhsa_system_vgpr_workitem_id 0
		.amdhsa_next_free_vgpr 1
		.amdhsa_next_free_sgpr 0
		.amdhsa_reserve_vcc 0
		.amdhsa_reserve_flat_scratch 0
		.amdhsa_float_round_mode_32 0
		.amdhsa_float_round_mode_16_64 0
		.amdhsa_float_denorm_mode_32 3
		.amdhsa_float_denorm_mode_16_64 3
		.amdhsa_dx10_clamp 1
		.amdhsa_ieee_mode 1
		.amdhsa_fp16_overflow 0
		.amdhsa_exception_fp_ieee_invalid_op 0
		.amdhsa_exception_fp_denorm_src 0
		.amdhsa_exception_fp_ieee_div_zero 0
		.amdhsa_exception_fp_ieee_overflow 0
		.amdhsa_exception_fp_ieee_underflow 0
		.amdhsa_exception_fp_ieee_inexact 0
		.amdhsa_exception_int_div_zero 0
	.end_amdhsa_kernel
	.section	.text._ZN7rocprim17ROCPRIM_400000_NS6detail17trampoline_kernelINS0_14default_configENS1_20scan_config_selectorIN3c107complexIfEEEEZZNS1_9scan_implILNS1_25lookback_scan_determinismE0ELb0ELb0ES3_PKS7_PS7_S7_ZZZN2at6native31launch_logcumsumexp_cuda_kernelERKNSE_10TensorBaseESI_lENKUlvE_clEvENKUlvE2_clEvEUlS7_S7_E_S7_EEDaPvRmT3_T4_T5_mT6_P12ihipStream_tbENKUlT_T0_E_clISt17integral_constantIbLb0EESZ_EEDaSU_SV_EUlSU_E0_NS1_11comp_targetILNS1_3genE4ELNS1_11target_archE910ELNS1_3gpuE8ELNS1_3repE0EEENS1_30default_config_static_selectorELNS0_4arch9wavefront6targetE1EEEvT1_,"axG",@progbits,_ZN7rocprim17ROCPRIM_400000_NS6detail17trampoline_kernelINS0_14default_configENS1_20scan_config_selectorIN3c107complexIfEEEEZZNS1_9scan_implILNS1_25lookback_scan_determinismE0ELb0ELb0ES3_PKS7_PS7_S7_ZZZN2at6native31launch_logcumsumexp_cuda_kernelERKNSE_10TensorBaseESI_lENKUlvE_clEvENKUlvE2_clEvEUlS7_S7_E_S7_EEDaPvRmT3_T4_T5_mT6_P12ihipStream_tbENKUlT_T0_E_clISt17integral_constantIbLb0EESZ_EEDaSU_SV_EUlSU_E0_NS1_11comp_targetILNS1_3genE4ELNS1_11target_archE910ELNS1_3gpuE8ELNS1_3repE0EEENS1_30default_config_static_selectorELNS0_4arch9wavefront6targetE1EEEvT1_,comdat
.Lfunc_end283:
	.size	_ZN7rocprim17ROCPRIM_400000_NS6detail17trampoline_kernelINS0_14default_configENS1_20scan_config_selectorIN3c107complexIfEEEEZZNS1_9scan_implILNS1_25lookback_scan_determinismE0ELb0ELb0ES3_PKS7_PS7_S7_ZZZN2at6native31launch_logcumsumexp_cuda_kernelERKNSE_10TensorBaseESI_lENKUlvE_clEvENKUlvE2_clEvEUlS7_S7_E_S7_EEDaPvRmT3_T4_T5_mT6_P12ihipStream_tbENKUlT_T0_E_clISt17integral_constantIbLb0EESZ_EEDaSU_SV_EUlSU_E0_NS1_11comp_targetILNS1_3genE4ELNS1_11target_archE910ELNS1_3gpuE8ELNS1_3repE0EEENS1_30default_config_static_selectorELNS0_4arch9wavefront6targetE1EEEvT1_, .Lfunc_end283-_ZN7rocprim17ROCPRIM_400000_NS6detail17trampoline_kernelINS0_14default_configENS1_20scan_config_selectorIN3c107complexIfEEEEZZNS1_9scan_implILNS1_25lookback_scan_determinismE0ELb0ELb0ES3_PKS7_PS7_S7_ZZZN2at6native31launch_logcumsumexp_cuda_kernelERKNSE_10TensorBaseESI_lENKUlvE_clEvENKUlvE2_clEvEUlS7_S7_E_S7_EEDaPvRmT3_T4_T5_mT6_P12ihipStream_tbENKUlT_T0_E_clISt17integral_constantIbLb0EESZ_EEDaSU_SV_EUlSU_E0_NS1_11comp_targetILNS1_3genE4ELNS1_11target_archE910ELNS1_3gpuE8ELNS1_3repE0EEENS1_30default_config_static_selectorELNS0_4arch9wavefront6targetE1EEEvT1_
                                        ; -- End function
	.set _ZN7rocprim17ROCPRIM_400000_NS6detail17trampoline_kernelINS0_14default_configENS1_20scan_config_selectorIN3c107complexIfEEEEZZNS1_9scan_implILNS1_25lookback_scan_determinismE0ELb0ELb0ES3_PKS7_PS7_S7_ZZZN2at6native31launch_logcumsumexp_cuda_kernelERKNSE_10TensorBaseESI_lENKUlvE_clEvENKUlvE2_clEvEUlS7_S7_E_S7_EEDaPvRmT3_T4_T5_mT6_P12ihipStream_tbENKUlT_T0_E_clISt17integral_constantIbLb0EESZ_EEDaSU_SV_EUlSU_E0_NS1_11comp_targetILNS1_3genE4ELNS1_11target_archE910ELNS1_3gpuE8ELNS1_3repE0EEENS1_30default_config_static_selectorELNS0_4arch9wavefront6targetE1EEEvT1_.num_vgpr, 0
	.set _ZN7rocprim17ROCPRIM_400000_NS6detail17trampoline_kernelINS0_14default_configENS1_20scan_config_selectorIN3c107complexIfEEEEZZNS1_9scan_implILNS1_25lookback_scan_determinismE0ELb0ELb0ES3_PKS7_PS7_S7_ZZZN2at6native31launch_logcumsumexp_cuda_kernelERKNSE_10TensorBaseESI_lENKUlvE_clEvENKUlvE2_clEvEUlS7_S7_E_S7_EEDaPvRmT3_T4_T5_mT6_P12ihipStream_tbENKUlT_T0_E_clISt17integral_constantIbLb0EESZ_EEDaSU_SV_EUlSU_E0_NS1_11comp_targetILNS1_3genE4ELNS1_11target_archE910ELNS1_3gpuE8ELNS1_3repE0EEENS1_30default_config_static_selectorELNS0_4arch9wavefront6targetE1EEEvT1_.num_agpr, 0
	.set _ZN7rocprim17ROCPRIM_400000_NS6detail17trampoline_kernelINS0_14default_configENS1_20scan_config_selectorIN3c107complexIfEEEEZZNS1_9scan_implILNS1_25lookback_scan_determinismE0ELb0ELb0ES3_PKS7_PS7_S7_ZZZN2at6native31launch_logcumsumexp_cuda_kernelERKNSE_10TensorBaseESI_lENKUlvE_clEvENKUlvE2_clEvEUlS7_S7_E_S7_EEDaPvRmT3_T4_T5_mT6_P12ihipStream_tbENKUlT_T0_E_clISt17integral_constantIbLb0EESZ_EEDaSU_SV_EUlSU_E0_NS1_11comp_targetILNS1_3genE4ELNS1_11target_archE910ELNS1_3gpuE8ELNS1_3repE0EEENS1_30default_config_static_selectorELNS0_4arch9wavefront6targetE1EEEvT1_.numbered_sgpr, 0
	.set _ZN7rocprim17ROCPRIM_400000_NS6detail17trampoline_kernelINS0_14default_configENS1_20scan_config_selectorIN3c107complexIfEEEEZZNS1_9scan_implILNS1_25lookback_scan_determinismE0ELb0ELb0ES3_PKS7_PS7_S7_ZZZN2at6native31launch_logcumsumexp_cuda_kernelERKNSE_10TensorBaseESI_lENKUlvE_clEvENKUlvE2_clEvEUlS7_S7_E_S7_EEDaPvRmT3_T4_T5_mT6_P12ihipStream_tbENKUlT_T0_E_clISt17integral_constantIbLb0EESZ_EEDaSU_SV_EUlSU_E0_NS1_11comp_targetILNS1_3genE4ELNS1_11target_archE910ELNS1_3gpuE8ELNS1_3repE0EEENS1_30default_config_static_selectorELNS0_4arch9wavefront6targetE1EEEvT1_.num_named_barrier, 0
	.set _ZN7rocprim17ROCPRIM_400000_NS6detail17trampoline_kernelINS0_14default_configENS1_20scan_config_selectorIN3c107complexIfEEEEZZNS1_9scan_implILNS1_25lookback_scan_determinismE0ELb0ELb0ES3_PKS7_PS7_S7_ZZZN2at6native31launch_logcumsumexp_cuda_kernelERKNSE_10TensorBaseESI_lENKUlvE_clEvENKUlvE2_clEvEUlS7_S7_E_S7_EEDaPvRmT3_T4_T5_mT6_P12ihipStream_tbENKUlT_T0_E_clISt17integral_constantIbLb0EESZ_EEDaSU_SV_EUlSU_E0_NS1_11comp_targetILNS1_3genE4ELNS1_11target_archE910ELNS1_3gpuE8ELNS1_3repE0EEENS1_30default_config_static_selectorELNS0_4arch9wavefront6targetE1EEEvT1_.private_seg_size, 0
	.set _ZN7rocprim17ROCPRIM_400000_NS6detail17trampoline_kernelINS0_14default_configENS1_20scan_config_selectorIN3c107complexIfEEEEZZNS1_9scan_implILNS1_25lookback_scan_determinismE0ELb0ELb0ES3_PKS7_PS7_S7_ZZZN2at6native31launch_logcumsumexp_cuda_kernelERKNSE_10TensorBaseESI_lENKUlvE_clEvENKUlvE2_clEvEUlS7_S7_E_S7_EEDaPvRmT3_T4_T5_mT6_P12ihipStream_tbENKUlT_T0_E_clISt17integral_constantIbLb0EESZ_EEDaSU_SV_EUlSU_E0_NS1_11comp_targetILNS1_3genE4ELNS1_11target_archE910ELNS1_3gpuE8ELNS1_3repE0EEENS1_30default_config_static_selectorELNS0_4arch9wavefront6targetE1EEEvT1_.uses_vcc, 0
	.set _ZN7rocprim17ROCPRIM_400000_NS6detail17trampoline_kernelINS0_14default_configENS1_20scan_config_selectorIN3c107complexIfEEEEZZNS1_9scan_implILNS1_25lookback_scan_determinismE0ELb0ELb0ES3_PKS7_PS7_S7_ZZZN2at6native31launch_logcumsumexp_cuda_kernelERKNSE_10TensorBaseESI_lENKUlvE_clEvENKUlvE2_clEvEUlS7_S7_E_S7_EEDaPvRmT3_T4_T5_mT6_P12ihipStream_tbENKUlT_T0_E_clISt17integral_constantIbLb0EESZ_EEDaSU_SV_EUlSU_E0_NS1_11comp_targetILNS1_3genE4ELNS1_11target_archE910ELNS1_3gpuE8ELNS1_3repE0EEENS1_30default_config_static_selectorELNS0_4arch9wavefront6targetE1EEEvT1_.uses_flat_scratch, 0
	.set _ZN7rocprim17ROCPRIM_400000_NS6detail17trampoline_kernelINS0_14default_configENS1_20scan_config_selectorIN3c107complexIfEEEEZZNS1_9scan_implILNS1_25lookback_scan_determinismE0ELb0ELb0ES3_PKS7_PS7_S7_ZZZN2at6native31launch_logcumsumexp_cuda_kernelERKNSE_10TensorBaseESI_lENKUlvE_clEvENKUlvE2_clEvEUlS7_S7_E_S7_EEDaPvRmT3_T4_T5_mT6_P12ihipStream_tbENKUlT_T0_E_clISt17integral_constantIbLb0EESZ_EEDaSU_SV_EUlSU_E0_NS1_11comp_targetILNS1_3genE4ELNS1_11target_archE910ELNS1_3gpuE8ELNS1_3repE0EEENS1_30default_config_static_selectorELNS0_4arch9wavefront6targetE1EEEvT1_.has_dyn_sized_stack, 0
	.set _ZN7rocprim17ROCPRIM_400000_NS6detail17trampoline_kernelINS0_14default_configENS1_20scan_config_selectorIN3c107complexIfEEEEZZNS1_9scan_implILNS1_25lookback_scan_determinismE0ELb0ELb0ES3_PKS7_PS7_S7_ZZZN2at6native31launch_logcumsumexp_cuda_kernelERKNSE_10TensorBaseESI_lENKUlvE_clEvENKUlvE2_clEvEUlS7_S7_E_S7_EEDaPvRmT3_T4_T5_mT6_P12ihipStream_tbENKUlT_T0_E_clISt17integral_constantIbLb0EESZ_EEDaSU_SV_EUlSU_E0_NS1_11comp_targetILNS1_3genE4ELNS1_11target_archE910ELNS1_3gpuE8ELNS1_3repE0EEENS1_30default_config_static_selectorELNS0_4arch9wavefront6targetE1EEEvT1_.has_recursion, 0
	.set _ZN7rocprim17ROCPRIM_400000_NS6detail17trampoline_kernelINS0_14default_configENS1_20scan_config_selectorIN3c107complexIfEEEEZZNS1_9scan_implILNS1_25lookback_scan_determinismE0ELb0ELb0ES3_PKS7_PS7_S7_ZZZN2at6native31launch_logcumsumexp_cuda_kernelERKNSE_10TensorBaseESI_lENKUlvE_clEvENKUlvE2_clEvEUlS7_S7_E_S7_EEDaPvRmT3_T4_T5_mT6_P12ihipStream_tbENKUlT_T0_E_clISt17integral_constantIbLb0EESZ_EEDaSU_SV_EUlSU_E0_NS1_11comp_targetILNS1_3genE4ELNS1_11target_archE910ELNS1_3gpuE8ELNS1_3repE0EEENS1_30default_config_static_selectorELNS0_4arch9wavefront6targetE1EEEvT1_.has_indirect_call, 0
	.section	.AMDGPU.csdata,"",@progbits
; Kernel info:
; codeLenInByte = 0
; TotalNumSgprs: 4
; NumVgprs: 0
; ScratchSize: 0
; MemoryBound: 0
; FloatMode: 240
; IeeeMode: 1
; LDSByteSize: 0 bytes/workgroup (compile time only)
; SGPRBlocks: 0
; VGPRBlocks: 0
; NumSGPRsForWavesPerEU: 4
; NumVGPRsForWavesPerEU: 1
; Occupancy: 10
; WaveLimiterHint : 0
; COMPUTE_PGM_RSRC2:SCRATCH_EN: 0
; COMPUTE_PGM_RSRC2:USER_SGPR: 6
; COMPUTE_PGM_RSRC2:TRAP_HANDLER: 0
; COMPUTE_PGM_RSRC2:TGID_X_EN: 1
; COMPUTE_PGM_RSRC2:TGID_Y_EN: 0
; COMPUTE_PGM_RSRC2:TGID_Z_EN: 0
; COMPUTE_PGM_RSRC2:TIDIG_COMP_CNT: 0
	.section	.text._ZN7rocprim17ROCPRIM_400000_NS6detail17trampoline_kernelINS0_14default_configENS1_20scan_config_selectorIN3c107complexIfEEEEZZNS1_9scan_implILNS1_25lookback_scan_determinismE0ELb0ELb0ES3_PKS7_PS7_S7_ZZZN2at6native31launch_logcumsumexp_cuda_kernelERKNSE_10TensorBaseESI_lENKUlvE_clEvENKUlvE2_clEvEUlS7_S7_E_S7_EEDaPvRmT3_T4_T5_mT6_P12ihipStream_tbENKUlT_T0_E_clISt17integral_constantIbLb0EESZ_EEDaSU_SV_EUlSU_E0_NS1_11comp_targetILNS1_3genE3ELNS1_11target_archE908ELNS1_3gpuE7ELNS1_3repE0EEENS1_30default_config_static_selectorELNS0_4arch9wavefront6targetE1EEEvT1_,"axG",@progbits,_ZN7rocprim17ROCPRIM_400000_NS6detail17trampoline_kernelINS0_14default_configENS1_20scan_config_selectorIN3c107complexIfEEEEZZNS1_9scan_implILNS1_25lookback_scan_determinismE0ELb0ELb0ES3_PKS7_PS7_S7_ZZZN2at6native31launch_logcumsumexp_cuda_kernelERKNSE_10TensorBaseESI_lENKUlvE_clEvENKUlvE2_clEvEUlS7_S7_E_S7_EEDaPvRmT3_T4_T5_mT6_P12ihipStream_tbENKUlT_T0_E_clISt17integral_constantIbLb0EESZ_EEDaSU_SV_EUlSU_E0_NS1_11comp_targetILNS1_3genE3ELNS1_11target_archE908ELNS1_3gpuE7ELNS1_3repE0EEENS1_30default_config_static_selectorELNS0_4arch9wavefront6targetE1EEEvT1_,comdat
	.globl	_ZN7rocprim17ROCPRIM_400000_NS6detail17trampoline_kernelINS0_14default_configENS1_20scan_config_selectorIN3c107complexIfEEEEZZNS1_9scan_implILNS1_25lookback_scan_determinismE0ELb0ELb0ES3_PKS7_PS7_S7_ZZZN2at6native31launch_logcumsumexp_cuda_kernelERKNSE_10TensorBaseESI_lENKUlvE_clEvENKUlvE2_clEvEUlS7_S7_E_S7_EEDaPvRmT3_T4_T5_mT6_P12ihipStream_tbENKUlT_T0_E_clISt17integral_constantIbLb0EESZ_EEDaSU_SV_EUlSU_E0_NS1_11comp_targetILNS1_3genE3ELNS1_11target_archE908ELNS1_3gpuE7ELNS1_3repE0EEENS1_30default_config_static_selectorELNS0_4arch9wavefront6targetE1EEEvT1_ ; -- Begin function _ZN7rocprim17ROCPRIM_400000_NS6detail17trampoline_kernelINS0_14default_configENS1_20scan_config_selectorIN3c107complexIfEEEEZZNS1_9scan_implILNS1_25lookback_scan_determinismE0ELb0ELb0ES3_PKS7_PS7_S7_ZZZN2at6native31launch_logcumsumexp_cuda_kernelERKNSE_10TensorBaseESI_lENKUlvE_clEvENKUlvE2_clEvEUlS7_S7_E_S7_EEDaPvRmT3_T4_T5_mT6_P12ihipStream_tbENKUlT_T0_E_clISt17integral_constantIbLb0EESZ_EEDaSU_SV_EUlSU_E0_NS1_11comp_targetILNS1_3genE3ELNS1_11target_archE908ELNS1_3gpuE7ELNS1_3repE0EEENS1_30default_config_static_selectorELNS0_4arch9wavefront6targetE1EEEvT1_
	.p2align	8
	.type	_ZN7rocprim17ROCPRIM_400000_NS6detail17trampoline_kernelINS0_14default_configENS1_20scan_config_selectorIN3c107complexIfEEEEZZNS1_9scan_implILNS1_25lookback_scan_determinismE0ELb0ELb0ES3_PKS7_PS7_S7_ZZZN2at6native31launch_logcumsumexp_cuda_kernelERKNSE_10TensorBaseESI_lENKUlvE_clEvENKUlvE2_clEvEUlS7_S7_E_S7_EEDaPvRmT3_T4_T5_mT6_P12ihipStream_tbENKUlT_T0_E_clISt17integral_constantIbLb0EESZ_EEDaSU_SV_EUlSU_E0_NS1_11comp_targetILNS1_3genE3ELNS1_11target_archE908ELNS1_3gpuE7ELNS1_3repE0EEENS1_30default_config_static_selectorELNS0_4arch9wavefront6targetE1EEEvT1_,@function
_ZN7rocprim17ROCPRIM_400000_NS6detail17trampoline_kernelINS0_14default_configENS1_20scan_config_selectorIN3c107complexIfEEEEZZNS1_9scan_implILNS1_25lookback_scan_determinismE0ELb0ELb0ES3_PKS7_PS7_S7_ZZZN2at6native31launch_logcumsumexp_cuda_kernelERKNSE_10TensorBaseESI_lENKUlvE_clEvENKUlvE2_clEvEUlS7_S7_E_S7_EEDaPvRmT3_T4_T5_mT6_P12ihipStream_tbENKUlT_T0_E_clISt17integral_constantIbLb0EESZ_EEDaSU_SV_EUlSU_E0_NS1_11comp_targetILNS1_3genE3ELNS1_11target_archE908ELNS1_3gpuE7ELNS1_3repE0EEENS1_30default_config_static_selectorELNS0_4arch9wavefront6targetE1EEEvT1_: ; @_ZN7rocprim17ROCPRIM_400000_NS6detail17trampoline_kernelINS0_14default_configENS1_20scan_config_selectorIN3c107complexIfEEEEZZNS1_9scan_implILNS1_25lookback_scan_determinismE0ELb0ELb0ES3_PKS7_PS7_S7_ZZZN2at6native31launch_logcumsumexp_cuda_kernelERKNSE_10TensorBaseESI_lENKUlvE_clEvENKUlvE2_clEvEUlS7_S7_E_S7_EEDaPvRmT3_T4_T5_mT6_P12ihipStream_tbENKUlT_T0_E_clISt17integral_constantIbLb0EESZ_EEDaSU_SV_EUlSU_E0_NS1_11comp_targetILNS1_3genE3ELNS1_11target_archE908ELNS1_3gpuE7ELNS1_3repE0EEENS1_30default_config_static_selectorELNS0_4arch9wavefront6targetE1EEEvT1_
; %bb.0:
	.section	.rodata,"a",@progbits
	.p2align	6, 0x0
	.amdhsa_kernel _ZN7rocprim17ROCPRIM_400000_NS6detail17trampoline_kernelINS0_14default_configENS1_20scan_config_selectorIN3c107complexIfEEEEZZNS1_9scan_implILNS1_25lookback_scan_determinismE0ELb0ELb0ES3_PKS7_PS7_S7_ZZZN2at6native31launch_logcumsumexp_cuda_kernelERKNSE_10TensorBaseESI_lENKUlvE_clEvENKUlvE2_clEvEUlS7_S7_E_S7_EEDaPvRmT3_T4_T5_mT6_P12ihipStream_tbENKUlT_T0_E_clISt17integral_constantIbLb0EESZ_EEDaSU_SV_EUlSU_E0_NS1_11comp_targetILNS1_3genE3ELNS1_11target_archE908ELNS1_3gpuE7ELNS1_3repE0EEENS1_30default_config_static_selectorELNS0_4arch9wavefront6targetE1EEEvT1_
		.amdhsa_group_segment_fixed_size 0
		.amdhsa_private_segment_fixed_size 0
		.amdhsa_kernarg_size 40
		.amdhsa_user_sgpr_count 6
		.amdhsa_user_sgpr_private_segment_buffer 1
		.amdhsa_user_sgpr_dispatch_ptr 0
		.amdhsa_user_sgpr_queue_ptr 0
		.amdhsa_user_sgpr_kernarg_segment_ptr 1
		.amdhsa_user_sgpr_dispatch_id 0
		.amdhsa_user_sgpr_flat_scratch_init 0
		.amdhsa_user_sgpr_private_segment_size 0
		.amdhsa_uses_dynamic_stack 0
		.amdhsa_system_sgpr_private_segment_wavefront_offset 0
		.amdhsa_system_sgpr_workgroup_id_x 1
		.amdhsa_system_sgpr_workgroup_id_y 0
		.amdhsa_system_sgpr_workgroup_id_z 0
		.amdhsa_system_sgpr_workgroup_info 0
		.amdhsa_system_vgpr_workitem_id 0
		.amdhsa_next_free_vgpr 1
		.amdhsa_next_free_sgpr 0
		.amdhsa_reserve_vcc 0
		.amdhsa_reserve_flat_scratch 0
		.amdhsa_float_round_mode_32 0
		.amdhsa_float_round_mode_16_64 0
		.amdhsa_float_denorm_mode_32 3
		.amdhsa_float_denorm_mode_16_64 3
		.amdhsa_dx10_clamp 1
		.amdhsa_ieee_mode 1
		.amdhsa_fp16_overflow 0
		.amdhsa_exception_fp_ieee_invalid_op 0
		.amdhsa_exception_fp_denorm_src 0
		.amdhsa_exception_fp_ieee_div_zero 0
		.amdhsa_exception_fp_ieee_overflow 0
		.amdhsa_exception_fp_ieee_underflow 0
		.amdhsa_exception_fp_ieee_inexact 0
		.amdhsa_exception_int_div_zero 0
	.end_amdhsa_kernel
	.section	.text._ZN7rocprim17ROCPRIM_400000_NS6detail17trampoline_kernelINS0_14default_configENS1_20scan_config_selectorIN3c107complexIfEEEEZZNS1_9scan_implILNS1_25lookback_scan_determinismE0ELb0ELb0ES3_PKS7_PS7_S7_ZZZN2at6native31launch_logcumsumexp_cuda_kernelERKNSE_10TensorBaseESI_lENKUlvE_clEvENKUlvE2_clEvEUlS7_S7_E_S7_EEDaPvRmT3_T4_T5_mT6_P12ihipStream_tbENKUlT_T0_E_clISt17integral_constantIbLb0EESZ_EEDaSU_SV_EUlSU_E0_NS1_11comp_targetILNS1_3genE3ELNS1_11target_archE908ELNS1_3gpuE7ELNS1_3repE0EEENS1_30default_config_static_selectorELNS0_4arch9wavefront6targetE1EEEvT1_,"axG",@progbits,_ZN7rocprim17ROCPRIM_400000_NS6detail17trampoline_kernelINS0_14default_configENS1_20scan_config_selectorIN3c107complexIfEEEEZZNS1_9scan_implILNS1_25lookback_scan_determinismE0ELb0ELb0ES3_PKS7_PS7_S7_ZZZN2at6native31launch_logcumsumexp_cuda_kernelERKNSE_10TensorBaseESI_lENKUlvE_clEvENKUlvE2_clEvEUlS7_S7_E_S7_EEDaPvRmT3_T4_T5_mT6_P12ihipStream_tbENKUlT_T0_E_clISt17integral_constantIbLb0EESZ_EEDaSU_SV_EUlSU_E0_NS1_11comp_targetILNS1_3genE3ELNS1_11target_archE908ELNS1_3gpuE7ELNS1_3repE0EEENS1_30default_config_static_selectorELNS0_4arch9wavefront6targetE1EEEvT1_,comdat
.Lfunc_end284:
	.size	_ZN7rocprim17ROCPRIM_400000_NS6detail17trampoline_kernelINS0_14default_configENS1_20scan_config_selectorIN3c107complexIfEEEEZZNS1_9scan_implILNS1_25lookback_scan_determinismE0ELb0ELb0ES3_PKS7_PS7_S7_ZZZN2at6native31launch_logcumsumexp_cuda_kernelERKNSE_10TensorBaseESI_lENKUlvE_clEvENKUlvE2_clEvEUlS7_S7_E_S7_EEDaPvRmT3_T4_T5_mT6_P12ihipStream_tbENKUlT_T0_E_clISt17integral_constantIbLb0EESZ_EEDaSU_SV_EUlSU_E0_NS1_11comp_targetILNS1_3genE3ELNS1_11target_archE908ELNS1_3gpuE7ELNS1_3repE0EEENS1_30default_config_static_selectorELNS0_4arch9wavefront6targetE1EEEvT1_, .Lfunc_end284-_ZN7rocprim17ROCPRIM_400000_NS6detail17trampoline_kernelINS0_14default_configENS1_20scan_config_selectorIN3c107complexIfEEEEZZNS1_9scan_implILNS1_25lookback_scan_determinismE0ELb0ELb0ES3_PKS7_PS7_S7_ZZZN2at6native31launch_logcumsumexp_cuda_kernelERKNSE_10TensorBaseESI_lENKUlvE_clEvENKUlvE2_clEvEUlS7_S7_E_S7_EEDaPvRmT3_T4_T5_mT6_P12ihipStream_tbENKUlT_T0_E_clISt17integral_constantIbLb0EESZ_EEDaSU_SV_EUlSU_E0_NS1_11comp_targetILNS1_3genE3ELNS1_11target_archE908ELNS1_3gpuE7ELNS1_3repE0EEENS1_30default_config_static_selectorELNS0_4arch9wavefront6targetE1EEEvT1_
                                        ; -- End function
	.set _ZN7rocprim17ROCPRIM_400000_NS6detail17trampoline_kernelINS0_14default_configENS1_20scan_config_selectorIN3c107complexIfEEEEZZNS1_9scan_implILNS1_25lookback_scan_determinismE0ELb0ELb0ES3_PKS7_PS7_S7_ZZZN2at6native31launch_logcumsumexp_cuda_kernelERKNSE_10TensorBaseESI_lENKUlvE_clEvENKUlvE2_clEvEUlS7_S7_E_S7_EEDaPvRmT3_T4_T5_mT6_P12ihipStream_tbENKUlT_T0_E_clISt17integral_constantIbLb0EESZ_EEDaSU_SV_EUlSU_E0_NS1_11comp_targetILNS1_3genE3ELNS1_11target_archE908ELNS1_3gpuE7ELNS1_3repE0EEENS1_30default_config_static_selectorELNS0_4arch9wavefront6targetE1EEEvT1_.num_vgpr, 0
	.set _ZN7rocprim17ROCPRIM_400000_NS6detail17trampoline_kernelINS0_14default_configENS1_20scan_config_selectorIN3c107complexIfEEEEZZNS1_9scan_implILNS1_25lookback_scan_determinismE0ELb0ELb0ES3_PKS7_PS7_S7_ZZZN2at6native31launch_logcumsumexp_cuda_kernelERKNSE_10TensorBaseESI_lENKUlvE_clEvENKUlvE2_clEvEUlS7_S7_E_S7_EEDaPvRmT3_T4_T5_mT6_P12ihipStream_tbENKUlT_T0_E_clISt17integral_constantIbLb0EESZ_EEDaSU_SV_EUlSU_E0_NS1_11comp_targetILNS1_3genE3ELNS1_11target_archE908ELNS1_3gpuE7ELNS1_3repE0EEENS1_30default_config_static_selectorELNS0_4arch9wavefront6targetE1EEEvT1_.num_agpr, 0
	.set _ZN7rocprim17ROCPRIM_400000_NS6detail17trampoline_kernelINS0_14default_configENS1_20scan_config_selectorIN3c107complexIfEEEEZZNS1_9scan_implILNS1_25lookback_scan_determinismE0ELb0ELb0ES3_PKS7_PS7_S7_ZZZN2at6native31launch_logcumsumexp_cuda_kernelERKNSE_10TensorBaseESI_lENKUlvE_clEvENKUlvE2_clEvEUlS7_S7_E_S7_EEDaPvRmT3_T4_T5_mT6_P12ihipStream_tbENKUlT_T0_E_clISt17integral_constantIbLb0EESZ_EEDaSU_SV_EUlSU_E0_NS1_11comp_targetILNS1_3genE3ELNS1_11target_archE908ELNS1_3gpuE7ELNS1_3repE0EEENS1_30default_config_static_selectorELNS0_4arch9wavefront6targetE1EEEvT1_.numbered_sgpr, 0
	.set _ZN7rocprim17ROCPRIM_400000_NS6detail17trampoline_kernelINS0_14default_configENS1_20scan_config_selectorIN3c107complexIfEEEEZZNS1_9scan_implILNS1_25lookback_scan_determinismE0ELb0ELb0ES3_PKS7_PS7_S7_ZZZN2at6native31launch_logcumsumexp_cuda_kernelERKNSE_10TensorBaseESI_lENKUlvE_clEvENKUlvE2_clEvEUlS7_S7_E_S7_EEDaPvRmT3_T4_T5_mT6_P12ihipStream_tbENKUlT_T0_E_clISt17integral_constantIbLb0EESZ_EEDaSU_SV_EUlSU_E0_NS1_11comp_targetILNS1_3genE3ELNS1_11target_archE908ELNS1_3gpuE7ELNS1_3repE0EEENS1_30default_config_static_selectorELNS0_4arch9wavefront6targetE1EEEvT1_.num_named_barrier, 0
	.set _ZN7rocprim17ROCPRIM_400000_NS6detail17trampoline_kernelINS0_14default_configENS1_20scan_config_selectorIN3c107complexIfEEEEZZNS1_9scan_implILNS1_25lookback_scan_determinismE0ELb0ELb0ES3_PKS7_PS7_S7_ZZZN2at6native31launch_logcumsumexp_cuda_kernelERKNSE_10TensorBaseESI_lENKUlvE_clEvENKUlvE2_clEvEUlS7_S7_E_S7_EEDaPvRmT3_T4_T5_mT6_P12ihipStream_tbENKUlT_T0_E_clISt17integral_constantIbLb0EESZ_EEDaSU_SV_EUlSU_E0_NS1_11comp_targetILNS1_3genE3ELNS1_11target_archE908ELNS1_3gpuE7ELNS1_3repE0EEENS1_30default_config_static_selectorELNS0_4arch9wavefront6targetE1EEEvT1_.private_seg_size, 0
	.set _ZN7rocprim17ROCPRIM_400000_NS6detail17trampoline_kernelINS0_14default_configENS1_20scan_config_selectorIN3c107complexIfEEEEZZNS1_9scan_implILNS1_25lookback_scan_determinismE0ELb0ELb0ES3_PKS7_PS7_S7_ZZZN2at6native31launch_logcumsumexp_cuda_kernelERKNSE_10TensorBaseESI_lENKUlvE_clEvENKUlvE2_clEvEUlS7_S7_E_S7_EEDaPvRmT3_T4_T5_mT6_P12ihipStream_tbENKUlT_T0_E_clISt17integral_constantIbLb0EESZ_EEDaSU_SV_EUlSU_E0_NS1_11comp_targetILNS1_3genE3ELNS1_11target_archE908ELNS1_3gpuE7ELNS1_3repE0EEENS1_30default_config_static_selectorELNS0_4arch9wavefront6targetE1EEEvT1_.uses_vcc, 0
	.set _ZN7rocprim17ROCPRIM_400000_NS6detail17trampoline_kernelINS0_14default_configENS1_20scan_config_selectorIN3c107complexIfEEEEZZNS1_9scan_implILNS1_25lookback_scan_determinismE0ELb0ELb0ES3_PKS7_PS7_S7_ZZZN2at6native31launch_logcumsumexp_cuda_kernelERKNSE_10TensorBaseESI_lENKUlvE_clEvENKUlvE2_clEvEUlS7_S7_E_S7_EEDaPvRmT3_T4_T5_mT6_P12ihipStream_tbENKUlT_T0_E_clISt17integral_constantIbLb0EESZ_EEDaSU_SV_EUlSU_E0_NS1_11comp_targetILNS1_3genE3ELNS1_11target_archE908ELNS1_3gpuE7ELNS1_3repE0EEENS1_30default_config_static_selectorELNS0_4arch9wavefront6targetE1EEEvT1_.uses_flat_scratch, 0
	.set _ZN7rocprim17ROCPRIM_400000_NS6detail17trampoline_kernelINS0_14default_configENS1_20scan_config_selectorIN3c107complexIfEEEEZZNS1_9scan_implILNS1_25lookback_scan_determinismE0ELb0ELb0ES3_PKS7_PS7_S7_ZZZN2at6native31launch_logcumsumexp_cuda_kernelERKNSE_10TensorBaseESI_lENKUlvE_clEvENKUlvE2_clEvEUlS7_S7_E_S7_EEDaPvRmT3_T4_T5_mT6_P12ihipStream_tbENKUlT_T0_E_clISt17integral_constantIbLb0EESZ_EEDaSU_SV_EUlSU_E0_NS1_11comp_targetILNS1_3genE3ELNS1_11target_archE908ELNS1_3gpuE7ELNS1_3repE0EEENS1_30default_config_static_selectorELNS0_4arch9wavefront6targetE1EEEvT1_.has_dyn_sized_stack, 0
	.set _ZN7rocprim17ROCPRIM_400000_NS6detail17trampoline_kernelINS0_14default_configENS1_20scan_config_selectorIN3c107complexIfEEEEZZNS1_9scan_implILNS1_25lookback_scan_determinismE0ELb0ELb0ES3_PKS7_PS7_S7_ZZZN2at6native31launch_logcumsumexp_cuda_kernelERKNSE_10TensorBaseESI_lENKUlvE_clEvENKUlvE2_clEvEUlS7_S7_E_S7_EEDaPvRmT3_T4_T5_mT6_P12ihipStream_tbENKUlT_T0_E_clISt17integral_constantIbLb0EESZ_EEDaSU_SV_EUlSU_E0_NS1_11comp_targetILNS1_3genE3ELNS1_11target_archE908ELNS1_3gpuE7ELNS1_3repE0EEENS1_30default_config_static_selectorELNS0_4arch9wavefront6targetE1EEEvT1_.has_recursion, 0
	.set _ZN7rocprim17ROCPRIM_400000_NS6detail17trampoline_kernelINS0_14default_configENS1_20scan_config_selectorIN3c107complexIfEEEEZZNS1_9scan_implILNS1_25lookback_scan_determinismE0ELb0ELb0ES3_PKS7_PS7_S7_ZZZN2at6native31launch_logcumsumexp_cuda_kernelERKNSE_10TensorBaseESI_lENKUlvE_clEvENKUlvE2_clEvEUlS7_S7_E_S7_EEDaPvRmT3_T4_T5_mT6_P12ihipStream_tbENKUlT_T0_E_clISt17integral_constantIbLb0EESZ_EEDaSU_SV_EUlSU_E0_NS1_11comp_targetILNS1_3genE3ELNS1_11target_archE908ELNS1_3gpuE7ELNS1_3repE0EEENS1_30default_config_static_selectorELNS0_4arch9wavefront6targetE1EEEvT1_.has_indirect_call, 0
	.section	.AMDGPU.csdata,"",@progbits
; Kernel info:
; codeLenInByte = 0
; TotalNumSgprs: 4
; NumVgprs: 0
; ScratchSize: 0
; MemoryBound: 0
; FloatMode: 240
; IeeeMode: 1
; LDSByteSize: 0 bytes/workgroup (compile time only)
; SGPRBlocks: 0
; VGPRBlocks: 0
; NumSGPRsForWavesPerEU: 4
; NumVGPRsForWavesPerEU: 1
; Occupancy: 10
; WaveLimiterHint : 0
; COMPUTE_PGM_RSRC2:SCRATCH_EN: 0
; COMPUTE_PGM_RSRC2:USER_SGPR: 6
; COMPUTE_PGM_RSRC2:TRAP_HANDLER: 0
; COMPUTE_PGM_RSRC2:TGID_X_EN: 1
; COMPUTE_PGM_RSRC2:TGID_Y_EN: 0
; COMPUTE_PGM_RSRC2:TGID_Z_EN: 0
; COMPUTE_PGM_RSRC2:TIDIG_COMP_CNT: 0
	.section	.text._ZN7rocprim17ROCPRIM_400000_NS6detail17trampoline_kernelINS0_14default_configENS1_20scan_config_selectorIN3c107complexIfEEEEZZNS1_9scan_implILNS1_25lookback_scan_determinismE0ELb0ELb0ES3_PKS7_PS7_S7_ZZZN2at6native31launch_logcumsumexp_cuda_kernelERKNSE_10TensorBaseESI_lENKUlvE_clEvENKUlvE2_clEvEUlS7_S7_E_S7_EEDaPvRmT3_T4_T5_mT6_P12ihipStream_tbENKUlT_T0_E_clISt17integral_constantIbLb0EESZ_EEDaSU_SV_EUlSU_E0_NS1_11comp_targetILNS1_3genE2ELNS1_11target_archE906ELNS1_3gpuE6ELNS1_3repE0EEENS1_30default_config_static_selectorELNS0_4arch9wavefront6targetE1EEEvT1_,"axG",@progbits,_ZN7rocprim17ROCPRIM_400000_NS6detail17trampoline_kernelINS0_14default_configENS1_20scan_config_selectorIN3c107complexIfEEEEZZNS1_9scan_implILNS1_25lookback_scan_determinismE0ELb0ELb0ES3_PKS7_PS7_S7_ZZZN2at6native31launch_logcumsumexp_cuda_kernelERKNSE_10TensorBaseESI_lENKUlvE_clEvENKUlvE2_clEvEUlS7_S7_E_S7_EEDaPvRmT3_T4_T5_mT6_P12ihipStream_tbENKUlT_T0_E_clISt17integral_constantIbLb0EESZ_EEDaSU_SV_EUlSU_E0_NS1_11comp_targetILNS1_3genE2ELNS1_11target_archE906ELNS1_3gpuE6ELNS1_3repE0EEENS1_30default_config_static_selectorELNS0_4arch9wavefront6targetE1EEEvT1_,comdat
	.globl	_ZN7rocprim17ROCPRIM_400000_NS6detail17trampoline_kernelINS0_14default_configENS1_20scan_config_selectorIN3c107complexIfEEEEZZNS1_9scan_implILNS1_25lookback_scan_determinismE0ELb0ELb0ES3_PKS7_PS7_S7_ZZZN2at6native31launch_logcumsumexp_cuda_kernelERKNSE_10TensorBaseESI_lENKUlvE_clEvENKUlvE2_clEvEUlS7_S7_E_S7_EEDaPvRmT3_T4_T5_mT6_P12ihipStream_tbENKUlT_T0_E_clISt17integral_constantIbLb0EESZ_EEDaSU_SV_EUlSU_E0_NS1_11comp_targetILNS1_3genE2ELNS1_11target_archE906ELNS1_3gpuE6ELNS1_3repE0EEENS1_30default_config_static_selectorELNS0_4arch9wavefront6targetE1EEEvT1_ ; -- Begin function _ZN7rocprim17ROCPRIM_400000_NS6detail17trampoline_kernelINS0_14default_configENS1_20scan_config_selectorIN3c107complexIfEEEEZZNS1_9scan_implILNS1_25lookback_scan_determinismE0ELb0ELb0ES3_PKS7_PS7_S7_ZZZN2at6native31launch_logcumsumexp_cuda_kernelERKNSE_10TensorBaseESI_lENKUlvE_clEvENKUlvE2_clEvEUlS7_S7_E_S7_EEDaPvRmT3_T4_T5_mT6_P12ihipStream_tbENKUlT_T0_E_clISt17integral_constantIbLb0EESZ_EEDaSU_SV_EUlSU_E0_NS1_11comp_targetILNS1_3genE2ELNS1_11target_archE906ELNS1_3gpuE6ELNS1_3repE0EEENS1_30default_config_static_selectorELNS0_4arch9wavefront6targetE1EEEvT1_
	.p2align	8
	.type	_ZN7rocprim17ROCPRIM_400000_NS6detail17trampoline_kernelINS0_14default_configENS1_20scan_config_selectorIN3c107complexIfEEEEZZNS1_9scan_implILNS1_25lookback_scan_determinismE0ELb0ELb0ES3_PKS7_PS7_S7_ZZZN2at6native31launch_logcumsumexp_cuda_kernelERKNSE_10TensorBaseESI_lENKUlvE_clEvENKUlvE2_clEvEUlS7_S7_E_S7_EEDaPvRmT3_T4_T5_mT6_P12ihipStream_tbENKUlT_T0_E_clISt17integral_constantIbLb0EESZ_EEDaSU_SV_EUlSU_E0_NS1_11comp_targetILNS1_3genE2ELNS1_11target_archE906ELNS1_3gpuE6ELNS1_3repE0EEENS1_30default_config_static_selectorELNS0_4arch9wavefront6targetE1EEEvT1_,@function
_ZN7rocprim17ROCPRIM_400000_NS6detail17trampoline_kernelINS0_14default_configENS1_20scan_config_selectorIN3c107complexIfEEEEZZNS1_9scan_implILNS1_25lookback_scan_determinismE0ELb0ELb0ES3_PKS7_PS7_S7_ZZZN2at6native31launch_logcumsumexp_cuda_kernelERKNSE_10TensorBaseESI_lENKUlvE_clEvENKUlvE2_clEvEUlS7_S7_E_S7_EEDaPvRmT3_T4_T5_mT6_P12ihipStream_tbENKUlT_T0_E_clISt17integral_constantIbLb0EESZ_EEDaSU_SV_EUlSU_E0_NS1_11comp_targetILNS1_3genE2ELNS1_11target_archE906ELNS1_3gpuE6ELNS1_3repE0EEENS1_30default_config_static_selectorELNS0_4arch9wavefront6targetE1EEEvT1_: ; @_ZN7rocprim17ROCPRIM_400000_NS6detail17trampoline_kernelINS0_14default_configENS1_20scan_config_selectorIN3c107complexIfEEEEZZNS1_9scan_implILNS1_25lookback_scan_determinismE0ELb0ELb0ES3_PKS7_PS7_S7_ZZZN2at6native31launch_logcumsumexp_cuda_kernelERKNSE_10TensorBaseESI_lENKUlvE_clEvENKUlvE2_clEvEUlS7_S7_E_S7_EEDaPvRmT3_T4_T5_mT6_P12ihipStream_tbENKUlT_T0_E_clISt17integral_constantIbLb0EESZ_EEDaSU_SV_EUlSU_E0_NS1_11comp_targetILNS1_3genE2ELNS1_11target_archE906ELNS1_3gpuE6ELNS1_3repE0EEENS1_30default_config_static_selectorELNS0_4arch9wavefront6targetE1EEEvT1_
; %bb.0:
	s_mov_b64 s[52:53], s[4:5]
	s_add_u32 s0, s0, s7
	s_load_dwordx4 s[4:7], s[52:53], 0x0
	v_mov_b32_e32 v74, v0
	s_addc_u32 s1, s1, 0
	v_lshlrev_b32_e32 v77, 3, v74
	s_mov_b32 s32, 0
	s_waitcnt lgkmcnt(0)
	s_load_dwordx2 s[8:9], s[4:5], 0x0
	v_cmp_gt_u32_e64 s[20:21], s6, v74
	s_waitcnt lgkmcnt(0)
	v_mov_b32_e32 v1, s9
	v_mov_b32_e32 v0, s8
	s_and_saveexec_b64 s[10:11], s[20:21]
	s_cbranch_execz .LBB285_2
; %bb.1:
	global_load_dwordx2 v[0:1], v77, s[4:5]
.LBB285_2:
	s_or_b64 exec, exec, s[10:11]
	v_or_b32_e32 v2, 64, v74
	v_cmp_gt_u32_e64 s[22:23], s6, v2
	v_mov_b32_e32 v3, s9
	v_mov_b32_e32 v2, s8
	s_and_saveexec_b64 s[10:11], s[22:23]
	s_cbranch_execz .LBB285_4
; %bb.3:
	global_load_dwordx2 v[2:3], v77, s[4:5] offset:512
.LBB285_4:
	s_or_b64 exec, exec, s[10:11]
	v_or_b32_e32 v4, 0x80, v74
	v_cmp_gt_u32_e64 s[24:25], s6, v4
	v_mov_b32_e32 v5, s9
	v_mov_b32_e32 v4, s8
	s_and_saveexec_b64 s[10:11], s[24:25]
	s_cbranch_execz .LBB285_6
; %bb.5:
	global_load_dwordx2 v[4:5], v77, s[4:5] offset:1024
.LBB285_6:
	;; [unrolled: 10-line block ×7, first 2 shown]
	s_or_b64 exec, exec, s[10:11]
	v_or_b32_e32 v18, 0x200, v74
	v_cmp_gt_u32_e64 s[40:41], s6, v18
	v_mov_b32_e32 v17, s9
	v_mov_b32_e32 v16, s8
	s_and_saveexec_b64 s[10:11], s[40:41]
	s_cbranch_execz .LBB285_18
; %bb.17:
	v_lshlrev_b32_e32 v16, 3, v18
	global_load_dwordx2 v[16:17], v16, s[4:5]
.LBB285_18:
	s_or_b64 exec, exec, s[10:11]
	v_or_b32_e32 v20, 0x240, v74
	v_cmp_gt_u32_e64 s[42:43], s6, v20
	v_mov_b32_e32 v19, s9
	v_mov_b32_e32 v18, s8
	s_and_saveexec_b64 s[10:11], s[42:43]
	s_cbranch_execz .LBB285_20
; %bb.19:
	v_lshlrev_b32_e32 v18, 3, v20
	global_load_dwordx2 v[18:19], v18, s[4:5]
.LBB285_20:
	;; [unrolled: 11-line block ×6, first 2 shown]
	s_or_b64 exec, exec, s[6:7]
	s_movk_i32 s4, 0x68
	s_waitcnt vmcnt(0)
	ds_write2st64_b64 v77, v[0:1], v[2:3] offset1:1
	ds_write2st64_b64 v77, v[4:5], v[6:7] offset0:2 offset1:3
	ds_write2st64_b64 v77, v[8:9], v[10:11] offset0:4 offset1:5
	;; [unrolled: 1-line block ×6, first 2 shown]
	v_mad_u32_u24 v0, v74, s4, v77
	s_waitcnt lgkmcnt(0)
	; wave barrier
	ds_read_b128 v[22:25], v0
	ds_read_b128 v[58:61], v0 offset:16
	ds_read_b128 v[54:57], v0 offset:32
	;; [unrolled: 1-line block ×6, first 2 shown]
	s_getpc_b64 s[54:55]
	s_add_u32 s54, s54, _ZZZZN2at6native31launch_logcumsumexp_cuda_kernelERKNS_10TensorBaseES3_lENKUlvE_clEvENKUlvE2_clEvENKUlN3c107complexIfEES8_E_clES8_S8_@rel32@lo+4
	s_addc_u32 s55, s55, _ZZZZN2at6native31launch_logcumsumexp_cuda_kernelERKNS_10TensorBaseES3_lENKUlvE_clEvENKUlvE2_clEvENKUlN3c107complexIfEES8_E_clES8_S8_@rel32@hi+12
	s_waitcnt lgkmcnt(6)
	v_mov_b32_e32 v0, v22
	v_mov_b32_e32 v1, v23
	;; [unrolled: 1-line block ×4, first 2 shown]
	s_waitcnt lgkmcnt(0)
	; wave barrier
	s_swappc_b64 s[30:31], s[54:55]
	v_mov_b32_e32 v2, v58
	v_mov_b32_e32 v3, v59
	v_mov_b32_e32 v75, v0
	v_mov_b32_e32 v76, v1
	s_swappc_b64 s[30:31], s[54:55]
	v_mov_b32_e32 v2, v60
	v_mov_b32_e32 v3, v61
	v_mov_b32_e32 v26, v0
	v_mov_b32_e32 v27, v1
	;; [unrolled: 5-line block ×12, first 2 shown]
	s_swappc_b64 s[30:31], s[54:55]
	v_mov_b32_e32 v72, v0
	v_mbcnt_lo_u32_b32 v0, -1, 0
	v_mbcnt_hi_u32_b32 v78, -1, v0
	v_mov_b32_e32 v73, v1
	v_and_b32_e32 v79, 15, v78
	v_mov_b32_dpp v0, v72 row_shr:1 row_mask:0xf bank_mask:0xf
	v_mov_b32_dpp v1, v73 row_shr:1 row_mask:0xf bank_mask:0xf
	v_cmp_ne_u32_e32 vcc, 0, v79
	v_mov_b32_e32 v5, v73
	v_mov_b32_e32 v4, v72
	;; [unrolled: 1-line block ×4, first 2 shown]
	s_and_saveexec_b64 s[56:57], vcc
	s_cbranch_execz .LBB285_30
; %bb.29:
	v_mov_b32_e32 v2, v72
	v_mov_b32_e32 v3, v73
	s_swappc_b64 s[30:31], s[54:55]
	v_mov_b32_e32 v4, v0
	v_mov_b32_e32 v5, v1
	;; [unrolled: 1-line block ×4, first 2 shown]
.LBB285_30:
	s_or_b64 exec, exec, s[56:57]
	v_mov_b32_dpp v0, v4 row_shr:2 row_mask:0xf bank_mask:0xf
	v_mov_b32_dpp v1, v5 row_shr:2 row_mask:0xf bank_mask:0xf
	v_cmp_lt_u32_e32 vcc, 1, v79
	s_and_saveexec_b64 s[54:55], vcc
	s_cbranch_execz .LBB285_32
; %bb.31:
	s_getpc_b64 s[4:5]
	s_add_u32 s4, s4, _ZZZZN2at6native31launch_logcumsumexp_cuda_kernelERKNS_10TensorBaseES3_lENKUlvE_clEvENKUlvE2_clEvENKUlN3c107complexIfEES8_E_clES8_S8_@rel32@lo+4
	s_addc_u32 s5, s5, _ZZZZN2at6native31launch_logcumsumexp_cuda_kernelERKNS_10TensorBaseES3_lENKUlvE_clEvENKUlvE2_clEvENKUlN3c107complexIfEES8_E_clES8_S8_@rel32@hi+12
	s_swappc_b64 s[30:31], s[4:5]
	v_mov_b32_e32 v4, v0
	v_mov_b32_e32 v5, v1
.LBB285_32:
	s_or_b64 exec, exec, s[54:55]
	v_mov_b32_dpp v0, v4 row_shr:4 row_mask:0xf bank_mask:0xf
	v_mov_b32_dpp v1, v5 row_shr:4 row_mask:0xf bank_mask:0xf
	v_cmp_lt_u32_e32 vcc, 3, v79
	s_and_saveexec_b64 s[54:55], vcc
	s_cbranch_execz .LBB285_34
; %bb.33:
	s_getpc_b64 s[4:5]
	s_add_u32 s4, s4, _ZZZZN2at6native31launch_logcumsumexp_cuda_kernelERKNS_10TensorBaseES3_lENKUlvE_clEvENKUlvE2_clEvENKUlN3c107complexIfEES8_E_clES8_S8_@rel32@lo+4
	s_addc_u32 s5, s5, _ZZZZN2at6native31launch_logcumsumexp_cuda_kernelERKNS_10TensorBaseES3_lENKUlvE_clEvENKUlvE2_clEvENKUlN3c107complexIfEES8_E_clES8_S8_@rel32@hi+12
	v_mov_b32_e32 v2, v4
	v_mov_b32_e32 v3, v5
	s_swappc_b64 s[30:31], s[4:5]
	v_mov_b32_e32 v4, v0
	v_mov_b32_e32 v5, v1
.LBB285_34:
	s_or_b64 exec, exec, s[54:55]
	v_mov_b32_dpp v0, v4 row_shr:8 row_mask:0xf bank_mask:0xf
	v_mov_b32_dpp v1, v5 row_shr:8 row_mask:0xf bank_mask:0xf
	v_cmp_lt_u32_e32 vcc, 7, v79
	s_and_saveexec_b64 s[54:55], vcc
	s_cbranch_execz .LBB285_36
; %bb.35:
	s_getpc_b64 s[4:5]
	s_add_u32 s4, s4, _ZZZZN2at6native31launch_logcumsumexp_cuda_kernelERKNS_10TensorBaseES3_lENKUlvE_clEvENKUlvE2_clEvENKUlN3c107complexIfEES8_E_clES8_S8_@rel32@lo+4
	s_addc_u32 s5, s5, _ZZZZN2at6native31launch_logcumsumexp_cuda_kernelERKNS_10TensorBaseES3_lENKUlvE_clEvENKUlvE2_clEvENKUlN3c107complexIfEES8_E_clES8_S8_@rel32@hi+12
	v_mov_b32_e32 v2, v4
	v_mov_b32_e32 v3, v5
	s_swappc_b64 s[30:31], s[4:5]
	v_mov_b32_e32 v4, v0
	v_mov_b32_e32 v5, v1
.LBB285_36:
	s_or_b64 exec, exec, s[54:55]
	v_and_b32_e32 v2, 16, v78
	v_mov_b32_dpp v0, v4 row_bcast:15 row_mask:0xf bank_mask:0xf
	v_mov_b32_dpp v1, v5 row_bcast:15 row_mask:0xf bank_mask:0xf
	v_cmp_ne_u32_e32 vcc, 0, v2
	s_and_saveexec_b64 s[54:55], vcc
	s_cbranch_execz .LBB285_38
; %bb.37:
	s_getpc_b64 s[4:5]
	s_add_u32 s4, s4, _ZZZZN2at6native31launch_logcumsumexp_cuda_kernelERKNS_10TensorBaseES3_lENKUlvE_clEvENKUlvE2_clEvENKUlN3c107complexIfEES8_E_clES8_S8_@rel32@lo+4
	s_addc_u32 s5, s5, _ZZZZN2at6native31launch_logcumsumexp_cuda_kernelERKNS_10TensorBaseES3_lENKUlvE_clEvENKUlvE2_clEvENKUlN3c107complexIfEES8_E_clES8_S8_@rel32@hi+12
	v_mov_b32_e32 v2, v4
	v_mov_b32_e32 v3, v5
	s_swappc_b64 s[30:31], s[4:5]
	v_mov_b32_e32 v4, v0
	v_mov_b32_e32 v5, v1
.LBB285_38:
	s_or_b64 exec, exec, s[54:55]
	v_mov_b32_dpp v0, v4 row_bcast:31 row_mask:0xf bank_mask:0xf
	v_mov_b32_dpp v1, v5 row_bcast:31 row_mask:0xf bank_mask:0xf
	v_cmp_lt_u32_e32 vcc, 31, v78
	s_and_saveexec_b64 s[54:55], vcc
	s_cbranch_execz .LBB285_40
; %bb.39:
	s_getpc_b64 s[4:5]
	s_add_u32 s4, s4, _ZZZZN2at6native31launch_logcumsumexp_cuda_kernelERKNS_10TensorBaseES3_lENKUlvE_clEvENKUlvE2_clEvENKUlN3c107complexIfEES8_E_clES8_S8_@rel32@lo+4
	s_addc_u32 s5, s5, _ZZZZN2at6native31launch_logcumsumexp_cuda_kernelERKNS_10TensorBaseES3_lENKUlvE_clEvENKUlvE2_clEvENKUlN3c107complexIfEES8_E_clES8_S8_@rel32@hi+12
	v_mov_b32_e32 v2, v4
	v_mov_b32_e32 v3, v5
	s_swappc_b64 s[30:31], s[4:5]
	v_mov_b32_e32 v4, v0
	v_mov_b32_e32 v5, v1
.LBB285_40:
	s_or_b64 exec, exec, s[54:55]
	s_load_dwordx2 s[52:53], s[52:53], 0x20
	v_cmp_eq_u32_e32 vcc, 63, v74
	s_and_saveexec_b64 s[4:5], vcc
; %bb.41:
	v_mov_b32_e32 v0, 0
	ds_write_b64 v0, v[4:5]
; %bb.42:
	s_or_b64 exec, exec, s[4:5]
	v_add_u32_e32 v0, -1, v78
	v_and_b32_e32 v1, 64, v78
	v_cmp_lt_i32_e32 vcc, v0, v1
	v_cndmask_b32_e32 v0, v0, v78, vcc
	v_lshlrev_b32_e32 v1, 2, v0
	ds_bpermute_b32 v0, v1, v4
	ds_bpermute_b32 v1, v1, v5
	v_mul_u32_u24_e32 v78, 0x68, v74
	v_cmp_ne_u32_e32 vcc, 0, v74
	s_waitcnt lgkmcnt(0)
	; wave barrier
	s_and_saveexec_b64 s[54:55], vcc
	s_cbranch_execz .LBB285_44
; %bb.43:
	s_getpc_b64 s[56:57]
	s_add_u32 s56, s56, _ZZZZN2at6native31launch_logcumsumexp_cuda_kernelERKNS_10TensorBaseES3_lENKUlvE_clEvENKUlvE2_clEvENKUlN3c107complexIfEES8_E_clES8_S8_@rel32@lo+4
	s_addc_u32 s57, s57, _ZZZZN2at6native31launch_logcumsumexp_cuda_kernelERKNS_10TensorBaseES3_lENKUlvE_clEvENKUlvE2_clEvENKUlN3c107complexIfEES8_E_clES8_S8_@rel32@hi+12
	v_mov_b32_e32 v2, v22
	v_mov_b32_e32 v3, v23
	s_swappc_b64 s[30:31], s[56:57]
	v_mov_b32_e32 v2, v24
	v_mov_b32_e32 v3, v25
	;; [unrolled: 1-line block ×4, first 2 shown]
	;;#ASMSTART
	;;#ASMEND
	s_swappc_b64 s[30:31], s[56:57]
	v_mov_b32_e32 v2, v58
	v_mov_b32_e32 v3, v59
	v_mov_b32_e32 v75, v0
	v_mov_b32_e32 v76, v1
	s_swappc_b64 s[30:31], s[56:57]
	v_mov_b32_e32 v2, v60
	v_mov_b32_e32 v3, v61
	v_mov_b32_e32 v26, v0
	v_mov_b32_e32 v27, v1
	;; [unrolled: 5-line block ×12, first 2 shown]
	s_swappc_b64 s[30:31], s[56:57]
	v_mov_b32_e32 v72, v0
	v_mov_b32_e32 v73, v1
.LBB285_44:
	s_or_b64 exec, exec, s[54:55]
	v_add_u32_e32 v0, v77, v78
	v_mov_b32_e32 v24, v75
	v_mov_b32_e32 v25, v76
	; wave barrier
	ds_write_b128 v0, v[22:25]
	ds_write_b128 v0, v[26:29] offset:16
	ds_write_b128 v0, v[38:41] offset:32
	;; [unrolled: 1-line block ×6, first 2 shown]
	s_waitcnt lgkmcnt(0)
	; wave barrier
	ds_read2st64_b64 v[20:23], v77 offset0:1 offset1:2
	ds_read2st64_b64 v[16:19], v77 offset0:3 offset1:4
	;; [unrolled: 1-line block ×6, first 2 shown]
	ds_read_b64 v[24:25], v77 offset:6656
	v_mov_b32_e32 v27, s53
	v_add_co_u32_e32 v26, vcc, s52, v77
	v_addc_co_u32_e32 v27, vcc, 0, v27, vcc
	s_and_saveexec_b64 s[4:5], s[20:21]
	s_cbranch_execnz .LBB285_59
; %bb.45:
	s_or_b64 exec, exec, s[4:5]
	s_and_saveexec_b64 s[4:5], s[22:23]
	s_cbranch_execnz .LBB285_60
.LBB285_46:
	s_or_b64 exec, exec, s[4:5]
	s_and_saveexec_b64 s[4:5], s[24:25]
	s_cbranch_execnz .LBB285_61
.LBB285_47:
	s_or_b64 exec, exec, s[4:5]
	s_and_saveexec_b64 s[4:5], s[26:27]
	s_cbranch_execnz .LBB285_62
.LBB285_48:
	s_or_b64 exec, exec, s[4:5]
	s_and_saveexec_b64 s[4:5], s[28:29]
	s_cbranch_execnz .LBB285_63
.LBB285_49:
	s_or_b64 exec, exec, s[4:5]
	s_and_saveexec_b64 s[4:5], s[34:35]
	s_cbranch_execnz .LBB285_64
.LBB285_50:
	s_or_b64 exec, exec, s[4:5]
	s_and_saveexec_b64 s[4:5], s[36:37]
	s_cbranch_execnz .LBB285_65
.LBB285_51:
	s_or_b64 exec, exec, s[4:5]
	s_and_saveexec_b64 s[4:5], s[38:39]
	s_cbranch_execnz .LBB285_66
.LBB285_52:
	s_or_b64 exec, exec, s[4:5]
	s_and_saveexec_b64 s[4:5], s[40:41]
	s_cbranch_execnz .LBB285_67
.LBB285_53:
	s_or_b64 exec, exec, s[4:5]
	s_and_saveexec_b64 s[4:5], s[42:43]
	s_cbranch_execnz .LBB285_68
.LBB285_54:
	s_or_b64 exec, exec, s[4:5]
	s_and_saveexec_b64 s[4:5], s[44:45]
	s_cbranch_execnz .LBB285_69
.LBB285_55:
	s_or_b64 exec, exec, s[4:5]
	s_and_saveexec_b64 s[4:5], s[46:47]
	s_cbranch_execnz .LBB285_70
.LBB285_56:
	s_or_b64 exec, exec, s[4:5]
	s_and_saveexec_b64 s[4:5], s[48:49]
	s_cbranch_execnz .LBB285_71
.LBB285_57:
	s_or_b64 exec, exec, s[4:5]
	s_and_saveexec_b64 s[4:5], s[50:51]
	s_cbranch_execnz .LBB285_72
.LBB285_58:
	s_endpgm
.LBB285_59:
	ds_read_b64 v[28:29], v77
	s_waitcnt lgkmcnt(0)
	global_store_dwordx2 v[26:27], v[28:29], off
	s_or_b64 exec, exec, s[4:5]
	s_and_saveexec_b64 s[4:5], s[22:23]
	s_cbranch_execz .LBB285_46
.LBB285_60:
	s_waitcnt lgkmcnt(6)
	global_store_dwordx2 v[26:27], v[20:21], off offset:512
	s_or_b64 exec, exec, s[4:5]
	s_and_saveexec_b64 s[4:5], s[24:25]
	s_cbranch_execz .LBB285_47
.LBB285_61:
	s_waitcnt lgkmcnt(6)
	global_store_dwordx2 v[26:27], v[22:23], off offset:1024
	s_or_b64 exec, exec, s[4:5]
	s_and_saveexec_b64 s[4:5], s[26:27]
	s_cbranch_execz .LBB285_48
.LBB285_62:
	s_waitcnt lgkmcnt(5)
	global_store_dwordx2 v[26:27], v[16:17], off offset:1536
	s_or_b64 exec, exec, s[4:5]
	s_and_saveexec_b64 s[4:5], s[28:29]
	s_cbranch_execz .LBB285_49
.LBB285_63:
	s_waitcnt lgkmcnt(5)
	global_store_dwordx2 v[26:27], v[18:19], off offset:2048
	s_or_b64 exec, exec, s[4:5]
	s_and_saveexec_b64 s[4:5], s[34:35]
	s_cbranch_execz .LBB285_50
.LBB285_64:
	s_waitcnt lgkmcnt(4)
	global_store_dwordx2 v[26:27], v[12:13], off offset:2560
	s_or_b64 exec, exec, s[4:5]
	s_and_saveexec_b64 s[4:5], s[36:37]
	s_cbranch_execz .LBB285_51
.LBB285_65:
	s_waitcnt lgkmcnt(4)
	global_store_dwordx2 v[26:27], v[14:15], off offset:3072
	s_or_b64 exec, exec, s[4:5]
	s_and_saveexec_b64 s[4:5], s[38:39]
	s_cbranch_execz .LBB285_52
.LBB285_66:
	s_waitcnt lgkmcnt(3)
	global_store_dwordx2 v[26:27], v[8:9], off offset:3584
	s_or_b64 exec, exec, s[4:5]
	s_and_saveexec_b64 s[4:5], s[40:41]
	s_cbranch_execz .LBB285_53
.LBB285_67:
	s_waitcnt lgkmcnt(3)
	v_add_co_u32_e32 v8, vcc, 0x1000, v26
	v_addc_co_u32_e32 v9, vcc, 0, v27, vcc
	global_store_dwordx2 v[8:9], v[10:11], off
	s_or_b64 exec, exec, s[4:5]
	s_and_saveexec_b64 s[4:5], s[42:43]
	s_cbranch_execz .LBB285_54
.LBB285_68:
	s_waitcnt lgkmcnt(3)
	v_add_co_u32_e32 v8, vcc, 0x1000, v26
	v_addc_co_u32_e32 v9, vcc, 0, v27, vcc
	s_waitcnt lgkmcnt(2)
	global_store_dwordx2 v[8:9], v[4:5], off offset:512
	s_or_b64 exec, exec, s[4:5]
	s_and_saveexec_b64 s[4:5], s[44:45]
	s_cbranch_execz .LBB285_55
.LBB285_69:
	s_waitcnt lgkmcnt(2)
	v_add_co_u32_e32 v4, vcc, 0x1000, v26
	v_addc_co_u32_e32 v5, vcc, 0, v27, vcc
	global_store_dwordx2 v[4:5], v[6:7], off offset:1024
	s_or_b64 exec, exec, s[4:5]
	s_and_saveexec_b64 s[4:5], s[46:47]
	s_cbranch_execz .LBB285_56
.LBB285_70:
	s_waitcnt lgkmcnt(2)
	v_add_co_u32_e32 v4, vcc, 0x1000, v26
	v_addc_co_u32_e32 v5, vcc, 0, v27, vcc
	s_waitcnt lgkmcnt(1)
	global_store_dwordx2 v[4:5], v[0:1], off offset:1536
	s_or_b64 exec, exec, s[4:5]
	s_and_saveexec_b64 s[4:5], s[48:49]
	s_cbranch_execz .LBB285_57
.LBB285_71:
	s_waitcnt lgkmcnt(1)
	v_add_co_u32_e32 v0, vcc, 0x1000, v26
	v_addc_co_u32_e32 v1, vcc, 0, v27, vcc
	global_store_dwordx2 v[0:1], v[2:3], off offset:2048
	s_or_b64 exec, exec, s[4:5]
	s_and_saveexec_b64 s[4:5], s[50:51]
	s_cbranch_execz .LBB285_58
.LBB285_72:
	s_waitcnt lgkmcnt(1)
	v_add_co_u32_e32 v0, vcc, 0x1000, v26
	v_addc_co_u32_e32 v1, vcc, 0, v27, vcc
	s_waitcnt lgkmcnt(0)
	global_store_dwordx2 v[0:1], v[24:25], off offset:2560
	s_endpgm
	.section	.rodata,"a",@progbits
	.p2align	6, 0x0
	.amdhsa_kernel _ZN7rocprim17ROCPRIM_400000_NS6detail17trampoline_kernelINS0_14default_configENS1_20scan_config_selectorIN3c107complexIfEEEEZZNS1_9scan_implILNS1_25lookback_scan_determinismE0ELb0ELb0ES3_PKS7_PS7_S7_ZZZN2at6native31launch_logcumsumexp_cuda_kernelERKNSE_10TensorBaseESI_lENKUlvE_clEvENKUlvE2_clEvEUlS7_S7_E_S7_EEDaPvRmT3_T4_T5_mT6_P12ihipStream_tbENKUlT_T0_E_clISt17integral_constantIbLb0EESZ_EEDaSU_SV_EUlSU_E0_NS1_11comp_targetILNS1_3genE2ELNS1_11target_archE906ELNS1_3gpuE6ELNS1_3repE0EEENS1_30default_config_static_selectorELNS0_4arch9wavefront6targetE1EEEvT1_
		.amdhsa_group_segment_fixed_size 7168
		.amdhsa_private_segment_fixed_size 0
		.amdhsa_kernarg_size 40
		.amdhsa_user_sgpr_count 6
		.amdhsa_user_sgpr_private_segment_buffer 1
		.amdhsa_user_sgpr_dispatch_ptr 0
		.amdhsa_user_sgpr_queue_ptr 0
		.amdhsa_user_sgpr_kernarg_segment_ptr 1
		.amdhsa_user_sgpr_dispatch_id 0
		.amdhsa_user_sgpr_flat_scratch_init 0
		.amdhsa_user_sgpr_private_segment_size 0
		.amdhsa_uses_dynamic_stack 0
		.amdhsa_system_sgpr_private_segment_wavefront_offset 0
		.amdhsa_system_sgpr_workgroup_id_x 1
		.amdhsa_system_sgpr_workgroup_id_y 0
		.amdhsa_system_sgpr_workgroup_id_z 0
		.amdhsa_system_sgpr_workgroup_info 0
		.amdhsa_system_vgpr_workitem_id 0
		.amdhsa_next_free_vgpr 80
		.amdhsa_next_free_sgpr 98
		.amdhsa_reserve_vcc 1
		.amdhsa_reserve_flat_scratch 0
		.amdhsa_float_round_mode_32 0
		.amdhsa_float_round_mode_16_64 0
		.amdhsa_float_denorm_mode_32 3
		.amdhsa_float_denorm_mode_16_64 3
		.amdhsa_dx10_clamp 1
		.amdhsa_ieee_mode 1
		.amdhsa_fp16_overflow 0
		.amdhsa_exception_fp_ieee_invalid_op 0
		.amdhsa_exception_fp_denorm_src 0
		.amdhsa_exception_fp_ieee_div_zero 0
		.amdhsa_exception_fp_ieee_overflow 0
		.amdhsa_exception_fp_ieee_underflow 0
		.amdhsa_exception_fp_ieee_inexact 0
		.amdhsa_exception_int_div_zero 0
	.end_amdhsa_kernel
	.section	.text._ZN7rocprim17ROCPRIM_400000_NS6detail17trampoline_kernelINS0_14default_configENS1_20scan_config_selectorIN3c107complexIfEEEEZZNS1_9scan_implILNS1_25lookback_scan_determinismE0ELb0ELb0ES3_PKS7_PS7_S7_ZZZN2at6native31launch_logcumsumexp_cuda_kernelERKNSE_10TensorBaseESI_lENKUlvE_clEvENKUlvE2_clEvEUlS7_S7_E_S7_EEDaPvRmT3_T4_T5_mT6_P12ihipStream_tbENKUlT_T0_E_clISt17integral_constantIbLb0EESZ_EEDaSU_SV_EUlSU_E0_NS1_11comp_targetILNS1_3genE2ELNS1_11target_archE906ELNS1_3gpuE6ELNS1_3repE0EEENS1_30default_config_static_selectorELNS0_4arch9wavefront6targetE1EEEvT1_,"axG",@progbits,_ZN7rocprim17ROCPRIM_400000_NS6detail17trampoline_kernelINS0_14default_configENS1_20scan_config_selectorIN3c107complexIfEEEEZZNS1_9scan_implILNS1_25lookback_scan_determinismE0ELb0ELb0ES3_PKS7_PS7_S7_ZZZN2at6native31launch_logcumsumexp_cuda_kernelERKNSE_10TensorBaseESI_lENKUlvE_clEvENKUlvE2_clEvEUlS7_S7_E_S7_EEDaPvRmT3_T4_T5_mT6_P12ihipStream_tbENKUlT_T0_E_clISt17integral_constantIbLb0EESZ_EEDaSU_SV_EUlSU_E0_NS1_11comp_targetILNS1_3genE2ELNS1_11target_archE906ELNS1_3gpuE6ELNS1_3repE0EEENS1_30default_config_static_selectorELNS0_4arch9wavefront6targetE1EEEvT1_,comdat
.Lfunc_end285:
	.size	_ZN7rocprim17ROCPRIM_400000_NS6detail17trampoline_kernelINS0_14default_configENS1_20scan_config_selectorIN3c107complexIfEEEEZZNS1_9scan_implILNS1_25lookback_scan_determinismE0ELb0ELb0ES3_PKS7_PS7_S7_ZZZN2at6native31launch_logcumsumexp_cuda_kernelERKNSE_10TensorBaseESI_lENKUlvE_clEvENKUlvE2_clEvEUlS7_S7_E_S7_EEDaPvRmT3_T4_T5_mT6_P12ihipStream_tbENKUlT_T0_E_clISt17integral_constantIbLb0EESZ_EEDaSU_SV_EUlSU_E0_NS1_11comp_targetILNS1_3genE2ELNS1_11target_archE906ELNS1_3gpuE6ELNS1_3repE0EEENS1_30default_config_static_selectorELNS0_4arch9wavefront6targetE1EEEvT1_, .Lfunc_end285-_ZN7rocprim17ROCPRIM_400000_NS6detail17trampoline_kernelINS0_14default_configENS1_20scan_config_selectorIN3c107complexIfEEEEZZNS1_9scan_implILNS1_25lookback_scan_determinismE0ELb0ELb0ES3_PKS7_PS7_S7_ZZZN2at6native31launch_logcumsumexp_cuda_kernelERKNSE_10TensorBaseESI_lENKUlvE_clEvENKUlvE2_clEvEUlS7_S7_E_S7_EEDaPvRmT3_T4_T5_mT6_P12ihipStream_tbENKUlT_T0_E_clISt17integral_constantIbLb0EESZ_EEDaSU_SV_EUlSU_E0_NS1_11comp_targetILNS1_3genE2ELNS1_11target_archE906ELNS1_3gpuE6ELNS1_3repE0EEENS1_30default_config_static_selectorELNS0_4arch9wavefront6targetE1EEEvT1_
                                        ; -- End function
	.set _ZN7rocprim17ROCPRIM_400000_NS6detail17trampoline_kernelINS0_14default_configENS1_20scan_config_selectorIN3c107complexIfEEEEZZNS1_9scan_implILNS1_25lookback_scan_determinismE0ELb0ELb0ES3_PKS7_PS7_S7_ZZZN2at6native31launch_logcumsumexp_cuda_kernelERKNSE_10TensorBaseESI_lENKUlvE_clEvENKUlvE2_clEvEUlS7_S7_E_S7_EEDaPvRmT3_T4_T5_mT6_P12ihipStream_tbENKUlT_T0_E_clISt17integral_constantIbLb0EESZ_EEDaSU_SV_EUlSU_E0_NS1_11comp_targetILNS1_3genE2ELNS1_11target_archE906ELNS1_3gpuE6ELNS1_3repE0EEENS1_30default_config_static_selectorELNS0_4arch9wavefront6targetE1EEEvT1_.num_vgpr, max(80, .L_ZZZZN2at6native31launch_logcumsumexp_cuda_kernelERKNS_10TensorBaseES3_lENKUlvE_clEvENKUlvE2_clEvENKUlN3c107complexIfEES8_E_clES8_S8_.num_vgpr)
	.set _ZN7rocprim17ROCPRIM_400000_NS6detail17trampoline_kernelINS0_14default_configENS1_20scan_config_selectorIN3c107complexIfEEEEZZNS1_9scan_implILNS1_25lookback_scan_determinismE0ELb0ELb0ES3_PKS7_PS7_S7_ZZZN2at6native31launch_logcumsumexp_cuda_kernelERKNSE_10TensorBaseESI_lENKUlvE_clEvENKUlvE2_clEvEUlS7_S7_E_S7_EEDaPvRmT3_T4_T5_mT6_P12ihipStream_tbENKUlT_T0_E_clISt17integral_constantIbLb0EESZ_EEDaSU_SV_EUlSU_E0_NS1_11comp_targetILNS1_3genE2ELNS1_11target_archE906ELNS1_3gpuE6ELNS1_3repE0EEENS1_30default_config_static_selectorELNS0_4arch9wavefront6targetE1EEEvT1_.num_agpr, max(0, .L_ZZZZN2at6native31launch_logcumsumexp_cuda_kernelERKNS_10TensorBaseES3_lENKUlvE_clEvENKUlvE2_clEvENKUlN3c107complexIfEES8_E_clES8_S8_.num_agpr)
	.set _ZN7rocprim17ROCPRIM_400000_NS6detail17trampoline_kernelINS0_14default_configENS1_20scan_config_selectorIN3c107complexIfEEEEZZNS1_9scan_implILNS1_25lookback_scan_determinismE0ELb0ELb0ES3_PKS7_PS7_S7_ZZZN2at6native31launch_logcumsumexp_cuda_kernelERKNSE_10TensorBaseESI_lENKUlvE_clEvENKUlvE2_clEvEUlS7_S7_E_S7_EEDaPvRmT3_T4_T5_mT6_P12ihipStream_tbENKUlT_T0_E_clISt17integral_constantIbLb0EESZ_EEDaSU_SV_EUlSU_E0_NS1_11comp_targetILNS1_3genE2ELNS1_11target_archE906ELNS1_3gpuE6ELNS1_3repE0EEENS1_30default_config_static_selectorELNS0_4arch9wavefront6targetE1EEEvT1_.numbered_sgpr, max(58, .L_ZZZZN2at6native31launch_logcumsumexp_cuda_kernelERKNS_10TensorBaseES3_lENKUlvE_clEvENKUlvE2_clEvENKUlN3c107complexIfEES8_E_clES8_S8_.numbered_sgpr)
	.set _ZN7rocprim17ROCPRIM_400000_NS6detail17trampoline_kernelINS0_14default_configENS1_20scan_config_selectorIN3c107complexIfEEEEZZNS1_9scan_implILNS1_25lookback_scan_determinismE0ELb0ELb0ES3_PKS7_PS7_S7_ZZZN2at6native31launch_logcumsumexp_cuda_kernelERKNSE_10TensorBaseESI_lENKUlvE_clEvENKUlvE2_clEvEUlS7_S7_E_S7_EEDaPvRmT3_T4_T5_mT6_P12ihipStream_tbENKUlT_T0_E_clISt17integral_constantIbLb0EESZ_EEDaSU_SV_EUlSU_E0_NS1_11comp_targetILNS1_3genE2ELNS1_11target_archE906ELNS1_3gpuE6ELNS1_3repE0EEENS1_30default_config_static_selectorELNS0_4arch9wavefront6targetE1EEEvT1_.num_named_barrier, max(0, .L_ZZZZN2at6native31launch_logcumsumexp_cuda_kernelERKNS_10TensorBaseES3_lENKUlvE_clEvENKUlvE2_clEvENKUlN3c107complexIfEES8_E_clES8_S8_.num_named_barrier)
	.set _ZN7rocprim17ROCPRIM_400000_NS6detail17trampoline_kernelINS0_14default_configENS1_20scan_config_selectorIN3c107complexIfEEEEZZNS1_9scan_implILNS1_25lookback_scan_determinismE0ELb0ELb0ES3_PKS7_PS7_S7_ZZZN2at6native31launch_logcumsumexp_cuda_kernelERKNSE_10TensorBaseESI_lENKUlvE_clEvENKUlvE2_clEvEUlS7_S7_E_S7_EEDaPvRmT3_T4_T5_mT6_P12ihipStream_tbENKUlT_T0_E_clISt17integral_constantIbLb0EESZ_EEDaSU_SV_EUlSU_E0_NS1_11comp_targetILNS1_3genE2ELNS1_11target_archE906ELNS1_3gpuE6ELNS1_3repE0EEENS1_30default_config_static_selectorELNS0_4arch9wavefront6targetE1EEEvT1_.private_seg_size, 0+max(.L_ZZZZN2at6native31launch_logcumsumexp_cuda_kernelERKNS_10TensorBaseES3_lENKUlvE_clEvENKUlvE2_clEvENKUlN3c107complexIfEES8_E_clES8_S8_.private_seg_size)
	.set _ZN7rocprim17ROCPRIM_400000_NS6detail17trampoline_kernelINS0_14default_configENS1_20scan_config_selectorIN3c107complexIfEEEEZZNS1_9scan_implILNS1_25lookback_scan_determinismE0ELb0ELb0ES3_PKS7_PS7_S7_ZZZN2at6native31launch_logcumsumexp_cuda_kernelERKNSE_10TensorBaseESI_lENKUlvE_clEvENKUlvE2_clEvEUlS7_S7_E_S7_EEDaPvRmT3_T4_T5_mT6_P12ihipStream_tbENKUlT_T0_E_clISt17integral_constantIbLb0EESZ_EEDaSU_SV_EUlSU_E0_NS1_11comp_targetILNS1_3genE2ELNS1_11target_archE906ELNS1_3gpuE6ELNS1_3repE0EEENS1_30default_config_static_selectorELNS0_4arch9wavefront6targetE1EEEvT1_.uses_vcc, or(1, .L_ZZZZN2at6native31launch_logcumsumexp_cuda_kernelERKNS_10TensorBaseES3_lENKUlvE_clEvENKUlvE2_clEvENKUlN3c107complexIfEES8_E_clES8_S8_.uses_vcc)
	.set _ZN7rocprim17ROCPRIM_400000_NS6detail17trampoline_kernelINS0_14default_configENS1_20scan_config_selectorIN3c107complexIfEEEEZZNS1_9scan_implILNS1_25lookback_scan_determinismE0ELb0ELb0ES3_PKS7_PS7_S7_ZZZN2at6native31launch_logcumsumexp_cuda_kernelERKNSE_10TensorBaseESI_lENKUlvE_clEvENKUlvE2_clEvEUlS7_S7_E_S7_EEDaPvRmT3_T4_T5_mT6_P12ihipStream_tbENKUlT_T0_E_clISt17integral_constantIbLb0EESZ_EEDaSU_SV_EUlSU_E0_NS1_11comp_targetILNS1_3genE2ELNS1_11target_archE906ELNS1_3gpuE6ELNS1_3repE0EEENS1_30default_config_static_selectorELNS0_4arch9wavefront6targetE1EEEvT1_.uses_flat_scratch, or(0, .L_ZZZZN2at6native31launch_logcumsumexp_cuda_kernelERKNS_10TensorBaseES3_lENKUlvE_clEvENKUlvE2_clEvENKUlN3c107complexIfEES8_E_clES8_S8_.uses_flat_scratch)
	.set _ZN7rocprim17ROCPRIM_400000_NS6detail17trampoline_kernelINS0_14default_configENS1_20scan_config_selectorIN3c107complexIfEEEEZZNS1_9scan_implILNS1_25lookback_scan_determinismE0ELb0ELb0ES3_PKS7_PS7_S7_ZZZN2at6native31launch_logcumsumexp_cuda_kernelERKNSE_10TensorBaseESI_lENKUlvE_clEvENKUlvE2_clEvEUlS7_S7_E_S7_EEDaPvRmT3_T4_T5_mT6_P12ihipStream_tbENKUlT_T0_E_clISt17integral_constantIbLb0EESZ_EEDaSU_SV_EUlSU_E0_NS1_11comp_targetILNS1_3genE2ELNS1_11target_archE906ELNS1_3gpuE6ELNS1_3repE0EEENS1_30default_config_static_selectorELNS0_4arch9wavefront6targetE1EEEvT1_.has_dyn_sized_stack, or(0, .L_ZZZZN2at6native31launch_logcumsumexp_cuda_kernelERKNS_10TensorBaseES3_lENKUlvE_clEvENKUlvE2_clEvENKUlN3c107complexIfEES8_E_clES8_S8_.has_dyn_sized_stack)
	.set _ZN7rocprim17ROCPRIM_400000_NS6detail17trampoline_kernelINS0_14default_configENS1_20scan_config_selectorIN3c107complexIfEEEEZZNS1_9scan_implILNS1_25lookback_scan_determinismE0ELb0ELb0ES3_PKS7_PS7_S7_ZZZN2at6native31launch_logcumsumexp_cuda_kernelERKNSE_10TensorBaseESI_lENKUlvE_clEvENKUlvE2_clEvEUlS7_S7_E_S7_EEDaPvRmT3_T4_T5_mT6_P12ihipStream_tbENKUlT_T0_E_clISt17integral_constantIbLb0EESZ_EEDaSU_SV_EUlSU_E0_NS1_11comp_targetILNS1_3genE2ELNS1_11target_archE906ELNS1_3gpuE6ELNS1_3repE0EEENS1_30default_config_static_selectorELNS0_4arch9wavefront6targetE1EEEvT1_.has_recursion, or(0, .L_ZZZZN2at6native31launch_logcumsumexp_cuda_kernelERKNS_10TensorBaseES3_lENKUlvE_clEvENKUlvE2_clEvENKUlN3c107complexIfEES8_E_clES8_S8_.has_recursion)
	.set _ZN7rocprim17ROCPRIM_400000_NS6detail17trampoline_kernelINS0_14default_configENS1_20scan_config_selectorIN3c107complexIfEEEEZZNS1_9scan_implILNS1_25lookback_scan_determinismE0ELb0ELb0ES3_PKS7_PS7_S7_ZZZN2at6native31launch_logcumsumexp_cuda_kernelERKNSE_10TensorBaseESI_lENKUlvE_clEvENKUlvE2_clEvEUlS7_S7_E_S7_EEDaPvRmT3_T4_T5_mT6_P12ihipStream_tbENKUlT_T0_E_clISt17integral_constantIbLb0EESZ_EEDaSU_SV_EUlSU_E0_NS1_11comp_targetILNS1_3genE2ELNS1_11target_archE906ELNS1_3gpuE6ELNS1_3repE0EEENS1_30default_config_static_selectorELNS0_4arch9wavefront6targetE1EEEvT1_.has_indirect_call, or(0, .L_ZZZZN2at6native31launch_logcumsumexp_cuda_kernelERKNS_10TensorBaseES3_lENKUlvE_clEvENKUlvE2_clEvENKUlN3c107complexIfEES8_E_clES8_S8_.has_indirect_call)
	.section	.AMDGPU.csdata,"",@progbits
; Kernel info:
; codeLenInByte = 2680
; TotalNumSgprs: 62
; NumVgprs: 80
; ScratchSize: 0
; MemoryBound: 0
; FloatMode: 240
; IeeeMode: 1
; LDSByteSize: 7168 bytes/workgroup (compile time only)
; SGPRBlocks: 12
; VGPRBlocks: 19
; NumSGPRsForWavesPerEU: 102
; NumVGPRsForWavesPerEU: 80
; Occupancy: 3
; WaveLimiterHint : 0
; COMPUTE_PGM_RSRC2:SCRATCH_EN: 0
; COMPUTE_PGM_RSRC2:USER_SGPR: 6
; COMPUTE_PGM_RSRC2:TRAP_HANDLER: 0
; COMPUTE_PGM_RSRC2:TGID_X_EN: 1
; COMPUTE_PGM_RSRC2:TGID_Y_EN: 0
; COMPUTE_PGM_RSRC2:TGID_Z_EN: 0
; COMPUTE_PGM_RSRC2:TIDIG_COMP_CNT: 0
	.section	.text._ZN7rocprim17ROCPRIM_400000_NS6detail17trampoline_kernelINS0_14default_configENS1_20scan_config_selectorIN3c107complexIfEEEEZZNS1_9scan_implILNS1_25lookback_scan_determinismE0ELb0ELb0ES3_PKS7_PS7_S7_ZZZN2at6native31launch_logcumsumexp_cuda_kernelERKNSE_10TensorBaseESI_lENKUlvE_clEvENKUlvE2_clEvEUlS7_S7_E_S7_EEDaPvRmT3_T4_T5_mT6_P12ihipStream_tbENKUlT_T0_E_clISt17integral_constantIbLb0EESZ_EEDaSU_SV_EUlSU_E0_NS1_11comp_targetILNS1_3genE10ELNS1_11target_archE1201ELNS1_3gpuE5ELNS1_3repE0EEENS1_30default_config_static_selectorELNS0_4arch9wavefront6targetE1EEEvT1_,"axG",@progbits,_ZN7rocprim17ROCPRIM_400000_NS6detail17trampoline_kernelINS0_14default_configENS1_20scan_config_selectorIN3c107complexIfEEEEZZNS1_9scan_implILNS1_25lookback_scan_determinismE0ELb0ELb0ES3_PKS7_PS7_S7_ZZZN2at6native31launch_logcumsumexp_cuda_kernelERKNSE_10TensorBaseESI_lENKUlvE_clEvENKUlvE2_clEvEUlS7_S7_E_S7_EEDaPvRmT3_T4_T5_mT6_P12ihipStream_tbENKUlT_T0_E_clISt17integral_constantIbLb0EESZ_EEDaSU_SV_EUlSU_E0_NS1_11comp_targetILNS1_3genE10ELNS1_11target_archE1201ELNS1_3gpuE5ELNS1_3repE0EEENS1_30default_config_static_selectorELNS0_4arch9wavefront6targetE1EEEvT1_,comdat
	.globl	_ZN7rocprim17ROCPRIM_400000_NS6detail17trampoline_kernelINS0_14default_configENS1_20scan_config_selectorIN3c107complexIfEEEEZZNS1_9scan_implILNS1_25lookback_scan_determinismE0ELb0ELb0ES3_PKS7_PS7_S7_ZZZN2at6native31launch_logcumsumexp_cuda_kernelERKNSE_10TensorBaseESI_lENKUlvE_clEvENKUlvE2_clEvEUlS7_S7_E_S7_EEDaPvRmT3_T4_T5_mT6_P12ihipStream_tbENKUlT_T0_E_clISt17integral_constantIbLb0EESZ_EEDaSU_SV_EUlSU_E0_NS1_11comp_targetILNS1_3genE10ELNS1_11target_archE1201ELNS1_3gpuE5ELNS1_3repE0EEENS1_30default_config_static_selectorELNS0_4arch9wavefront6targetE1EEEvT1_ ; -- Begin function _ZN7rocprim17ROCPRIM_400000_NS6detail17trampoline_kernelINS0_14default_configENS1_20scan_config_selectorIN3c107complexIfEEEEZZNS1_9scan_implILNS1_25lookback_scan_determinismE0ELb0ELb0ES3_PKS7_PS7_S7_ZZZN2at6native31launch_logcumsumexp_cuda_kernelERKNSE_10TensorBaseESI_lENKUlvE_clEvENKUlvE2_clEvEUlS7_S7_E_S7_EEDaPvRmT3_T4_T5_mT6_P12ihipStream_tbENKUlT_T0_E_clISt17integral_constantIbLb0EESZ_EEDaSU_SV_EUlSU_E0_NS1_11comp_targetILNS1_3genE10ELNS1_11target_archE1201ELNS1_3gpuE5ELNS1_3repE0EEENS1_30default_config_static_selectorELNS0_4arch9wavefront6targetE1EEEvT1_
	.p2align	8
	.type	_ZN7rocprim17ROCPRIM_400000_NS6detail17trampoline_kernelINS0_14default_configENS1_20scan_config_selectorIN3c107complexIfEEEEZZNS1_9scan_implILNS1_25lookback_scan_determinismE0ELb0ELb0ES3_PKS7_PS7_S7_ZZZN2at6native31launch_logcumsumexp_cuda_kernelERKNSE_10TensorBaseESI_lENKUlvE_clEvENKUlvE2_clEvEUlS7_S7_E_S7_EEDaPvRmT3_T4_T5_mT6_P12ihipStream_tbENKUlT_T0_E_clISt17integral_constantIbLb0EESZ_EEDaSU_SV_EUlSU_E0_NS1_11comp_targetILNS1_3genE10ELNS1_11target_archE1201ELNS1_3gpuE5ELNS1_3repE0EEENS1_30default_config_static_selectorELNS0_4arch9wavefront6targetE1EEEvT1_,@function
_ZN7rocprim17ROCPRIM_400000_NS6detail17trampoline_kernelINS0_14default_configENS1_20scan_config_selectorIN3c107complexIfEEEEZZNS1_9scan_implILNS1_25lookback_scan_determinismE0ELb0ELb0ES3_PKS7_PS7_S7_ZZZN2at6native31launch_logcumsumexp_cuda_kernelERKNSE_10TensorBaseESI_lENKUlvE_clEvENKUlvE2_clEvEUlS7_S7_E_S7_EEDaPvRmT3_T4_T5_mT6_P12ihipStream_tbENKUlT_T0_E_clISt17integral_constantIbLb0EESZ_EEDaSU_SV_EUlSU_E0_NS1_11comp_targetILNS1_3genE10ELNS1_11target_archE1201ELNS1_3gpuE5ELNS1_3repE0EEENS1_30default_config_static_selectorELNS0_4arch9wavefront6targetE1EEEvT1_: ; @_ZN7rocprim17ROCPRIM_400000_NS6detail17trampoline_kernelINS0_14default_configENS1_20scan_config_selectorIN3c107complexIfEEEEZZNS1_9scan_implILNS1_25lookback_scan_determinismE0ELb0ELb0ES3_PKS7_PS7_S7_ZZZN2at6native31launch_logcumsumexp_cuda_kernelERKNSE_10TensorBaseESI_lENKUlvE_clEvENKUlvE2_clEvEUlS7_S7_E_S7_EEDaPvRmT3_T4_T5_mT6_P12ihipStream_tbENKUlT_T0_E_clISt17integral_constantIbLb0EESZ_EEDaSU_SV_EUlSU_E0_NS1_11comp_targetILNS1_3genE10ELNS1_11target_archE1201ELNS1_3gpuE5ELNS1_3repE0EEENS1_30default_config_static_selectorELNS0_4arch9wavefront6targetE1EEEvT1_
; %bb.0:
	.section	.rodata,"a",@progbits
	.p2align	6, 0x0
	.amdhsa_kernel _ZN7rocprim17ROCPRIM_400000_NS6detail17trampoline_kernelINS0_14default_configENS1_20scan_config_selectorIN3c107complexIfEEEEZZNS1_9scan_implILNS1_25lookback_scan_determinismE0ELb0ELb0ES3_PKS7_PS7_S7_ZZZN2at6native31launch_logcumsumexp_cuda_kernelERKNSE_10TensorBaseESI_lENKUlvE_clEvENKUlvE2_clEvEUlS7_S7_E_S7_EEDaPvRmT3_T4_T5_mT6_P12ihipStream_tbENKUlT_T0_E_clISt17integral_constantIbLb0EESZ_EEDaSU_SV_EUlSU_E0_NS1_11comp_targetILNS1_3genE10ELNS1_11target_archE1201ELNS1_3gpuE5ELNS1_3repE0EEENS1_30default_config_static_selectorELNS0_4arch9wavefront6targetE1EEEvT1_
		.amdhsa_group_segment_fixed_size 0
		.amdhsa_private_segment_fixed_size 0
		.amdhsa_kernarg_size 40
		.amdhsa_user_sgpr_count 6
		.amdhsa_user_sgpr_private_segment_buffer 1
		.amdhsa_user_sgpr_dispatch_ptr 0
		.amdhsa_user_sgpr_queue_ptr 0
		.amdhsa_user_sgpr_kernarg_segment_ptr 1
		.amdhsa_user_sgpr_dispatch_id 0
		.amdhsa_user_sgpr_flat_scratch_init 0
		.amdhsa_user_sgpr_private_segment_size 0
		.amdhsa_uses_dynamic_stack 0
		.amdhsa_system_sgpr_private_segment_wavefront_offset 0
		.amdhsa_system_sgpr_workgroup_id_x 1
		.amdhsa_system_sgpr_workgroup_id_y 0
		.amdhsa_system_sgpr_workgroup_id_z 0
		.amdhsa_system_sgpr_workgroup_info 0
		.amdhsa_system_vgpr_workitem_id 0
		.amdhsa_next_free_vgpr 1
		.amdhsa_next_free_sgpr 0
		.amdhsa_reserve_vcc 0
		.amdhsa_reserve_flat_scratch 0
		.amdhsa_float_round_mode_32 0
		.amdhsa_float_round_mode_16_64 0
		.amdhsa_float_denorm_mode_32 3
		.amdhsa_float_denorm_mode_16_64 3
		.amdhsa_dx10_clamp 1
		.amdhsa_ieee_mode 1
		.amdhsa_fp16_overflow 0
		.amdhsa_exception_fp_ieee_invalid_op 0
		.amdhsa_exception_fp_denorm_src 0
		.amdhsa_exception_fp_ieee_div_zero 0
		.amdhsa_exception_fp_ieee_overflow 0
		.amdhsa_exception_fp_ieee_underflow 0
		.amdhsa_exception_fp_ieee_inexact 0
		.amdhsa_exception_int_div_zero 0
	.end_amdhsa_kernel
	.section	.text._ZN7rocprim17ROCPRIM_400000_NS6detail17trampoline_kernelINS0_14default_configENS1_20scan_config_selectorIN3c107complexIfEEEEZZNS1_9scan_implILNS1_25lookback_scan_determinismE0ELb0ELb0ES3_PKS7_PS7_S7_ZZZN2at6native31launch_logcumsumexp_cuda_kernelERKNSE_10TensorBaseESI_lENKUlvE_clEvENKUlvE2_clEvEUlS7_S7_E_S7_EEDaPvRmT3_T4_T5_mT6_P12ihipStream_tbENKUlT_T0_E_clISt17integral_constantIbLb0EESZ_EEDaSU_SV_EUlSU_E0_NS1_11comp_targetILNS1_3genE10ELNS1_11target_archE1201ELNS1_3gpuE5ELNS1_3repE0EEENS1_30default_config_static_selectorELNS0_4arch9wavefront6targetE1EEEvT1_,"axG",@progbits,_ZN7rocprim17ROCPRIM_400000_NS6detail17trampoline_kernelINS0_14default_configENS1_20scan_config_selectorIN3c107complexIfEEEEZZNS1_9scan_implILNS1_25lookback_scan_determinismE0ELb0ELb0ES3_PKS7_PS7_S7_ZZZN2at6native31launch_logcumsumexp_cuda_kernelERKNSE_10TensorBaseESI_lENKUlvE_clEvENKUlvE2_clEvEUlS7_S7_E_S7_EEDaPvRmT3_T4_T5_mT6_P12ihipStream_tbENKUlT_T0_E_clISt17integral_constantIbLb0EESZ_EEDaSU_SV_EUlSU_E0_NS1_11comp_targetILNS1_3genE10ELNS1_11target_archE1201ELNS1_3gpuE5ELNS1_3repE0EEENS1_30default_config_static_selectorELNS0_4arch9wavefront6targetE1EEEvT1_,comdat
.Lfunc_end286:
	.size	_ZN7rocprim17ROCPRIM_400000_NS6detail17trampoline_kernelINS0_14default_configENS1_20scan_config_selectorIN3c107complexIfEEEEZZNS1_9scan_implILNS1_25lookback_scan_determinismE0ELb0ELb0ES3_PKS7_PS7_S7_ZZZN2at6native31launch_logcumsumexp_cuda_kernelERKNSE_10TensorBaseESI_lENKUlvE_clEvENKUlvE2_clEvEUlS7_S7_E_S7_EEDaPvRmT3_T4_T5_mT6_P12ihipStream_tbENKUlT_T0_E_clISt17integral_constantIbLb0EESZ_EEDaSU_SV_EUlSU_E0_NS1_11comp_targetILNS1_3genE10ELNS1_11target_archE1201ELNS1_3gpuE5ELNS1_3repE0EEENS1_30default_config_static_selectorELNS0_4arch9wavefront6targetE1EEEvT1_, .Lfunc_end286-_ZN7rocprim17ROCPRIM_400000_NS6detail17trampoline_kernelINS0_14default_configENS1_20scan_config_selectorIN3c107complexIfEEEEZZNS1_9scan_implILNS1_25lookback_scan_determinismE0ELb0ELb0ES3_PKS7_PS7_S7_ZZZN2at6native31launch_logcumsumexp_cuda_kernelERKNSE_10TensorBaseESI_lENKUlvE_clEvENKUlvE2_clEvEUlS7_S7_E_S7_EEDaPvRmT3_T4_T5_mT6_P12ihipStream_tbENKUlT_T0_E_clISt17integral_constantIbLb0EESZ_EEDaSU_SV_EUlSU_E0_NS1_11comp_targetILNS1_3genE10ELNS1_11target_archE1201ELNS1_3gpuE5ELNS1_3repE0EEENS1_30default_config_static_selectorELNS0_4arch9wavefront6targetE1EEEvT1_
                                        ; -- End function
	.set _ZN7rocprim17ROCPRIM_400000_NS6detail17trampoline_kernelINS0_14default_configENS1_20scan_config_selectorIN3c107complexIfEEEEZZNS1_9scan_implILNS1_25lookback_scan_determinismE0ELb0ELb0ES3_PKS7_PS7_S7_ZZZN2at6native31launch_logcumsumexp_cuda_kernelERKNSE_10TensorBaseESI_lENKUlvE_clEvENKUlvE2_clEvEUlS7_S7_E_S7_EEDaPvRmT3_T4_T5_mT6_P12ihipStream_tbENKUlT_T0_E_clISt17integral_constantIbLb0EESZ_EEDaSU_SV_EUlSU_E0_NS1_11comp_targetILNS1_3genE10ELNS1_11target_archE1201ELNS1_3gpuE5ELNS1_3repE0EEENS1_30default_config_static_selectorELNS0_4arch9wavefront6targetE1EEEvT1_.num_vgpr, 0
	.set _ZN7rocprim17ROCPRIM_400000_NS6detail17trampoline_kernelINS0_14default_configENS1_20scan_config_selectorIN3c107complexIfEEEEZZNS1_9scan_implILNS1_25lookback_scan_determinismE0ELb0ELb0ES3_PKS7_PS7_S7_ZZZN2at6native31launch_logcumsumexp_cuda_kernelERKNSE_10TensorBaseESI_lENKUlvE_clEvENKUlvE2_clEvEUlS7_S7_E_S7_EEDaPvRmT3_T4_T5_mT6_P12ihipStream_tbENKUlT_T0_E_clISt17integral_constantIbLb0EESZ_EEDaSU_SV_EUlSU_E0_NS1_11comp_targetILNS1_3genE10ELNS1_11target_archE1201ELNS1_3gpuE5ELNS1_3repE0EEENS1_30default_config_static_selectorELNS0_4arch9wavefront6targetE1EEEvT1_.num_agpr, 0
	.set _ZN7rocprim17ROCPRIM_400000_NS6detail17trampoline_kernelINS0_14default_configENS1_20scan_config_selectorIN3c107complexIfEEEEZZNS1_9scan_implILNS1_25lookback_scan_determinismE0ELb0ELb0ES3_PKS7_PS7_S7_ZZZN2at6native31launch_logcumsumexp_cuda_kernelERKNSE_10TensorBaseESI_lENKUlvE_clEvENKUlvE2_clEvEUlS7_S7_E_S7_EEDaPvRmT3_T4_T5_mT6_P12ihipStream_tbENKUlT_T0_E_clISt17integral_constantIbLb0EESZ_EEDaSU_SV_EUlSU_E0_NS1_11comp_targetILNS1_3genE10ELNS1_11target_archE1201ELNS1_3gpuE5ELNS1_3repE0EEENS1_30default_config_static_selectorELNS0_4arch9wavefront6targetE1EEEvT1_.numbered_sgpr, 0
	.set _ZN7rocprim17ROCPRIM_400000_NS6detail17trampoline_kernelINS0_14default_configENS1_20scan_config_selectorIN3c107complexIfEEEEZZNS1_9scan_implILNS1_25lookback_scan_determinismE0ELb0ELb0ES3_PKS7_PS7_S7_ZZZN2at6native31launch_logcumsumexp_cuda_kernelERKNSE_10TensorBaseESI_lENKUlvE_clEvENKUlvE2_clEvEUlS7_S7_E_S7_EEDaPvRmT3_T4_T5_mT6_P12ihipStream_tbENKUlT_T0_E_clISt17integral_constantIbLb0EESZ_EEDaSU_SV_EUlSU_E0_NS1_11comp_targetILNS1_3genE10ELNS1_11target_archE1201ELNS1_3gpuE5ELNS1_3repE0EEENS1_30default_config_static_selectorELNS0_4arch9wavefront6targetE1EEEvT1_.num_named_barrier, 0
	.set _ZN7rocprim17ROCPRIM_400000_NS6detail17trampoline_kernelINS0_14default_configENS1_20scan_config_selectorIN3c107complexIfEEEEZZNS1_9scan_implILNS1_25lookback_scan_determinismE0ELb0ELb0ES3_PKS7_PS7_S7_ZZZN2at6native31launch_logcumsumexp_cuda_kernelERKNSE_10TensorBaseESI_lENKUlvE_clEvENKUlvE2_clEvEUlS7_S7_E_S7_EEDaPvRmT3_T4_T5_mT6_P12ihipStream_tbENKUlT_T0_E_clISt17integral_constantIbLb0EESZ_EEDaSU_SV_EUlSU_E0_NS1_11comp_targetILNS1_3genE10ELNS1_11target_archE1201ELNS1_3gpuE5ELNS1_3repE0EEENS1_30default_config_static_selectorELNS0_4arch9wavefront6targetE1EEEvT1_.private_seg_size, 0
	.set _ZN7rocprim17ROCPRIM_400000_NS6detail17trampoline_kernelINS0_14default_configENS1_20scan_config_selectorIN3c107complexIfEEEEZZNS1_9scan_implILNS1_25lookback_scan_determinismE0ELb0ELb0ES3_PKS7_PS7_S7_ZZZN2at6native31launch_logcumsumexp_cuda_kernelERKNSE_10TensorBaseESI_lENKUlvE_clEvENKUlvE2_clEvEUlS7_S7_E_S7_EEDaPvRmT3_T4_T5_mT6_P12ihipStream_tbENKUlT_T0_E_clISt17integral_constantIbLb0EESZ_EEDaSU_SV_EUlSU_E0_NS1_11comp_targetILNS1_3genE10ELNS1_11target_archE1201ELNS1_3gpuE5ELNS1_3repE0EEENS1_30default_config_static_selectorELNS0_4arch9wavefront6targetE1EEEvT1_.uses_vcc, 0
	.set _ZN7rocprim17ROCPRIM_400000_NS6detail17trampoline_kernelINS0_14default_configENS1_20scan_config_selectorIN3c107complexIfEEEEZZNS1_9scan_implILNS1_25lookback_scan_determinismE0ELb0ELb0ES3_PKS7_PS7_S7_ZZZN2at6native31launch_logcumsumexp_cuda_kernelERKNSE_10TensorBaseESI_lENKUlvE_clEvENKUlvE2_clEvEUlS7_S7_E_S7_EEDaPvRmT3_T4_T5_mT6_P12ihipStream_tbENKUlT_T0_E_clISt17integral_constantIbLb0EESZ_EEDaSU_SV_EUlSU_E0_NS1_11comp_targetILNS1_3genE10ELNS1_11target_archE1201ELNS1_3gpuE5ELNS1_3repE0EEENS1_30default_config_static_selectorELNS0_4arch9wavefront6targetE1EEEvT1_.uses_flat_scratch, 0
	.set _ZN7rocprim17ROCPRIM_400000_NS6detail17trampoline_kernelINS0_14default_configENS1_20scan_config_selectorIN3c107complexIfEEEEZZNS1_9scan_implILNS1_25lookback_scan_determinismE0ELb0ELb0ES3_PKS7_PS7_S7_ZZZN2at6native31launch_logcumsumexp_cuda_kernelERKNSE_10TensorBaseESI_lENKUlvE_clEvENKUlvE2_clEvEUlS7_S7_E_S7_EEDaPvRmT3_T4_T5_mT6_P12ihipStream_tbENKUlT_T0_E_clISt17integral_constantIbLb0EESZ_EEDaSU_SV_EUlSU_E0_NS1_11comp_targetILNS1_3genE10ELNS1_11target_archE1201ELNS1_3gpuE5ELNS1_3repE0EEENS1_30default_config_static_selectorELNS0_4arch9wavefront6targetE1EEEvT1_.has_dyn_sized_stack, 0
	.set _ZN7rocprim17ROCPRIM_400000_NS6detail17trampoline_kernelINS0_14default_configENS1_20scan_config_selectorIN3c107complexIfEEEEZZNS1_9scan_implILNS1_25lookback_scan_determinismE0ELb0ELb0ES3_PKS7_PS7_S7_ZZZN2at6native31launch_logcumsumexp_cuda_kernelERKNSE_10TensorBaseESI_lENKUlvE_clEvENKUlvE2_clEvEUlS7_S7_E_S7_EEDaPvRmT3_T4_T5_mT6_P12ihipStream_tbENKUlT_T0_E_clISt17integral_constantIbLb0EESZ_EEDaSU_SV_EUlSU_E0_NS1_11comp_targetILNS1_3genE10ELNS1_11target_archE1201ELNS1_3gpuE5ELNS1_3repE0EEENS1_30default_config_static_selectorELNS0_4arch9wavefront6targetE1EEEvT1_.has_recursion, 0
	.set _ZN7rocprim17ROCPRIM_400000_NS6detail17trampoline_kernelINS0_14default_configENS1_20scan_config_selectorIN3c107complexIfEEEEZZNS1_9scan_implILNS1_25lookback_scan_determinismE0ELb0ELb0ES3_PKS7_PS7_S7_ZZZN2at6native31launch_logcumsumexp_cuda_kernelERKNSE_10TensorBaseESI_lENKUlvE_clEvENKUlvE2_clEvEUlS7_S7_E_S7_EEDaPvRmT3_T4_T5_mT6_P12ihipStream_tbENKUlT_T0_E_clISt17integral_constantIbLb0EESZ_EEDaSU_SV_EUlSU_E0_NS1_11comp_targetILNS1_3genE10ELNS1_11target_archE1201ELNS1_3gpuE5ELNS1_3repE0EEENS1_30default_config_static_selectorELNS0_4arch9wavefront6targetE1EEEvT1_.has_indirect_call, 0
	.section	.AMDGPU.csdata,"",@progbits
; Kernel info:
; codeLenInByte = 0
; TotalNumSgprs: 4
; NumVgprs: 0
; ScratchSize: 0
; MemoryBound: 0
; FloatMode: 240
; IeeeMode: 1
; LDSByteSize: 0 bytes/workgroup (compile time only)
; SGPRBlocks: 0
; VGPRBlocks: 0
; NumSGPRsForWavesPerEU: 4
; NumVGPRsForWavesPerEU: 1
; Occupancy: 10
; WaveLimiterHint : 0
; COMPUTE_PGM_RSRC2:SCRATCH_EN: 0
; COMPUTE_PGM_RSRC2:USER_SGPR: 6
; COMPUTE_PGM_RSRC2:TRAP_HANDLER: 0
; COMPUTE_PGM_RSRC2:TGID_X_EN: 1
; COMPUTE_PGM_RSRC2:TGID_Y_EN: 0
; COMPUTE_PGM_RSRC2:TGID_Z_EN: 0
; COMPUTE_PGM_RSRC2:TIDIG_COMP_CNT: 0
	.section	.text._ZN7rocprim17ROCPRIM_400000_NS6detail17trampoline_kernelINS0_14default_configENS1_20scan_config_selectorIN3c107complexIfEEEEZZNS1_9scan_implILNS1_25lookback_scan_determinismE0ELb0ELb0ES3_PKS7_PS7_S7_ZZZN2at6native31launch_logcumsumexp_cuda_kernelERKNSE_10TensorBaseESI_lENKUlvE_clEvENKUlvE2_clEvEUlS7_S7_E_S7_EEDaPvRmT3_T4_T5_mT6_P12ihipStream_tbENKUlT_T0_E_clISt17integral_constantIbLb0EESZ_EEDaSU_SV_EUlSU_E0_NS1_11comp_targetILNS1_3genE10ELNS1_11target_archE1200ELNS1_3gpuE4ELNS1_3repE0EEENS1_30default_config_static_selectorELNS0_4arch9wavefront6targetE1EEEvT1_,"axG",@progbits,_ZN7rocprim17ROCPRIM_400000_NS6detail17trampoline_kernelINS0_14default_configENS1_20scan_config_selectorIN3c107complexIfEEEEZZNS1_9scan_implILNS1_25lookback_scan_determinismE0ELb0ELb0ES3_PKS7_PS7_S7_ZZZN2at6native31launch_logcumsumexp_cuda_kernelERKNSE_10TensorBaseESI_lENKUlvE_clEvENKUlvE2_clEvEUlS7_S7_E_S7_EEDaPvRmT3_T4_T5_mT6_P12ihipStream_tbENKUlT_T0_E_clISt17integral_constantIbLb0EESZ_EEDaSU_SV_EUlSU_E0_NS1_11comp_targetILNS1_3genE10ELNS1_11target_archE1200ELNS1_3gpuE4ELNS1_3repE0EEENS1_30default_config_static_selectorELNS0_4arch9wavefront6targetE1EEEvT1_,comdat
	.globl	_ZN7rocprim17ROCPRIM_400000_NS6detail17trampoline_kernelINS0_14default_configENS1_20scan_config_selectorIN3c107complexIfEEEEZZNS1_9scan_implILNS1_25lookback_scan_determinismE0ELb0ELb0ES3_PKS7_PS7_S7_ZZZN2at6native31launch_logcumsumexp_cuda_kernelERKNSE_10TensorBaseESI_lENKUlvE_clEvENKUlvE2_clEvEUlS7_S7_E_S7_EEDaPvRmT3_T4_T5_mT6_P12ihipStream_tbENKUlT_T0_E_clISt17integral_constantIbLb0EESZ_EEDaSU_SV_EUlSU_E0_NS1_11comp_targetILNS1_3genE10ELNS1_11target_archE1200ELNS1_3gpuE4ELNS1_3repE0EEENS1_30default_config_static_selectorELNS0_4arch9wavefront6targetE1EEEvT1_ ; -- Begin function _ZN7rocprim17ROCPRIM_400000_NS6detail17trampoline_kernelINS0_14default_configENS1_20scan_config_selectorIN3c107complexIfEEEEZZNS1_9scan_implILNS1_25lookback_scan_determinismE0ELb0ELb0ES3_PKS7_PS7_S7_ZZZN2at6native31launch_logcumsumexp_cuda_kernelERKNSE_10TensorBaseESI_lENKUlvE_clEvENKUlvE2_clEvEUlS7_S7_E_S7_EEDaPvRmT3_T4_T5_mT6_P12ihipStream_tbENKUlT_T0_E_clISt17integral_constantIbLb0EESZ_EEDaSU_SV_EUlSU_E0_NS1_11comp_targetILNS1_3genE10ELNS1_11target_archE1200ELNS1_3gpuE4ELNS1_3repE0EEENS1_30default_config_static_selectorELNS0_4arch9wavefront6targetE1EEEvT1_
	.p2align	8
	.type	_ZN7rocprim17ROCPRIM_400000_NS6detail17trampoline_kernelINS0_14default_configENS1_20scan_config_selectorIN3c107complexIfEEEEZZNS1_9scan_implILNS1_25lookback_scan_determinismE0ELb0ELb0ES3_PKS7_PS7_S7_ZZZN2at6native31launch_logcumsumexp_cuda_kernelERKNSE_10TensorBaseESI_lENKUlvE_clEvENKUlvE2_clEvEUlS7_S7_E_S7_EEDaPvRmT3_T4_T5_mT6_P12ihipStream_tbENKUlT_T0_E_clISt17integral_constantIbLb0EESZ_EEDaSU_SV_EUlSU_E0_NS1_11comp_targetILNS1_3genE10ELNS1_11target_archE1200ELNS1_3gpuE4ELNS1_3repE0EEENS1_30default_config_static_selectorELNS0_4arch9wavefront6targetE1EEEvT1_,@function
_ZN7rocprim17ROCPRIM_400000_NS6detail17trampoline_kernelINS0_14default_configENS1_20scan_config_selectorIN3c107complexIfEEEEZZNS1_9scan_implILNS1_25lookback_scan_determinismE0ELb0ELb0ES3_PKS7_PS7_S7_ZZZN2at6native31launch_logcumsumexp_cuda_kernelERKNSE_10TensorBaseESI_lENKUlvE_clEvENKUlvE2_clEvEUlS7_S7_E_S7_EEDaPvRmT3_T4_T5_mT6_P12ihipStream_tbENKUlT_T0_E_clISt17integral_constantIbLb0EESZ_EEDaSU_SV_EUlSU_E0_NS1_11comp_targetILNS1_3genE10ELNS1_11target_archE1200ELNS1_3gpuE4ELNS1_3repE0EEENS1_30default_config_static_selectorELNS0_4arch9wavefront6targetE1EEEvT1_: ; @_ZN7rocprim17ROCPRIM_400000_NS6detail17trampoline_kernelINS0_14default_configENS1_20scan_config_selectorIN3c107complexIfEEEEZZNS1_9scan_implILNS1_25lookback_scan_determinismE0ELb0ELb0ES3_PKS7_PS7_S7_ZZZN2at6native31launch_logcumsumexp_cuda_kernelERKNSE_10TensorBaseESI_lENKUlvE_clEvENKUlvE2_clEvEUlS7_S7_E_S7_EEDaPvRmT3_T4_T5_mT6_P12ihipStream_tbENKUlT_T0_E_clISt17integral_constantIbLb0EESZ_EEDaSU_SV_EUlSU_E0_NS1_11comp_targetILNS1_3genE10ELNS1_11target_archE1200ELNS1_3gpuE4ELNS1_3repE0EEENS1_30default_config_static_selectorELNS0_4arch9wavefront6targetE1EEEvT1_
; %bb.0:
	.section	.rodata,"a",@progbits
	.p2align	6, 0x0
	.amdhsa_kernel _ZN7rocprim17ROCPRIM_400000_NS6detail17trampoline_kernelINS0_14default_configENS1_20scan_config_selectorIN3c107complexIfEEEEZZNS1_9scan_implILNS1_25lookback_scan_determinismE0ELb0ELb0ES3_PKS7_PS7_S7_ZZZN2at6native31launch_logcumsumexp_cuda_kernelERKNSE_10TensorBaseESI_lENKUlvE_clEvENKUlvE2_clEvEUlS7_S7_E_S7_EEDaPvRmT3_T4_T5_mT6_P12ihipStream_tbENKUlT_T0_E_clISt17integral_constantIbLb0EESZ_EEDaSU_SV_EUlSU_E0_NS1_11comp_targetILNS1_3genE10ELNS1_11target_archE1200ELNS1_3gpuE4ELNS1_3repE0EEENS1_30default_config_static_selectorELNS0_4arch9wavefront6targetE1EEEvT1_
		.amdhsa_group_segment_fixed_size 0
		.amdhsa_private_segment_fixed_size 0
		.amdhsa_kernarg_size 40
		.amdhsa_user_sgpr_count 6
		.amdhsa_user_sgpr_private_segment_buffer 1
		.amdhsa_user_sgpr_dispatch_ptr 0
		.amdhsa_user_sgpr_queue_ptr 0
		.amdhsa_user_sgpr_kernarg_segment_ptr 1
		.amdhsa_user_sgpr_dispatch_id 0
		.amdhsa_user_sgpr_flat_scratch_init 0
		.amdhsa_user_sgpr_private_segment_size 0
		.amdhsa_uses_dynamic_stack 0
		.amdhsa_system_sgpr_private_segment_wavefront_offset 0
		.amdhsa_system_sgpr_workgroup_id_x 1
		.amdhsa_system_sgpr_workgroup_id_y 0
		.amdhsa_system_sgpr_workgroup_id_z 0
		.amdhsa_system_sgpr_workgroup_info 0
		.amdhsa_system_vgpr_workitem_id 0
		.amdhsa_next_free_vgpr 1
		.amdhsa_next_free_sgpr 0
		.amdhsa_reserve_vcc 0
		.amdhsa_reserve_flat_scratch 0
		.amdhsa_float_round_mode_32 0
		.amdhsa_float_round_mode_16_64 0
		.amdhsa_float_denorm_mode_32 3
		.amdhsa_float_denorm_mode_16_64 3
		.amdhsa_dx10_clamp 1
		.amdhsa_ieee_mode 1
		.amdhsa_fp16_overflow 0
		.amdhsa_exception_fp_ieee_invalid_op 0
		.amdhsa_exception_fp_denorm_src 0
		.amdhsa_exception_fp_ieee_div_zero 0
		.amdhsa_exception_fp_ieee_overflow 0
		.amdhsa_exception_fp_ieee_underflow 0
		.amdhsa_exception_fp_ieee_inexact 0
		.amdhsa_exception_int_div_zero 0
	.end_amdhsa_kernel
	.section	.text._ZN7rocprim17ROCPRIM_400000_NS6detail17trampoline_kernelINS0_14default_configENS1_20scan_config_selectorIN3c107complexIfEEEEZZNS1_9scan_implILNS1_25lookback_scan_determinismE0ELb0ELb0ES3_PKS7_PS7_S7_ZZZN2at6native31launch_logcumsumexp_cuda_kernelERKNSE_10TensorBaseESI_lENKUlvE_clEvENKUlvE2_clEvEUlS7_S7_E_S7_EEDaPvRmT3_T4_T5_mT6_P12ihipStream_tbENKUlT_T0_E_clISt17integral_constantIbLb0EESZ_EEDaSU_SV_EUlSU_E0_NS1_11comp_targetILNS1_3genE10ELNS1_11target_archE1200ELNS1_3gpuE4ELNS1_3repE0EEENS1_30default_config_static_selectorELNS0_4arch9wavefront6targetE1EEEvT1_,"axG",@progbits,_ZN7rocprim17ROCPRIM_400000_NS6detail17trampoline_kernelINS0_14default_configENS1_20scan_config_selectorIN3c107complexIfEEEEZZNS1_9scan_implILNS1_25lookback_scan_determinismE0ELb0ELb0ES3_PKS7_PS7_S7_ZZZN2at6native31launch_logcumsumexp_cuda_kernelERKNSE_10TensorBaseESI_lENKUlvE_clEvENKUlvE2_clEvEUlS7_S7_E_S7_EEDaPvRmT3_T4_T5_mT6_P12ihipStream_tbENKUlT_T0_E_clISt17integral_constantIbLb0EESZ_EEDaSU_SV_EUlSU_E0_NS1_11comp_targetILNS1_3genE10ELNS1_11target_archE1200ELNS1_3gpuE4ELNS1_3repE0EEENS1_30default_config_static_selectorELNS0_4arch9wavefront6targetE1EEEvT1_,comdat
.Lfunc_end287:
	.size	_ZN7rocprim17ROCPRIM_400000_NS6detail17trampoline_kernelINS0_14default_configENS1_20scan_config_selectorIN3c107complexIfEEEEZZNS1_9scan_implILNS1_25lookback_scan_determinismE0ELb0ELb0ES3_PKS7_PS7_S7_ZZZN2at6native31launch_logcumsumexp_cuda_kernelERKNSE_10TensorBaseESI_lENKUlvE_clEvENKUlvE2_clEvEUlS7_S7_E_S7_EEDaPvRmT3_T4_T5_mT6_P12ihipStream_tbENKUlT_T0_E_clISt17integral_constantIbLb0EESZ_EEDaSU_SV_EUlSU_E0_NS1_11comp_targetILNS1_3genE10ELNS1_11target_archE1200ELNS1_3gpuE4ELNS1_3repE0EEENS1_30default_config_static_selectorELNS0_4arch9wavefront6targetE1EEEvT1_, .Lfunc_end287-_ZN7rocprim17ROCPRIM_400000_NS6detail17trampoline_kernelINS0_14default_configENS1_20scan_config_selectorIN3c107complexIfEEEEZZNS1_9scan_implILNS1_25lookback_scan_determinismE0ELb0ELb0ES3_PKS7_PS7_S7_ZZZN2at6native31launch_logcumsumexp_cuda_kernelERKNSE_10TensorBaseESI_lENKUlvE_clEvENKUlvE2_clEvEUlS7_S7_E_S7_EEDaPvRmT3_T4_T5_mT6_P12ihipStream_tbENKUlT_T0_E_clISt17integral_constantIbLb0EESZ_EEDaSU_SV_EUlSU_E0_NS1_11comp_targetILNS1_3genE10ELNS1_11target_archE1200ELNS1_3gpuE4ELNS1_3repE0EEENS1_30default_config_static_selectorELNS0_4arch9wavefront6targetE1EEEvT1_
                                        ; -- End function
	.set _ZN7rocprim17ROCPRIM_400000_NS6detail17trampoline_kernelINS0_14default_configENS1_20scan_config_selectorIN3c107complexIfEEEEZZNS1_9scan_implILNS1_25lookback_scan_determinismE0ELb0ELb0ES3_PKS7_PS7_S7_ZZZN2at6native31launch_logcumsumexp_cuda_kernelERKNSE_10TensorBaseESI_lENKUlvE_clEvENKUlvE2_clEvEUlS7_S7_E_S7_EEDaPvRmT3_T4_T5_mT6_P12ihipStream_tbENKUlT_T0_E_clISt17integral_constantIbLb0EESZ_EEDaSU_SV_EUlSU_E0_NS1_11comp_targetILNS1_3genE10ELNS1_11target_archE1200ELNS1_3gpuE4ELNS1_3repE0EEENS1_30default_config_static_selectorELNS0_4arch9wavefront6targetE1EEEvT1_.num_vgpr, 0
	.set _ZN7rocprim17ROCPRIM_400000_NS6detail17trampoline_kernelINS0_14default_configENS1_20scan_config_selectorIN3c107complexIfEEEEZZNS1_9scan_implILNS1_25lookback_scan_determinismE0ELb0ELb0ES3_PKS7_PS7_S7_ZZZN2at6native31launch_logcumsumexp_cuda_kernelERKNSE_10TensorBaseESI_lENKUlvE_clEvENKUlvE2_clEvEUlS7_S7_E_S7_EEDaPvRmT3_T4_T5_mT6_P12ihipStream_tbENKUlT_T0_E_clISt17integral_constantIbLb0EESZ_EEDaSU_SV_EUlSU_E0_NS1_11comp_targetILNS1_3genE10ELNS1_11target_archE1200ELNS1_3gpuE4ELNS1_3repE0EEENS1_30default_config_static_selectorELNS0_4arch9wavefront6targetE1EEEvT1_.num_agpr, 0
	.set _ZN7rocprim17ROCPRIM_400000_NS6detail17trampoline_kernelINS0_14default_configENS1_20scan_config_selectorIN3c107complexIfEEEEZZNS1_9scan_implILNS1_25lookback_scan_determinismE0ELb0ELb0ES3_PKS7_PS7_S7_ZZZN2at6native31launch_logcumsumexp_cuda_kernelERKNSE_10TensorBaseESI_lENKUlvE_clEvENKUlvE2_clEvEUlS7_S7_E_S7_EEDaPvRmT3_T4_T5_mT6_P12ihipStream_tbENKUlT_T0_E_clISt17integral_constantIbLb0EESZ_EEDaSU_SV_EUlSU_E0_NS1_11comp_targetILNS1_3genE10ELNS1_11target_archE1200ELNS1_3gpuE4ELNS1_3repE0EEENS1_30default_config_static_selectorELNS0_4arch9wavefront6targetE1EEEvT1_.numbered_sgpr, 0
	.set _ZN7rocprim17ROCPRIM_400000_NS6detail17trampoline_kernelINS0_14default_configENS1_20scan_config_selectorIN3c107complexIfEEEEZZNS1_9scan_implILNS1_25lookback_scan_determinismE0ELb0ELb0ES3_PKS7_PS7_S7_ZZZN2at6native31launch_logcumsumexp_cuda_kernelERKNSE_10TensorBaseESI_lENKUlvE_clEvENKUlvE2_clEvEUlS7_S7_E_S7_EEDaPvRmT3_T4_T5_mT6_P12ihipStream_tbENKUlT_T0_E_clISt17integral_constantIbLb0EESZ_EEDaSU_SV_EUlSU_E0_NS1_11comp_targetILNS1_3genE10ELNS1_11target_archE1200ELNS1_3gpuE4ELNS1_3repE0EEENS1_30default_config_static_selectorELNS0_4arch9wavefront6targetE1EEEvT1_.num_named_barrier, 0
	.set _ZN7rocprim17ROCPRIM_400000_NS6detail17trampoline_kernelINS0_14default_configENS1_20scan_config_selectorIN3c107complexIfEEEEZZNS1_9scan_implILNS1_25lookback_scan_determinismE0ELb0ELb0ES3_PKS7_PS7_S7_ZZZN2at6native31launch_logcumsumexp_cuda_kernelERKNSE_10TensorBaseESI_lENKUlvE_clEvENKUlvE2_clEvEUlS7_S7_E_S7_EEDaPvRmT3_T4_T5_mT6_P12ihipStream_tbENKUlT_T0_E_clISt17integral_constantIbLb0EESZ_EEDaSU_SV_EUlSU_E0_NS1_11comp_targetILNS1_3genE10ELNS1_11target_archE1200ELNS1_3gpuE4ELNS1_3repE0EEENS1_30default_config_static_selectorELNS0_4arch9wavefront6targetE1EEEvT1_.private_seg_size, 0
	.set _ZN7rocprim17ROCPRIM_400000_NS6detail17trampoline_kernelINS0_14default_configENS1_20scan_config_selectorIN3c107complexIfEEEEZZNS1_9scan_implILNS1_25lookback_scan_determinismE0ELb0ELb0ES3_PKS7_PS7_S7_ZZZN2at6native31launch_logcumsumexp_cuda_kernelERKNSE_10TensorBaseESI_lENKUlvE_clEvENKUlvE2_clEvEUlS7_S7_E_S7_EEDaPvRmT3_T4_T5_mT6_P12ihipStream_tbENKUlT_T0_E_clISt17integral_constantIbLb0EESZ_EEDaSU_SV_EUlSU_E0_NS1_11comp_targetILNS1_3genE10ELNS1_11target_archE1200ELNS1_3gpuE4ELNS1_3repE0EEENS1_30default_config_static_selectorELNS0_4arch9wavefront6targetE1EEEvT1_.uses_vcc, 0
	.set _ZN7rocprim17ROCPRIM_400000_NS6detail17trampoline_kernelINS0_14default_configENS1_20scan_config_selectorIN3c107complexIfEEEEZZNS1_9scan_implILNS1_25lookback_scan_determinismE0ELb0ELb0ES3_PKS7_PS7_S7_ZZZN2at6native31launch_logcumsumexp_cuda_kernelERKNSE_10TensorBaseESI_lENKUlvE_clEvENKUlvE2_clEvEUlS7_S7_E_S7_EEDaPvRmT3_T4_T5_mT6_P12ihipStream_tbENKUlT_T0_E_clISt17integral_constantIbLb0EESZ_EEDaSU_SV_EUlSU_E0_NS1_11comp_targetILNS1_3genE10ELNS1_11target_archE1200ELNS1_3gpuE4ELNS1_3repE0EEENS1_30default_config_static_selectorELNS0_4arch9wavefront6targetE1EEEvT1_.uses_flat_scratch, 0
	.set _ZN7rocprim17ROCPRIM_400000_NS6detail17trampoline_kernelINS0_14default_configENS1_20scan_config_selectorIN3c107complexIfEEEEZZNS1_9scan_implILNS1_25lookback_scan_determinismE0ELb0ELb0ES3_PKS7_PS7_S7_ZZZN2at6native31launch_logcumsumexp_cuda_kernelERKNSE_10TensorBaseESI_lENKUlvE_clEvENKUlvE2_clEvEUlS7_S7_E_S7_EEDaPvRmT3_T4_T5_mT6_P12ihipStream_tbENKUlT_T0_E_clISt17integral_constantIbLb0EESZ_EEDaSU_SV_EUlSU_E0_NS1_11comp_targetILNS1_3genE10ELNS1_11target_archE1200ELNS1_3gpuE4ELNS1_3repE0EEENS1_30default_config_static_selectorELNS0_4arch9wavefront6targetE1EEEvT1_.has_dyn_sized_stack, 0
	.set _ZN7rocprim17ROCPRIM_400000_NS6detail17trampoline_kernelINS0_14default_configENS1_20scan_config_selectorIN3c107complexIfEEEEZZNS1_9scan_implILNS1_25lookback_scan_determinismE0ELb0ELb0ES3_PKS7_PS7_S7_ZZZN2at6native31launch_logcumsumexp_cuda_kernelERKNSE_10TensorBaseESI_lENKUlvE_clEvENKUlvE2_clEvEUlS7_S7_E_S7_EEDaPvRmT3_T4_T5_mT6_P12ihipStream_tbENKUlT_T0_E_clISt17integral_constantIbLb0EESZ_EEDaSU_SV_EUlSU_E0_NS1_11comp_targetILNS1_3genE10ELNS1_11target_archE1200ELNS1_3gpuE4ELNS1_3repE0EEENS1_30default_config_static_selectorELNS0_4arch9wavefront6targetE1EEEvT1_.has_recursion, 0
	.set _ZN7rocprim17ROCPRIM_400000_NS6detail17trampoline_kernelINS0_14default_configENS1_20scan_config_selectorIN3c107complexIfEEEEZZNS1_9scan_implILNS1_25lookback_scan_determinismE0ELb0ELb0ES3_PKS7_PS7_S7_ZZZN2at6native31launch_logcumsumexp_cuda_kernelERKNSE_10TensorBaseESI_lENKUlvE_clEvENKUlvE2_clEvEUlS7_S7_E_S7_EEDaPvRmT3_T4_T5_mT6_P12ihipStream_tbENKUlT_T0_E_clISt17integral_constantIbLb0EESZ_EEDaSU_SV_EUlSU_E0_NS1_11comp_targetILNS1_3genE10ELNS1_11target_archE1200ELNS1_3gpuE4ELNS1_3repE0EEENS1_30default_config_static_selectorELNS0_4arch9wavefront6targetE1EEEvT1_.has_indirect_call, 0
	.section	.AMDGPU.csdata,"",@progbits
; Kernel info:
; codeLenInByte = 0
; TotalNumSgprs: 4
; NumVgprs: 0
; ScratchSize: 0
; MemoryBound: 0
; FloatMode: 240
; IeeeMode: 1
; LDSByteSize: 0 bytes/workgroup (compile time only)
; SGPRBlocks: 0
; VGPRBlocks: 0
; NumSGPRsForWavesPerEU: 4
; NumVGPRsForWavesPerEU: 1
; Occupancy: 10
; WaveLimiterHint : 0
; COMPUTE_PGM_RSRC2:SCRATCH_EN: 0
; COMPUTE_PGM_RSRC2:USER_SGPR: 6
; COMPUTE_PGM_RSRC2:TRAP_HANDLER: 0
; COMPUTE_PGM_RSRC2:TGID_X_EN: 1
; COMPUTE_PGM_RSRC2:TGID_Y_EN: 0
; COMPUTE_PGM_RSRC2:TGID_Z_EN: 0
; COMPUTE_PGM_RSRC2:TIDIG_COMP_CNT: 0
	.section	.text._ZN7rocprim17ROCPRIM_400000_NS6detail17trampoline_kernelINS0_14default_configENS1_20scan_config_selectorIN3c107complexIfEEEEZZNS1_9scan_implILNS1_25lookback_scan_determinismE0ELb0ELb0ES3_PKS7_PS7_S7_ZZZN2at6native31launch_logcumsumexp_cuda_kernelERKNSE_10TensorBaseESI_lENKUlvE_clEvENKUlvE2_clEvEUlS7_S7_E_S7_EEDaPvRmT3_T4_T5_mT6_P12ihipStream_tbENKUlT_T0_E_clISt17integral_constantIbLb0EESZ_EEDaSU_SV_EUlSU_E0_NS1_11comp_targetILNS1_3genE9ELNS1_11target_archE1100ELNS1_3gpuE3ELNS1_3repE0EEENS1_30default_config_static_selectorELNS0_4arch9wavefront6targetE1EEEvT1_,"axG",@progbits,_ZN7rocprim17ROCPRIM_400000_NS6detail17trampoline_kernelINS0_14default_configENS1_20scan_config_selectorIN3c107complexIfEEEEZZNS1_9scan_implILNS1_25lookback_scan_determinismE0ELb0ELb0ES3_PKS7_PS7_S7_ZZZN2at6native31launch_logcumsumexp_cuda_kernelERKNSE_10TensorBaseESI_lENKUlvE_clEvENKUlvE2_clEvEUlS7_S7_E_S7_EEDaPvRmT3_T4_T5_mT6_P12ihipStream_tbENKUlT_T0_E_clISt17integral_constantIbLb0EESZ_EEDaSU_SV_EUlSU_E0_NS1_11comp_targetILNS1_3genE9ELNS1_11target_archE1100ELNS1_3gpuE3ELNS1_3repE0EEENS1_30default_config_static_selectorELNS0_4arch9wavefront6targetE1EEEvT1_,comdat
	.globl	_ZN7rocprim17ROCPRIM_400000_NS6detail17trampoline_kernelINS0_14default_configENS1_20scan_config_selectorIN3c107complexIfEEEEZZNS1_9scan_implILNS1_25lookback_scan_determinismE0ELb0ELb0ES3_PKS7_PS7_S7_ZZZN2at6native31launch_logcumsumexp_cuda_kernelERKNSE_10TensorBaseESI_lENKUlvE_clEvENKUlvE2_clEvEUlS7_S7_E_S7_EEDaPvRmT3_T4_T5_mT6_P12ihipStream_tbENKUlT_T0_E_clISt17integral_constantIbLb0EESZ_EEDaSU_SV_EUlSU_E0_NS1_11comp_targetILNS1_3genE9ELNS1_11target_archE1100ELNS1_3gpuE3ELNS1_3repE0EEENS1_30default_config_static_selectorELNS0_4arch9wavefront6targetE1EEEvT1_ ; -- Begin function _ZN7rocprim17ROCPRIM_400000_NS6detail17trampoline_kernelINS0_14default_configENS1_20scan_config_selectorIN3c107complexIfEEEEZZNS1_9scan_implILNS1_25lookback_scan_determinismE0ELb0ELb0ES3_PKS7_PS7_S7_ZZZN2at6native31launch_logcumsumexp_cuda_kernelERKNSE_10TensorBaseESI_lENKUlvE_clEvENKUlvE2_clEvEUlS7_S7_E_S7_EEDaPvRmT3_T4_T5_mT6_P12ihipStream_tbENKUlT_T0_E_clISt17integral_constantIbLb0EESZ_EEDaSU_SV_EUlSU_E0_NS1_11comp_targetILNS1_3genE9ELNS1_11target_archE1100ELNS1_3gpuE3ELNS1_3repE0EEENS1_30default_config_static_selectorELNS0_4arch9wavefront6targetE1EEEvT1_
	.p2align	8
	.type	_ZN7rocprim17ROCPRIM_400000_NS6detail17trampoline_kernelINS0_14default_configENS1_20scan_config_selectorIN3c107complexIfEEEEZZNS1_9scan_implILNS1_25lookback_scan_determinismE0ELb0ELb0ES3_PKS7_PS7_S7_ZZZN2at6native31launch_logcumsumexp_cuda_kernelERKNSE_10TensorBaseESI_lENKUlvE_clEvENKUlvE2_clEvEUlS7_S7_E_S7_EEDaPvRmT3_T4_T5_mT6_P12ihipStream_tbENKUlT_T0_E_clISt17integral_constantIbLb0EESZ_EEDaSU_SV_EUlSU_E0_NS1_11comp_targetILNS1_3genE9ELNS1_11target_archE1100ELNS1_3gpuE3ELNS1_3repE0EEENS1_30default_config_static_selectorELNS0_4arch9wavefront6targetE1EEEvT1_,@function
_ZN7rocprim17ROCPRIM_400000_NS6detail17trampoline_kernelINS0_14default_configENS1_20scan_config_selectorIN3c107complexIfEEEEZZNS1_9scan_implILNS1_25lookback_scan_determinismE0ELb0ELb0ES3_PKS7_PS7_S7_ZZZN2at6native31launch_logcumsumexp_cuda_kernelERKNSE_10TensorBaseESI_lENKUlvE_clEvENKUlvE2_clEvEUlS7_S7_E_S7_EEDaPvRmT3_T4_T5_mT6_P12ihipStream_tbENKUlT_T0_E_clISt17integral_constantIbLb0EESZ_EEDaSU_SV_EUlSU_E0_NS1_11comp_targetILNS1_3genE9ELNS1_11target_archE1100ELNS1_3gpuE3ELNS1_3repE0EEENS1_30default_config_static_selectorELNS0_4arch9wavefront6targetE1EEEvT1_: ; @_ZN7rocprim17ROCPRIM_400000_NS6detail17trampoline_kernelINS0_14default_configENS1_20scan_config_selectorIN3c107complexIfEEEEZZNS1_9scan_implILNS1_25lookback_scan_determinismE0ELb0ELb0ES3_PKS7_PS7_S7_ZZZN2at6native31launch_logcumsumexp_cuda_kernelERKNSE_10TensorBaseESI_lENKUlvE_clEvENKUlvE2_clEvEUlS7_S7_E_S7_EEDaPvRmT3_T4_T5_mT6_P12ihipStream_tbENKUlT_T0_E_clISt17integral_constantIbLb0EESZ_EEDaSU_SV_EUlSU_E0_NS1_11comp_targetILNS1_3genE9ELNS1_11target_archE1100ELNS1_3gpuE3ELNS1_3repE0EEENS1_30default_config_static_selectorELNS0_4arch9wavefront6targetE1EEEvT1_
; %bb.0:
	.section	.rodata,"a",@progbits
	.p2align	6, 0x0
	.amdhsa_kernel _ZN7rocprim17ROCPRIM_400000_NS6detail17trampoline_kernelINS0_14default_configENS1_20scan_config_selectorIN3c107complexIfEEEEZZNS1_9scan_implILNS1_25lookback_scan_determinismE0ELb0ELb0ES3_PKS7_PS7_S7_ZZZN2at6native31launch_logcumsumexp_cuda_kernelERKNSE_10TensorBaseESI_lENKUlvE_clEvENKUlvE2_clEvEUlS7_S7_E_S7_EEDaPvRmT3_T4_T5_mT6_P12ihipStream_tbENKUlT_T0_E_clISt17integral_constantIbLb0EESZ_EEDaSU_SV_EUlSU_E0_NS1_11comp_targetILNS1_3genE9ELNS1_11target_archE1100ELNS1_3gpuE3ELNS1_3repE0EEENS1_30default_config_static_selectorELNS0_4arch9wavefront6targetE1EEEvT1_
		.amdhsa_group_segment_fixed_size 0
		.amdhsa_private_segment_fixed_size 0
		.amdhsa_kernarg_size 40
		.amdhsa_user_sgpr_count 6
		.amdhsa_user_sgpr_private_segment_buffer 1
		.amdhsa_user_sgpr_dispatch_ptr 0
		.amdhsa_user_sgpr_queue_ptr 0
		.amdhsa_user_sgpr_kernarg_segment_ptr 1
		.amdhsa_user_sgpr_dispatch_id 0
		.amdhsa_user_sgpr_flat_scratch_init 0
		.amdhsa_user_sgpr_private_segment_size 0
		.amdhsa_uses_dynamic_stack 0
		.amdhsa_system_sgpr_private_segment_wavefront_offset 0
		.amdhsa_system_sgpr_workgroup_id_x 1
		.amdhsa_system_sgpr_workgroup_id_y 0
		.amdhsa_system_sgpr_workgroup_id_z 0
		.amdhsa_system_sgpr_workgroup_info 0
		.amdhsa_system_vgpr_workitem_id 0
		.amdhsa_next_free_vgpr 1
		.amdhsa_next_free_sgpr 0
		.amdhsa_reserve_vcc 0
		.amdhsa_reserve_flat_scratch 0
		.amdhsa_float_round_mode_32 0
		.amdhsa_float_round_mode_16_64 0
		.amdhsa_float_denorm_mode_32 3
		.amdhsa_float_denorm_mode_16_64 3
		.amdhsa_dx10_clamp 1
		.amdhsa_ieee_mode 1
		.amdhsa_fp16_overflow 0
		.amdhsa_exception_fp_ieee_invalid_op 0
		.amdhsa_exception_fp_denorm_src 0
		.amdhsa_exception_fp_ieee_div_zero 0
		.amdhsa_exception_fp_ieee_overflow 0
		.amdhsa_exception_fp_ieee_underflow 0
		.amdhsa_exception_fp_ieee_inexact 0
		.amdhsa_exception_int_div_zero 0
	.end_amdhsa_kernel
	.section	.text._ZN7rocprim17ROCPRIM_400000_NS6detail17trampoline_kernelINS0_14default_configENS1_20scan_config_selectorIN3c107complexIfEEEEZZNS1_9scan_implILNS1_25lookback_scan_determinismE0ELb0ELb0ES3_PKS7_PS7_S7_ZZZN2at6native31launch_logcumsumexp_cuda_kernelERKNSE_10TensorBaseESI_lENKUlvE_clEvENKUlvE2_clEvEUlS7_S7_E_S7_EEDaPvRmT3_T4_T5_mT6_P12ihipStream_tbENKUlT_T0_E_clISt17integral_constantIbLb0EESZ_EEDaSU_SV_EUlSU_E0_NS1_11comp_targetILNS1_3genE9ELNS1_11target_archE1100ELNS1_3gpuE3ELNS1_3repE0EEENS1_30default_config_static_selectorELNS0_4arch9wavefront6targetE1EEEvT1_,"axG",@progbits,_ZN7rocprim17ROCPRIM_400000_NS6detail17trampoline_kernelINS0_14default_configENS1_20scan_config_selectorIN3c107complexIfEEEEZZNS1_9scan_implILNS1_25lookback_scan_determinismE0ELb0ELb0ES3_PKS7_PS7_S7_ZZZN2at6native31launch_logcumsumexp_cuda_kernelERKNSE_10TensorBaseESI_lENKUlvE_clEvENKUlvE2_clEvEUlS7_S7_E_S7_EEDaPvRmT3_T4_T5_mT6_P12ihipStream_tbENKUlT_T0_E_clISt17integral_constantIbLb0EESZ_EEDaSU_SV_EUlSU_E0_NS1_11comp_targetILNS1_3genE9ELNS1_11target_archE1100ELNS1_3gpuE3ELNS1_3repE0EEENS1_30default_config_static_selectorELNS0_4arch9wavefront6targetE1EEEvT1_,comdat
.Lfunc_end288:
	.size	_ZN7rocprim17ROCPRIM_400000_NS6detail17trampoline_kernelINS0_14default_configENS1_20scan_config_selectorIN3c107complexIfEEEEZZNS1_9scan_implILNS1_25lookback_scan_determinismE0ELb0ELb0ES3_PKS7_PS7_S7_ZZZN2at6native31launch_logcumsumexp_cuda_kernelERKNSE_10TensorBaseESI_lENKUlvE_clEvENKUlvE2_clEvEUlS7_S7_E_S7_EEDaPvRmT3_T4_T5_mT6_P12ihipStream_tbENKUlT_T0_E_clISt17integral_constantIbLb0EESZ_EEDaSU_SV_EUlSU_E0_NS1_11comp_targetILNS1_3genE9ELNS1_11target_archE1100ELNS1_3gpuE3ELNS1_3repE0EEENS1_30default_config_static_selectorELNS0_4arch9wavefront6targetE1EEEvT1_, .Lfunc_end288-_ZN7rocprim17ROCPRIM_400000_NS6detail17trampoline_kernelINS0_14default_configENS1_20scan_config_selectorIN3c107complexIfEEEEZZNS1_9scan_implILNS1_25lookback_scan_determinismE0ELb0ELb0ES3_PKS7_PS7_S7_ZZZN2at6native31launch_logcumsumexp_cuda_kernelERKNSE_10TensorBaseESI_lENKUlvE_clEvENKUlvE2_clEvEUlS7_S7_E_S7_EEDaPvRmT3_T4_T5_mT6_P12ihipStream_tbENKUlT_T0_E_clISt17integral_constantIbLb0EESZ_EEDaSU_SV_EUlSU_E0_NS1_11comp_targetILNS1_3genE9ELNS1_11target_archE1100ELNS1_3gpuE3ELNS1_3repE0EEENS1_30default_config_static_selectorELNS0_4arch9wavefront6targetE1EEEvT1_
                                        ; -- End function
	.set _ZN7rocprim17ROCPRIM_400000_NS6detail17trampoline_kernelINS0_14default_configENS1_20scan_config_selectorIN3c107complexIfEEEEZZNS1_9scan_implILNS1_25lookback_scan_determinismE0ELb0ELb0ES3_PKS7_PS7_S7_ZZZN2at6native31launch_logcumsumexp_cuda_kernelERKNSE_10TensorBaseESI_lENKUlvE_clEvENKUlvE2_clEvEUlS7_S7_E_S7_EEDaPvRmT3_T4_T5_mT6_P12ihipStream_tbENKUlT_T0_E_clISt17integral_constantIbLb0EESZ_EEDaSU_SV_EUlSU_E0_NS1_11comp_targetILNS1_3genE9ELNS1_11target_archE1100ELNS1_3gpuE3ELNS1_3repE0EEENS1_30default_config_static_selectorELNS0_4arch9wavefront6targetE1EEEvT1_.num_vgpr, 0
	.set _ZN7rocprim17ROCPRIM_400000_NS6detail17trampoline_kernelINS0_14default_configENS1_20scan_config_selectorIN3c107complexIfEEEEZZNS1_9scan_implILNS1_25lookback_scan_determinismE0ELb0ELb0ES3_PKS7_PS7_S7_ZZZN2at6native31launch_logcumsumexp_cuda_kernelERKNSE_10TensorBaseESI_lENKUlvE_clEvENKUlvE2_clEvEUlS7_S7_E_S7_EEDaPvRmT3_T4_T5_mT6_P12ihipStream_tbENKUlT_T0_E_clISt17integral_constantIbLb0EESZ_EEDaSU_SV_EUlSU_E0_NS1_11comp_targetILNS1_3genE9ELNS1_11target_archE1100ELNS1_3gpuE3ELNS1_3repE0EEENS1_30default_config_static_selectorELNS0_4arch9wavefront6targetE1EEEvT1_.num_agpr, 0
	.set _ZN7rocprim17ROCPRIM_400000_NS6detail17trampoline_kernelINS0_14default_configENS1_20scan_config_selectorIN3c107complexIfEEEEZZNS1_9scan_implILNS1_25lookback_scan_determinismE0ELb0ELb0ES3_PKS7_PS7_S7_ZZZN2at6native31launch_logcumsumexp_cuda_kernelERKNSE_10TensorBaseESI_lENKUlvE_clEvENKUlvE2_clEvEUlS7_S7_E_S7_EEDaPvRmT3_T4_T5_mT6_P12ihipStream_tbENKUlT_T0_E_clISt17integral_constantIbLb0EESZ_EEDaSU_SV_EUlSU_E0_NS1_11comp_targetILNS1_3genE9ELNS1_11target_archE1100ELNS1_3gpuE3ELNS1_3repE0EEENS1_30default_config_static_selectorELNS0_4arch9wavefront6targetE1EEEvT1_.numbered_sgpr, 0
	.set _ZN7rocprim17ROCPRIM_400000_NS6detail17trampoline_kernelINS0_14default_configENS1_20scan_config_selectorIN3c107complexIfEEEEZZNS1_9scan_implILNS1_25lookback_scan_determinismE0ELb0ELb0ES3_PKS7_PS7_S7_ZZZN2at6native31launch_logcumsumexp_cuda_kernelERKNSE_10TensorBaseESI_lENKUlvE_clEvENKUlvE2_clEvEUlS7_S7_E_S7_EEDaPvRmT3_T4_T5_mT6_P12ihipStream_tbENKUlT_T0_E_clISt17integral_constantIbLb0EESZ_EEDaSU_SV_EUlSU_E0_NS1_11comp_targetILNS1_3genE9ELNS1_11target_archE1100ELNS1_3gpuE3ELNS1_3repE0EEENS1_30default_config_static_selectorELNS0_4arch9wavefront6targetE1EEEvT1_.num_named_barrier, 0
	.set _ZN7rocprim17ROCPRIM_400000_NS6detail17trampoline_kernelINS0_14default_configENS1_20scan_config_selectorIN3c107complexIfEEEEZZNS1_9scan_implILNS1_25lookback_scan_determinismE0ELb0ELb0ES3_PKS7_PS7_S7_ZZZN2at6native31launch_logcumsumexp_cuda_kernelERKNSE_10TensorBaseESI_lENKUlvE_clEvENKUlvE2_clEvEUlS7_S7_E_S7_EEDaPvRmT3_T4_T5_mT6_P12ihipStream_tbENKUlT_T0_E_clISt17integral_constantIbLb0EESZ_EEDaSU_SV_EUlSU_E0_NS1_11comp_targetILNS1_3genE9ELNS1_11target_archE1100ELNS1_3gpuE3ELNS1_3repE0EEENS1_30default_config_static_selectorELNS0_4arch9wavefront6targetE1EEEvT1_.private_seg_size, 0
	.set _ZN7rocprim17ROCPRIM_400000_NS6detail17trampoline_kernelINS0_14default_configENS1_20scan_config_selectorIN3c107complexIfEEEEZZNS1_9scan_implILNS1_25lookback_scan_determinismE0ELb0ELb0ES3_PKS7_PS7_S7_ZZZN2at6native31launch_logcumsumexp_cuda_kernelERKNSE_10TensorBaseESI_lENKUlvE_clEvENKUlvE2_clEvEUlS7_S7_E_S7_EEDaPvRmT3_T4_T5_mT6_P12ihipStream_tbENKUlT_T0_E_clISt17integral_constantIbLb0EESZ_EEDaSU_SV_EUlSU_E0_NS1_11comp_targetILNS1_3genE9ELNS1_11target_archE1100ELNS1_3gpuE3ELNS1_3repE0EEENS1_30default_config_static_selectorELNS0_4arch9wavefront6targetE1EEEvT1_.uses_vcc, 0
	.set _ZN7rocprim17ROCPRIM_400000_NS6detail17trampoline_kernelINS0_14default_configENS1_20scan_config_selectorIN3c107complexIfEEEEZZNS1_9scan_implILNS1_25lookback_scan_determinismE0ELb0ELb0ES3_PKS7_PS7_S7_ZZZN2at6native31launch_logcumsumexp_cuda_kernelERKNSE_10TensorBaseESI_lENKUlvE_clEvENKUlvE2_clEvEUlS7_S7_E_S7_EEDaPvRmT3_T4_T5_mT6_P12ihipStream_tbENKUlT_T0_E_clISt17integral_constantIbLb0EESZ_EEDaSU_SV_EUlSU_E0_NS1_11comp_targetILNS1_3genE9ELNS1_11target_archE1100ELNS1_3gpuE3ELNS1_3repE0EEENS1_30default_config_static_selectorELNS0_4arch9wavefront6targetE1EEEvT1_.uses_flat_scratch, 0
	.set _ZN7rocprim17ROCPRIM_400000_NS6detail17trampoline_kernelINS0_14default_configENS1_20scan_config_selectorIN3c107complexIfEEEEZZNS1_9scan_implILNS1_25lookback_scan_determinismE0ELb0ELb0ES3_PKS7_PS7_S7_ZZZN2at6native31launch_logcumsumexp_cuda_kernelERKNSE_10TensorBaseESI_lENKUlvE_clEvENKUlvE2_clEvEUlS7_S7_E_S7_EEDaPvRmT3_T4_T5_mT6_P12ihipStream_tbENKUlT_T0_E_clISt17integral_constantIbLb0EESZ_EEDaSU_SV_EUlSU_E0_NS1_11comp_targetILNS1_3genE9ELNS1_11target_archE1100ELNS1_3gpuE3ELNS1_3repE0EEENS1_30default_config_static_selectorELNS0_4arch9wavefront6targetE1EEEvT1_.has_dyn_sized_stack, 0
	.set _ZN7rocprim17ROCPRIM_400000_NS6detail17trampoline_kernelINS0_14default_configENS1_20scan_config_selectorIN3c107complexIfEEEEZZNS1_9scan_implILNS1_25lookback_scan_determinismE0ELb0ELb0ES3_PKS7_PS7_S7_ZZZN2at6native31launch_logcumsumexp_cuda_kernelERKNSE_10TensorBaseESI_lENKUlvE_clEvENKUlvE2_clEvEUlS7_S7_E_S7_EEDaPvRmT3_T4_T5_mT6_P12ihipStream_tbENKUlT_T0_E_clISt17integral_constantIbLb0EESZ_EEDaSU_SV_EUlSU_E0_NS1_11comp_targetILNS1_3genE9ELNS1_11target_archE1100ELNS1_3gpuE3ELNS1_3repE0EEENS1_30default_config_static_selectorELNS0_4arch9wavefront6targetE1EEEvT1_.has_recursion, 0
	.set _ZN7rocprim17ROCPRIM_400000_NS6detail17trampoline_kernelINS0_14default_configENS1_20scan_config_selectorIN3c107complexIfEEEEZZNS1_9scan_implILNS1_25lookback_scan_determinismE0ELb0ELb0ES3_PKS7_PS7_S7_ZZZN2at6native31launch_logcumsumexp_cuda_kernelERKNSE_10TensorBaseESI_lENKUlvE_clEvENKUlvE2_clEvEUlS7_S7_E_S7_EEDaPvRmT3_T4_T5_mT6_P12ihipStream_tbENKUlT_T0_E_clISt17integral_constantIbLb0EESZ_EEDaSU_SV_EUlSU_E0_NS1_11comp_targetILNS1_3genE9ELNS1_11target_archE1100ELNS1_3gpuE3ELNS1_3repE0EEENS1_30default_config_static_selectorELNS0_4arch9wavefront6targetE1EEEvT1_.has_indirect_call, 0
	.section	.AMDGPU.csdata,"",@progbits
; Kernel info:
; codeLenInByte = 0
; TotalNumSgprs: 4
; NumVgprs: 0
; ScratchSize: 0
; MemoryBound: 0
; FloatMode: 240
; IeeeMode: 1
; LDSByteSize: 0 bytes/workgroup (compile time only)
; SGPRBlocks: 0
; VGPRBlocks: 0
; NumSGPRsForWavesPerEU: 4
; NumVGPRsForWavesPerEU: 1
; Occupancy: 10
; WaveLimiterHint : 0
; COMPUTE_PGM_RSRC2:SCRATCH_EN: 0
; COMPUTE_PGM_RSRC2:USER_SGPR: 6
; COMPUTE_PGM_RSRC2:TRAP_HANDLER: 0
; COMPUTE_PGM_RSRC2:TGID_X_EN: 1
; COMPUTE_PGM_RSRC2:TGID_Y_EN: 0
; COMPUTE_PGM_RSRC2:TGID_Z_EN: 0
; COMPUTE_PGM_RSRC2:TIDIG_COMP_CNT: 0
	.section	.text._ZN7rocprim17ROCPRIM_400000_NS6detail17trampoline_kernelINS0_14default_configENS1_20scan_config_selectorIN3c107complexIfEEEEZZNS1_9scan_implILNS1_25lookback_scan_determinismE0ELb0ELb0ES3_PKS7_PS7_S7_ZZZN2at6native31launch_logcumsumexp_cuda_kernelERKNSE_10TensorBaseESI_lENKUlvE_clEvENKUlvE2_clEvEUlS7_S7_E_S7_EEDaPvRmT3_T4_T5_mT6_P12ihipStream_tbENKUlT_T0_E_clISt17integral_constantIbLb0EESZ_EEDaSU_SV_EUlSU_E0_NS1_11comp_targetILNS1_3genE8ELNS1_11target_archE1030ELNS1_3gpuE2ELNS1_3repE0EEENS1_30default_config_static_selectorELNS0_4arch9wavefront6targetE1EEEvT1_,"axG",@progbits,_ZN7rocprim17ROCPRIM_400000_NS6detail17trampoline_kernelINS0_14default_configENS1_20scan_config_selectorIN3c107complexIfEEEEZZNS1_9scan_implILNS1_25lookback_scan_determinismE0ELb0ELb0ES3_PKS7_PS7_S7_ZZZN2at6native31launch_logcumsumexp_cuda_kernelERKNSE_10TensorBaseESI_lENKUlvE_clEvENKUlvE2_clEvEUlS7_S7_E_S7_EEDaPvRmT3_T4_T5_mT6_P12ihipStream_tbENKUlT_T0_E_clISt17integral_constantIbLb0EESZ_EEDaSU_SV_EUlSU_E0_NS1_11comp_targetILNS1_3genE8ELNS1_11target_archE1030ELNS1_3gpuE2ELNS1_3repE0EEENS1_30default_config_static_selectorELNS0_4arch9wavefront6targetE1EEEvT1_,comdat
	.globl	_ZN7rocprim17ROCPRIM_400000_NS6detail17trampoline_kernelINS0_14default_configENS1_20scan_config_selectorIN3c107complexIfEEEEZZNS1_9scan_implILNS1_25lookback_scan_determinismE0ELb0ELb0ES3_PKS7_PS7_S7_ZZZN2at6native31launch_logcumsumexp_cuda_kernelERKNSE_10TensorBaseESI_lENKUlvE_clEvENKUlvE2_clEvEUlS7_S7_E_S7_EEDaPvRmT3_T4_T5_mT6_P12ihipStream_tbENKUlT_T0_E_clISt17integral_constantIbLb0EESZ_EEDaSU_SV_EUlSU_E0_NS1_11comp_targetILNS1_3genE8ELNS1_11target_archE1030ELNS1_3gpuE2ELNS1_3repE0EEENS1_30default_config_static_selectorELNS0_4arch9wavefront6targetE1EEEvT1_ ; -- Begin function _ZN7rocprim17ROCPRIM_400000_NS6detail17trampoline_kernelINS0_14default_configENS1_20scan_config_selectorIN3c107complexIfEEEEZZNS1_9scan_implILNS1_25lookback_scan_determinismE0ELb0ELb0ES3_PKS7_PS7_S7_ZZZN2at6native31launch_logcumsumexp_cuda_kernelERKNSE_10TensorBaseESI_lENKUlvE_clEvENKUlvE2_clEvEUlS7_S7_E_S7_EEDaPvRmT3_T4_T5_mT6_P12ihipStream_tbENKUlT_T0_E_clISt17integral_constantIbLb0EESZ_EEDaSU_SV_EUlSU_E0_NS1_11comp_targetILNS1_3genE8ELNS1_11target_archE1030ELNS1_3gpuE2ELNS1_3repE0EEENS1_30default_config_static_selectorELNS0_4arch9wavefront6targetE1EEEvT1_
	.p2align	8
	.type	_ZN7rocprim17ROCPRIM_400000_NS6detail17trampoline_kernelINS0_14default_configENS1_20scan_config_selectorIN3c107complexIfEEEEZZNS1_9scan_implILNS1_25lookback_scan_determinismE0ELb0ELb0ES3_PKS7_PS7_S7_ZZZN2at6native31launch_logcumsumexp_cuda_kernelERKNSE_10TensorBaseESI_lENKUlvE_clEvENKUlvE2_clEvEUlS7_S7_E_S7_EEDaPvRmT3_T4_T5_mT6_P12ihipStream_tbENKUlT_T0_E_clISt17integral_constantIbLb0EESZ_EEDaSU_SV_EUlSU_E0_NS1_11comp_targetILNS1_3genE8ELNS1_11target_archE1030ELNS1_3gpuE2ELNS1_3repE0EEENS1_30default_config_static_selectorELNS0_4arch9wavefront6targetE1EEEvT1_,@function
_ZN7rocprim17ROCPRIM_400000_NS6detail17trampoline_kernelINS0_14default_configENS1_20scan_config_selectorIN3c107complexIfEEEEZZNS1_9scan_implILNS1_25lookback_scan_determinismE0ELb0ELb0ES3_PKS7_PS7_S7_ZZZN2at6native31launch_logcumsumexp_cuda_kernelERKNSE_10TensorBaseESI_lENKUlvE_clEvENKUlvE2_clEvEUlS7_S7_E_S7_EEDaPvRmT3_T4_T5_mT6_P12ihipStream_tbENKUlT_T0_E_clISt17integral_constantIbLb0EESZ_EEDaSU_SV_EUlSU_E0_NS1_11comp_targetILNS1_3genE8ELNS1_11target_archE1030ELNS1_3gpuE2ELNS1_3repE0EEENS1_30default_config_static_selectorELNS0_4arch9wavefront6targetE1EEEvT1_: ; @_ZN7rocprim17ROCPRIM_400000_NS6detail17trampoline_kernelINS0_14default_configENS1_20scan_config_selectorIN3c107complexIfEEEEZZNS1_9scan_implILNS1_25lookback_scan_determinismE0ELb0ELb0ES3_PKS7_PS7_S7_ZZZN2at6native31launch_logcumsumexp_cuda_kernelERKNSE_10TensorBaseESI_lENKUlvE_clEvENKUlvE2_clEvEUlS7_S7_E_S7_EEDaPvRmT3_T4_T5_mT6_P12ihipStream_tbENKUlT_T0_E_clISt17integral_constantIbLb0EESZ_EEDaSU_SV_EUlSU_E0_NS1_11comp_targetILNS1_3genE8ELNS1_11target_archE1030ELNS1_3gpuE2ELNS1_3repE0EEENS1_30default_config_static_selectorELNS0_4arch9wavefront6targetE1EEEvT1_
; %bb.0:
	.section	.rodata,"a",@progbits
	.p2align	6, 0x0
	.amdhsa_kernel _ZN7rocprim17ROCPRIM_400000_NS6detail17trampoline_kernelINS0_14default_configENS1_20scan_config_selectorIN3c107complexIfEEEEZZNS1_9scan_implILNS1_25lookback_scan_determinismE0ELb0ELb0ES3_PKS7_PS7_S7_ZZZN2at6native31launch_logcumsumexp_cuda_kernelERKNSE_10TensorBaseESI_lENKUlvE_clEvENKUlvE2_clEvEUlS7_S7_E_S7_EEDaPvRmT3_T4_T5_mT6_P12ihipStream_tbENKUlT_T0_E_clISt17integral_constantIbLb0EESZ_EEDaSU_SV_EUlSU_E0_NS1_11comp_targetILNS1_3genE8ELNS1_11target_archE1030ELNS1_3gpuE2ELNS1_3repE0EEENS1_30default_config_static_selectorELNS0_4arch9wavefront6targetE1EEEvT1_
		.amdhsa_group_segment_fixed_size 0
		.amdhsa_private_segment_fixed_size 0
		.amdhsa_kernarg_size 40
		.amdhsa_user_sgpr_count 6
		.amdhsa_user_sgpr_private_segment_buffer 1
		.amdhsa_user_sgpr_dispatch_ptr 0
		.amdhsa_user_sgpr_queue_ptr 0
		.amdhsa_user_sgpr_kernarg_segment_ptr 1
		.amdhsa_user_sgpr_dispatch_id 0
		.amdhsa_user_sgpr_flat_scratch_init 0
		.amdhsa_user_sgpr_private_segment_size 0
		.amdhsa_uses_dynamic_stack 0
		.amdhsa_system_sgpr_private_segment_wavefront_offset 0
		.amdhsa_system_sgpr_workgroup_id_x 1
		.amdhsa_system_sgpr_workgroup_id_y 0
		.amdhsa_system_sgpr_workgroup_id_z 0
		.amdhsa_system_sgpr_workgroup_info 0
		.amdhsa_system_vgpr_workitem_id 0
		.amdhsa_next_free_vgpr 1
		.amdhsa_next_free_sgpr 0
		.amdhsa_reserve_vcc 0
		.amdhsa_reserve_flat_scratch 0
		.amdhsa_float_round_mode_32 0
		.amdhsa_float_round_mode_16_64 0
		.amdhsa_float_denorm_mode_32 3
		.amdhsa_float_denorm_mode_16_64 3
		.amdhsa_dx10_clamp 1
		.amdhsa_ieee_mode 1
		.amdhsa_fp16_overflow 0
		.amdhsa_exception_fp_ieee_invalid_op 0
		.amdhsa_exception_fp_denorm_src 0
		.amdhsa_exception_fp_ieee_div_zero 0
		.amdhsa_exception_fp_ieee_overflow 0
		.amdhsa_exception_fp_ieee_underflow 0
		.amdhsa_exception_fp_ieee_inexact 0
		.amdhsa_exception_int_div_zero 0
	.end_amdhsa_kernel
	.section	.text._ZN7rocprim17ROCPRIM_400000_NS6detail17trampoline_kernelINS0_14default_configENS1_20scan_config_selectorIN3c107complexIfEEEEZZNS1_9scan_implILNS1_25lookback_scan_determinismE0ELb0ELb0ES3_PKS7_PS7_S7_ZZZN2at6native31launch_logcumsumexp_cuda_kernelERKNSE_10TensorBaseESI_lENKUlvE_clEvENKUlvE2_clEvEUlS7_S7_E_S7_EEDaPvRmT3_T4_T5_mT6_P12ihipStream_tbENKUlT_T0_E_clISt17integral_constantIbLb0EESZ_EEDaSU_SV_EUlSU_E0_NS1_11comp_targetILNS1_3genE8ELNS1_11target_archE1030ELNS1_3gpuE2ELNS1_3repE0EEENS1_30default_config_static_selectorELNS0_4arch9wavefront6targetE1EEEvT1_,"axG",@progbits,_ZN7rocprim17ROCPRIM_400000_NS6detail17trampoline_kernelINS0_14default_configENS1_20scan_config_selectorIN3c107complexIfEEEEZZNS1_9scan_implILNS1_25lookback_scan_determinismE0ELb0ELb0ES3_PKS7_PS7_S7_ZZZN2at6native31launch_logcumsumexp_cuda_kernelERKNSE_10TensorBaseESI_lENKUlvE_clEvENKUlvE2_clEvEUlS7_S7_E_S7_EEDaPvRmT3_T4_T5_mT6_P12ihipStream_tbENKUlT_T0_E_clISt17integral_constantIbLb0EESZ_EEDaSU_SV_EUlSU_E0_NS1_11comp_targetILNS1_3genE8ELNS1_11target_archE1030ELNS1_3gpuE2ELNS1_3repE0EEENS1_30default_config_static_selectorELNS0_4arch9wavefront6targetE1EEEvT1_,comdat
.Lfunc_end289:
	.size	_ZN7rocprim17ROCPRIM_400000_NS6detail17trampoline_kernelINS0_14default_configENS1_20scan_config_selectorIN3c107complexIfEEEEZZNS1_9scan_implILNS1_25lookback_scan_determinismE0ELb0ELb0ES3_PKS7_PS7_S7_ZZZN2at6native31launch_logcumsumexp_cuda_kernelERKNSE_10TensorBaseESI_lENKUlvE_clEvENKUlvE2_clEvEUlS7_S7_E_S7_EEDaPvRmT3_T4_T5_mT6_P12ihipStream_tbENKUlT_T0_E_clISt17integral_constantIbLb0EESZ_EEDaSU_SV_EUlSU_E0_NS1_11comp_targetILNS1_3genE8ELNS1_11target_archE1030ELNS1_3gpuE2ELNS1_3repE0EEENS1_30default_config_static_selectorELNS0_4arch9wavefront6targetE1EEEvT1_, .Lfunc_end289-_ZN7rocprim17ROCPRIM_400000_NS6detail17trampoline_kernelINS0_14default_configENS1_20scan_config_selectorIN3c107complexIfEEEEZZNS1_9scan_implILNS1_25lookback_scan_determinismE0ELb0ELb0ES3_PKS7_PS7_S7_ZZZN2at6native31launch_logcumsumexp_cuda_kernelERKNSE_10TensorBaseESI_lENKUlvE_clEvENKUlvE2_clEvEUlS7_S7_E_S7_EEDaPvRmT3_T4_T5_mT6_P12ihipStream_tbENKUlT_T0_E_clISt17integral_constantIbLb0EESZ_EEDaSU_SV_EUlSU_E0_NS1_11comp_targetILNS1_3genE8ELNS1_11target_archE1030ELNS1_3gpuE2ELNS1_3repE0EEENS1_30default_config_static_selectorELNS0_4arch9wavefront6targetE1EEEvT1_
                                        ; -- End function
	.set _ZN7rocprim17ROCPRIM_400000_NS6detail17trampoline_kernelINS0_14default_configENS1_20scan_config_selectorIN3c107complexIfEEEEZZNS1_9scan_implILNS1_25lookback_scan_determinismE0ELb0ELb0ES3_PKS7_PS7_S7_ZZZN2at6native31launch_logcumsumexp_cuda_kernelERKNSE_10TensorBaseESI_lENKUlvE_clEvENKUlvE2_clEvEUlS7_S7_E_S7_EEDaPvRmT3_T4_T5_mT6_P12ihipStream_tbENKUlT_T0_E_clISt17integral_constantIbLb0EESZ_EEDaSU_SV_EUlSU_E0_NS1_11comp_targetILNS1_3genE8ELNS1_11target_archE1030ELNS1_3gpuE2ELNS1_3repE0EEENS1_30default_config_static_selectorELNS0_4arch9wavefront6targetE1EEEvT1_.num_vgpr, 0
	.set _ZN7rocprim17ROCPRIM_400000_NS6detail17trampoline_kernelINS0_14default_configENS1_20scan_config_selectorIN3c107complexIfEEEEZZNS1_9scan_implILNS1_25lookback_scan_determinismE0ELb0ELb0ES3_PKS7_PS7_S7_ZZZN2at6native31launch_logcumsumexp_cuda_kernelERKNSE_10TensorBaseESI_lENKUlvE_clEvENKUlvE2_clEvEUlS7_S7_E_S7_EEDaPvRmT3_T4_T5_mT6_P12ihipStream_tbENKUlT_T0_E_clISt17integral_constantIbLb0EESZ_EEDaSU_SV_EUlSU_E0_NS1_11comp_targetILNS1_3genE8ELNS1_11target_archE1030ELNS1_3gpuE2ELNS1_3repE0EEENS1_30default_config_static_selectorELNS0_4arch9wavefront6targetE1EEEvT1_.num_agpr, 0
	.set _ZN7rocprim17ROCPRIM_400000_NS6detail17trampoline_kernelINS0_14default_configENS1_20scan_config_selectorIN3c107complexIfEEEEZZNS1_9scan_implILNS1_25lookback_scan_determinismE0ELb0ELb0ES3_PKS7_PS7_S7_ZZZN2at6native31launch_logcumsumexp_cuda_kernelERKNSE_10TensorBaseESI_lENKUlvE_clEvENKUlvE2_clEvEUlS7_S7_E_S7_EEDaPvRmT3_T4_T5_mT6_P12ihipStream_tbENKUlT_T0_E_clISt17integral_constantIbLb0EESZ_EEDaSU_SV_EUlSU_E0_NS1_11comp_targetILNS1_3genE8ELNS1_11target_archE1030ELNS1_3gpuE2ELNS1_3repE0EEENS1_30default_config_static_selectorELNS0_4arch9wavefront6targetE1EEEvT1_.numbered_sgpr, 0
	.set _ZN7rocprim17ROCPRIM_400000_NS6detail17trampoline_kernelINS0_14default_configENS1_20scan_config_selectorIN3c107complexIfEEEEZZNS1_9scan_implILNS1_25lookback_scan_determinismE0ELb0ELb0ES3_PKS7_PS7_S7_ZZZN2at6native31launch_logcumsumexp_cuda_kernelERKNSE_10TensorBaseESI_lENKUlvE_clEvENKUlvE2_clEvEUlS7_S7_E_S7_EEDaPvRmT3_T4_T5_mT6_P12ihipStream_tbENKUlT_T0_E_clISt17integral_constantIbLb0EESZ_EEDaSU_SV_EUlSU_E0_NS1_11comp_targetILNS1_3genE8ELNS1_11target_archE1030ELNS1_3gpuE2ELNS1_3repE0EEENS1_30default_config_static_selectorELNS0_4arch9wavefront6targetE1EEEvT1_.num_named_barrier, 0
	.set _ZN7rocprim17ROCPRIM_400000_NS6detail17trampoline_kernelINS0_14default_configENS1_20scan_config_selectorIN3c107complexIfEEEEZZNS1_9scan_implILNS1_25lookback_scan_determinismE0ELb0ELb0ES3_PKS7_PS7_S7_ZZZN2at6native31launch_logcumsumexp_cuda_kernelERKNSE_10TensorBaseESI_lENKUlvE_clEvENKUlvE2_clEvEUlS7_S7_E_S7_EEDaPvRmT3_T4_T5_mT6_P12ihipStream_tbENKUlT_T0_E_clISt17integral_constantIbLb0EESZ_EEDaSU_SV_EUlSU_E0_NS1_11comp_targetILNS1_3genE8ELNS1_11target_archE1030ELNS1_3gpuE2ELNS1_3repE0EEENS1_30default_config_static_selectorELNS0_4arch9wavefront6targetE1EEEvT1_.private_seg_size, 0
	.set _ZN7rocprim17ROCPRIM_400000_NS6detail17trampoline_kernelINS0_14default_configENS1_20scan_config_selectorIN3c107complexIfEEEEZZNS1_9scan_implILNS1_25lookback_scan_determinismE0ELb0ELb0ES3_PKS7_PS7_S7_ZZZN2at6native31launch_logcumsumexp_cuda_kernelERKNSE_10TensorBaseESI_lENKUlvE_clEvENKUlvE2_clEvEUlS7_S7_E_S7_EEDaPvRmT3_T4_T5_mT6_P12ihipStream_tbENKUlT_T0_E_clISt17integral_constantIbLb0EESZ_EEDaSU_SV_EUlSU_E0_NS1_11comp_targetILNS1_3genE8ELNS1_11target_archE1030ELNS1_3gpuE2ELNS1_3repE0EEENS1_30default_config_static_selectorELNS0_4arch9wavefront6targetE1EEEvT1_.uses_vcc, 0
	.set _ZN7rocprim17ROCPRIM_400000_NS6detail17trampoline_kernelINS0_14default_configENS1_20scan_config_selectorIN3c107complexIfEEEEZZNS1_9scan_implILNS1_25lookback_scan_determinismE0ELb0ELb0ES3_PKS7_PS7_S7_ZZZN2at6native31launch_logcumsumexp_cuda_kernelERKNSE_10TensorBaseESI_lENKUlvE_clEvENKUlvE2_clEvEUlS7_S7_E_S7_EEDaPvRmT3_T4_T5_mT6_P12ihipStream_tbENKUlT_T0_E_clISt17integral_constantIbLb0EESZ_EEDaSU_SV_EUlSU_E0_NS1_11comp_targetILNS1_3genE8ELNS1_11target_archE1030ELNS1_3gpuE2ELNS1_3repE0EEENS1_30default_config_static_selectorELNS0_4arch9wavefront6targetE1EEEvT1_.uses_flat_scratch, 0
	.set _ZN7rocprim17ROCPRIM_400000_NS6detail17trampoline_kernelINS0_14default_configENS1_20scan_config_selectorIN3c107complexIfEEEEZZNS1_9scan_implILNS1_25lookback_scan_determinismE0ELb0ELb0ES3_PKS7_PS7_S7_ZZZN2at6native31launch_logcumsumexp_cuda_kernelERKNSE_10TensorBaseESI_lENKUlvE_clEvENKUlvE2_clEvEUlS7_S7_E_S7_EEDaPvRmT3_T4_T5_mT6_P12ihipStream_tbENKUlT_T0_E_clISt17integral_constantIbLb0EESZ_EEDaSU_SV_EUlSU_E0_NS1_11comp_targetILNS1_3genE8ELNS1_11target_archE1030ELNS1_3gpuE2ELNS1_3repE0EEENS1_30default_config_static_selectorELNS0_4arch9wavefront6targetE1EEEvT1_.has_dyn_sized_stack, 0
	.set _ZN7rocprim17ROCPRIM_400000_NS6detail17trampoline_kernelINS0_14default_configENS1_20scan_config_selectorIN3c107complexIfEEEEZZNS1_9scan_implILNS1_25lookback_scan_determinismE0ELb0ELb0ES3_PKS7_PS7_S7_ZZZN2at6native31launch_logcumsumexp_cuda_kernelERKNSE_10TensorBaseESI_lENKUlvE_clEvENKUlvE2_clEvEUlS7_S7_E_S7_EEDaPvRmT3_T4_T5_mT6_P12ihipStream_tbENKUlT_T0_E_clISt17integral_constantIbLb0EESZ_EEDaSU_SV_EUlSU_E0_NS1_11comp_targetILNS1_3genE8ELNS1_11target_archE1030ELNS1_3gpuE2ELNS1_3repE0EEENS1_30default_config_static_selectorELNS0_4arch9wavefront6targetE1EEEvT1_.has_recursion, 0
	.set _ZN7rocprim17ROCPRIM_400000_NS6detail17trampoline_kernelINS0_14default_configENS1_20scan_config_selectorIN3c107complexIfEEEEZZNS1_9scan_implILNS1_25lookback_scan_determinismE0ELb0ELb0ES3_PKS7_PS7_S7_ZZZN2at6native31launch_logcumsumexp_cuda_kernelERKNSE_10TensorBaseESI_lENKUlvE_clEvENKUlvE2_clEvEUlS7_S7_E_S7_EEDaPvRmT3_T4_T5_mT6_P12ihipStream_tbENKUlT_T0_E_clISt17integral_constantIbLb0EESZ_EEDaSU_SV_EUlSU_E0_NS1_11comp_targetILNS1_3genE8ELNS1_11target_archE1030ELNS1_3gpuE2ELNS1_3repE0EEENS1_30default_config_static_selectorELNS0_4arch9wavefront6targetE1EEEvT1_.has_indirect_call, 0
	.section	.AMDGPU.csdata,"",@progbits
; Kernel info:
; codeLenInByte = 0
; TotalNumSgprs: 4
; NumVgprs: 0
; ScratchSize: 0
; MemoryBound: 0
; FloatMode: 240
; IeeeMode: 1
; LDSByteSize: 0 bytes/workgroup (compile time only)
; SGPRBlocks: 0
; VGPRBlocks: 0
; NumSGPRsForWavesPerEU: 4
; NumVGPRsForWavesPerEU: 1
; Occupancy: 10
; WaveLimiterHint : 0
; COMPUTE_PGM_RSRC2:SCRATCH_EN: 0
; COMPUTE_PGM_RSRC2:USER_SGPR: 6
; COMPUTE_PGM_RSRC2:TRAP_HANDLER: 0
; COMPUTE_PGM_RSRC2:TGID_X_EN: 1
; COMPUTE_PGM_RSRC2:TGID_Y_EN: 0
; COMPUTE_PGM_RSRC2:TGID_Z_EN: 0
; COMPUTE_PGM_RSRC2:TIDIG_COMP_CNT: 0
	.section	.text._ZN7rocprim17ROCPRIM_400000_NS6detail31init_lookback_scan_state_kernelINS1_19lookback_scan_stateIN3c107complexIfEELb1ELb1EEENS1_16block_id_wrapperIjLb1EEEEEvT_jT0_jPNSA_10value_typeE,"axG",@progbits,_ZN7rocprim17ROCPRIM_400000_NS6detail31init_lookback_scan_state_kernelINS1_19lookback_scan_stateIN3c107complexIfEELb1ELb1EEENS1_16block_id_wrapperIjLb1EEEEEvT_jT0_jPNSA_10value_typeE,comdat
	.protected	_ZN7rocprim17ROCPRIM_400000_NS6detail31init_lookback_scan_state_kernelINS1_19lookback_scan_stateIN3c107complexIfEELb1ELb1EEENS1_16block_id_wrapperIjLb1EEEEEvT_jT0_jPNSA_10value_typeE ; -- Begin function _ZN7rocprim17ROCPRIM_400000_NS6detail31init_lookback_scan_state_kernelINS1_19lookback_scan_stateIN3c107complexIfEELb1ELb1EEENS1_16block_id_wrapperIjLb1EEEEEvT_jT0_jPNSA_10value_typeE
	.globl	_ZN7rocprim17ROCPRIM_400000_NS6detail31init_lookback_scan_state_kernelINS1_19lookback_scan_stateIN3c107complexIfEELb1ELb1EEENS1_16block_id_wrapperIjLb1EEEEEvT_jT0_jPNSA_10value_typeE
	.p2align	8
	.type	_ZN7rocprim17ROCPRIM_400000_NS6detail31init_lookback_scan_state_kernelINS1_19lookback_scan_stateIN3c107complexIfEELb1ELb1EEENS1_16block_id_wrapperIjLb1EEEEEvT_jT0_jPNSA_10value_typeE,@function
_ZN7rocprim17ROCPRIM_400000_NS6detail31init_lookback_scan_state_kernelINS1_19lookback_scan_stateIN3c107complexIfEELb1ELb1EEENS1_16block_id_wrapperIjLb1EEEEEvT_jT0_jPNSA_10value_typeE: ; @_ZN7rocprim17ROCPRIM_400000_NS6detail31init_lookback_scan_state_kernelINS1_19lookback_scan_stateIN3c107complexIfEELb1ELb1EEENS1_16block_id_wrapperIjLb1EEEEEvT_jT0_jPNSA_10value_typeE
; %bb.0:
	s_load_dword s7, s[4:5], 0x34
	s_load_dwordx2 s[2:3], s[4:5], 0x20
	s_load_dwordx2 s[0:1], s[4:5], 0x0
	s_load_dword s14, s[4:5], 0x8
	s_waitcnt lgkmcnt(0)
	s_and_b32 s7, s7, 0xffff
	s_mul_i32 s6, s6, s7
	s_cmp_eq_u64 s[2:3], 0
	v_add_u32_e32 v0, s6, v0
	s_cbranch_scc1 .LBB290_10
; %bb.1:
	s_load_dword s8, s[4:5], 0x18
	s_mov_b32 s9, 0
	s_waitcnt lgkmcnt(0)
	s_cmp_lt_u32 s8, s14
	s_cselect_b32 s6, s8, 0
	v_cmp_eq_u32_e32 vcc, s6, v0
	s_and_saveexec_b64 s[6:7], vcc
	s_cbranch_execz .LBB290_9
; %bb.2:
	s_add_i32 s8, s8, 64
	s_lshl_b64 s[8:9], s[8:9], 4
	s_add_u32 s12, s0, s8
	s_addc_u32 s13, s1, s9
	v_mov_b32_e32 v1, s12
	v_mov_b32_e32 v2, s13
	;;#ASMSTART
	global_load_dwordx4 v[1:4], v[1:2] off glc	
s_waitcnt vmcnt(0)
	;;#ASMEND
	v_and_b32_e32 v4, 0xff, v3
	v_mov_b32_e32 v5, 0
	v_cmp_eq_u64_e32 vcc, 0, v[4:5]
	s_mov_b64 s[10:11], 0
	s_and_saveexec_b64 s[8:9], vcc
	s_cbranch_execz .LBB290_8
; %bb.3:
	v_mov_b32_e32 v6, s12
	s_mov_b32 s15, 1
	v_mov_b32_e32 v7, s13
.LBB290_4:                              ; =>This Loop Header: Depth=1
                                        ;     Child Loop BB290_5 Depth 2
	s_mov_b32 s12, s15
.LBB290_5:                              ;   Parent Loop BB290_4 Depth=1
                                        ; =>  This Inner Loop Header: Depth=2
	s_add_i32 s12, s12, -1
	s_cmp_eq_u32 s12, 0
	s_sleep 1
	s_cbranch_scc0 .LBB290_5
; %bb.6:                                ;   in Loop: Header=BB290_4 Depth=1
	s_cmp_lt_u32 s15, 32
	;;#ASMSTART
	global_load_dwordx4 v[1:4], v[6:7] off glc	
s_waitcnt vmcnt(0)
	;;#ASMEND
	s_cselect_b64 s[12:13], -1, 0
	v_and_b32_e32 v4, 0xff, v3
	s_cmp_lg_u64 s[12:13], 0
	v_cmp_ne_u64_e32 vcc, 0, v[4:5]
	s_addc_u32 s15, s15, 0
	s_or_b64 s[10:11], vcc, s[10:11]
	s_andn2_b64 exec, exec, s[10:11]
	s_cbranch_execnz .LBB290_4
; %bb.7:
	s_or_b64 exec, exec, s[10:11]
.LBB290_8:
	s_or_b64 exec, exec, s[8:9]
	v_mov_b32_e32 v3, 0
	global_store_dwordx2 v3, v[1:2], s[2:3]
.LBB290_9:
	s_or_b64 exec, exec, s[6:7]
.LBB290_10:
	v_cmp_eq_u32_e32 vcc, 0, v0
	s_and_saveexec_b64 s[2:3], vcc
	s_cbranch_execnz .LBB290_14
; %bb.11:
	s_or_b64 exec, exec, s[2:3]
	v_cmp_gt_u32_e32 vcc, s14, v0
	s_and_saveexec_b64 s[2:3], vcc
	s_cbranch_execnz .LBB290_15
.LBB290_12:
	s_or_b64 exec, exec, s[2:3]
	v_cmp_gt_u32_e32 vcc, 64, v0
	s_and_saveexec_b64 s[2:3], vcc
	s_cbranch_execnz .LBB290_16
.LBB290_13:
	s_endpgm
.LBB290_14:
	s_load_dwordx2 s[4:5], s[4:5], 0x10
	v_mov_b32_e32 v1, 0
	s_waitcnt lgkmcnt(0)
	global_store_dword v1, v1, s[4:5]
	s_or_b64 exec, exec, s[2:3]
	v_cmp_gt_u32_e32 vcc, s14, v0
	s_and_saveexec_b64 s[2:3], vcc
	s_cbranch_execz .LBB290_12
.LBB290_15:
	v_add_u32_e32 v1, 64, v0
	v_mov_b32_e32 v2, 0
	v_lshlrev_b64 v[3:4], 4, v[1:2]
	v_mov_b32_e32 v1, s1
	v_add_co_u32_e32 v5, vcc, s0, v3
	v_addc_co_u32_e32 v6, vcc, v1, v4, vcc
	v_mov_b32_e32 v1, v2
	v_mov_b32_e32 v3, v2
	v_mov_b32_e32 v4, v2
	global_store_dwordx4 v[5:6], v[1:4], off
	s_or_b64 exec, exec, s[2:3]
	v_cmp_gt_u32_e32 vcc, 64, v0
	s_and_saveexec_b64 s[2:3], vcc
	s_cbranch_execz .LBB290_13
.LBB290_16:
	v_mov_b32_e32 v1, 0
	v_lshlrev_b64 v[2:3], 4, v[0:1]
	v_mov_b32_e32 v0, s1
	v_add_co_u32_e32 v4, vcc, s0, v2
	v_addc_co_u32_e32 v5, vcc, v0, v3, vcc
	v_mov_b32_e32 v2, 0xff
	v_mov_b32_e32 v0, v1
	v_mov_b32_e32 v3, v1
	global_store_dwordx4 v[4:5], v[0:3], off
	s_endpgm
	.section	.rodata,"a",@progbits
	.p2align	6, 0x0
	.amdhsa_kernel _ZN7rocprim17ROCPRIM_400000_NS6detail31init_lookback_scan_state_kernelINS1_19lookback_scan_stateIN3c107complexIfEELb1ELb1EEENS1_16block_id_wrapperIjLb1EEEEEvT_jT0_jPNSA_10value_typeE
		.amdhsa_group_segment_fixed_size 0
		.amdhsa_private_segment_fixed_size 0
		.amdhsa_kernarg_size 296
		.amdhsa_user_sgpr_count 6
		.amdhsa_user_sgpr_private_segment_buffer 1
		.amdhsa_user_sgpr_dispatch_ptr 0
		.amdhsa_user_sgpr_queue_ptr 0
		.amdhsa_user_sgpr_kernarg_segment_ptr 1
		.amdhsa_user_sgpr_dispatch_id 0
		.amdhsa_user_sgpr_flat_scratch_init 0
		.amdhsa_user_sgpr_private_segment_size 0
		.amdhsa_uses_dynamic_stack 0
		.amdhsa_system_sgpr_private_segment_wavefront_offset 0
		.amdhsa_system_sgpr_workgroup_id_x 1
		.amdhsa_system_sgpr_workgroup_id_y 0
		.amdhsa_system_sgpr_workgroup_id_z 0
		.amdhsa_system_sgpr_workgroup_info 0
		.amdhsa_system_vgpr_workitem_id 0
		.amdhsa_next_free_vgpr 8
		.amdhsa_next_free_sgpr 16
		.amdhsa_reserve_vcc 1
		.amdhsa_reserve_flat_scratch 0
		.amdhsa_float_round_mode_32 0
		.amdhsa_float_round_mode_16_64 0
		.amdhsa_float_denorm_mode_32 3
		.amdhsa_float_denorm_mode_16_64 3
		.amdhsa_dx10_clamp 1
		.amdhsa_ieee_mode 1
		.amdhsa_fp16_overflow 0
		.amdhsa_exception_fp_ieee_invalid_op 0
		.amdhsa_exception_fp_denorm_src 0
		.amdhsa_exception_fp_ieee_div_zero 0
		.amdhsa_exception_fp_ieee_overflow 0
		.amdhsa_exception_fp_ieee_underflow 0
		.amdhsa_exception_fp_ieee_inexact 0
		.amdhsa_exception_int_div_zero 0
	.end_amdhsa_kernel
	.section	.text._ZN7rocprim17ROCPRIM_400000_NS6detail31init_lookback_scan_state_kernelINS1_19lookback_scan_stateIN3c107complexIfEELb1ELb1EEENS1_16block_id_wrapperIjLb1EEEEEvT_jT0_jPNSA_10value_typeE,"axG",@progbits,_ZN7rocprim17ROCPRIM_400000_NS6detail31init_lookback_scan_state_kernelINS1_19lookback_scan_stateIN3c107complexIfEELb1ELb1EEENS1_16block_id_wrapperIjLb1EEEEEvT_jT0_jPNSA_10value_typeE,comdat
.Lfunc_end290:
	.size	_ZN7rocprim17ROCPRIM_400000_NS6detail31init_lookback_scan_state_kernelINS1_19lookback_scan_stateIN3c107complexIfEELb1ELb1EEENS1_16block_id_wrapperIjLb1EEEEEvT_jT0_jPNSA_10value_typeE, .Lfunc_end290-_ZN7rocprim17ROCPRIM_400000_NS6detail31init_lookback_scan_state_kernelINS1_19lookback_scan_stateIN3c107complexIfEELb1ELb1EEENS1_16block_id_wrapperIjLb1EEEEEvT_jT0_jPNSA_10value_typeE
                                        ; -- End function
	.set _ZN7rocprim17ROCPRIM_400000_NS6detail31init_lookback_scan_state_kernelINS1_19lookback_scan_stateIN3c107complexIfEELb1ELb1EEENS1_16block_id_wrapperIjLb1EEEEEvT_jT0_jPNSA_10value_typeE.num_vgpr, 8
	.set _ZN7rocprim17ROCPRIM_400000_NS6detail31init_lookback_scan_state_kernelINS1_19lookback_scan_stateIN3c107complexIfEELb1ELb1EEENS1_16block_id_wrapperIjLb1EEEEEvT_jT0_jPNSA_10value_typeE.num_agpr, 0
	.set _ZN7rocprim17ROCPRIM_400000_NS6detail31init_lookback_scan_state_kernelINS1_19lookback_scan_stateIN3c107complexIfEELb1ELb1EEENS1_16block_id_wrapperIjLb1EEEEEvT_jT0_jPNSA_10value_typeE.numbered_sgpr, 16
	.set _ZN7rocprim17ROCPRIM_400000_NS6detail31init_lookback_scan_state_kernelINS1_19lookback_scan_stateIN3c107complexIfEELb1ELb1EEENS1_16block_id_wrapperIjLb1EEEEEvT_jT0_jPNSA_10value_typeE.num_named_barrier, 0
	.set _ZN7rocprim17ROCPRIM_400000_NS6detail31init_lookback_scan_state_kernelINS1_19lookback_scan_stateIN3c107complexIfEELb1ELb1EEENS1_16block_id_wrapperIjLb1EEEEEvT_jT0_jPNSA_10value_typeE.private_seg_size, 0
	.set _ZN7rocprim17ROCPRIM_400000_NS6detail31init_lookback_scan_state_kernelINS1_19lookback_scan_stateIN3c107complexIfEELb1ELb1EEENS1_16block_id_wrapperIjLb1EEEEEvT_jT0_jPNSA_10value_typeE.uses_vcc, 1
	.set _ZN7rocprim17ROCPRIM_400000_NS6detail31init_lookback_scan_state_kernelINS1_19lookback_scan_stateIN3c107complexIfEELb1ELb1EEENS1_16block_id_wrapperIjLb1EEEEEvT_jT0_jPNSA_10value_typeE.uses_flat_scratch, 0
	.set _ZN7rocprim17ROCPRIM_400000_NS6detail31init_lookback_scan_state_kernelINS1_19lookback_scan_stateIN3c107complexIfEELb1ELb1EEENS1_16block_id_wrapperIjLb1EEEEEvT_jT0_jPNSA_10value_typeE.has_dyn_sized_stack, 0
	.set _ZN7rocprim17ROCPRIM_400000_NS6detail31init_lookback_scan_state_kernelINS1_19lookback_scan_stateIN3c107complexIfEELb1ELb1EEENS1_16block_id_wrapperIjLb1EEEEEvT_jT0_jPNSA_10value_typeE.has_recursion, 0
	.set _ZN7rocprim17ROCPRIM_400000_NS6detail31init_lookback_scan_state_kernelINS1_19lookback_scan_stateIN3c107complexIfEELb1ELb1EEENS1_16block_id_wrapperIjLb1EEEEEvT_jT0_jPNSA_10value_typeE.has_indirect_call, 0
	.section	.AMDGPU.csdata,"",@progbits
; Kernel info:
; codeLenInByte = 480
; TotalNumSgprs: 20
; NumVgprs: 8
; ScratchSize: 0
; MemoryBound: 0
; FloatMode: 240
; IeeeMode: 1
; LDSByteSize: 0 bytes/workgroup (compile time only)
; SGPRBlocks: 2
; VGPRBlocks: 1
; NumSGPRsForWavesPerEU: 20
; NumVGPRsForWavesPerEU: 8
; Occupancy: 10
; WaveLimiterHint : 0
; COMPUTE_PGM_RSRC2:SCRATCH_EN: 0
; COMPUTE_PGM_RSRC2:USER_SGPR: 6
; COMPUTE_PGM_RSRC2:TRAP_HANDLER: 0
; COMPUTE_PGM_RSRC2:TGID_X_EN: 1
; COMPUTE_PGM_RSRC2:TGID_Y_EN: 0
; COMPUTE_PGM_RSRC2:TGID_Z_EN: 0
; COMPUTE_PGM_RSRC2:TIDIG_COMP_CNT: 0
	.section	.text._ZN7rocprim17ROCPRIM_400000_NS6detail17trampoline_kernelINS0_14default_configENS1_20scan_config_selectorIN3c107complexIfEEEEZZNS1_9scan_implILNS1_25lookback_scan_determinismE0ELb0ELb0ES3_PKS7_PS7_S7_ZZZN2at6native31launch_logcumsumexp_cuda_kernelERKNSE_10TensorBaseESI_lENKUlvE_clEvENKUlvE2_clEvEUlS7_S7_E_S7_EEDaPvRmT3_T4_T5_mT6_P12ihipStream_tbENKUlT_T0_E_clISt17integral_constantIbLb1EESZ_EEDaSU_SV_EUlSU_E_NS1_11comp_targetILNS1_3genE0ELNS1_11target_archE4294967295ELNS1_3gpuE0ELNS1_3repE0EEENS1_30default_config_static_selectorELNS0_4arch9wavefront6targetE1EEEvT1_,"axG",@progbits,_ZN7rocprim17ROCPRIM_400000_NS6detail17trampoline_kernelINS0_14default_configENS1_20scan_config_selectorIN3c107complexIfEEEEZZNS1_9scan_implILNS1_25lookback_scan_determinismE0ELb0ELb0ES3_PKS7_PS7_S7_ZZZN2at6native31launch_logcumsumexp_cuda_kernelERKNSE_10TensorBaseESI_lENKUlvE_clEvENKUlvE2_clEvEUlS7_S7_E_S7_EEDaPvRmT3_T4_T5_mT6_P12ihipStream_tbENKUlT_T0_E_clISt17integral_constantIbLb1EESZ_EEDaSU_SV_EUlSU_E_NS1_11comp_targetILNS1_3genE0ELNS1_11target_archE4294967295ELNS1_3gpuE0ELNS1_3repE0EEENS1_30default_config_static_selectorELNS0_4arch9wavefront6targetE1EEEvT1_,comdat
	.globl	_ZN7rocprim17ROCPRIM_400000_NS6detail17trampoline_kernelINS0_14default_configENS1_20scan_config_selectorIN3c107complexIfEEEEZZNS1_9scan_implILNS1_25lookback_scan_determinismE0ELb0ELb0ES3_PKS7_PS7_S7_ZZZN2at6native31launch_logcumsumexp_cuda_kernelERKNSE_10TensorBaseESI_lENKUlvE_clEvENKUlvE2_clEvEUlS7_S7_E_S7_EEDaPvRmT3_T4_T5_mT6_P12ihipStream_tbENKUlT_T0_E_clISt17integral_constantIbLb1EESZ_EEDaSU_SV_EUlSU_E_NS1_11comp_targetILNS1_3genE0ELNS1_11target_archE4294967295ELNS1_3gpuE0ELNS1_3repE0EEENS1_30default_config_static_selectorELNS0_4arch9wavefront6targetE1EEEvT1_ ; -- Begin function _ZN7rocprim17ROCPRIM_400000_NS6detail17trampoline_kernelINS0_14default_configENS1_20scan_config_selectorIN3c107complexIfEEEEZZNS1_9scan_implILNS1_25lookback_scan_determinismE0ELb0ELb0ES3_PKS7_PS7_S7_ZZZN2at6native31launch_logcumsumexp_cuda_kernelERKNSE_10TensorBaseESI_lENKUlvE_clEvENKUlvE2_clEvEUlS7_S7_E_S7_EEDaPvRmT3_T4_T5_mT6_P12ihipStream_tbENKUlT_T0_E_clISt17integral_constantIbLb1EESZ_EEDaSU_SV_EUlSU_E_NS1_11comp_targetILNS1_3genE0ELNS1_11target_archE4294967295ELNS1_3gpuE0ELNS1_3repE0EEENS1_30default_config_static_selectorELNS0_4arch9wavefront6targetE1EEEvT1_
	.p2align	8
	.type	_ZN7rocprim17ROCPRIM_400000_NS6detail17trampoline_kernelINS0_14default_configENS1_20scan_config_selectorIN3c107complexIfEEEEZZNS1_9scan_implILNS1_25lookback_scan_determinismE0ELb0ELb0ES3_PKS7_PS7_S7_ZZZN2at6native31launch_logcumsumexp_cuda_kernelERKNSE_10TensorBaseESI_lENKUlvE_clEvENKUlvE2_clEvEUlS7_S7_E_S7_EEDaPvRmT3_T4_T5_mT6_P12ihipStream_tbENKUlT_T0_E_clISt17integral_constantIbLb1EESZ_EEDaSU_SV_EUlSU_E_NS1_11comp_targetILNS1_3genE0ELNS1_11target_archE4294967295ELNS1_3gpuE0ELNS1_3repE0EEENS1_30default_config_static_selectorELNS0_4arch9wavefront6targetE1EEEvT1_,@function
_ZN7rocprim17ROCPRIM_400000_NS6detail17trampoline_kernelINS0_14default_configENS1_20scan_config_selectorIN3c107complexIfEEEEZZNS1_9scan_implILNS1_25lookback_scan_determinismE0ELb0ELb0ES3_PKS7_PS7_S7_ZZZN2at6native31launch_logcumsumexp_cuda_kernelERKNSE_10TensorBaseESI_lENKUlvE_clEvENKUlvE2_clEvEUlS7_S7_E_S7_EEDaPvRmT3_T4_T5_mT6_P12ihipStream_tbENKUlT_T0_E_clISt17integral_constantIbLb1EESZ_EEDaSU_SV_EUlSU_E_NS1_11comp_targetILNS1_3genE0ELNS1_11target_archE4294967295ELNS1_3gpuE0ELNS1_3repE0EEENS1_30default_config_static_selectorELNS0_4arch9wavefront6targetE1EEEvT1_: ; @_ZN7rocprim17ROCPRIM_400000_NS6detail17trampoline_kernelINS0_14default_configENS1_20scan_config_selectorIN3c107complexIfEEEEZZNS1_9scan_implILNS1_25lookback_scan_determinismE0ELb0ELb0ES3_PKS7_PS7_S7_ZZZN2at6native31launch_logcumsumexp_cuda_kernelERKNSE_10TensorBaseESI_lENKUlvE_clEvENKUlvE2_clEvEUlS7_S7_E_S7_EEDaPvRmT3_T4_T5_mT6_P12ihipStream_tbENKUlT_T0_E_clISt17integral_constantIbLb1EESZ_EEDaSU_SV_EUlSU_E_NS1_11comp_targetILNS1_3genE0ELNS1_11target_archE4294967295ELNS1_3gpuE0ELNS1_3repE0EEENS1_30default_config_static_selectorELNS0_4arch9wavefront6targetE1EEEvT1_
; %bb.0:
	.section	.rodata,"a",@progbits
	.p2align	6, 0x0
	.amdhsa_kernel _ZN7rocprim17ROCPRIM_400000_NS6detail17trampoline_kernelINS0_14default_configENS1_20scan_config_selectorIN3c107complexIfEEEEZZNS1_9scan_implILNS1_25lookback_scan_determinismE0ELb0ELb0ES3_PKS7_PS7_S7_ZZZN2at6native31launch_logcumsumexp_cuda_kernelERKNSE_10TensorBaseESI_lENKUlvE_clEvENKUlvE2_clEvEUlS7_S7_E_S7_EEDaPvRmT3_T4_T5_mT6_P12ihipStream_tbENKUlT_T0_E_clISt17integral_constantIbLb1EESZ_EEDaSU_SV_EUlSU_E_NS1_11comp_targetILNS1_3genE0ELNS1_11target_archE4294967295ELNS1_3gpuE0ELNS1_3repE0EEENS1_30default_config_static_selectorELNS0_4arch9wavefront6targetE1EEEvT1_
		.amdhsa_group_segment_fixed_size 0
		.amdhsa_private_segment_fixed_size 0
		.amdhsa_kernarg_size 104
		.amdhsa_user_sgpr_count 6
		.amdhsa_user_sgpr_private_segment_buffer 1
		.amdhsa_user_sgpr_dispatch_ptr 0
		.amdhsa_user_sgpr_queue_ptr 0
		.amdhsa_user_sgpr_kernarg_segment_ptr 1
		.amdhsa_user_sgpr_dispatch_id 0
		.amdhsa_user_sgpr_flat_scratch_init 0
		.amdhsa_user_sgpr_private_segment_size 0
		.amdhsa_uses_dynamic_stack 0
		.amdhsa_system_sgpr_private_segment_wavefront_offset 0
		.amdhsa_system_sgpr_workgroup_id_x 1
		.amdhsa_system_sgpr_workgroup_id_y 0
		.amdhsa_system_sgpr_workgroup_id_z 0
		.amdhsa_system_sgpr_workgroup_info 0
		.amdhsa_system_vgpr_workitem_id 0
		.amdhsa_next_free_vgpr 1
		.amdhsa_next_free_sgpr 0
		.amdhsa_reserve_vcc 0
		.amdhsa_reserve_flat_scratch 0
		.amdhsa_float_round_mode_32 0
		.amdhsa_float_round_mode_16_64 0
		.amdhsa_float_denorm_mode_32 3
		.amdhsa_float_denorm_mode_16_64 3
		.amdhsa_dx10_clamp 1
		.amdhsa_ieee_mode 1
		.amdhsa_fp16_overflow 0
		.amdhsa_exception_fp_ieee_invalid_op 0
		.amdhsa_exception_fp_denorm_src 0
		.amdhsa_exception_fp_ieee_div_zero 0
		.amdhsa_exception_fp_ieee_overflow 0
		.amdhsa_exception_fp_ieee_underflow 0
		.amdhsa_exception_fp_ieee_inexact 0
		.amdhsa_exception_int_div_zero 0
	.end_amdhsa_kernel
	.section	.text._ZN7rocprim17ROCPRIM_400000_NS6detail17trampoline_kernelINS0_14default_configENS1_20scan_config_selectorIN3c107complexIfEEEEZZNS1_9scan_implILNS1_25lookback_scan_determinismE0ELb0ELb0ES3_PKS7_PS7_S7_ZZZN2at6native31launch_logcumsumexp_cuda_kernelERKNSE_10TensorBaseESI_lENKUlvE_clEvENKUlvE2_clEvEUlS7_S7_E_S7_EEDaPvRmT3_T4_T5_mT6_P12ihipStream_tbENKUlT_T0_E_clISt17integral_constantIbLb1EESZ_EEDaSU_SV_EUlSU_E_NS1_11comp_targetILNS1_3genE0ELNS1_11target_archE4294967295ELNS1_3gpuE0ELNS1_3repE0EEENS1_30default_config_static_selectorELNS0_4arch9wavefront6targetE1EEEvT1_,"axG",@progbits,_ZN7rocprim17ROCPRIM_400000_NS6detail17trampoline_kernelINS0_14default_configENS1_20scan_config_selectorIN3c107complexIfEEEEZZNS1_9scan_implILNS1_25lookback_scan_determinismE0ELb0ELb0ES3_PKS7_PS7_S7_ZZZN2at6native31launch_logcumsumexp_cuda_kernelERKNSE_10TensorBaseESI_lENKUlvE_clEvENKUlvE2_clEvEUlS7_S7_E_S7_EEDaPvRmT3_T4_T5_mT6_P12ihipStream_tbENKUlT_T0_E_clISt17integral_constantIbLb1EESZ_EEDaSU_SV_EUlSU_E_NS1_11comp_targetILNS1_3genE0ELNS1_11target_archE4294967295ELNS1_3gpuE0ELNS1_3repE0EEENS1_30default_config_static_selectorELNS0_4arch9wavefront6targetE1EEEvT1_,comdat
.Lfunc_end291:
	.size	_ZN7rocprim17ROCPRIM_400000_NS6detail17trampoline_kernelINS0_14default_configENS1_20scan_config_selectorIN3c107complexIfEEEEZZNS1_9scan_implILNS1_25lookback_scan_determinismE0ELb0ELb0ES3_PKS7_PS7_S7_ZZZN2at6native31launch_logcumsumexp_cuda_kernelERKNSE_10TensorBaseESI_lENKUlvE_clEvENKUlvE2_clEvEUlS7_S7_E_S7_EEDaPvRmT3_T4_T5_mT6_P12ihipStream_tbENKUlT_T0_E_clISt17integral_constantIbLb1EESZ_EEDaSU_SV_EUlSU_E_NS1_11comp_targetILNS1_3genE0ELNS1_11target_archE4294967295ELNS1_3gpuE0ELNS1_3repE0EEENS1_30default_config_static_selectorELNS0_4arch9wavefront6targetE1EEEvT1_, .Lfunc_end291-_ZN7rocprim17ROCPRIM_400000_NS6detail17trampoline_kernelINS0_14default_configENS1_20scan_config_selectorIN3c107complexIfEEEEZZNS1_9scan_implILNS1_25lookback_scan_determinismE0ELb0ELb0ES3_PKS7_PS7_S7_ZZZN2at6native31launch_logcumsumexp_cuda_kernelERKNSE_10TensorBaseESI_lENKUlvE_clEvENKUlvE2_clEvEUlS7_S7_E_S7_EEDaPvRmT3_T4_T5_mT6_P12ihipStream_tbENKUlT_T0_E_clISt17integral_constantIbLb1EESZ_EEDaSU_SV_EUlSU_E_NS1_11comp_targetILNS1_3genE0ELNS1_11target_archE4294967295ELNS1_3gpuE0ELNS1_3repE0EEENS1_30default_config_static_selectorELNS0_4arch9wavefront6targetE1EEEvT1_
                                        ; -- End function
	.set _ZN7rocprim17ROCPRIM_400000_NS6detail17trampoline_kernelINS0_14default_configENS1_20scan_config_selectorIN3c107complexIfEEEEZZNS1_9scan_implILNS1_25lookback_scan_determinismE0ELb0ELb0ES3_PKS7_PS7_S7_ZZZN2at6native31launch_logcumsumexp_cuda_kernelERKNSE_10TensorBaseESI_lENKUlvE_clEvENKUlvE2_clEvEUlS7_S7_E_S7_EEDaPvRmT3_T4_T5_mT6_P12ihipStream_tbENKUlT_T0_E_clISt17integral_constantIbLb1EESZ_EEDaSU_SV_EUlSU_E_NS1_11comp_targetILNS1_3genE0ELNS1_11target_archE4294967295ELNS1_3gpuE0ELNS1_3repE0EEENS1_30default_config_static_selectorELNS0_4arch9wavefront6targetE1EEEvT1_.num_vgpr, 0
	.set _ZN7rocprim17ROCPRIM_400000_NS6detail17trampoline_kernelINS0_14default_configENS1_20scan_config_selectorIN3c107complexIfEEEEZZNS1_9scan_implILNS1_25lookback_scan_determinismE0ELb0ELb0ES3_PKS7_PS7_S7_ZZZN2at6native31launch_logcumsumexp_cuda_kernelERKNSE_10TensorBaseESI_lENKUlvE_clEvENKUlvE2_clEvEUlS7_S7_E_S7_EEDaPvRmT3_T4_T5_mT6_P12ihipStream_tbENKUlT_T0_E_clISt17integral_constantIbLb1EESZ_EEDaSU_SV_EUlSU_E_NS1_11comp_targetILNS1_3genE0ELNS1_11target_archE4294967295ELNS1_3gpuE0ELNS1_3repE0EEENS1_30default_config_static_selectorELNS0_4arch9wavefront6targetE1EEEvT1_.num_agpr, 0
	.set _ZN7rocprim17ROCPRIM_400000_NS6detail17trampoline_kernelINS0_14default_configENS1_20scan_config_selectorIN3c107complexIfEEEEZZNS1_9scan_implILNS1_25lookback_scan_determinismE0ELb0ELb0ES3_PKS7_PS7_S7_ZZZN2at6native31launch_logcumsumexp_cuda_kernelERKNSE_10TensorBaseESI_lENKUlvE_clEvENKUlvE2_clEvEUlS7_S7_E_S7_EEDaPvRmT3_T4_T5_mT6_P12ihipStream_tbENKUlT_T0_E_clISt17integral_constantIbLb1EESZ_EEDaSU_SV_EUlSU_E_NS1_11comp_targetILNS1_3genE0ELNS1_11target_archE4294967295ELNS1_3gpuE0ELNS1_3repE0EEENS1_30default_config_static_selectorELNS0_4arch9wavefront6targetE1EEEvT1_.numbered_sgpr, 0
	.set _ZN7rocprim17ROCPRIM_400000_NS6detail17trampoline_kernelINS0_14default_configENS1_20scan_config_selectorIN3c107complexIfEEEEZZNS1_9scan_implILNS1_25lookback_scan_determinismE0ELb0ELb0ES3_PKS7_PS7_S7_ZZZN2at6native31launch_logcumsumexp_cuda_kernelERKNSE_10TensorBaseESI_lENKUlvE_clEvENKUlvE2_clEvEUlS7_S7_E_S7_EEDaPvRmT3_T4_T5_mT6_P12ihipStream_tbENKUlT_T0_E_clISt17integral_constantIbLb1EESZ_EEDaSU_SV_EUlSU_E_NS1_11comp_targetILNS1_3genE0ELNS1_11target_archE4294967295ELNS1_3gpuE0ELNS1_3repE0EEENS1_30default_config_static_selectorELNS0_4arch9wavefront6targetE1EEEvT1_.num_named_barrier, 0
	.set _ZN7rocprim17ROCPRIM_400000_NS6detail17trampoline_kernelINS0_14default_configENS1_20scan_config_selectorIN3c107complexIfEEEEZZNS1_9scan_implILNS1_25lookback_scan_determinismE0ELb0ELb0ES3_PKS7_PS7_S7_ZZZN2at6native31launch_logcumsumexp_cuda_kernelERKNSE_10TensorBaseESI_lENKUlvE_clEvENKUlvE2_clEvEUlS7_S7_E_S7_EEDaPvRmT3_T4_T5_mT6_P12ihipStream_tbENKUlT_T0_E_clISt17integral_constantIbLb1EESZ_EEDaSU_SV_EUlSU_E_NS1_11comp_targetILNS1_3genE0ELNS1_11target_archE4294967295ELNS1_3gpuE0ELNS1_3repE0EEENS1_30default_config_static_selectorELNS0_4arch9wavefront6targetE1EEEvT1_.private_seg_size, 0
	.set _ZN7rocprim17ROCPRIM_400000_NS6detail17trampoline_kernelINS0_14default_configENS1_20scan_config_selectorIN3c107complexIfEEEEZZNS1_9scan_implILNS1_25lookback_scan_determinismE0ELb0ELb0ES3_PKS7_PS7_S7_ZZZN2at6native31launch_logcumsumexp_cuda_kernelERKNSE_10TensorBaseESI_lENKUlvE_clEvENKUlvE2_clEvEUlS7_S7_E_S7_EEDaPvRmT3_T4_T5_mT6_P12ihipStream_tbENKUlT_T0_E_clISt17integral_constantIbLb1EESZ_EEDaSU_SV_EUlSU_E_NS1_11comp_targetILNS1_3genE0ELNS1_11target_archE4294967295ELNS1_3gpuE0ELNS1_3repE0EEENS1_30default_config_static_selectorELNS0_4arch9wavefront6targetE1EEEvT1_.uses_vcc, 0
	.set _ZN7rocprim17ROCPRIM_400000_NS6detail17trampoline_kernelINS0_14default_configENS1_20scan_config_selectorIN3c107complexIfEEEEZZNS1_9scan_implILNS1_25lookback_scan_determinismE0ELb0ELb0ES3_PKS7_PS7_S7_ZZZN2at6native31launch_logcumsumexp_cuda_kernelERKNSE_10TensorBaseESI_lENKUlvE_clEvENKUlvE2_clEvEUlS7_S7_E_S7_EEDaPvRmT3_T4_T5_mT6_P12ihipStream_tbENKUlT_T0_E_clISt17integral_constantIbLb1EESZ_EEDaSU_SV_EUlSU_E_NS1_11comp_targetILNS1_3genE0ELNS1_11target_archE4294967295ELNS1_3gpuE0ELNS1_3repE0EEENS1_30default_config_static_selectorELNS0_4arch9wavefront6targetE1EEEvT1_.uses_flat_scratch, 0
	.set _ZN7rocprim17ROCPRIM_400000_NS6detail17trampoline_kernelINS0_14default_configENS1_20scan_config_selectorIN3c107complexIfEEEEZZNS1_9scan_implILNS1_25lookback_scan_determinismE0ELb0ELb0ES3_PKS7_PS7_S7_ZZZN2at6native31launch_logcumsumexp_cuda_kernelERKNSE_10TensorBaseESI_lENKUlvE_clEvENKUlvE2_clEvEUlS7_S7_E_S7_EEDaPvRmT3_T4_T5_mT6_P12ihipStream_tbENKUlT_T0_E_clISt17integral_constantIbLb1EESZ_EEDaSU_SV_EUlSU_E_NS1_11comp_targetILNS1_3genE0ELNS1_11target_archE4294967295ELNS1_3gpuE0ELNS1_3repE0EEENS1_30default_config_static_selectorELNS0_4arch9wavefront6targetE1EEEvT1_.has_dyn_sized_stack, 0
	.set _ZN7rocprim17ROCPRIM_400000_NS6detail17trampoline_kernelINS0_14default_configENS1_20scan_config_selectorIN3c107complexIfEEEEZZNS1_9scan_implILNS1_25lookback_scan_determinismE0ELb0ELb0ES3_PKS7_PS7_S7_ZZZN2at6native31launch_logcumsumexp_cuda_kernelERKNSE_10TensorBaseESI_lENKUlvE_clEvENKUlvE2_clEvEUlS7_S7_E_S7_EEDaPvRmT3_T4_T5_mT6_P12ihipStream_tbENKUlT_T0_E_clISt17integral_constantIbLb1EESZ_EEDaSU_SV_EUlSU_E_NS1_11comp_targetILNS1_3genE0ELNS1_11target_archE4294967295ELNS1_3gpuE0ELNS1_3repE0EEENS1_30default_config_static_selectorELNS0_4arch9wavefront6targetE1EEEvT1_.has_recursion, 0
	.set _ZN7rocprim17ROCPRIM_400000_NS6detail17trampoline_kernelINS0_14default_configENS1_20scan_config_selectorIN3c107complexIfEEEEZZNS1_9scan_implILNS1_25lookback_scan_determinismE0ELb0ELb0ES3_PKS7_PS7_S7_ZZZN2at6native31launch_logcumsumexp_cuda_kernelERKNSE_10TensorBaseESI_lENKUlvE_clEvENKUlvE2_clEvEUlS7_S7_E_S7_EEDaPvRmT3_T4_T5_mT6_P12ihipStream_tbENKUlT_T0_E_clISt17integral_constantIbLb1EESZ_EEDaSU_SV_EUlSU_E_NS1_11comp_targetILNS1_3genE0ELNS1_11target_archE4294967295ELNS1_3gpuE0ELNS1_3repE0EEENS1_30default_config_static_selectorELNS0_4arch9wavefront6targetE1EEEvT1_.has_indirect_call, 0
	.section	.AMDGPU.csdata,"",@progbits
; Kernel info:
; codeLenInByte = 0
; TotalNumSgprs: 4
; NumVgprs: 0
; ScratchSize: 0
; MemoryBound: 0
; FloatMode: 240
; IeeeMode: 1
; LDSByteSize: 0 bytes/workgroup (compile time only)
; SGPRBlocks: 0
; VGPRBlocks: 0
; NumSGPRsForWavesPerEU: 4
; NumVGPRsForWavesPerEU: 1
; Occupancy: 10
; WaveLimiterHint : 0
; COMPUTE_PGM_RSRC2:SCRATCH_EN: 0
; COMPUTE_PGM_RSRC2:USER_SGPR: 6
; COMPUTE_PGM_RSRC2:TRAP_HANDLER: 0
; COMPUTE_PGM_RSRC2:TGID_X_EN: 1
; COMPUTE_PGM_RSRC2:TGID_Y_EN: 0
; COMPUTE_PGM_RSRC2:TGID_Z_EN: 0
; COMPUTE_PGM_RSRC2:TIDIG_COMP_CNT: 0
	.section	.text._ZN7rocprim17ROCPRIM_400000_NS6detail17trampoline_kernelINS0_14default_configENS1_20scan_config_selectorIN3c107complexIfEEEEZZNS1_9scan_implILNS1_25lookback_scan_determinismE0ELb0ELb0ES3_PKS7_PS7_S7_ZZZN2at6native31launch_logcumsumexp_cuda_kernelERKNSE_10TensorBaseESI_lENKUlvE_clEvENKUlvE2_clEvEUlS7_S7_E_S7_EEDaPvRmT3_T4_T5_mT6_P12ihipStream_tbENKUlT_T0_E_clISt17integral_constantIbLb1EESZ_EEDaSU_SV_EUlSU_E_NS1_11comp_targetILNS1_3genE5ELNS1_11target_archE942ELNS1_3gpuE9ELNS1_3repE0EEENS1_30default_config_static_selectorELNS0_4arch9wavefront6targetE1EEEvT1_,"axG",@progbits,_ZN7rocprim17ROCPRIM_400000_NS6detail17trampoline_kernelINS0_14default_configENS1_20scan_config_selectorIN3c107complexIfEEEEZZNS1_9scan_implILNS1_25lookback_scan_determinismE0ELb0ELb0ES3_PKS7_PS7_S7_ZZZN2at6native31launch_logcumsumexp_cuda_kernelERKNSE_10TensorBaseESI_lENKUlvE_clEvENKUlvE2_clEvEUlS7_S7_E_S7_EEDaPvRmT3_T4_T5_mT6_P12ihipStream_tbENKUlT_T0_E_clISt17integral_constantIbLb1EESZ_EEDaSU_SV_EUlSU_E_NS1_11comp_targetILNS1_3genE5ELNS1_11target_archE942ELNS1_3gpuE9ELNS1_3repE0EEENS1_30default_config_static_selectorELNS0_4arch9wavefront6targetE1EEEvT1_,comdat
	.globl	_ZN7rocprim17ROCPRIM_400000_NS6detail17trampoline_kernelINS0_14default_configENS1_20scan_config_selectorIN3c107complexIfEEEEZZNS1_9scan_implILNS1_25lookback_scan_determinismE0ELb0ELb0ES3_PKS7_PS7_S7_ZZZN2at6native31launch_logcumsumexp_cuda_kernelERKNSE_10TensorBaseESI_lENKUlvE_clEvENKUlvE2_clEvEUlS7_S7_E_S7_EEDaPvRmT3_T4_T5_mT6_P12ihipStream_tbENKUlT_T0_E_clISt17integral_constantIbLb1EESZ_EEDaSU_SV_EUlSU_E_NS1_11comp_targetILNS1_3genE5ELNS1_11target_archE942ELNS1_3gpuE9ELNS1_3repE0EEENS1_30default_config_static_selectorELNS0_4arch9wavefront6targetE1EEEvT1_ ; -- Begin function _ZN7rocprim17ROCPRIM_400000_NS6detail17trampoline_kernelINS0_14default_configENS1_20scan_config_selectorIN3c107complexIfEEEEZZNS1_9scan_implILNS1_25lookback_scan_determinismE0ELb0ELb0ES3_PKS7_PS7_S7_ZZZN2at6native31launch_logcumsumexp_cuda_kernelERKNSE_10TensorBaseESI_lENKUlvE_clEvENKUlvE2_clEvEUlS7_S7_E_S7_EEDaPvRmT3_T4_T5_mT6_P12ihipStream_tbENKUlT_T0_E_clISt17integral_constantIbLb1EESZ_EEDaSU_SV_EUlSU_E_NS1_11comp_targetILNS1_3genE5ELNS1_11target_archE942ELNS1_3gpuE9ELNS1_3repE0EEENS1_30default_config_static_selectorELNS0_4arch9wavefront6targetE1EEEvT1_
	.p2align	8
	.type	_ZN7rocprim17ROCPRIM_400000_NS6detail17trampoline_kernelINS0_14default_configENS1_20scan_config_selectorIN3c107complexIfEEEEZZNS1_9scan_implILNS1_25lookback_scan_determinismE0ELb0ELb0ES3_PKS7_PS7_S7_ZZZN2at6native31launch_logcumsumexp_cuda_kernelERKNSE_10TensorBaseESI_lENKUlvE_clEvENKUlvE2_clEvEUlS7_S7_E_S7_EEDaPvRmT3_T4_T5_mT6_P12ihipStream_tbENKUlT_T0_E_clISt17integral_constantIbLb1EESZ_EEDaSU_SV_EUlSU_E_NS1_11comp_targetILNS1_3genE5ELNS1_11target_archE942ELNS1_3gpuE9ELNS1_3repE0EEENS1_30default_config_static_selectorELNS0_4arch9wavefront6targetE1EEEvT1_,@function
_ZN7rocprim17ROCPRIM_400000_NS6detail17trampoline_kernelINS0_14default_configENS1_20scan_config_selectorIN3c107complexIfEEEEZZNS1_9scan_implILNS1_25lookback_scan_determinismE0ELb0ELb0ES3_PKS7_PS7_S7_ZZZN2at6native31launch_logcumsumexp_cuda_kernelERKNSE_10TensorBaseESI_lENKUlvE_clEvENKUlvE2_clEvEUlS7_S7_E_S7_EEDaPvRmT3_T4_T5_mT6_P12ihipStream_tbENKUlT_T0_E_clISt17integral_constantIbLb1EESZ_EEDaSU_SV_EUlSU_E_NS1_11comp_targetILNS1_3genE5ELNS1_11target_archE942ELNS1_3gpuE9ELNS1_3repE0EEENS1_30default_config_static_selectorELNS0_4arch9wavefront6targetE1EEEvT1_: ; @_ZN7rocprim17ROCPRIM_400000_NS6detail17trampoline_kernelINS0_14default_configENS1_20scan_config_selectorIN3c107complexIfEEEEZZNS1_9scan_implILNS1_25lookback_scan_determinismE0ELb0ELb0ES3_PKS7_PS7_S7_ZZZN2at6native31launch_logcumsumexp_cuda_kernelERKNSE_10TensorBaseESI_lENKUlvE_clEvENKUlvE2_clEvEUlS7_S7_E_S7_EEDaPvRmT3_T4_T5_mT6_P12ihipStream_tbENKUlT_T0_E_clISt17integral_constantIbLb1EESZ_EEDaSU_SV_EUlSU_E_NS1_11comp_targetILNS1_3genE5ELNS1_11target_archE942ELNS1_3gpuE9ELNS1_3repE0EEENS1_30default_config_static_selectorELNS0_4arch9wavefront6targetE1EEEvT1_
; %bb.0:
	.section	.rodata,"a",@progbits
	.p2align	6, 0x0
	.amdhsa_kernel _ZN7rocprim17ROCPRIM_400000_NS6detail17trampoline_kernelINS0_14default_configENS1_20scan_config_selectorIN3c107complexIfEEEEZZNS1_9scan_implILNS1_25lookback_scan_determinismE0ELb0ELb0ES3_PKS7_PS7_S7_ZZZN2at6native31launch_logcumsumexp_cuda_kernelERKNSE_10TensorBaseESI_lENKUlvE_clEvENKUlvE2_clEvEUlS7_S7_E_S7_EEDaPvRmT3_T4_T5_mT6_P12ihipStream_tbENKUlT_T0_E_clISt17integral_constantIbLb1EESZ_EEDaSU_SV_EUlSU_E_NS1_11comp_targetILNS1_3genE5ELNS1_11target_archE942ELNS1_3gpuE9ELNS1_3repE0EEENS1_30default_config_static_selectorELNS0_4arch9wavefront6targetE1EEEvT1_
		.amdhsa_group_segment_fixed_size 0
		.amdhsa_private_segment_fixed_size 0
		.amdhsa_kernarg_size 104
		.amdhsa_user_sgpr_count 6
		.amdhsa_user_sgpr_private_segment_buffer 1
		.amdhsa_user_sgpr_dispatch_ptr 0
		.amdhsa_user_sgpr_queue_ptr 0
		.amdhsa_user_sgpr_kernarg_segment_ptr 1
		.amdhsa_user_sgpr_dispatch_id 0
		.amdhsa_user_sgpr_flat_scratch_init 0
		.amdhsa_user_sgpr_private_segment_size 0
		.amdhsa_uses_dynamic_stack 0
		.amdhsa_system_sgpr_private_segment_wavefront_offset 0
		.amdhsa_system_sgpr_workgroup_id_x 1
		.amdhsa_system_sgpr_workgroup_id_y 0
		.amdhsa_system_sgpr_workgroup_id_z 0
		.amdhsa_system_sgpr_workgroup_info 0
		.amdhsa_system_vgpr_workitem_id 0
		.amdhsa_next_free_vgpr 1
		.amdhsa_next_free_sgpr 0
		.amdhsa_reserve_vcc 0
		.amdhsa_reserve_flat_scratch 0
		.amdhsa_float_round_mode_32 0
		.amdhsa_float_round_mode_16_64 0
		.amdhsa_float_denorm_mode_32 3
		.amdhsa_float_denorm_mode_16_64 3
		.amdhsa_dx10_clamp 1
		.amdhsa_ieee_mode 1
		.amdhsa_fp16_overflow 0
		.amdhsa_exception_fp_ieee_invalid_op 0
		.amdhsa_exception_fp_denorm_src 0
		.amdhsa_exception_fp_ieee_div_zero 0
		.amdhsa_exception_fp_ieee_overflow 0
		.amdhsa_exception_fp_ieee_underflow 0
		.amdhsa_exception_fp_ieee_inexact 0
		.amdhsa_exception_int_div_zero 0
	.end_amdhsa_kernel
	.section	.text._ZN7rocprim17ROCPRIM_400000_NS6detail17trampoline_kernelINS0_14default_configENS1_20scan_config_selectorIN3c107complexIfEEEEZZNS1_9scan_implILNS1_25lookback_scan_determinismE0ELb0ELb0ES3_PKS7_PS7_S7_ZZZN2at6native31launch_logcumsumexp_cuda_kernelERKNSE_10TensorBaseESI_lENKUlvE_clEvENKUlvE2_clEvEUlS7_S7_E_S7_EEDaPvRmT3_T4_T5_mT6_P12ihipStream_tbENKUlT_T0_E_clISt17integral_constantIbLb1EESZ_EEDaSU_SV_EUlSU_E_NS1_11comp_targetILNS1_3genE5ELNS1_11target_archE942ELNS1_3gpuE9ELNS1_3repE0EEENS1_30default_config_static_selectorELNS0_4arch9wavefront6targetE1EEEvT1_,"axG",@progbits,_ZN7rocprim17ROCPRIM_400000_NS6detail17trampoline_kernelINS0_14default_configENS1_20scan_config_selectorIN3c107complexIfEEEEZZNS1_9scan_implILNS1_25lookback_scan_determinismE0ELb0ELb0ES3_PKS7_PS7_S7_ZZZN2at6native31launch_logcumsumexp_cuda_kernelERKNSE_10TensorBaseESI_lENKUlvE_clEvENKUlvE2_clEvEUlS7_S7_E_S7_EEDaPvRmT3_T4_T5_mT6_P12ihipStream_tbENKUlT_T0_E_clISt17integral_constantIbLb1EESZ_EEDaSU_SV_EUlSU_E_NS1_11comp_targetILNS1_3genE5ELNS1_11target_archE942ELNS1_3gpuE9ELNS1_3repE0EEENS1_30default_config_static_selectorELNS0_4arch9wavefront6targetE1EEEvT1_,comdat
.Lfunc_end292:
	.size	_ZN7rocprim17ROCPRIM_400000_NS6detail17trampoline_kernelINS0_14default_configENS1_20scan_config_selectorIN3c107complexIfEEEEZZNS1_9scan_implILNS1_25lookback_scan_determinismE0ELb0ELb0ES3_PKS7_PS7_S7_ZZZN2at6native31launch_logcumsumexp_cuda_kernelERKNSE_10TensorBaseESI_lENKUlvE_clEvENKUlvE2_clEvEUlS7_S7_E_S7_EEDaPvRmT3_T4_T5_mT6_P12ihipStream_tbENKUlT_T0_E_clISt17integral_constantIbLb1EESZ_EEDaSU_SV_EUlSU_E_NS1_11comp_targetILNS1_3genE5ELNS1_11target_archE942ELNS1_3gpuE9ELNS1_3repE0EEENS1_30default_config_static_selectorELNS0_4arch9wavefront6targetE1EEEvT1_, .Lfunc_end292-_ZN7rocprim17ROCPRIM_400000_NS6detail17trampoline_kernelINS0_14default_configENS1_20scan_config_selectorIN3c107complexIfEEEEZZNS1_9scan_implILNS1_25lookback_scan_determinismE0ELb0ELb0ES3_PKS7_PS7_S7_ZZZN2at6native31launch_logcumsumexp_cuda_kernelERKNSE_10TensorBaseESI_lENKUlvE_clEvENKUlvE2_clEvEUlS7_S7_E_S7_EEDaPvRmT3_T4_T5_mT6_P12ihipStream_tbENKUlT_T0_E_clISt17integral_constantIbLb1EESZ_EEDaSU_SV_EUlSU_E_NS1_11comp_targetILNS1_3genE5ELNS1_11target_archE942ELNS1_3gpuE9ELNS1_3repE0EEENS1_30default_config_static_selectorELNS0_4arch9wavefront6targetE1EEEvT1_
                                        ; -- End function
	.set _ZN7rocprim17ROCPRIM_400000_NS6detail17trampoline_kernelINS0_14default_configENS1_20scan_config_selectorIN3c107complexIfEEEEZZNS1_9scan_implILNS1_25lookback_scan_determinismE0ELb0ELb0ES3_PKS7_PS7_S7_ZZZN2at6native31launch_logcumsumexp_cuda_kernelERKNSE_10TensorBaseESI_lENKUlvE_clEvENKUlvE2_clEvEUlS7_S7_E_S7_EEDaPvRmT3_T4_T5_mT6_P12ihipStream_tbENKUlT_T0_E_clISt17integral_constantIbLb1EESZ_EEDaSU_SV_EUlSU_E_NS1_11comp_targetILNS1_3genE5ELNS1_11target_archE942ELNS1_3gpuE9ELNS1_3repE0EEENS1_30default_config_static_selectorELNS0_4arch9wavefront6targetE1EEEvT1_.num_vgpr, 0
	.set _ZN7rocprim17ROCPRIM_400000_NS6detail17trampoline_kernelINS0_14default_configENS1_20scan_config_selectorIN3c107complexIfEEEEZZNS1_9scan_implILNS1_25lookback_scan_determinismE0ELb0ELb0ES3_PKS7_PS7_S7_ZZZN2at6native31launch_logcumsumexp_cuda_kernelERKNSE_10TensorBaseESI_lENKUlvE_clEvENKUlvE2_clEvEUlS7_S7_E_S7_EEDaPvRmT3_T4_T5_mT6_P12ihipStream_tbENKUlT_T0_E_clISt17integral_constantIbLb1EESZ_EEDaSU_SV_EUlSU_E_NS1_11comp_targetILNS1_3genE5ELNS1_11target_archE942ELNS1_3gpuE9ELNS1_3repE0EEENS1_30default_config_static_selectorELNS0_4arch9wavefront6targetE1EEEvT1_.num_agpr, 0
	.set _ZN7rocprim17ROCPRIM_400000_NS6detail17trampoline_kernelINS0_14default_configENS1_20scan_config_selectorIN3c107complexIfEEEEZZNS1_9scan_implILNS1_25lookback_scan_determinismE0ELb0ELb0ES3_PKS7_PS7_S7_ZZZN2at6native31launch_logcumsumexp_cuda_kernelERKNSE_10TensorBaseESI_lENKUlvE_clEvENKUlvE2_clEvEUlS7_S7_E_S7_EEDaPvRmT3_T4_T5_mT6_P12ihipStream_tbENKUlT_T0_E_clISt17integral_constantIbLb1EESZ_EEDaSU_SV_EUlSU_E_NS1_11comp_targetILNS1_3genE5ELNS1_11target_archE942ELNS1_3gpuE9ELNS1_3repE0EEENS1_30default_config_static_selectorELNS0_4arch9wavefront6targetE1EEEvT1_.numbered_sgpr, 0
	.set _ZN7rocprim17ROCPRIM_400000_NS6detail17trampoline_kernelINS0_14default_configENS1_20scan_config_selectorIN3c107complexIfEEEEZZNS1_9scan_implILNS1_25lookback_scan_determinismE0ELb0ELb0ES3_PKS7_PS7_S7_ZZZN2at6native31launch_logcumsumexp_cuda_kernelERKNSE_10TensorBaseESI_lENKUlvE_clEvENKUlvE2_clEvEUlS7_S7_E_S7_EEDaPvRmT3_T4_T5_mT6_P12ihipStream_tbENKUlT_T0_E_clISt17integral_constantIbLb1EESZ_EEDaSU_SV_EUlSU_E_NS1_11comp_targetILNS1_3genE5ELNS1_11target_archE942ELNS1_3gpuE9ELNS1_3repE0EEENS1_30default_config_static_selectorELNS0_4arch9wavefront6targetE1EEEvT1_.num_named_barrier, 0
	.set _ZN7rocprim17ROCPRIM_400000_NS6detail17trampoline_kernelINS0_14default_configENS1_20scan_config_selectorIN3c107complexIfEEEEZZNS1_9scan_implILNS1_25lookback_scan_determinismE0ELb0ELb0ES3_PKS7_PS7_S7_ZZZN2at6native31launch_logcumsumexp_cuda_kernelERKNSE_10TensorBaseESI_lENKUlvE_clEvENKUlvE2_clEvEUlS7_S7_E_S7_EEDaPvRmT3_T4_T5_mT6_P12ihipStream_tbENKUlT_T0_E_clISt17integral_constantIbLb1EESZ_EEDaSU_SV_EUlSU_E_NS1_11comp_targetILNS1_3genE5ELNS1_11target_archE942ELNS1_3gpuE9ELNS1_3repE0EEENS1_30default_config_static_selectorELNS0_4arch9wavefront6targetE1EEEvT1_.private_seg_size, 0
	.set _ZN7rocprim17ROCPRIM_400000_NS6detail17trampoline_kernelINS0_14default_configENS1_20scan_config_selectorIN3c107complexIfEEEEZZNS1_9scan_implILNS1_25lookback_scan_determinismE0ELb0ELb0ES3_PKS7_PS7_S7_ZZZN2at6native31launch_logcumsumexp_cuda_kernelERKNSE_10TensorBaseESI_lENKUlvE_clEvENKUlvE2_clEvEUlS7_S7_E_S7_EEDaPvRmT3_T4_T5_mT6_P12ihipStream_tbENKUlT_T0_E_clISt17integral_constantIbLb1EESZ_EEDaSU_SV_EUlSU_E_NS1_11comp_targetILNS1_3genE5ELNS1_11target_archE942ELNS1_3gpuE9ELNS1_3repE0EEENS1_30default_config_static_selectorELNS0_4arch9wavefront6targetE1EEEvT1_.uses_vcc, 0
	.set _ZN7rocprim17ROCPRIM_400000_NS6detail17trampoline_kernelINS0_14default_configENS1_20scan_config_selectorIN3c107complexIfEEEEZZNS1_9scan_implILNS1_25lookback_scan_determinismE0ELb0ELb0ES3_PKS7_PS7_S7_ZZZN2at6native31launch_logcumsumexp_cuda_kernelERKNSE_10TensorBaseESI_lENKUlvE_clEvENKUlvE2_clEvEUlS7_S7_E_S7_EEDaPvRmT3_T4_T5_mT6_P12ihipStream_tbENKUlT_T0_E_clISt17integral_constantIbLb1EESZ_EEDaSU_SV_EUlSU_E_NS1_11comp_targetILNS1_3genE5ELNS1_11target_archE942ELNS1_3gpuE9ELNS1_3repE0EEENS1_30default_config_static_selectorELNS0_4arch9wavefront6targetE1EEEvT1_.uses_flat_scratch, 0
	.set _ZN7rocprim17ROCPRIM_400000_NS6detail17trampoline_kernelINS0_14default_configENS1_20scan_config_selectorIN3c107complexIfEEEEZZNS1_9scan_implILNS1_25lookback_scan_determinismE0ELb0ELb0ES3_PKS7_PS7_S7_ZZZN2at6native31launch_logcumsumexp_cuda_kernelERKNSE_10TensorBaseESI_lENKUlvE_clEvENKUlvE2_clEvEUlS7_S7_E_S7_EEDaPvRmT3_T4_T5_mT6_P12ihipStream_tbENKUlT_T0_E_clISt17integral_constantIbLb1EESZ_EEDaSU_SV_EUlSU_E_NS1_11comp_targetILNS1_3genE5ELNS1_11target_archE942ELNS1_3gpuE9ELNS1_3repE0EEENS1_30default_config_static_selectorELNS0_4arch9wavefront6targetE1EEEvT1_.has_dyn_sized_stack, 0
	.set _ZN7rocprim17ROCPRIM_400000_NS6detail17trampoline_kernelINS0_14default_configENS1_20scan_config_selectorIN3c107complexIfEEEEZZNS1_9scan_implILNS1_25lookback_scan_determinismE0ELb0ELb0ES3_PKS7_PS7_S7_ZZZN2at6native31launch_logcumsumexp_cuda_kernelERKNSE_10TensorBaseESI_lENKUlvE_clEvENKUlvE2_clEvEUlS7_S7_E_S7_EEDaPvRmT3_T4_T5_mT6_P12ihipStream_tbENKUlT_T0_E_clISt17integral_constantIbLb1EESZ_EEDaSU_SV_EUlSU_E_NS1_11comp_targetILNS1_3genE5ELNS1_11target_archE942ELNS1_3gpuE9ELNS1_3repE0EEENS1_30default_config_static_selectorELNS0_4arch9wavefront6targetE1EEEvT1_.has_recursion, 0
	.set _ZN7rocprim17ROCPRIM_400000_NS6detail17trampoline_kernelINS0_14default_configENS1_20scan_config_selectorIN3c107complexIfEEEEZZNS1_9scan_implILNS1_25lookback_scan_determinismE0ELb0ELb0ES3_PKS7_PS7_S7_ZZZN2at6native31launch_logcumsumexp_cuda_kernelERKNSE_10TensorBaseESI_lENKUlvE_clEvENKUlvE2_clEvEUlS7_S7_E_S7_EEDaPvRmT3_T4_T5_mT6_P12ihipStream_tbENKUlT_T0_E_clISt17integral_constantIbLb1EESZ_EEDaSU_SV_EUlSU_E_NS1_11comp_targetILNS1_3genE5ELNS1_11target_archE942ELNS1_3gpuE9ELNS1_3repE0EEENS1_30default_config_static_selectorELNS0_4arch9wavefront6targetE1EEEvT1_.has_indirect_call, 0
	.section	.AMDGPU.csdata,"",@progbits
; Kernel info:
; codeLenInByte = 0
; TotalNumSgprs: 4
; NumVgprs: 0
; ScratchSize: 0
; MemoryBound: 0
; FloatMode: 240
; IeeeMode: 1
; LDSByteSize: 0 bytes/workgroup (compile time only)
; SGPRBlocks: 0
; VGPRBlocks: 0
; NumSGPRsForWavesPerEU: 4
; NumVGPRsForWavesPerEU: 1
; Occupancy: 10
; WaveLimiterHint : 0
; COMPUTE_PGM_RSRC2:SCRATCH_EN: 0
; COMPUTE_PGM_RSRC2:USER_SGPR: 6
; COMPUTE_PGM_RSRC2:TRAP_HANDLER: 0
; COMPUTE_PGM_RSRC2:TGID_X_EN: 1
; COMPUTE_PGM_RSRC2:TGID_Y_EN: 0
; COMPUTE_PGM_RSRC2:TGID_Z_EN: 0
; COMPUTE_PGM_RSRC2:TIDIG_COMP_CNT: 0
	.section	.text._ZN7rocprim17ROCPRIM_400000_NS6detail17trampoline_kernelINS0_14default_configENS1_20scan_config_selectorIN3c107complexIfEEEEZZNS1_9scan_implILNS1_25lookback_scan_determinismE0ELb0ELb0ES3_PKS7_PS7_S7_ZZZN2at6native31launch_logcumsumexp_cuda_kernelERKNSE_10TensorBaseESI_lENKUlvE_clEvENKUlvE2_clEvEUlS7_S7_E_S7_EEDaPvRmT3_T4_T5_mT6_P12ihipStream_tbENKUlT_T0_E_clISt17integral_constantIbLb1EESZ_EEDaSU_SV_EUlSU_E_NS1_11comp_targetILNS1_3genE4ELNS1_11target_archE910ELNS1_3gpuE8ELNS1_3repE0EEENS1_30default_config_static_selectorELNS0_4arch9wavefront6targetE1EEEvT1_,"axG",@progbits,_ZN7rocprim17ROCPRIM_400000_NS6detail17trampoline_kernelINS0_14default_configENS1_20scan_config_selectorIN3c107complexIfEEEEZZNS1_9scan_implILNS1_25lookback_scan_determinismE0ELb0ELb0ES3_PKS7_PS7_S7_ZZZN2at6native31launch_logcumsumexp_cuda_kernelERKNSE_10TensorBaseESI_lENKUlvE_clEvENKUlvE2_clEvEUlS7_S7_E_S7_EEDaPvRmT3_T4_T5_mT6_P12ihipStream_tbENKUlT_T0_E_clISt17integral_constantIbLb1EESZ_EEDaSU_SV_EUlSU_E_NS1_11comp_targetILNS1_3genE4ELNS1_11target_archE910ELNS1_3gpuE8ELNS1_3repE0EEENS1_30default_config_static_selectorELNS0_4arch9wavefront6targetE1EEEvT1_,comdat
	.globl	_ZN7rocprim17ROCPRIM_400000_NS6detail17trampoline_kernelINS0_14default_configENS1_20scan_config_selectorIN3c107complexIfEEEEZZNS1_9scan_implILNS1_25lookback_scan_determinismE0ELb0ELb0ES3_PKS7_PS7_S7_ZZZN2at6native31launch_logcumsumexp_cuda_kernelERKNSE_10TensorBaseESI_lENKUlvE_clEvENKUlvE2_clEvEUlS7_S7_E_S7_EEDaPvRmT3_T4_T5_mT6_P12ihipStream_tbENKUlT_T0_E_clISt17integral_constantIbLb1EESZ_EEDaSU_SV_EUlSU_E_NS1_11comp_targetILNS1_3genE4ELNS1_11target_archE910ELNS1_3gpuE8ELNS1_3repE0EEENS1_30default_config_static_selectorELNS0_4arch9wavefront6targetE1EEEvT1_ ; -- Begin function _ZN7rocprim17ROCPRIM_400000_NS6detail17trampoline_kernelINS0_14default_configENS1_20scan_config_selectorIN3c107complexIfEEEEZZNS1_9scan_implILNS1_25lookback_scan_determinismE0ELb0ELb0ES3_PKS7_PS7_S7_ZZZN2at6native31launch_logcumsumexp_cuda_kernelERKNSE_10TensorBaseESI_lENKUlvE_clEvENKUlvE2_clEvEUlS7_S7_E_S7_EEDaPvRmT3_T4_T5_mT6_P12ihipStream_tbENKUlT_T0_E_clISt17integral_constantIbLb1EESZ_EEDaSU_SV_EUlSU_E_NS1_11comp_targetILNS1_3genE4ELNS1_11target_archE910ELNS1_3gpuE8ELNS1_3repE0EEENS1_30default_config_static_selectorELNS0_4arch9wavefront6targetE1EEEvT1_
	.p2align	8
	.type	_ZN7rocprim17ROCPRIM_400000_NS6detail17trampoline_kernelINS0_14default_configENS1_20scan_config_selectorIN3c107complexIfEEEEZZNS1_9scan_implILNS1_25lookback_scan_determinismE0ELb0ELb0ES3_PKS7_PS7_S7_ZZZN2at6native31launch_logcumsumexp_cuda_kernelERKNSE_10TensorBaseESI_lENKUlvE_clEvENKUlvE2_clEvEUlS7_S7_E_S7_EEDaPvRmT3_T4_T5_mT6_P12ihipStream_tbENKUlT_T0_E_clISt17integral_constantIbLb1EESZ_EEDaSU_SV_EUlSU_E_NS1_11comp_targetILNS1_3genE4ELNS1_11target_archE910ELNS1_3gpuE8ELNS1_3repE0EEENS1_30default_config_static_selectorELNS0_4arch9wavefront6targetE1EEEvT1_,@function
_ZN7rocprim17ROCPRIM_400000_NS6detail17trampoline_kernelINS0_14default_configENS1_20scan_config_selectorIN3c107complexIfEEEEZZNS1_9scan_implILNS1_25lookback_scan_determinismE0ELb0ELb0ES3_PKS7_PS7_S7_ZZZN2at6native31launch_logcumsumexp_cuda_kernelERKNSE_10TensorBaseESI_lENKUlvE_clEvENKUlvE2_clEvEUlS7_S7_E_S7_EEDaPvRmT3_T4_T5_mT6_P12ihipStream_tbENKUlT_T0_E_clISt17integral_constantIbLb1EESZ_EEDaSU_SV_EUlSU_E_NS1_11comp_targetILNS1_3genE4ELNS1_11target_archE910ELNS1_3gpuE8ELNS1_3repE0EEENS1_30default_config_static_selectorELNS0_4arch9wavefront6targetE1EEEvT1_: ; @_ZN7rocprim17ROCPRIM_400000_NS6detail17trampoline_kernelINS0_14default_configENS1_20scan_config_selectorIN3c107complexIfEEEEZZNS1_9scan_implILNS1_25lookback_scan_determinismE0ELb0ELb0ES3_PKS7_PS7_S7_ZZZN2at6native31launch_logcumsumexp_cuda_kernelERKNSE_10TensorBaseESI_lENKUlvE_clEvENKUlvE2_clEvEUlS7_S7_E_S7_EEDaPvRmT3_T4_T5_mT6_P12ihipStream_tbENKUlT_T0_E_clISt17integral_constantIbLb1EESZ_EEDaSU_SV_EUlSU_E_NS1_11comp_targetILNS1_3genE4ELNS1_11target_archE910ELNS1_3gpuE8ELNS1_3repE0EEENS1_30default_config_static_selectorELNS0_4arch9wavefront6targetE1EEEvT1_
; %bb.0:
	.section	.rodata,"a",@progbits
	.p2align	6, 0x0
	.amdhsa_kernel _ZN7rocprim17ROCPRIM_400000_NS6detail17trampoline_kernelINS0_14default_configENS1_20scan_config_selectorIN3c107complexIfEEEEZZNS1_9scan_implILNS1_25lookback_scan_determinismE0ELb0ELb0ES3_PKS7_PS7_S7_ZZZN2at6native31launch_logcumsumexp_cuda_kernelERKNSE_10TensorBaseESI_lENKUlvE_clEvENKUlvE2_clEvEUlS7_S7_E_S7_EEDaPvRmT3_T4_T5_mT6_P12ihipStream_tbENKUlT_T0_E_clISt17integral_constantIbLb1EESZ_EEDaSU_SV_EUlSU_E_NS1_11comp_targetILNS1_3genE4ELNS1_11target_archE910ELNS1_3gpuE8ELNS1_3repE0EEENS1_30default_config_static_selectorELNS0_4arch9wavefront6targetE1EEEvT1_
		.amdhsa_group_segment_fixed_size 0
		.amdhsa_private_segment_fixed_size 0
		.amdhsa_kernarg_size 104
		.amdhsa_user_sgpr_count 6
		.amdhsa_user_sgpr_private_segment_buffer 1
		.amdhsa_user_sgpr_dispatch_ptr 0
		.amdhsa_user_sgpr_queue_ptr 0
		.amdhsa_user_sgpr_kernarg_segment_ptr 1
		.amdhsa_user_sgpr_dispatch_id 0
		.amdhsa_user_sgpr_flat_scratch_init 0
		.amdhsa_user_sgpr_private_segment_size 0
		.amdhsa_uses_dynamic_stack 0
		.amdhsa_system_sgpr_private_segment_wavefront_offset 0
		.amdhsa_system_sgpr_workgroup_id_x 1
		.amdhsa_system_sgpr_workgroup_id_y 0
		.amdhsa_system_sgpr_workgroup_id_z 0
		.amdhsa_system_sgpr_workgroup_info 0
		.amdhsa_system_vgpr_workitem_id 0
		.amdhsa_next_free_vgpr 1
		.amdhsa_next_free_sgpr 0
		.amdhsa_reserve_vcc 0
		.amdhsa_reserve_flat_scratch 0
		.amdhsa_float_round_mode_32 0
		.amdhsa_float_round_mode_16_64 0
		.amdhsa_float_denorm_mode_32 3
		.amdhsa_float_denorm_mode_16_64 3
		.amdhsa_dx10_clamp 1
		.amdhsa_ieee_mode 1
		.amdhsa_fp16_overflow 0
		.amdhsa_exception_fp_ieee_invalid_op 0
		.amdhsa_exception_fp_denorm_src 0
		.amdhsa_exception_fp_ieee_div_zero 0
		.amdhsa_exception_fp_ieee_overflow 0
		.amdhsa_exception_fp_ieee_underflow 0
		.amdhsa_exception_fp_ieee_inexact 0
		.amdhsa_exception_int_div_zero 0
	.end_amdhsa_kernel
	.section	.text._ZN7rocprim17ROCPRIM_400000_NS6detail17trampoline_kernelINS0_14default_configENS1_20scan_config_selectorIN3c107complexIfEEEEZZNS1_9scan_implILNS1_25lookback_scan_determinismE0ELb0ELb0ES3_PKS7_PS7_S7_ZZZN2at6native31launch_logcumsumexp_cuda_kernelERKNSE_10TensorBaseESI_lENKUlvE_clEvENKUlvE2_clEvEUlS7_S7_E_S7_EEDaPvRmT3_T4_T5_mT6_P12ihipStream_tbENKUlT_T0_E_clISt17integral_constantIbLb1EESZ_EEDaSU_SV_EUlSU_E_NS1_11comp_targetILNS1_3genE4ELNS1_11target_archE910ELNS1_3gpuE8ELNS1_3repE0EEENS1_30default_config_static_selectorELNS0_4arch9wavefront6targetE1EEEvT1_,"axG",@progbits,_ZN7rocprim17ROCPRIM_400000_NS6detail17trampoline_kernelINS0_14default_configENS1_20scan_config_selectorIN3c107complexIfEEEEZZNS1_9scan_implILNS1_25lookback_scan_determinismE0ELb0ELb0ES3_PKS7_PS7_S7_ZZZN2at6native31launch_logcumsumexp_cuda_kernelERKNSE_10TensorBaseESI_lENKUlvE_clEvENKUlvE2_clEvEUlS7_S7_E_S7_EEDaPvRmT3_T4_T5_mT6_P12ihipStream_tbENKUlT_T0_E_clISt17integral_constantIbLb1EESZ_EEDaSU_SV_EUlSU_E_NS1_11comp_targetILNS1_3genE4ELNS1_11target_archE910ELNS1_3gpuE8ELNS1_3repE0EEENS1_30default_config_static_selectorELNS0_4arch9wavefront6targetE1EEEvT1_,comdat
.Lfunc_end293:
	.size	_ZN7rocprim17ROCPRIM_400000_NS6detail17trampoline_kernelINS0_14default_configENS1_20scan_config_selectorIN3c107complexIfEEEEZZNS1_9scan_implILNS1_25lookback_scan_determinismE0ELb0ELb0ES3_PKS7_PS7_S7_ZZZN2at6native31launch_logcumsumexp_cuda_kernelERKNSE_10TensorBaseESI_lENKUlvE_clEvENKUlvE2_clEvEUlS7_S7_E_S7_EEDaPvRmT3_T4_T5_mT6_P12ihipStream_tbENKUlT_T0_E_clISt17integral_constantIbLb1EESZ_EEDaSU_SV_EUlSU_E_NS1_11comp_targetILNS1_3genE4ELNS1_11target_archE910ELNS1_3gpuE8ELNS1_3repE0EEENS1_30default_config_static_selectorELNS0_4arch9wavefront6targetE1EEEvT1_, .Lfunc_end293-_ZN7rocprim17ROCPRIM_400000_NS6detail17trampoline_kernelINS0_14default_configENS1_20scan_config_selectorIN3c107complexIfEEEEZZNS1_9scan_implILNS1_25lookback_scan_determinismE0ELb0ELb0ES3_PKS7_PS7_S7_ZZZN2at6native31launch_logcumsumexp_cuda_kernelERKNSE_10TensorBaseESI_lENKUlvE_clEvENKUlvE2_clEvEUlS7_S7_E_S7_EEDaPvRmT3_T4_T5_mT6_P12ihipStream_tbENKUlT_T0_E_clISt17integral_constantIbLb1EESZ_EEDaSU_SV_EUlSU_E_NS1_11comp_targetILNS1_3genE4ELNS1_11target_archE910ELNS1_3gpuE8ELNS1_3repE0EEENS1_30default_config_static_selectorELNS0_4arch9wavefront6targetE1EEEvT1_
                                        ; -- End function
	.set _ZN7rocprim17ROCPRIM_400000_NS6detail17trampoline_kernelINS0_14default_configENS1_20scan_config_selectorIN3c107complexIfEEEEZZNS1_9scan_implILNS1_25lookback_scan_determinismE0ELb0ELb0ES3_PKS7_PS7_S7_ZZZN2at6native31launch_logcumsumexp_cuda_kernelERKNSE_10TensorBaseESI_lENKUlvE_clEvENKUlvE2_clEvEUlS7_S7_E_S7_EEDaPvRmT3_T4_T5_mT6_P12ihipStream_tbENKUlT_T0_E_clISt17integral_constantIbLb1EESZ_EEDaSU_SV_EUlSU_E_NS1_11comp_targetILNS1_3genE4ELNS1_11target_archE910ELNS1_3gpuE8ELNS1_3repE0EEENS1_30default_config_static_selectorELNS0_4arch9wavefront6targetE1EEEvT1_.num_vgpr, 0
	.set _ZN7rocprim17ROCPRIM_400000_NS6detail17trampoline_kernelINS0_14default_configENS1_20scan_config_selectorIN3c107complexIfEEEEZZNS1_9scan_implILNS1_25lookback_scan_determinismE0ELb0ELb0ES3_PKS7_PS7_S7_ZZZN2at6native31launch_logcumsumexp_cuda_kernelERKNSE_10TensorBaseESI_lENKUlvE_clEvENKUlvE2_clEvEUlS7_S7_E_S7_EEDaPvRmT3_T4_T5_mT6_P12ihipStream_tbENKUlT_T0_E_clISt17integral_constantIbLb1EESZ_EEDaSU_SV_EUlSU_E_NS1_11comp_targetILNS1_3genE4ELNS1_11target_archE910ELNS1_3gpuE8ELNS1_3repE0EEENS1_30default_config_static_selectorELNS0_4arch9wavefront6targetE1EEEvT1_.num_agpr, 0
	.set _ZN7rocprim17ROCPRIM_400000_NS6detail17trampoline_kernelINS0_14default_configENS1_20scan_config_selectorIN3c107complexIfEEEEZZNS1_9scan_implILNS1_25lookback_scan_determinismE0ELb0ELb0ES3_PKS7_PS7_S7_ZZZN2at6native31launch_logcumsumexp_cuda_kernelERKNSE_10TensorBaseESI_lENKUlvE_clEvENKUlvE2_clEvEUlS7_S7_E_S7_EEDaPvRmT3_T4_T5_mT6_P12ihipStream_tbENKUlT_T0_E_clISt17integral_constantIbLb1EESZ_EEDaSU_SV_EUlSU_E_NS1_11comp_targetILNS1_3genE4ELNS1_11target_archE910ELNS1_3gpuE8ELNS1_3repE0EEENS1_30default_config_static_selectorELNS0_4arch9wavefront6targetE1EEEvT1_.numbered_sgpr, 0
	.set _ZN7rocprim17ROCPRIM_400000_NS6detail17trampoline_kernelINS0_14default_configENS1_20scan_config_selectorIN3c107complexIfEEEEZZNS1_9scan_implILNS1_25lookback_scan_determinismE0ELb0ELb0ES3_PKS7_PS7_S7_ZZZN2at6native31launch_logcumsumexp_cuda_kernelERKNSE_10TensorBaseESI_lENKUlvE_clEvENKUlvE2_clEvEUlS7_S7_E_S7_EEDaPvRmT3_T4_T5_mT6_P12ihipStream_tbENKUlT_T0_E_clISt17integral_constantIbLb1EESZ_EEDaSU_SV_EUlSU_E_NS1_11comp_targetILNS1_3genE4ELNS1_11target_archE910ELNS1_3gpuE8ELNS1_3repE0EEENS1_30default_config_static_selectorELNS0_4arch9wavefront6targetE1EEEvT1_.num_named_barrier, 0
	.set _ZN7rocprim17ROCPRIM_400000_NS6detail17trampoline_kernelINS0_14default_configENS1_20scan_config_selectorIN3c107complexIfEEEEZZNS1_9scan_implILNS1_25lookback_scan_determinismE0ELb0ELb0ES3_PKS7_PS7_S7_ZZZN2at6native31launch_logcumsumexp_cuda_kernelERKNSE_10TensorBaseESI_lENKUlvE_clEvENKUlvE2_clEvEUlS7_S7_E_S7_EEDaPvRmT3_T4_T5_mT6_P12ihipStream_tbENKUlT_T0_E_clISt17integral_constantIbLb1EESZ_EEDaSU_SV_EUlSU_E_NS1_11comp_targetILNS1_3genE4ELNS1_11target_archE910ELNS1_3gpuE8ELNS1_3repE0EEENS1_30default_config_static_selectorELNS0_4arch9wavefront6targetE1EEEvT1_.private_seg_size, 0
	.set _ZN7rocprim17ROCPRIM_400000_NS6detail17trampoline_kernelINS0_14default_configENS1_20scan_config_selectorIN3c107complexIfEEEEZZNS1_9scan_implILNS1_25lookback_scan_determinismE0ELb0ELb0ES3_PKS7_PS7_S7_ZZZN2at6native31launch_logcumsumexp_cuda_kernelERKNSE_10TensorBaseESI_lENKUlvE_clEvENKUlvE2_clEvEUlS7_S7_E_S7_EEDaPvRmT3_T4_T5_mT6_P12ihipStream_tbENKUlT_T0_E_clISt17integral_constantIbLb1EESZ_EEDaSU_SV_EUlSU_E_NS1_11comp_targetILNS1_3genE4ELNS1_11target_archE910ELNS1_3gpuE8ELNS1_3repE0EEENS1_30default_config_static_selectorELNS0_4arch9wavefront6targetE1EEEvT1_.uses_vcc, 0
	.set _ZN7rocprim17ROCPRIM_400000_NS6detail17trampoline_kernelINS0_14default_configENS1_20scan_config_selectorIN3c107complexIfEEEEZZNS1_9scan_implILNS1_25lookback_scan_determinismE0ELb0ELb0ES3_PKS7_PS7_S7_ZZZN2at6native31launch_logcumsumexp_cuda_kernelERKNSE_10TensorBaseESI_lENKUlvE_clEvENKUlvE2_clEvEUlS7_S7_E_S7_EEDaPvRmT3_T4_T5_mT6_P12ihipStream_tbENKUlT_T0_E_clISt17integral_constantIbLb1EESZ_EEDaSU_SV_EUlSU_E_NS1_11comp_targetILNS1_3genE4ELNS1_11target_archE910ELNS1_3gpuE8ELNS1_3repE0EEENS1_30default_config_static_selectorELNS0_4arch9wavefront6targetE1EEEvT1_.uses_flat_scratch, 0
	.set _ZN7rocprim17ROCPRIM_400000_NS6detail17trampoline_kernelINS0_14default_configENS1_20scan_config_selectorIN3c107complexIfEEEEZZNS1_9scan_implILNS1_25lookback_scan_determinismE0ELb0ELb0ES3_PKS7_PS7_S7_ZZZN2at6native31launch_logcumsumexp_cuda_kernelERKNSE_10TensorBaseESI_lENKUlvE_clEvENKUlvE2_clEvEUlS7_S7_E_S7_EEDaPvRmT3_T4_T5_mT6_P12ihipStream_tbENKUlT_T0_E_clISt17integral_constantIbLb1EESZ_EEDaSU_SV_EUlSU_E_NS1_11comp_targetILNS1_3genE4ELNS1_11target_archE910ELNS1_3gpuE8ELNS1_3repE0EEENS1_30default_config_static_selectorELNS0_4arch9wavefront6targetE1EEEvT1_.has_dyn_sized_stack, 0
	.set _ZN7rocprim17ROCPRIM_400000_NS6detail17trampoline_kernelINS0_14default_configENS1_20scan_config_selectorIN3c107complexIfEEEEZZNS1_9scan_implILNS1_25lookback_scan_determinismE0ELb0ELb0ES3_PKS7_PS7_S7_ZZZN2at6native31launch_logcumsumexp_cuda_kernelERKNSE_10TensorBaseESI_lENKUlvE_clEvENKUlvE2_clEvEUlS7_S7_E_S7_EEDaPvRmT3_T4_T5_mT6_P12ihipStream_tbENKUlT_T0_E_clISt17integral_constantIbLb1EESZ_EEDaSU_SV_EUlSU_E_NS1_11comp_targetILNS1_3genE4ELNS1_11target_archE910ELNS1_3gpuE8ELNS1_3repE0EEENS1_30default_config_static_selectorELNS0_4arch9wavefront6targetE1EEEvT1_.has_recursion, 0
	.set _ZN7rocprim17ROCPRIM_400000_NS6detail17trampoline_kernelINS0_14default_configENS1_20scan_config_selectorIN3c107complexIfEEEEZZNS1_9scan_implILNS1_25lookback_scan_determinismE0ELb0ELb0ES3_PKS7_PS7_S7_ZZZN2at6native31launch_logcumsumexp_cuda_kernelERKNSE_10TensorBaseESI_lENKUlvE_clEvENKUlvE2_clEvEUlS7_S7_E_S7_EEDaPvRmT3_T4_T5_mT6_P12ihipStream_tbENKUlT_T0_E_clISt17integral_constantIbLb1EESZ_EEDaSU_SV_EUlSU_E_NS1_11comp_targetILNS1_3genE4ELNS1_11target_archE910ELNS1_3gpuE8ELNS1_3repE0EEENS1_30default_config_static_selectorELNS0_4arch9wavefront6targetE1EEEvT1_.has_indirect_call, 0
	.section	.AMDGPU.csdata,"",@progbits
; Kernel info:
; codeLenInByte = 0
; TotalNumSgprs: 4
; NumVgprs: 0
; ScratchSize: 0
; MemoryBound: 0
; FloatMode: 240
; IeeeMode: 1
; LDSByteSize: 0 bytes/workgroup (compile time only)
; SGPRBlocks: 0
; VGPRBlocks: 0
; NumSGPRsForWavesPerEU: 4
; NumVGPRsForWavesPerEU: 1
; Occupancy: 10
; WaveLimiterHint : 0
; COMPUTE_PGM_RSRC2:SCRATCH_EN: 0
; COMPUTE_PGM_RSRC2:USER_SGPR: 6
; COMPUTE_PGM_RSRC2:TRAP_HANDLER: 0
; COMPUTE_PGM_RSRC2:TGID_X_EN: 1
; COMPUTE_PGM_RSRC2:TGID_Y_EN: 0
; COMPUTE_PGM_RSRC2:TGID_Z_EN: 0
; COMPUTE_PGM_RSRC2:TIDIG_COMP_CNT: 0
	.section	.text._ZN7rocprim17ROCPRIM_400000_NS6detail17trampoline_kernelINS0_14default_configENS1_20scan_config_selectorIN3c107complexIfEEEEZZNS1_9scan_implILNS1_25lookback_scan_determinismE0ELb0ELb0ES3_PKS7_PS7_S7_ZZZN2at6native31launch_logcumsumexp_cuda_kernelERKNSE_10TensorBaseESI_lENKUlvE_clEvENKUlvE2_clEvEUlS7_S7_E_S7_EEDaPvRmT3_T4_T5_mT6_P12ihipStream_tbENKUlT_T0_E_clISt17integral_constantIbLb1EESZ_EEDaSU_SV_EUlSU_E_NS1_11comp_targetILNS1_3genE3ELNS1_11target_archE908ELNS1_3gpuE7ELNS1_3repE0EEENS1_30default_config_static_selectorELNS0_4arch9wavefront6targetE1EEEvT1_,"axG",@progbits,_ZN7rocprim17ROCPRIM_400000_NS6detail17trampoline_kernelINS0_14default_configENS1_20scan_config_selectorIN3c107complexIfEEEEZZNS1_9scan_implILNS1_25lookback_scan_determinismE0ELb0ELb0ES3_PKS7_PS7_S7_ZZZN2at6native31launch_logcumsumexp_cuda_kernelERKNSE_10TensorBaseESI_lENKUlvE_clEvENKUlvE2_clEvEUlS7_S7_E_S7_EEDaPvRmT3_T4_T5_mT6_P12ihipStream_tbENKUlT_T0_E_clISt17integral_constantIbLb1EESZ_EEDaSU_SV_EUlSU_E_NS1_11comp_targetILNS1_3genE3ELNS1_11target_archE908ELNS1_3gpuE7ELNS1_3repE0EEENS1_30default_config_static_selectorELNS0_4arch9wavefront6targetE1EEEvT1_,comdat
	.globl	_ZN7rocprim17ROCPRIM_400000_NS6detail17trampoline_kernelINS0_14default_configENS1_20scan_config_selectorIN3c107complexIfEEEEZZNS1_9scan_implILNS1_25lookback_scan_determinismE0ELb0ELb0ES3_PKS7_PS7_S7_ZZZN2at6native31launch_logcumsumexp_cuda_kernelERKNSE_10TensorBaseESI_lENKUlvE_clEvENKUlvE2_clEvEUlS7_S7_E_S7_EEDaPvRmT3_T4_T5_mT6_P12ihipStream_tbENKUlT_T0_E_clISt17integral_constantIbLb1EESZ_EEDaSU_SV_EUlSU_E_NS1_11comp_targetILNS1_3genE3ELNS1_11target_archE908ELNS1_3gpuE7ELNS1_3repE0EEENS1_30default_config_static_selectorELNS0_4arch9wavefront6targetE1EEEvT1_ ; -- Begin function _ZN7rocprim17ROCPRIM_400000_NS6detail17trampoline_kernelINS0_14default_configENS1_20scan_config_selectorIN3c107complexIfEEEEZZNS1_9scan_implILNS1_25lookback_scan_determinismE0ELb0ELb0ES3_PKS7_PS7_S7_ZZZN2at6native31launch_logcumsumexp_cuda_kernelERKNSE_10TensorBaseESI_lENKUlvE_clEvENKUlvE2_clEvEUlS7_S7_E_S7_EEDaPvRmT3_T4_T5_mT6_P12ihipStream_tbENKUlT_T0_E_clISt17integral_constantIbLb1EESZ_EEDaSU_SV_EUlSU_E_NS1_11comp_targetILNS1_3genE3ELNS1_11target_archE908ELNS1_3gpuE7ELNS1_3repE0EEENS1_30default_config_static_selectorELNS0_4arch9wavefront6targetE1EEEvT1_
	.p2align	8
	.type	_ZN7rocprim17ROCPRIM_400000_NS6detail17trampoline_kernelINS0_14default_configENS1_20scan_config_selectorIN3c107complexIfEEEEZZNS1_9scan_implILNS1_25lookback_scan_determinismE0ELb0ELb0ES3_PKS7_PS7_S7_ZZZN2at6native31launch_logcumsumexp_cuda_kernelERKNSE_10TensorBaseESI_lENKUlvE_clEvENKUlvE2_clEvEUlS7_S7_E_S7_EEDaPvRmT3_T4_T5_mT6_P12ihipStream_tbENKUlT_T0_E_clISt17integral_constantIbLb1EESZ_EEDaSU_SV_EUlSU_E_NS1_11comp_targetILNS1_3genE3ELNS1_11target_archE908ELNS1_3gpuE7ELNS1_3repE0EEENS1_30default_config_static_selectorELNS0_4arch9wavefront6targetE1EEEvT1_,@function
_ZN7rocprim17ROCPRIM_400000_NS6detail17trampoline_kernelINS0_14default_configENS1_20scan_config_selectorIN3c107complexIfEEEEZZNS1_9scan_implILNS1_25lookback_scan_determinismE0ELb0ELb0ES3_PKS7_PS7_S7_ZZZN2at6native31launch_logcumsumexp_cuda_kernelERKNSE_10TensorBaseESI_lENKUlvE_clEvENKUlvE2_clEvEUlS7_S7_E_S7_EEDaPvRmT3_T4_T5_mT6_P12ihipStream_tbENKUlT_T0_E_clISt17integral_constantIbLb1EESZ_EEDaSU_SV_EUlSU_E_NS1_11comp_targetILNS1_3genE3ELNS1_11target_archE908ELNS1_3gpuE7ELNS1_3repE0EEENS1_30default_config_static_selectorELNS0_4arch9wavefront6targetE1EEEvT1_: ; @_ZN7rocprim17ROCPRIM_400000_NS6detail17trampoline_kernelINS0_14default_configENS1_20scan_config_selectorIN3c107complexIfEEEEZZNS1_9scan_implILNS1_25lookback_scan_determinismE0ELb0ELb0ES3_PKS7_PS7_S7_ZZZN2at6native31launch_logcumsumexp_cuda_kernelERKNSE_10TensorBaseESI_lENKUlvE_clEvENKUlvE2_clEvEUlS7_S7_E_S7_EEDaPvRmT3_T4_T5_mT6_P12ihipStream_tbENKUlT_T0_E_clISt17integral_constantIbLb1EESZ_EEDaSU_SV_EUlSU_E_NS1_11comp_targetILNS1_3genE3ELNS1_11target_archE908ELNS1_3gpuE7ELNS1_3repE0EEENS1_30default_config_static_selectorELNS0_4arch9wavefront6targetE1EEEvT1_
; %bb.0:
	.section	.rodata,"a",@progbits
	.p2align	6, 0x0
	.amdhsa_kernel _ZN7rocprim17ROCPRIM_400000_NS6detail17trampoline_kernelINS0_14default_configENS1_20scan_config_selectorIN3c107complexIfEEEEZZNS1_9scan_implILNS1_25lookback_scan_determinismE0ELb0ELb0ES3_PKS7_PS7_S7_ZZZN2at6native31launch_logcumsumexp_cuda_kernelERKNSE_10TensorBaseESI_lENKUlvE_clEvENKUlvE2_clEvEUlS7_S7_E_S7_EEDaPvRmT3_T4_T5_mT6_P12ihipStream_tbENKUlT_T0_E_clISt17integral_constantIbLb1EESZ_EEDaSU_SV_EUlSU_E_NS1_11comp_targetILNS1_3genE3ELNS1_11target_archE908ELNS1_3gpuE7ELNS1_3repE0EEENS1_30default_config_static_selectorELNS0_4arch9wavefront6targetE1EEEvT1_
		.amdhsa_group_segment_fixed_size 0
		.amdhsa_private_segment_fixed_size 0
		.amdhsa_kernarg_size 104
		.amdhsa_user_sgpr_count 6
		.amdhsa_user_sgpr_private_segment_buffer 1
		.amdhsa_user_sgpr_dispatch_ptr 0
		.amdhsa_user_sgpr_queue_ptr 0
		.amdhsa_user_sgpr_kernarg_segment_ptr 1
		.amdhsa_user_sgpr_dispatch_id 0
		.amdhsa_user_sgpr_flat_scratch_init 0
		.amdhsa_user_sgpr_private_segment_size 0
		.amdhsa_uses_dynamic_stack 0
		.amdhsa_system_sgpr_private_segment_wavefront_offset 0
		.amdhsa_system_sgpr_workgroup_id_x 1
		.amdhsa_system_sgpr_workgroup_id_y 0
		.amdhsa_system_sgpr_workgroup_id_z 0
		.amdhsa_system_sgpr_workgroup_info 0
		.amdhsa_system_vgpr_workitem_id 0
		.amdhsa_next_free_vgpr 1
		.amdhsa_next_free_sgpr 0
		.amdhsa_reserve_vcc 0
		.amdhsa_reserve_flat_scratch 0
		.amdhsa_float_round_mode_32 0
		.amdhsa_float_round_mode_16_64 0
		.amdhsa_float_denorm_mode_32 3
		.amdhsa_float_denorm_mode_16_64 3
		.amdhsa_dx10_clamp 1
		.amdhsa_ieee_mode 1
		.amdhsa_fp16_overflow 0
		.amdhsa_exception_fp_ieee_invalid_op 0
		.amdhsa_exception_fp_denorm_src 0
		.amdhsa_exception_fp_ieee_div_zero 0
		.amdhsa_exception_fp_ieee_overflow 0
		.amdhsa_exception_fp_ieee_underflow 0
		.amdhsa_exception_fp_ieee_inexact 0
		.amdhsa_exception_int_div_zero 0
	.end_amdhsa_kernel
	.section	.text._ZN7rocprim17ROCPRIM_400000_NS6detail17trampoline_kernelINS0_14default_configENS1_20scan_config_selectorIN3c107complexIfEEEEZZNS1_9scan_implILNS1_25lookback_scan_determinismE0ELb0ELb0ES3_PKS7_PS7_S7_ZZZN2at6native31launch_logcumsumexp_cuda_kernelERKNSE_10TensorBaseESI_lENKUlvE_clEvENKUlvE2_clEvEUlS7_S7_E_S7_EEDaPvRmT3_T4_T5_mT6_P12ihipStream_tbENKUlT_T0_E_clISt17integral_constantIbLb1EESZ_EEDaSU_SV_EUlSU_E_NS1_11comp_targetILNS1_3genE3ELNS1_11target_archE908ELNS1_3gpuE7ELNS1_3repE0EEENS1_30default_config_static_selectorELNS0_4arch9wavefront6targetE1EEEvT1_,"axG",@progbits,_ZN7rocprim17ROCPRIM_400000_NS6detail17trampoline_kernelINS0_14default_configENS1_20scan_config_selectorIN3c107complexIfEEEEZZNS1_9scan_implILNS1_25lookback_scan_determinismE0ELb0ELb0ES3_PKS7_PS7_S7_ZZZN2at6native31launch_logcumsumexp_cuda_kernelERKNSE_10TensorBaseESI_lENKUlvE_clEvENKUlvE2_clEvEUlS7_S7_E_S7_EEDaPvRmT3_T4_T5_mT6_P12ihipStream_tbENKUlT_T0_E_clISt17integral_constantIbLb1EESZ_EEDaSU_SV_EUlSU_E_NS1_11comp_targetILNS1_3genE3ELNS1_11target_archE908ELNS1_3gpuE7ELNS1_3repE0EEENS1_30default_config_static_selectorELNS0_4arch9wavefront6targetE1EEEvT1_,comdat
.Lfunc_end294:
	.size	_ZN7rocprim17ROCPRIM_400000_NS6detail17trampoline_kernelINS0_14default_configENS1_20scan_config_selectorIN3c107complexIfEEEEZZNS1_9scan_implILNS1_25lookback_scan_determinismE0ELb0ELb0ES3_PKS7_PS7_S7_ZZZN2at6native31launch_logcumsumexp_cuda_kernelERKNSE_10TensorBaseESI_lENKUlvE_clEvENKUlvE2_clEvEUlS7_S7_E_S7_EEDaPvRmT3_T4_T5_mT6_P12ihipStream_tbENKUlT_T0_E_clISt17integral_constantIbLb1EESZ_EEDaSU_SV_EUlSU_E_NS1_11comp_targetILNS1_3genE3ELNS1_11target_archE908ELNS1_3gpuE7ELNS1_3repE0EEENS1_30default_config_static_selectorELNS0_4arch9wavefront6targetE1EEEvT1_, .Lfunc_end294-_ZN7rocprim17ROCPRIM_400000_NS6detail17trampoline_kernelINS0_14default_configENS1_20scan_config_selectorIN3c107complexIfEEEEZZNS1_9scan_implILNS1_25lookback_scan_determinismE0ELb0ELb0ES3_PKS7_PS7_S7_ZZZN2at6native31launch_logcumsumexp_cuda_kernelERKNSE_10TensorBaseESI_lENKUlvE_clEvENKUlvE2_clEvEUlS7_S7_E_S7_EEDaPvRmT3_T4_T5_mT6_P12ihipStream_tbENKUlT_T0_E_clISt17integral_constantIbLb1EESZ_EEDaSU_SV_EUlSU_E_NS1_11comp_targetILNS1_3genE3ELNS1_11target_archE908ELNS1_3gpuE7ELNS1_3repE0EEENS1_30default_config_static_selectorELNS0_4arch9wavefront6targetE1EEEvT1_
                                        ; -- End function
	.set _ZN7rocprim17ROCPRIM_400000_NS6detail17trampoline_kernelINS0_14default_configENS1_20scan_config_selectorIN3c107complexIfEEEEZZNS1_9scan_implILNS1_25lookback_scan_determinismE0ELb0ELb0ES3_PKS7_PS7_S7_ZZZN2at6native31launch_logcumsumexp_cuda_kernelERKNSE_10TensorBaseESI_lENKUlvE_clEvENKUlvE2_clEvEUlS7_S7_E_S7_EEDaPvRmT3_T4_T5_mT6_P12ihipStream_tbENKUlT_T0_E_clISt17integral_constantIbLb1EESZ_EEDaSU_SV_EUlSU_E_NS1_11comp_targetILNS1_3genE3ELNS1_11target_archE908ELNS1_3gpuE7ELNS1_3repE0EEENS1_30default_config_static_selectorELNS0_4arch9wavefront6targetE1EEEvT1_.num_vgpr, 0
	.set _ZN7rocprim17ROCPRIM_400000_NS6detail17trampoline_kernelINS0_14default_configENS1_20scan_config_selectorIN3c107complexIfEEEEZZNS1_9scan_implILNS1_25lookback_scan_determinismE0ELb0ELb0ES3_PKS7_PS7_S7_ZZZN2at6native31launch_logcumsumexp_cuda_kernelERKNSE_10TensorBaseESI_lENKUlvE_clEvENKUlvE2_clEvEUlS7_S7_E_S7_EEDaPvRmT3_T4_T5_mT6_P12ihipStream_tbENKUlT_T0_E_clISt17integral_constantIbLb1EESZ_EEDaSU_SV_EUlSU_E_NS1_11comp_targetILNS1_3genE3ELNS1_11target_archE908ELNS1_3gpuE7ELNS1_3repE0EEENS1_30default_config_static_selectorELNS0_4arch9wavefront6targetE1EEEvT1_.num_agpr, 0
	.set _ZN7rocprim17ROCPRIM_400000_NS6detail17trampoline_kernelINS0_14default_configENS1_20scan_config_selectorIN3c107complexIfEEEEZZNS1_9scan_implILNS1_25lookback_scan_determinismE0ELb0ELb0ES3_PKS7_PS7_S7_ZZZN2at6native31launch_logcumsumexp_cuda_kernelERKNSE_10TensorBaseESI_lENKUlvE_clEvENKUlvE2_clEvEUlS7_S7_E_S7_EEDaPvRmT3_T4_T5_mT6_P12ihipStream_tbENKUlT_T0_E_clISt17integral_constantIbLb1EESZ_EEDaSU_SV_EUlSU_E_NS1_11comp_targetILNS1_3genE3ELNS1_11target_archE908ELNS1_3gpuE7ELNS1_3repE0EEENS1_30default_config_static_selectorELNS0_4arch9wavefront6targetE1EEEvT1_.numbered_sgpr, 0
	.set _ZN7rocprim17ROCPRIM_400000_NS6detail17trampoline_kernelINS0_14default_configENS1_20scan_config_selectorIN3c107complexIfEEEEZZNS1_9scan_implILNS1_25lookback_scan_determinismE0ELb0ELb0ES3_PKS7_PS7_S7_ZZZN2at6native31launch_logcumsumexp_cuda_kernelERKNSE_10TensorBaseESI_lENKUlvE_clEvENKUlvE2_clEvEUlS7_S7_E_S7_EEDaPvRmT3_T4_T5_mT6_P12ihipStream_tbENKUlT_T0_E_clISt17integral_constantIbLb1EESZ_EEDaSU_SV_EUlSU_E_NS1_11comp_targetILNS1_3genE3ELNS1_11target_archE908ELNS1_3gpuE7ELNS1_3repE0EEENS1_30default_config_static_selectorELNS0_4arch9wavefront6targetE1EEEvT1_.num_named_barrier, 0
	.set _ZN7rocprim17ROCPRIM_400000_NS6detail17trampoline_kernelINS0_14default_configENS1_20scan_config_selectorIN3c107complexIfEEEEZZNS1_9scan_implILNS1_25lookback_scan_determinismE0ELb0ELb0ES3_PKS7_PS7_S7_ZZZN2at6native31launch_logcumsumexp_cuda_kernelERKNSE_10TensorBaseESI_lENKUlvE_clEvENKUlvE2_clEvEUlS7_S7_E_S7_EEDaPvRmT3_T4_T5_mT6_P12ihipStream_tbENKUlT_T0_E_clISt17integral_constantIbLb1EESZ_EEDaSU_SV_EUlSU_E_NS1_11comp_targetILNS1_3genE3ELNS1_11target_archE908ELNS1_3gpuE7ELNS1_3repE0EEENS1_30default_config_static_selectorELNS0_4arch9wavefront6targetE1EEEvT1_.private_seg_size, 0
	.set _ZN7rocprim17ROCPRIM_400000_NS6detail17trampoline_kernelINS0_14default_configENS1_20scan_config_selectorIN3c107complexIfEEEEZZNS1_9scan_implILNS1_25lookback_scan_determinismE0ELb0ELb0ES3_PKS7_PS7_S7_ZZZN2at6native31launch_logcumsumexp_cuda_kernelERKNSE_10TensorBaseESI_lENKUlvE_clEvENKUlvE2_clEvEUlS7_S7_E_S7_EEDaPvRmT3_T4_T5_mT6_P12ihipStream_tbENKUlT_T0_E_clISt17integral_constantIbLb1EESZ_EEDaSU_SV_EUlSU_E_NS1_11comp_targetILNS1_3genE3ELNS1_11target_archE908ELNS1_3gpuE7ELNS1_3repE0EEENS1_30default_config_static_selectorELNS0_4arch9wavefront6targetE1EEEvT1_.uses_vcc, 0
	.set _ZN7rocprim17ROCPRIM_400000_NS6detail17trampoline_kernelINS0_14default_configENS1_20scan_config_selectorIN3c107complexIfEEEEZZNS1_9scan_implILNS1_25lookback_scan_determinismE0ELb0ELb0ES3_PKS7_PS7_S7_ZZZN2at6native31launch_logcumsumexp_cuda_kernelERKNSE_10TensorBaseESI_lENKUlvE_clEvENKUlvE2_clEvEUlS7_S7_E_S7_EEDaPvRmT3_T4_T5_mT6_P12ihipStream_tbENKUlT_T0_E_clISt17integral_constantIbLb1EESZ_EEDaSU_SV_EUlSU_E_NS1_11comp_targetILNS1_3genE3ELNS1_11target_archE908ELNS1_3gpuE7ELNS1_3repE0EEENS1_30default_config_static_selectorELNS0_4arch9wavefront6targetE1EEEvT1_.uses_flat_scratch, 0
	.set _ZN7rocprim17ROCPRIM_400000_NS6detail17trampoline_kernelINS0_14default_configENS1_20scan_config_selectorIN3c107complexIfEEEEZZNS1_9scan_implILNS1_25lookback_scan_determinismE0ELb0ELb0ES3_PKS7_PS7_S7_ZZZN2at6native31launch_logcumsumexp_cuda_kernelERKNSE_10TensorBaseESI_lENKUlvE_clEvENKUlvE2_clEvEUlS7_S7_E_S7_EEDaPvRmT3_T4_T5_mT6_P12ihipStream_tbENKUlT_T0_E_clISt17integral_constantIbLb1EESZ_EEDaSU_SV_EUlSU_E_NS1_11comp_targetILNS1_3genE3ELNS1_11target_archE908ELNS1_3gpuE7ELNS1_3repE0EEENS1_30default_config_static_selectorELNS0_4arch9wavefront6targetE1EEEvT1_.has_dyn_sized_stack, 0
	.set _ZN7rocprim17ROCPRIM_400000_NS6detail17trampoline_kernelINS0_14default_configENS1_20scan_config_selectorIN3c107complexIfEEEEZZNS1_9scan_implILNS1_25lookback_scan_determinismE0ELb0ELb0ES3_PKS7_PS7_S7_ZZZN2at6native31launch_logcumsumexp_cuda_kernelERKNSE_10TensorBaseESI_lENKUlvE_clEvENKUlvE2_clEvEUlS7_S7_E_S7_EEDaPvRmT3_T4_T5_mT6_P12ihipStream_tbENKUlT_T0_E_clISt17integral_constantIbLb1EESZ_EEDaSU_SV_EUlSU_E_NS1_11comp_targetILNS1_3genE3ELNS1_11target_archE908ELNS1_3gpuE7ELNS1_3repE0EEENS1_30default_config_static_selectorELNS0_4arch9wavefront6targetE1EEEvT1_.has_recursion, 0
	.set _ZN7rocprim17ROCPRIM_400000_NS6detail17trampoline_kernelINS0_14default_configENS1_20scan_config_selectorIN3c107complexIfEEEEZZNS1_9scan_implILNS1_25lookback_scan_determinismE0ELb0ELb0ES3_PKS7_PS7_S7_ZZZN2at6native31launch_logcumsumexp_cuda_kernelERKNSE_10TensorBaseESI_lENKUlvE_clEvENKUlvE2_clEvEUlS7_S7_E_S7_EEDaPvRmT3_T4_T5_mT6_P12ihipStream_tbENKUlT_T0_E_clISt17integral_constantIbLb1EESZ_EEDaSU_SV_EUlSU_E_NS1_11comp_targetILNS1_3genE3ELNS1_11target_archE908ELNS1_3gpuE7ELNS1_3repE0EEENS1_30default_config_static_selectorELNS0_4arch9wavefront6targetE1EEEvT1_.has_indirect_call, 0
	.section	.AMDGPU.csdata,"",@progbits
; Kernel info:
; codeLenInByte = 0
; TotalNumSgprs: 4
; NumVgprs: 0
; ScratchSize: 0
; MemoryBound: 0
; FloatMode: 240
; IeeeMode: 1
; LDSByteSize: 0 bytes/workgroup (compile time only)
; SGPRBlocks: 0
; VGPRBlocks: 0
; NumSGPRsForWavesPerEU: 4
; NumVGPRsForWavesPerEU: 1
; Occupancy: 10
; WaveLimiterHint : 0
; COMPUTE_PGM_RSRC2:SCRATCH_EN: 0
; COMPUTE_PGM_RSRC2:USER_SGPR: 6
; COMPUTE_PGM_RSRC2:TRAP_HANDLER: 0
; COMPUTE_PGM_RSRC2:TGID_X_EN: 1
; COMPUTE_PGM_RSRC2:TGID_Y_EN: 0
; COMPUTE_PGM_RSRC2:TGID_Z_EN: 0
; COMPUTE_PGM_RSRC2:TIDIG_COMP_CNT: 0
	.section	.text._ZN7rocprim17ROCPRIM_400000_NS6detail17trampoline_kernelINS0_14default_configENS1_20scan_config_selectorIN3c107complexIfEEEEZZNS1_9scan_implILNS1_25lookback_scan_determinismE0ELb0ELb0ES3_PKS7_PS7_S7_ZZZN2at6native31launch_logcumsumexp_cuda_kernelERKNSE_10TensorBaseESI_lENKUlvE_clEvENKUlvE2_clEvEUlS7_S7_E_S7_EEDaPvRmT3_T4_T5_mT6_P12ihipStream_tbENKUlT_T0_E_clISt17integral_constantIbLb1EESZ_EEDaSU_SV_EUlSU_E_NS1_11comp_targetILNS1_3genE2ELNS1_11target_archE906ELNS1_3gpuE6ELNS1_3repE0EEENS1_30default_config_static_selectorELNS0_4arch9wavefront6targetE1EEEvT1_,"axG",@progbits,_ZN7rocprim17ROCPRIM_400000_NS6detail17trampoline_kernelINS0_14default_configENS1_20scan_config_selectorIN3c107complexIfEEEEZZNS1_9scan_implILNS1_25lookback_scan_determinismE0ELb0ELb0ES3_PKS7_PS7_S7_ZZZN2at6native31launch_logcumsumexp_cuda_kernelERKNSE_10TensorBaseESI_lENKUlvE_clEvENKUlvE2_clEvEUlS7_S7_E_S7_EEDaPvRmT3_T4_T5_mT6_P12ihipStream_tbENKUlT_T0_E_clISt17integral_constantIbLb1EESZ_EEDaSU_SV_EUlSU_E_NS1_11comp_targetILNS1_3genE2ELNS1_11target_archE906ELNS1_3gpuE6ELNS1_3repE0EEENS1_30default_config_static_selectorELNS0_4arch9wavefront6targetE1EEEvT1_,comdat
	.globl	_ZN7rocprim17ROCPRIM_400000_NS6detail17trampoline_kernelINS0_14default_configENS1_20scan_config_selectorIN3c107complexIfEEEEZZNS1_9scan_implILNS1_25lookback_scan_determinismE0ELb0ELb0ES3_PKS7_PS7_S7_ZZZN2at6native31launch_logcumsumexp_cuda_kernelERKNSE_10TensorBaseESI_lENKUlvE_clEvENKUlvE2_clEvEUlS7_S7_E_S7_EEDaPvRmT3_T4_T5_mT6_P12ihipStream_tbENKUlT_T0_E_clISt17integral_constantIbLb1EESZ_EEDaSU_SV_EUlSU_E_NS1_11comp_targetILNS1_3genE2ELNS1_11target_archE906ELNS1_3gpuE6ELNS1_3repE0EEENS1_30default_config_static_selectorELNS0_4arch9wavefront6targetE1EEEvT1_ ; -- Begin function _ZN7rocprim17ROCPRIM_400000_NS6detail17trampoline_kernelINS0_14default_configENS1_20scan_config_selectorIN3c107complexIfEEEEZZNS1_9scan_implILNS1_25lookback_scan_determinismE0ELb0ELb0ES3_PKS7_PS7_S7_ZZZN2at6native31launch_logcumsumexp_cuda_kernelERKNSE_10TensorBaseESI_lENKUlvE_clEvENKUlvE2_clEvEUlS7_S7_E_S7_EEDaPvRmT3_T4_T5_mT6_P12ihipStream_tbENKUlT_T0_E_clISt17integral_constantIbLb1EESZ_EEDaSU_SV_EUlSU_E_NS1_11comp_targetILNS1_3genE2ELNS1_11target_archE906ELNS1_3gpuE6ELNS1_3repE0EEENS1_30default_config_static_selectorELNS0_4arch9wavefront6targetE1EEEvT1_
	.p2align	8
	.type	_ZN7rocprim17ROCPRIM_400000_NS6detail17trampoline_kernelINS0_14default_configENS1_20scan_config_selectorIN3c107complexIfEEEEZZNS1_9scan_implILNS1_25lookback_scan_determinismE0ELb0ELb0ES3_PKS7_PS7_S7_ZZZN2at6native31launch_logcumsumexp_cuda_kernelERKNSE_10TensorBaseESI_lENKUlvE_clEvENKUlvE2_clEvEUlS7_S7_E_S7_EEDaPvRmT3_T4_T5_mT6_P12ihipStream_tbENKUlT_T0_E_clISt17integral_constantIbLb1EESZ_EEDaSU_SV_EUlSU_E_NS1_11comp_targetILNS1_3genE2ELNS1_11target_archE906ELNS1_3gpuE6ELNS1_3repE0EEENS1_30default_config_static_selectorELNS0_4arch9wavefront6targetE1EEEvT1_,@function
_ZN7rocprim17ROCPRIM_400000_NS6detail17trampoline_kernelINS0_14default_configENS1_20scan_config_selectorIN3c107complexIfEEEEZZNS1_9scan_implILNS1_25lookback_scan_determinismE0ELb0ELb0ES3_PKS7_PS7_S7_ZZZN2at6native31launch_logcumsumexp_cuda_kernelERKNSE_10TensorBaseESI_lENKUlvE_clEvENKUlvE2_clEvEUlS7_S7_E_S7_EEDaPvRmT3_T4_T5_mT6_P12ihipStream_tbENKUlT_T0_E_clISt17integral_constantIbLb1EESZ_EEDaSU_SV_EUlSU_E_NS1_11comp_targetILNS1_3genE2ELNS1_11target_archE906ELNS1_3gpuE6ELNS1_3repE0EEENS1_30default_config_static_selectorELNS0_4arch9wavefront6targetE1EEEvT1_: ; @_ZN7rocprim17ROCPRIM_400000_NS6detail17trampoline_kernelINS0_14default_configENS1_20scan_config_selectorIN3c107complexIfEEEEZZNS1_9scan_implILNS1_25lookback_scan_determinismE0ELb0ELb0ES3_PKS7_PS7_S7_ZZZN2at6native31launch_logcumsumexp_cuda_kernelERKNSE_10TensorBaseESI_lENKUlvE_clEvENKUlvE2_clEvEUlS7_S7_E_S7_EEDaPvRmT3_T4_T5_mT6_P12ihipStream_tbENKUlT_T0_E_clISt17integral_constantIbLb1EESZ_EEDaSU_SV_EUlSU_E_NS1_11comp_targetILNS1_3genE2ELNS1_11target_archE906ELNS1_3gpuE6ELNS1_3repE0EEENS1_30default_config_static_selectorELNS0_4arch9wavefront6targetE1EEEvT1_
; %bb.0:
	s_endpgm
	.section	.rodata,"a",@progbits
	.p2align	6, 0x0
	.amdhsa_kernel _ZN7rocprim17ROCPRIM_400000_NS6detail17trampoline_kernelINS0_14default_configENS1_20scan_config_selectorIN3c107complexIfEEEEZZNS1_9scan_implILNS1_25lookback_scan_determinismE0ELb0ELb0ES3_PKS7_PS7_S7_ZZZN2at6native31launch_logcumsumexp_cuda_kernelERKNSE_10TensorBaseESI_lENKUlvE_clEvENKUlvE2_clEvEUlS7_S7_E_S7_EEDaPvRmT3_T4_T5_mT6_P12ihipStream_tbENKUlT_T0_E_clISt17integral_constantIbLb1EESZ_EEDaSU_SV_EUlSU_E_NS1_11comp_targetILNS1_3genE2ELNS1_11target_archE906ELNS1_3gpuE6ELNS1_3repE0EEENS1_30default_config_static_selectorELNS0_4arch9wavefront6targetE1EEEvT1_
		.amdhsa_group_segment_fixed_size 0
		.amdhsa_private_segment_fixed_size 0
		.amdhsa_kernarg_size 104
		.amdhsa_user_sgpr_count 6
		.amdhsa_user_sgpr_private_segment_buffer 1
		.amdhsa_user_sgpr_dispatch_ptr 0
		.amdhsa_user_sgpr_queue_ptr 0
		.amdhsa_user_sgpr_kernarg_segment_ptr 1
		.amdhsa_user_sgpr_dispatch_id 0
		.amdhsa_user_sgpr_flat_scratch_init 0
		.amdhsa_user_sgpr_private_segment_size 0
		.amdhsa_uses_dynamic_stack 0
		.amdhsa_system_sgpr_private_segment_wavefront_offset 0
		.amdhsa_system_sgpr_workgroup_id_x 1
		.amdhsa_system_sgpr_workgroup_id_y 0
		.amdhsa_system_sgpr_workgroup_id_z 0
		.amdhsa_system_sgpr_workgroup_info 0
		.amdhsa_system_vgpr_workitem_id 0
		.amdhsa_next_free_vgpr 1
		.amdhsa_next_free_sgpr 0
		.amdhsa_reserve_vcc 0
		.amdhsa_reserve_flat_scratch 0
		.amdhsa_float_round_mode_32 0
		.amdhsa_float_round_mode_16_64 0
		.amdhsa_float_denorm_mode_32 3
		.amdhsa_float_denorm_mode_16_64 3
		.amdhsa_dx10_clamp 1
		.amdhsa_ieee_mode 1
		.amdhsa_fp16_overflow 0
		.amdhsa_exception_fp_ieee_invalid_op 0
		.amdhsa_exception_fp_denorm_src 0
		.amdhsa_exception_fp_ieee_div_zero 0
		.amdhsa_exception_fp_ieee_overflow 0
		.amdhsa_exception_fp_ieee_underflow 0
		.amdhsa_exception_fp_ieee_inexact 0
		.amdhsa_exception_int_div_zero 0
	.end_amdhsa_kernel
	.section	.text._ZN7rocprim17ROCPRIM_400000_NS6detail17trampoline_kernelINS0_14default_configENS1_20scan_config_selectorIN3c107complexIfEEEEZZNS1_9scan_implILNS1_25lookback_scan_determinismE0ELb0ELb0ES3_PKS7_PS7_S7_ZZZN2at6native31launch_logcumsumexp_cuda_kernelERKNSE_10TensorBaseESI_lENKUlvE_clEvENKUlvE2_clEvEUlS7_S7_E_S7_EEDaPvRmT3_T4_T5_mT6_P12ihipStream_tbENKUlT_T0_E_clISt17integral_constantIbLb1EESZ_EEDaSU_SV_EUlSU_E_NS1_11comp_targetILNS1_3genE2ELNS1_11target_archE906ELNS1_3gpuE6ELNS1_3repE0EEENS1_30default_config_static_selectorELNS0_4arch9wavefront6targetE1EEEvT1_,"axG",@progbits,_ZN7rocprim17ROCPRIM_400000_NS6detail17trampoline_kernelINS0_14default_configENS1_20scan_config_selectorIN3c107complexIfEEEEZZNS1_9scan_implILNS1_25lookback_scan_determinismE0ELb0ELb0ES3_PKS7_PS7_S7_ZZZN2at6native31launch_logcumsumexp_cuda_kernelERKNSE_10TensorBaseESI_lENKUlvE_clEvENKUlvE2_clEvEUlS7_S7_E_S7_EEDaPvRmT3_T4_T5_mT6_P12ihipStream_tbENKUlT_T0_E_clISt17integral_constantIbLb1EESZ_EEDaSU_SV_EUlSU_E_NS1_11comp_targetILNS1_3genE2ELNS1_11target_archE906ELNS1_3gpuE6ELNS1_3repE0EEENS1_30default_config_static_selectorELNS0_4arch9wavefront6targetE1EEEvT1_,comdat
.Lfunc_end295:
	.size	_ZN7rocprim17ROCPRIM_400000_NS6detail17trampoline_kernelINS0_14default_configENS1_20scan_config_selectorIN3c107complexIfEEEEZZNS1_9scan_implILNS1_25lookback_scan_determinismE0ELb0ELb0ES3_PKS7_PS7_S7_ZZZN2at6native31launch_logcumsumexp_cuda_kernelERKNSE_10TensorBaseESI_lENKUlvE_clEvENKUlvE2_clEvEUlS7_S7_E_S7_EEDaPvRmT3_T4_T5_mT6_P12ihipStream_tbENKUlT_T0_E_clISt17integral_constantIbLb1EESZ_EEDaSU_SV_EUlSU_E_NS1_11comp_targetILNS1_3genE2ELNS1_11target_archE906ELNS1_3gpuE6ELNS1_3repE0EEENS1_30default_config_static_selectorELNS0_4arch9wavefront6targetE1EEEvT1_, .Lfunc_end295-_ZN7rocprim17ROCPRIM_400000_NS6detail17trampoline_kernelINS0_14default_configENS1_20scan_config_selectorIN3c107complexIfEEEEZZNS1_9scan_implILNS1_25lookback_scan_determinismE0ELb0ELb0ES3_PKS7_PS7_S7_ZZZN2at6native31launch_logcumsumexp_cuda_kernelERKNSE_10TensorBaseESI_lENKUlvE_clEvENKUlvE2_clEvEUlS7_S7_E_S7_EEDaPvRmT3_T4_T5_mT6_P12ihipStream_tbENKUlT_T0_E_clISt17integral_constantIbLb1EESZ_EEDaSU_SV_EUlSU_E_NS1_11comp_targetILNS1_3genE2ELNS1_11target_archE906ELNS1_3gpuE6ELNS1_3repE0EEENS1_30default_config_static_selectorELNS0_4arch9wavefront6targetE1EEEvT1_
                                        ; -- End function
	.set _ZN7rocprim17ROCPRIM_400000_NS6detail17trampoline_kernelINS0_14default_configENS1_20scan_config_selectorIN3c107complexIfEEEEZZNS1_9scan_implILNS1_25lookback_scan_determinismE0ELb0ELb0ES3_PKS7_PS7_S7_ZZZN2at6native31launch_logcumsumexp_cuda_kernelERKNSE_10TensorBaseESI_lENKUlvE_clEvENKUlvE2_clEvEUlS7_S7_E_S7_EEDaPvRmT3_T4_T5_mT6_P12ihipStream_tbENKUlT_T0_E_clISt17integral_constantIbLb1EESZ_EEDaSU_SV_EUlSU_E_NS1_11comp_targetILNS1_3genE2ELNS1_11target_archE906ELNS1_3gpuE6ELNS1_3repE0EEENS1_30default_config_static_selectorELNS0_4arch9wavefront6targetE1EEEvT1_.num_vgpr, 0
	.set _ZN7rocprim17ROCPRIM_400000_NS6detail17trampoline_kernelINS0_14default_configENS1_20scan_config_selectorIN3c107complexIfEEEEZZNS1_9scan_implILNS1_25lookback_scan_determinismE0ELb0ELb0ES3_PKS7_PS7_S7_ZZZN2at6native31launch_logcumsumexp_cuda_kernelERKNSE_10TensorBaseESI_lENKUlvE_clEvENKUlvE2_clEvEUlS7_S7_E_S7_EEDaPvRmT3_T4_T5_mT6_P12ihipStream_tbENKUlT_T0_E_clISt17integral_constantIbLb1EESZ_EEDaSU_SV_EUlSU_E_NS1_11comp_targetILNS1_3genE2ELNS1_11target_archE906ELNS1_3gpuE6ELNS1_3repE0EEENS1_30default_config_static_selectorELNS0_4arch9wavefront6targetE1EEEvT1_.num_agpr, 0
	.set _ZN7rocprim17ROCPRIM_400000_NS6detail17trampoline_kernelINS0_14default_configENS1_20scan_config_selectorIN3c107complexIfEEEEZZNS1_9scan_implILNS1_25lookback_scan_determinismE0ELb0ELb0ES3_PKS7_PS7_S7_ZZZN2at6native31launch_logcumsumexp_cuda_kernelERKNSE_10TensorBaseESI_lENKUlvE_clEvENKUlvE2_clEvEUlS7_S7_E_S7_EEDaPvRmT3_T4_T5_mT6_P12ihipStream_tbENKUlT_T0_E_clISt17integral_constantIbLb1EESZ_EEDaSU_SV_EUlSU_E_NS1_11comp_targetILNS1_3genE2ELNS1_11target_archE906ELNS1_3gpuE6ELNS1_3repE0EEENS1_30default_config_static_selectorELNS0_4arch9wavefront6targetE1EEEvT1_.numbered_sgpr, 0
	.set _ZN7rocprim17ROCPRIM_400000_NS6detail17trampoline_kernelINS0_14default_configENS1_20scan_config_selectorIN3c107complexIfEEEEZZNS1_9scan_implILNS1_25lookback_scan_determinismE0ELb0ELb0ES3_PKS7_PS7_S7_ZZZN2at6native31launch_logcumsumexp_cuda_kernelERKNSE_10TensorBaseESI_lENKUlvE_clEvENKUlvE2_clEvEUlS7_S7_E_S7_EEDaPvRmT3_T4_T5_mT6_P12ihipStream_tbENKUlT_T0_E_clISt17integral_constantIbLb1EESZ_EEDaSU_SV_EUlSU_E_NS1_11comp_targetILNS1_3genE2ELNS1_11target_archE906ELNS1_3gpuE6ELNS1_3repE0EEENS1_30default_config_static_selectorELNS0_4arch9wavefront6targetE1EEEvT1_.num_named_barrier, 0
	.set _ZN7rocprim17ROCPRIM_400000_NS6detail17trampoline_kernelINS0_14default_configENS1_20scan_config_selectorIN3c107complexIfEEEEZZNS1_9scan_implILNS1_25lookback_scan_determinismE0ELb0ELb0ES3_PKS7_PS7_S7_ZZZN2at6native31launch_logcumsumexp_cuda_kernelERKNSE_10TensorBaseESI_lENKUlvE_clEvENKUlvE2_clEvEUlS7_S7_E_S7_EEDaPvRmT3_T4_T5_mT6_P12ihipStream_tbENKUlT_T0_E_clISt17integral_constantIbLb1EESZ_EEDaSU_SV_EUlSU_E_NS1_11comp_targetILNS1_3genE2ELNS1_11target_archE906ELNS1_3gpuE6ELNS1_3repE0EEENS1_30default_config_static_selectorELNS0_4arch9wavefront6targetE1EEEvT1_.private_seg_size, 0
	.set _ZN7rocprim17ROCPRIM_400000_NS6detail17trampoline_kernelINS0_14default_configENS1_20scan_config_selectorIN3c107complexIfEEEEZZNS1_9scan_implILNS1_25lookback_scan_determinismE0ELb0ELb0ES3_PKS7_PS7_S7_ZZZN2at6native31launch_logcumsumexp_cuda_kernelERKNSE_10TensorBaseESI_lENKUlvE_clEvENKUlvE2_clEvEUlS7_S7_E_S7_EEDaPvRmT3_T4_T5_mT6_P12ihipStream_tbENKUlT_T0_E_clISt17integral_constantIbLb1EESZ_EEDaSU_SV_EUlSU_E_NS1_11comp_targetILNS1_3genE2ELNS1_11target_archE906ELNS1_3gpuE6ELNS1_3repE0EEENS1_30default_config_static_selectorELNS0_4arch9wavefront6targetE1EEEvT1_.uses_vcc, 0
	.set _ZN7rocprim17ROCPRIM_400000_NS6detail17trampoline_kernelINS0_14default_configENS1_20scan_config_selectorIN3c107complexIfEEEEZZNS1_9scan_implILNS1_25lookback_scan_determinismE0ELb0ELb0ES3_PKS7_PS7_S7_ZZZN2at6native31launch_logcumsumexp_cuda_kernelERKNSE_10TensorBaseESI_lENKUlvE_clEvENKUlvE2_clEvEUlS7_S7_E_S7_EEDaPvRmT3_T4_T5_mT6_P12ihipStream_tbENKUlT_T0_E_clISt17integral_constantIbLb1EESZ_EEDaSU_SV_EUlSU_E_NS1_11comp_targetILNS1_3genE2ELNS1_11target_archE906ELNS1_3gpuE6ELNS1_3repE0EEENS1_30default_config_static_selectorELNS0_4arch9wavefront6targetE1EEEvT1_.uses_flat_scratch, 0
	.set _ZN7rocprim17ROCPRIM_400000_NS6detail17trampoline_kernelINS0_14default_configENS1_20scan_config_selectorIN3c107complexIfEEEEZZNS1_9scan_implILNS1_25lookback_scan_determinismE0ELb0ELb0ES3_PKS7_PS7_S7_ZZZN2at6native31launch_logcumsumexp_cuda_kernelERKNSE_10TensorBaseESI_lENKUlvE_clEvENKUlvE2_clEvEUlS7_S7_E_S7_EEDaPvRmT3_T4_T5_mT6_P12ihipStream_tbENKUlT_T0_E_clISt17integral_constantIbLb1EESZ_EEDaSU_SV_EUlSU_E_NS1_11comp_targetILNS1_3genE2ELNS1_11target_archE906ELNS1_3gpuE6ELNS1_3repE0EEENS1_30default_config_static_selectorELNS0_4arch9wavefront6targetE1EEEvT1_.has_dyn_sized_stack, 0
	.set _ZN7rocprim17ROCPRIM_400000_NS6detail17trampoline_kernelINS0_14default_configENS1_20scan_config_selectorIN3c107complexIfEEEEZZNS1_9scan_implILNS1_25lookback_scan_determinismE0ELb0ELb0ES3_PKS7_PS7_S7_ZZZN2at6native31launch_logcumsumexp_cuda_kernelERKNSE_10TensorBaseESI_lENKUlvE_clEvENKUlvE2_clEvEUlS7_S7_E_S7_EEDaPvRmT3_T4_T5_mT6_P12ihipStream_tbENKUlT_T0_E_clISt17integral_constantIbLb1EESZ_EEDaSU_SV_EUlSU_E_NS1_11comp_targetILNS1_3genE2ELNS1_11target_archE906ELNS1_3gpuE6ELNS1_3repE0EEENS1_30default_config_static_selectorELNS0_4arch9wavefront6targetE1EEEvT1_.has_recursion, 0
	.set _ZN7rocprim17ROCPRIM_400000_NS6detail17trampoline_kernelINS0_14default_configENS1_20scan_config_selectorIN3c107complexIfEEEEZZNS1_9scan_implILNS1_25lookback_scan_determinismE0ELb0ELb0ES3_PKS7_PS7_S7_ZZZN2at6native31launch_logcumsumexp_cuda_kernelERKNSE_10TensorBaseESI_lENKUlvE_clEvENKUlvE2_clEvEUlS7_S7_E_S7_EEDaPvRmT3_T4_T5_mT6_P12ihipStream_tbENKUlT_T0_E_clISt17integral_constantIbLb1EESZ_EEDaSU_SV_EUlSU_E_NS1_11comp_targetILNS1_3genE2ELNS1_11target_archE906ELNS1_3gpuE6ELNS1_3repE0EEENS1_30default_config_static_selectorELNS0_4arch9wavefront6targetE1EEEvT1_.has_indirect_call, 0
	.section	.AMDGPU.csdata,"",@progbits
; Kernel info:
; codeLenInByte = 4
; TotalNumSgprs: 4
; NumVgprs: 0
; ScratchSize: 0
; MemoryBound: 0
; FloatMode: 240
; IeeeMode: 1
; LDSByteSize: 0 bytes/workgroup (compile time only)
; SGPRBlocks: 0
; VGPRBlocks: 0
; NumSGPRsForWavesPerEU: 4
; NumVGPRsForWavesPerEU: 1
; Occupancy: 10
; WaveLimiterHint : 0
; COMPUTE_PGM_RSRC2:SCRATCH_EN: 0
; COMPUTE_PGM_RSRC2:USER_SGPR: 6
; COMPUTE_PGM_RSRC2:TRAP_HANDLER: 0
; COMPUTE_PGM_RSRC2:TGID_X_EN: 1
; COMPUTE_PGM_RSRC2:TGID_Y_EN: 0
; COMPUTE_PGM_RSRC2:TGID_Z_EN: 0
; COMPUTE_PGM_RSRC2:TIDIG_COMP_CNT: 0
	.section	.text._ZN7rocprim17ROCPRIM_400000_NS6detail17trampoline_kernelINS0_14default_configENS1_20scan_config_selectorIN3c107complexIfEEEEZZNS1_9scan_implILNS1_25lookback_scan_determinismE0ELb0ELb0ES3_PKS7_PS7_S7_ZZZN2at6native31launch_logcumsumexp_cuda_kernelERKNSE_10TensorBaseESI_lENKUlvE_clEvENKUlvE2_clEvEUlS7_S7_E_S7_EEDaPvRmT3_T4_T5_mT6_P12ihipStream_tbENKUlT_T0_E_clISt17integral_constantIbLb1EESZ_EEDaSU_SV_EUlSU_E_NS1_11comp_targetILNS1_3genE10ELNS1_11target_archE1201ELNS1_3gpuE5ELNS1_3repE0EEENS1_30default_config_static_selectorELNS0_4arch9wavefront6targetE1EEEvT1_,"axG",@progbits,_ZN7rocprim17ROCPRIM_400000_NS6detail17trampoline_kernelINS0_14default_configENS1_20scan_config_selectorIN3c107complexIfEEEEZZNS1_9scan_implILNS1_25lookback_scan_determinismE0ELb0ELb0ES3_PKS7_PS7_S7_ZZZN2at6native31launch_logcumsumexp_cuda_kernelERKNSE_10TensorBaseESI_lENKUlvE_clEvENKUlvE2_clEvEUlS7_S7_E_S7_EEDaPvRmT3_T4_T5_mT6_P12ihipStream_tbENKUlT_T0_E_clISt17integral_constantIbLb1EESZ_EEDaSU_SV_EUlSU_E_NS1_11comp_targetILNS1_3genE10ELNS1_11target_archE1201ELNS1_3gpuE5ELNS1_3repE0EEENS1_30default_config_static_selectorELNS0_4arch9wavefront6targetE1EEEvT1_,comdat
	.globl	_ZN7rocprim17ROCPRIM_400000_NS6detail17trampoline_kernelINS0_14default_configENS1_20scan_config_selectorIN3c107complexIfEEEEZZNS1_9scan_implILNS1_25lookback_scan_determinismE0ELb0ELb0ES3_PKS7_PS7_S7_ZZZN2at6native31launch_logcumsumexp_cuda_kernelERKNSE_10TensorBaseESI_lENKUlvE_clEvENKUlvE2_clEvEUlS7_S7_E_S7_EEDaPvRmT3_T4_T5_mT6_P12ihipStream_tbENKUlT_T0_E_clISt17integral_constantIbLb1EESZ_EEDaSU_SV_EUlSU_E_NS1_11comp_targetILNS1_3genE10ELNS1_11target_archE1201ELNS1_3gpuE5ELNS1_3repE0EEENS1_30default_config_static_selectorELNS0_4arch9wavefront6targetE1EEEvT1_ ; -- Begin function _ZN7rocprim17ROCPRIM_400000_NS6detail17trampoline_kernelINS0_14default_configENS1_20scan_config_selectorIN3c107complexIfEEEEZZNS1_9scan_implILNS1_25lookback_scan_determinismE0ELb0ELb0ES3_PKS7_PS7_S7_ZZZN2at6native31launch_logcumsumexp_cuda_kernelERKNSE_10TensorBaseESI_lENKUlvE_clEvENKUlvE2_clEvEUlS7_S7_E_S7_EEDaPvRmT3_T4_T5_mT6_P12ihipStream_tbENKUlT_T0_E_clISt17integral_constantIbLb1EESZ_EEDaSU_SV_EUlSU_E_NS1_11comp_targetILNS1_3genE10ELNS1_11target_archE1201ELNS1_3gpuE5ELNS1_3repE0EEENS1_30default_config_static_selectorELNS0_4arch9wavefront6targetE1EEEvT1_
	.p2align	8
	.type	_ZN7rocprim17ROCPRIM_400000_NS6detail17trampoline_kernelINS0_14default_configENS1_20scan_config_selectorIN3c107complexIfEEEEZZNS1_9scan_implILNS1_25lookback_scan_determinismE0ELb0ELb0ES3_PKS7_PS7_S7_ZZZN2at6native31launch_logcumsumexp_cuda_kernelERKNSE_10TensorBaseESI_lENKUlvE_clEvENKUlvE2_clEvEUlS7_S7_E_S7_EEDaPvRmT3_T4_T5_mT6_P12ihipStream_tbENKUlT_T0_E_clISt17integral_constantIbLb1EESZ_EEDaSU_SV_EUlSU_E_NS1_11comp_targetILNS1_3genE10ELNS1_11target_archE1201ELNS1_3gpuE5ELNS1_3repE0EEENS1_30default_config_static_selectorELNS0_4arch9wavefront6targetE1EEEvT1_,@function
_ZN7rocprim17ROCPRIM_400000_NS6detail17trampoline_kernelINS0_14default_configENS1_20scan_config_selectorIN3c107complexIfEEEEZZNS1_9scan_implILNS1_25lookback_scan_determinismE0ELb0ELb0ES3_PKS7_PS7_S7_ZZZN2at6native31launch_logcumsumexp_cuda_kernelERKNSE_10TensorBaseESI_lENKUlvE_clEvENKUlvE2_clEvEUlS7_S7_E_S7_EEDaPvRmT3_T4_T5_mT6_P12ihipStream_tbENKUlT_T0_E_clISt17integral_constantIbLb1EESZ_EEDaSU_SV_EUlSU_E_NS1_11comp_targetILNS1_3genE10ELNS1_11target_archE1201ELNS1_3gpuE5ELNS1_3repE0EEENS1_30default_config_static_selectorELNS0_4arch9wavefront6targetE1EEEvT1_: ; @_ZN7rocprim17ROCPRIM_400000_NS6detail17trampoline_kernelINS0_14default_configENS1_20scan_config_selectorIN3c107complexIfEEEEZZNS1_9scan_implILNS1_25lookback_scan_determinismE0ELb0ELb0ES3_PKS7_PS7_S7_ZZZN2at6native31launch_logcumsumexp_cuda_kernelERKNSE_10TensorBaseESI_lENKUlvE_clEvENKUlvE2_clEvEUlS7_S7_E_S7_EEDaPvRmT3_T4_T5_mT6_P12ihipStream_tbENKUlT_T0_E_clISt17integral_constantIbLb1EESZ_EEDaSU_SV_EUlSU_E_NS1_11comp_targetILNS1_3genE10ELNS1_11target_archE1201ELNS1_3gpuE5ELNS1_3repE0EEENS1_30default_config_static_selectorELNS0_4arch9wavefront6targetE1EEEvT1_
; %bb.0:
	.section	.rodata,"a",@progbits
	.p2align	6, 0x0
	.amdhsa_kernel _ZN7rocprim17ROCPRIM_400000_NS6detail17trampoline_kernelINS0_14default_configENS1_20scan_config_selectorIN3c107complexIfEEEEZZNS1_9scan_implILNS1_25lookback_scan_determinismE0ELb0ELb0ES3_PKS7_PS7_S7_ZZZN2at6native31launch_logcumsumexp_cuda_kernelERKNSE_10TensorBaseESI_lENKUlvE_clEvENKUlvE2_clEvEUlS7_S7_E_S7_EEDaPvRmT3_T4_T5_mT6_P12ihipStream_tbENKUlT_T0_E_clISt17integral_constantIbLb1EESZ_EEDaSU_SV_EUlSU_E_NS1_11comp_targetILNS1_3genE10ELNS1_11target_archE1201ELNS1_3gpuE5ELNS1_3repE0EEENS1_30default_config_static_selectorELNS0_4arch9wavefront6targetE1EEEvT1_
		.amdhsa_group_segment_fixed_size 0
		.amdhsa_private_segment_fixed_size 0
		.amdhsa_kernarg_size 104
		.amdhsa_user_sgpr_count 6
		.amdhsa_user_sgpr_private_segment_buffer 1
		.amdhsa_user_sgpr_dispatch_ptr 0
		.amdhsa_user_sgpr_queue_ptr 0
		.amdhsa_user_sgpr_kernarg_segment_ptr 1
		.amdhsa_user_sgpr_dispatch_id 0
		.amdhsa_user_sgpr_flat_scratch_init 0
		.amdhsa_user_sgpr_private_segment_size 0
		.amdhsa_uses_dynamic_stack 0
		.amdhsa_system_sgpr_private_segment_wavefront_offset 0
		.amdhsa_system_sgpr_workgroup_id_x 1
		.amdhsa_system_sgpr_workgroup_id_y 0
		.amdhsa_system_sgpr_workgroup_id_z 0
		.amdhsa_system_sgpr_workgroup_info 0
		.amdhsa_system_vgpr_workitem_id 0
		.amdhsa_next_free_vgpr 1
		.amdhsa_next_free_sgpr 0
		.amdhsa_reserve_vcc 0
		.amdhsa_reserve_flat_scratch 0
		.amdhsa_float_round_mode_32 0
		.amdhsa_float_round_mode_16_64 0
		.amdhsa_float_denorm_mode_32 3
		.amdhsa_float_denorm_mode_16_64 3
		.amdhsa_dx10_clamp 1
		.amdhsa_ieee_mode 1
		.amdhsa_fp16_overflow 0
		.amdhsa_exception_fp_ieee_invalid_op 0
		.amdhsa_exception_fp_denorm_src 0
		.amdhsa_exception_fp_ieee_div_zero 0
		.amdhsa_exception_fp_ieee_overflow 0
		.amdhsa_exception_fp_ieee_underflow 0
		.amdhsa_exception_fp_ieee_inexact 0
		.amdhsa_exception_int_div_zero 0
	.end_amdhsa_kernel
	.section	.text._ZN7rocprim17ROCPRIM_400000_NS6detail17trampoline_kernelINS0_14default_configENS1_20scan_config_selectorIN3c107complexIfEEEEZZNS1_9scan_implILNS1_25lookback_scan_determinismE0ELb0ELb0ES3_PKS7_PS7_S7_ZZZN2at6native31launch_logcumsumexp_cuda_kernelERKNSE_10TensorBaseESI_lENKUlvE_clEvENKUlvE2_clEvEUlS7_S7_E_S7_EEDaPvRmT3_T4_T5_mT6_P12ihipStream_tbENKUlT_T0_E_clISt17integral_constantIbLb1EESZ_EEDaSU_SV_EUlSU_E_NS1_11comp_targetILNS1_3genE10ELNS1_11target_archE1201ELNS1_3gpuE5ELNS1_3repE0EEENS1_30default_config_static_selectorELNS0_4arch9wavefront6targetE1EEEvT1_,"axG",@progbits,_ZN7rocprim17ROCPRIM_400000_NS6detail17trampoline_kernelINS0_14default_configENS1_20scan_config_selectorIN3c107complexIfEEEEZZNS1_9scan_implILNS1_25lookback_scan_determinismE0ELb0ELb0ES3_PKS7_PS7_S7_ZZZN2at6native31launch_logcumsumexp_cuda_kernelERKNSE_10TensorBaseESI_lENKUlvE_clEvENKUlvE2_clEvEUlS7_S7_E_S7_EEDaPvRmT3_T4_T5_mT6_P12ihipStream_tbENKUlT_T0_E_clISt17integral_constantIbLb1EESZ_EEDaSU_SV_EUlSU_E_NS1_11comp_targetILNS1_3genE10ELNS1_11target_archE1201ELNS1_3gpuE5ELNS1_3repE0EEENS1_30default_config_static_selectorELNS0_4arch9wavefront6targetE1EEEvT1_,comdat
.Lfunc_end296:
	.size	_ZN7rocprim17ROCPRIM_400000_NS6detail17trampoline_kernelINS0_14default_configENS1_20scan_config_selectorIN3c107complexIfEEEEZZNS1_9scan_implILNS1_25lookback_scan_determinismE0ELb0ELb0ES3_PKS7_PS7_S7_ZZZN2at6native31launch_logcumsumexp_cuda_kernelERKNSE_10TensorBaseESI_lENKUlvE_clEvENKUlvE2_clEvEUlS7_S7_E_S7_EEDaPvRmT3_T4_T5_mT6_P12ihipStream_tbENKUlT_T0_E_clISt17integral_constantIbLb1EESZ_EEDaSU_SV_EUlSU_E_NS1_11comp_targetILNS1_3genE10ELNS1_11target_archE1201ELNS1_3gpuE5ELNS1_3repE0EEENS1_30default_config_static_selectorELNS0_4arch9wavefront6targetE1EEEvT1_, .Lfunc_end296-_ZN7rocprim17ROCPRIM_400000_NS6detail17trampoline_kernelINS0_14default_configENS1_20scan_config_selectorIN3c107complexIfEEEEZZNS1_9scan_implILNS1_25lookback_scan_determinismE0ELb0ELb0ES3_PKS7_PS7_S7_ZZZN2at6native31launch_logcumsumexp_cuda_kernelERKNSE_10TensorBaseESI_lENKUlvE_clEvENKUlvE2_clEvEUlS7_S7_E_S7_EEDaPvRmT3_T4_T5_mT6_P12ihipStream_tbENKUlT_T0_E_clISt17integral_constantIbLb1EESZ_EEDaSU_SV_EUlSU_E_NS1_11comp_targetILNS1_3genE10ELNS1_11target_archE1201ELNS1_3gpuE5ELNS1_3repE0EEENS1_30default_config_static_selectorELNS0_4arch9wavefront6targetE1EEEvT1_
                                        ; -- End function
	.set _ZN7rocprim17ROCPRIM_400000_NS6detail17trampoline_kernelINS0_14default_configENS1_20scan_config_selectorIN3c107complexIfEEEEZZNS1_9scan_implILNS1_25lookback_scan_determinismE0ELb0ELb0ES3_PKS7_PS7_S7_ZZZN2at6native31launch_logcumsumexp_cuda_kernelERKNSE_10TensorBaseESI_lENKUlvE_clEvENKUlvE2_clEvEUlS7_S7_E_S7_EEDaPvRmT3_T4_T5_mT6_P12ihipStream_tbENKUlT_T0_E_clISt17integral_constantIbLb1EESZ_EEDaSU_SV_EUlSU_E_NS1_11comp_targetILNS1_3genE10ELNS1_11target_archE1201ELNS1_3gpuE5ELNS1_3repE0EEENS1_30default_config_static_selectorELNS0_4arch9wavefront6targetE1EEEvT1_.num_vgpr, 0
	.set _ZN7rocprim17ROCPRIM_400000_NS6detail17trampoline_kernelINS0_14default_configENS1_20scan_config_selectorIN3c107complexIfEEEEZZNS1_9scan_implILNS1_25lookback_scan_determinismE0ELb0ELb0ES3_PKS7_PS7_S7_ZZZN2at6native31launch_logcumsumexp_cuda_kernelERKNSE_10TensorBaseESI_lENKUlvE_clEvENKUlvE2_clEvEUlS7_S7_E_S7_EEDaPvRmT3_T4_T5_mT6_P12ihipStream_tbENKUlT_T0_E_clISt17integral_constantIbLb1EESZ_EEDaSU_SV_EUlSU_E_NS1_11comp_targetILNS1_3genE10ELNS1_11target_archE1201ELNS1_3gpuE5ELNS1_3repE0EEENS1_30default_config_static_selectorELNS0_4arch9wavefront6targetE1EEEvT1_.num_agpr, 0
	.set _ZN7rocprim17ROCPRIM_400000_NS6detail17trampoline_kernelINS0_14default_configENS1_20scan_config_selectorIN3c107complexIfEEEEZZNS1_9scan_implILNS1_25lookback_scan_determinismE0ELb0ELb0ES3_PKS7_PS7_S7_ZZZN2at6native31launch_logcumsumexp_cuda_kernelERKNSE_10TensorBaseESI_lENKUlvE_clEvENKUlvE2_clEvEUlS7_S7_E_S7_EEDaPvRmT3_T4_T5_mT6_P12ihipStream_tbENKUlT_T0_E_clISt17integral_constantIbLb1EESZ_EEDaSU_SV_EUlSU_E_NS1_11comp_targetILNS1_3genE10ELNS1_11target_archE1201ELNS1_3gpuE5ELNS1_3repE0EEENS1_30default_config_static_selectorELNS0_4arch9wavefront6targetE1EEEvT1_.numbered_sgpr, 0
	.set _ZN7rocprim17ROCPRIM_400000_NS6detail17trampoline_kernelINS0_14default_configENS1_20scan_config_selectorIN3c107complexIfEEEEZZNS1_9scan_implILNS1_25lookback_scan_determinismE0ELb0ELb0ES3_PKS7_PS7_S7_ZZZN2at6native31launch_logcumsumexp_cuda_kernelERKNSE_10TensorBaseESI_lENKUlvE_clEvENKUlvE2_clEvEUlS7_S7_E_S7_EEDaPvRmT3_T4_T5_mT6_P12ihipStream_tbENKUlT_T0_E_clISt17integral_constantIbLb1EESZ_EEDaSU_SV_EUlSU_E_NS1_11comp_targetILNS1_3genE10ELNS1_11target_archE1201ELNS1_3gpuE5ELNS1_3repE0EEENS1_30default_config_static_selectorELNS0_4arch9wavefront6targetE1EEEvT1_.num_named_barrier, 0
	.set _ZN7rocprim17ROCPRIM_400000_NS6detail17trampoline_kernelINS0_14default_configENS1_20scan_config_selectorIN3c107complexIfEEEEZZNS1_9scan_implILNS1_25lookback_scan_determinismE0ELb0ELb0ES3_PKS7_PS7_S7_ZZZN2at6native31launch_logcumsumexp_cuda_kernelERKNSE_10TensorBaseESI_lENKUlvE_clEvENKUlvE2_clEvEUlS7_S7_E_S7_EEDaPvRmT3_T4_T5_mT6_P12ihipStream_tbENKUlT_T0_E_clISt17integral_constantIbLb1EESZ_EEDaSU_SV_EUlSU_E_NS1_11comp_targetILNS1_3genE10ELNS1_11target_archE1201ELNS1_3gpuE5ELNS1_3repE0EEENS1_30default_config_static_selectorELNS0_4arch9wavefront6targetE1EEEvT1_.private_seg_size, 0
	.set _ZN7rocprim17ROCPRIM_400000_NS6detail17trampoline_kernelINS0_14default_configENS1_20scan_config_selectorIN3c107complexIfEEEEZZNS1_9scan_implILNS1_25lookback_scan_determinismE0ELb0ELb0ES3_PKS7_PS7_S7_ZZZN2at6native31launch_logcumsumexp_cuda_kernelERKNSE_10TensorBaseESI_lENKUlvE_clEvENKUlvE2_clEvEUlS7_S7_E_S7_EEDaPvRmT3_T4_T5_mT6_P12ihipStream_tbENKUlT_T0_E_clISt17integral_constantIbLb1EESZ_EEDaSU_SV_EUlSU_E_NS1_11comp_targetILNS1_3genE10ELNS1_11target_archE1201ELNS1_3gpuE5ELNS1_3repE0EEENS1_30default_config_static_selectorELNS0_4arch9wavefront6targetE1EEEvT1_.uses_vcc, 0
	.set _ZN7rocprim17ROCPRIM_400000_NS6detail17trampoline_kernelINS0_14default_configENS1_20scan_config_selectorIN3c107complexIfEEEEZZNS1_9scan_implILNS1_25lookback_scan_determinismE0ELb0ELb0ES3_PKS7_PS7_S7_ZZZN2at6native31launch_logcumsumexp_cuda_kernelERKNSE_10TensorBaseESI_lENKUlvE_clEvENKUlvE2_clEvEUlS7_S7_E_S7_EEDaPvRmT3_T4_T5_mT6_P12ihipStream_tbENKUlT_T0_E_clISt17integral_constantIbLb1EESZ_EEDaSU_SV_EUlSU_E_NS1_11comp_targetILNS1_3genE10ELNS1_11target_archE1201ELNS1_3gpuE5ELNS1_3repE0EEENS1_30default_config_static_selectorELNS0_4arch9wavefront6targetE1EEEvT1_.uses_flat_scratch, 0
	.set _ZN7rocprim17ROCPRIM_400000_NS6detail17trampoline_kernelINS0_14default_configENS1_20scan_config_selectorIN3c107complexIfEEEEZZNS1_9scan_implILNS1_25lookback_scan_determinismE0ELb0ELb0ES3_PKS7_PS7_S7_ZZZN2at6native31launch_logcumsumexp_cuda_kernelERKNSE_10TensorBaseESI_lENKUlvE_clEvENKUlvE2_clEvEUlS7_S7_E_S7_EEDaPvRmT3_T4_T5_mT6_P12ihipStream_tbENKUlT_T0_E_clISt17integral_constantIbLb1EESZ_EEDaSU_SV_EUlSU_E_NS1_11comp_targetILNS1_3genE10ELNS1_11target_archE1201ELNS1_3gpuE5ELNS1_3repE0EEENS1_30default_config_static_selectorELNS0_4arch9wavefront6targetE1EEEvT1_.has_dyn_sized_stack, 0
	.set _ZN7rocprim17ROCPRIM_400000_NS6detail17trampoline_kernelINS0_14default_configENS1_20scan_config_selectorIN3c107complexIfEEEEZZNS1_9scan_implILNS1_25lookback_scan_determinismE0ELb0ELb0ES3_PKS7_PS7_S7_ZZZN2at6native31launch_logcumsumexp_cuda_kernelERKNSE_10TensorBaseESI_lENKUlvE_clEvENKUlvE2_clEvEUlS7_S7_E_S7_EEDaPvRmT3_T4_T5_mT6_P12ihipStream_tbENKUlT_T0_E_clISt17integral_constantIbLb1EESZ_EEDaSU_SV_EUlSU_E_NS1_11comp_targetILNS1_3genE10ELNS1_11target_archE1201ELNS1_3gpuE5ELNS1_3repE0EEENS1_30default_config_static_selectorELNS0_4arch9wavefront6targetE1EEEvT1_.has_recursion, 0
	.set _ZN7rocprim17ROCPRIM_400000_NS6detail17trampoline_kernelINS0_14default_configENS1_20scan_config_selectorIN3c107complexIfEEEEZZNS1_9scan_implILNS1_25lookback_scan_determinismE0ELb0ELb0ES3_PKS7_PS7_S7_ZZZN2at6native31launch_logcumsumexp_cuda_kernelERKNSE_10TensorBaseESI_lENKUlvE_clEvENKUlvE2_clEvEUlS7_S7_E_S7_EEDaPvRmT3_T4_T5_mT6_P12ihipStream_tbENKUlT_T0_E_clISt17integral_constantIbLb1EESZ_EEDaSU_SV_EUlSU_E_NS1_11comp_targetILNS1_3genE10ELNS1_11target_archE1201ELNS1_3gpuE5ELNS1_3repE0EEENS1_30default_config_static_selectorELNS0_4arch9wavefront6targetE1EEEvT1_.has_indirect_call, 0
	.section	.AMDGPU.csdata,"",@progbits
; Kernel info:
; codeLenInByte = 0
; TotalNumSgprs: 4
; NumVgprs: 0
; ScratchSize: 0
; MemoryBound: 0
; FloatMode: 240
; IeeeMode: 1
; LDSByteSize: 0 bytes/workgroup (compile time only)
; SGPRBlocks: 0
; VGPRBlocks: 0
; NumSGPRsForWavesPerEU: 4
; NumVGPRsForWavesPerEU: 1
; Occupancy: 10
; WaveLimiterHint : 0
; COMPUTE_PGM_RSRC2:SCRATCH_EN: 0
; COMPUTE_PGM_RSRC2:USER_SGPR: 6
; COMPUTE_PGM_RSRC2:TRAP_HANDLER: 0
; COMPUTE_PGM_RSRC2:TGID_X_EN: 1
; COMPUTE_PGM_RSRC2:TGID_Y_EN: 0
; COMPUTE_PGM_RSRC2:TGID_Z_EN: 0
; COMPUTE_PGM_RSRC2:TIDIG_COMP_CNT: 0
	.section	.text._ZN7rocprim17ROCPRIM_400000_NS6detail17trampoline_kernelINS0_14default_configENS1_20scan_config_selectorIN3c107complexIfEEEEZZNS1_9scan_implILNS1_25lookback_scan_determinismE0ELb0ELb0ES3_PKS7_PS7_S7_ZZZN2at6native31launch_logcumsumexp_cuda_kernelERKNSE_10TensorBaseESI_lENKUlvE_clEvENKUlvE2_clEvEUlS7_S7_E_S7_EEDaPvRmT3_T4_T5_mT6_P12ihipStream_tbENKUlT_T0_E_clISt17integral_constantIbLb1EESZ_EEDaSU_SV_EUlSU_E_NS1_11comp_targetILNS1_3genE10ELNS1_11target_archE1200ELNS1_3gpuE4ELNS1_3repE0EEENS1_30default_config_static_selectorELNS0_4arch9wavefront6targetE1EEEvT1_,"axG",@progbits,_ZN7rocprim17ROCPRIM_400000_NS6detail17trampoline_kernelINS0_14default_configENS1_20scan_config_selectorIN3c107complexIfEEEEZZNS1_9scan_implILNS1_25lookback_scan_determinismE0ELb0ELb0ES3_PKS7_PS7_S7_ZZZN2at6native31launch_logcumsumexp_cuda_kernelERKNSE_10TensorBaseESI_lENKUlvE_clEvENKUlvE2_clEvEUlS7_S7_E_S7_EEDaPvRmT3_T4_T5_mT6_P12ihipStream_tbENKUlT_T0_E_clISt17integral_constantIbLb1EESZ_EEDaSU_SV_EUlSU_E_NS1_11comp_targetILNS1_3genE10ELNS1_11target_archE1200ELNS1_3gpuE4ELNS1_3repE0EEENS1_30default_config_static_selectorELNS0_4arch9wavefront6targetE1EEEvT1_,comdat
	.globl	_ZN7rocprim17ROCPRIM_400000_NS6detail17trampoline_kernelINS0_14default_configENS1_20scan_config_selectorIN3c107complexIfEEEEZZNS1_9scan_implILNS1_25lookback_scan_determinismE0ELb0ELb0ES3_PKS7_PS7_S7_ZZZN2at6native31launch_logcumsumexp_cuda_kernelERKNSE_10TensorBaseESI_lENKUlvE_clEvENKUlvE2_clEvEUlS7_S7_E_S7_EEDaPvRmT3_T4_T5_mT6_P12ihipStream_tbENKUlT_T0_E_clISt17integral_constantIbLb1EESZ_EEDaSU_SV_EUlSU_E_NS1_11comp_targetILNS1_3genE10ELNS1_11target_archE1200ELNS1_3gpuE4ELNS1_3repE0EEENS1_30default_config_static_selectorELNS0_4arch9wavefront6targetE1EEEvT1_ ; -- Begin function _ZN7rocprim17ROCPRIM_400000_NS6detail17trampoline_kernelINS0_14default_configENS1_20scan_config_selectorIN3c107complexIfEEEEZZNS1_9scan_implILNS1_25lookback_scan_determinismE0ELb0ELb0ES3_PKS7_PS7_S7_ZZZN2at6native31launch_logcumsumexp_cuda_kernelERKNSE_10TensorBaseESI_lENKUlvE_clEvENKUlvE2_clEvEUlS7_S7_E_S7_EEDaPvRmT3_T4_T5_mT6_P12ihipStream_tbENKUlT_T0_E_clISt17integral_constantIbLb1EESZ_EEDaSU_SV_EUlSU_E_NS1_11comp_targetILNS1_3genE10ELNS1_11target_archE1200ELNS1_3gpuE4ELNS1_3repE0EEENS1_30default_config_static_selectorELNS0_4arch9wavefront6targetE1EEEvT1_
	.p2align	8
	.type	_ZN7rocprim17ROCPRIM_400000_NS6detail17trampoline_kernelINS0_14default_configENS1_20scan_config_selectorIN3c107complexIfEEEEZZNS1_9scan_implILNS1_25lookback_scan_determinismE0ELb0ELb0ES3_PKS7_PS7_S7_ZZZN2at6native31launch_logcumsumexp_cuda_kernelERKNSE_10TensorBaseESI_lENKUlvE_clEvENKUlvE2_clEvEUlS7_S7_E_S7_EEDaPvRmT3_T4_T5_mT6_P12ihipStream_tbENKUlT_T0_E_clISt17integral_constantIbLb1EESZ_EEDaSU_SV_EUlSU_E_NS1_11comp_targetILNS1_3genE10ELNS1_11target_archE1200ELNS1_3gpuE4ELNS1_3repE0EEENS1_30default_config_static_selectorELNS0_4arch9wavefront6targetE1EEEvT1_,@function
_ZN7rocprim17ROCPRIM_400000_NS6detail17trampoline_kernelINS0_14default_configENS1_20scan_config_selectorIN3c107complexIfEEEEZZNS1_9scan_implILNS1_25lookback_scan_determinismE0ELb0ELb0ES3_PKS7_PS7_S7_ZZZN2at6native31launch_logcumsumexp_cuda_kernelERKNSE_10TensorBaseESI_lENKUlvE_clEvENKUlvE2_clEvEUlS7_S7_E_S7_EEDaPvRmT3_T4_T5_mT6_P12ihipStream_tbENKUlT_T0_E_clISt17integral_constantIbLb1EESZ_EEDaSU_SV_EUlSU_E_NS1_11comp_targetILNS1_3genE10ELNS1_11target_archE1200ELNS1_3gpuE4ELNS1_3repE0EEENS1_30default_config_static_selectorELNS0_4arch9wavefront6targetE1EEEvT1_: ; @_ZN7rocprim17ROCPRIM_400000_NS6detail17trampoline_kernelINS0_14default_configENS1_20scan_config_selectorIN3c107complexIfEEEEZZNS1_9scan_implILNS1_25lookback_scan_determinismE0ELb0ELb0ES3_PKS7_PS7_S7_ZZZN2at6native31launch_logcumsumexp_cuda_kernelERKNSE_10TensorBaseESI_lENKUlvE_clEvENKUlvE2_clEvEUlS7_S7_E_S7_EEDaPvRmT3_T4_T5_mT6_P12ihipStream_tbENKUlT_T0_E_clISt17integral_constantIbLb1EESZ_EEDaSU_SV_EUlSU_E_NS1_11comp_targetILNS1_3genE10ELNS1_11target_archE1200ELNS1_3gpuE4ELNS1_3repE0EEENS1_30default_config_static_selectorELNS0_4arch9wavefront6targetE1EEEvT1_
; %bb.0:
	.section	.rodata,"a",@progbits
	.p2align	6, 0x0
	.amdhsa_kernel _ZN7rocprim17ROCPRIM_400000_NS6detail17trampoline_kernelINS0_14default_configENS1_20scan_config_selectorIN3c107complexIfEEEEZZNS1_9scan_implILNS1_25lookback_scan_determinismE0ELb0ELb0ES3_PKS7_PS7_S7_ZZZN2at6native31launch_logcumsumexp_cuda_kernelERKNSE_10TensorBaseESI_lENKUlvE_clEvENKUlvE2_clEvEUlS7_S7_E_S7_EEDaPvRmT3_T4_T5_mT6_P12ihipStream_tbENKUlT_T0_E_clISt17integral_constantIbLb1EESZ_EEDaSU_SV_EUlSU_E_NS1_11comp_targetILNS1_3genE10ELNS1_11target_archE1200ELNS1_3gpuE4ELNS1_3repE0EEENS1_30default_config_static_selectorELNS0_4arch9wavefront6targetE1EEEvT1_
		.amdhsa_group_segment_fixed_size 0
		.amdhsa_private_segment_fixed_size 0
		.amdhsa_kernarg_size 104
		.amdhsa_user_sgpr_count 6
		.amdhsa_user_sgpr_private_segment_buffer 1
		.amdhsa_user_sgpr_dispatch_ptr 0
		.amdhsa_user_sgpr_queue_ptr 0
		.amdhsa_user_sgpr_kernarg_segment_ptr 1
		.amdhsa_user_sgpr_dispatch_id 0
		.amdhsa_user_sgpr_flat_scratch_init 0
		.amdhsa_user_sgpr_private_segment_size 0
		.amdhsa_uses_dynamic_stack 0
		.amdhsa_system_sgpr_private_segment_wavefront_offset 0
		.amdhsa_system_sgpr_workgroup_id_x 1
		.amdhsa_system_sgpr_workgroup_id_y 0
		.amdhsa_system_sgpr_workgroup_id_z 0
		.amdhsa_system_sgpr_workgroup_info 0
		.amdhsa_system_vgpr_workitem_id 0
		.amdhsa_next_free_vgpr 1
		.amdhsa_next_free_sgpr 0
		.amdhsa_reserve_vcc 0
		.amdhsa_reserve_flat_scratch 0
		.amdhsa_float_round_mode_32 0
		.amdhsa_float_round_mode_16_64 0
		.amdhsa_float_denorm_mode_32 3
		.amdhsa_float_denorm_mode_16_64 3
		.amdhsa_dx10_clamp 1
		.amdhsa_ieee_mode 1
		.amdhsa_fp16_overflow 0
		.amdhsa_exception_fp_ieee_invalid_op 0
		.amdhsa_exception_fp_denorm_src 0
		.amdhsa_exception_fp_ieee_div_zero 0
		.amdhsa_exception_fp_ieee_overflow 0
		.amdhsa_exception_fp_ieee_underflow 0
		.amdhsa_exception_fp_ieee_inexact 0
		.amdhsa_exception_int_div_zero 0
	.end_amdhsa_kernel
	.section	.text._ZN7rocprim17ROCPRIM_400000_NS6detail17trampoline_kernelINS0_14default_configENS1_20scan_config_selectorIN3c107complexIfEEEEZZNS1_9scan_implILNS1_25lookback_scan_determinismE0ELb0ELb0ES3_PKS7_PS7_S7_ZZZN2at6native31launch_logcumsumexp_cuda_kernelERKNSE_10TensorBaseESI_lENKUlvE_clEvENKUlvE2_clEvEUlS7_S7_E_S7_EEDaPvRmT3_T4_T5_mT6_P12ihipStream_tbENKUlT_T0_E_clISt17integral_constantIbLb1EESZ_EEDaSU_SV_EUlSU_E_NS1_11comp_targetILNS1_3genE10ELNS1_11target_archE1200ELNS1_3gpuE4ELNS1_3repE0EEENS1_30default_config_static_selectorELNS0_4arch9wavefront6targetE1EEEvT1_,"axG",@progbits,_ZN7rocprim17ROCPRIM_400000_NS6detail17trampoline_kernelINS0_14default_configENS1_20scan_config_selectorIN3c107complexIfEEEEZZNS1_9scan_implILNS1_25lookback_scan_determinismE0ELb0ELb0ES3_PKS7_PS7_S7_ZZZN2at6native31launch_logcumsumexp_cuda_kernelERKNSE_10TensorBaseESI_lENKUlvE_clEvENKUlvE2_clEvEUlS7_S7_E_S7_EEDaPvRmT3_T4_T5_mT6_P12ihipStream_tbENKUlT_T0_E_clISt17integral_constantIbLb1EESZ_EEDaSU_SV_EUlSU_E_NS1_11comp_targetILNS1_3genE10ELNS1_11target_archE1200ELNS1_3gpuE4ELNS1_3repE0EEENS1_30default_config_static_selectorELNS0_4arch9wavefront6targetE1EEEvT1_,comdat
.Lfunc_end297:
	.size	_ZN7rocprim17ROCPRIM_400000_NS6detail17trampoline_kernelINS0_14default_configENS1_20scan_config_selectorIN3c107complexIfEEEEZZNS1_9scan_implILNS1_25lookback_scan_determinismE0ELb0ELb0ES3_PKS7_PS7_S7_ZZZN2at6native31launch_logcumsumexp_cuda_kernelERKNSE_10TensorBaseESI_lENKUlvE_clEvENKUlvE2_clEvEUlS7_S7_E_S7_EEDaPvRmT3_T4_T5_mT6_P12ihipStream_tbENKUlT_T0_E_clISt17integral_constantIbLb1EESZ_EEDaSU_SV_EUlSU_E_NS1_11comp_targetILNS1_3genE10ELNS1_11target_archE1200ELNS1_3gpuE4ELNS1_3repE0EEENS1_30default_config_static_selectorELNS0_4arch9wavefront6targetE1EEEvT1_, .Lfunc_end297-_ZN7rocprim17ROCPRIM_400000_NS6detail17trampoline_kernelINS0_14default_configENS1_20scan_config_selectorIN3c107complexIfEEEEZZNS1_9scan_implILNS1_25lookback_scan_determinismE0ELb0ELb0ES3_PKS7_PS7_S7_ZZZN2at6native31launch_logcumsumexp_cuda_kernelERKNSE_10TensorBaseESI_lENKUlvE_clEvENKUlvE2_clEvEUlS7_S7_E_S7_EEDaPvRmT3_T4_T5_mT6_P12ihipStream_tbENKUlT_T0_E_clISt17integral_constantIbLb1EESZ_EEDaSU_SV_EUlSU_E_NS1_11comp_targetILNS1_3genE10ELNS1_11target_archE1200ELNS1_3gpuE4ELNS1_3repE0EEENS1_30default_config_static_selectorELNS0_4arch9wavefront6targetE1EEEvT1_
                                        ; -- End function
	.set _ZN7rocprim17ROCPRIM_400000_NS6detail17trampoline_kernelINS0_14default_configENS1_20scan_config_selectorIN3c107complexIfEEEEZZNS1_9scan_implILNS1_25lookback_scan_determinismE0ELb0ELb0ES3_PKS7_PS7_S7_ZZZN2at6native31launch_logcumsumexp_cuda_kernelERKNSE_10TensorBaseESI_lENKUlvE_clEvENKUlvE2_clEvEUlS7_S7_E_S7_EEDaPvRmT3_T4_T5_mT6_P12ihipStream_tbENKUlT_T0_E_clISt17integral_constantIbLb1EESZ_EEDaSU_SV_EUlSU_E_NS1_11comp_targetILNS1_3genE10ELNS1_11target_archE1200ELNS1_3gpuE4ELNS1_3repE0EEENS1_30default_config_static_selectorELNS0_4arch9wavefront6targetE1EEEvT1_.num_vgpr, 0
	.set _ZN7rocprim17ROCPRIM_400000_NS6detail17trampoline_kernelINS0_14default_configENS1_20scan_config_selectorIN3c107complexIfEEEEZZNS1_9scan_implILNS1_25lookback_scan_determinismE0ELb0ELb0ES3_PKS7_PS7_S7_ZZZN2at6native31launch_logcumsumexp_cuda_kernelERKNSE_10TensorBaseESI_lENKUlvE_clEvENKUlvE2_clEvEUlS7_S7_E_S7_EEDaPvRmT3_T4_T5_mT6_P12ihipStream_tbENKUlT_T0_E_clISt17integral_constantIbLb1EESZ_EEDaSU_SV_EUlSU_E_NS1_11comp_targetILNS1_3genE10ELNS1_11target_archE1200ELNS1_3gpuE4ELNS1_3repE0EEENS1_30default_config_static_selectorELNS0_4arch9wavefront6targetE1EEEvT1_.num_agpr, 0
	.set _ZN7rocprim17ROCPRIM_400000_NS6detail17trampoline_kernelINS0_14default_configENS1_20scan_config_selectorIN3c107complexIfEEEEZZNS1_9scan_implILNS1_25lookback_scan_determinismE0ELb0ELb0ES3_PKS7_PS7_S7_ZZZN2at6native31launch_logcumsumexp_cuda_kernelERKNSE_10TensorBaseESI_lENKUlvE_clEvENKUlvE2_clEvEUlS7_S7_E_S7_EEDaPvRmT3_T4_T5_mT6_P12ihipStream_tbENKUlT_T0_E_clISt17integral_constantIbLb1EESZ_EEDaSU_SV_EUlSU_E_NS1_11comp_targetILNS1_3genE10ELNS1_11target_archE1200ELNS1_3gpuE4ELNS1_3repE0EEENS1_30default_config_static_selectorELNS0_4arch9wavefront6targetE1EEEvT1_.numbered_sgpr, 0
	.set _ZN7rocprim17ROCPRIM_400000_NS6detail17trampoline_kernelINS0_14default_configENS1_20scan_config_selectorIN3c107complexIfEEEEZZNS1_9scan_implILNS1_25lookback_scan_determinismE0ELb0ELb0ES3_PKS7_PS7_S7_ZZZN2at6native31launch_logcumsumexp_cuda_kernelERKNSE_10TensorBaseESI_lENKUlvE_clEvENKUlvE2_clEvEUlS7_S7_E_S7_EEDaPvRmT3_T4_T5_mT6_P12ihipStream_tbENKUlT_T0_E_clISt17integral_constantIbLb1EESZ_EEDaSU_SV_EUlSU_E_NS1_11comp_targetILNS1_3genE10ELNS1_11target_archE1200ELNS1_3gpuE4ELNS1_3repE0EEENS1_30default_config_static_selectorELNS0_4arch9wavefront6targetE1EEEvT1_.num_named_barrier, 0
	.set _ZN7rocprim17ROCPRIM_400000_NS6detail17trampoline_kernelINS0_14default_configENS1_20scan_config_selectorIN3c107complexIfEEEEZZNS1_9scan_implILNS1_25lookback_scan_determinismE0ELb0ELb0ES3_PKS7_PS7_S7_ZZZN2at6native31launch_logcumsumexp_cuda_kernelERKNSE_10TensorBaseESI_lENKUlvE_clEvENKUlvE2_clEvEUlS7_S7_E_S7_EEDaPvRmT3_T4_T5_mT6_P12ihipStream_tbENKUlT_T0_E_clISt17integral_constantIbLb1EESZ_EEDaSU_SV_EUlSU_E_NS1_11comp_targetILNS1_3genE10ELNS1_11target_archE1200ELNS1_3gpuE4ELNS1_3repE0EEENS1_30default_config_static_selectorELNS0_4arch9wavefront6targetE1EEEvT1_.private_seg_size, 0
	.set _ZN7rocprim17ROCPRIM_400000_NS6detail17trampoline_kernelINS0_14default_configENS1_20scan_config_selectorIN3c107complexIfEEEEZZNS1_9scan_implILNS1_25lookback_scan_determinismE0ELb0ELb0ES3_PKS7_PS7_S7_ZZZN2at6native31launch_logcumsumexp_cuda_kernelERKNSE_10TensorBaseESI_lENKUlvE_clEvENKUlvE2_clEvEUlS7_S7_E_S7_EEDaPvRmT3_T4_T5_mT6_P12ihipStream_tbENKUlT_T0_E_clISt17integral_constantIbLb1EESZ_EEDaSU_SV_EUlSU_E_NS1_11comp_targetILNS1_3genE10ELNS1_11target_archE1200ELNS1_3gpuE4ELNS1_3repE0EEENS1_30default_config_static_selectorELNS0_4arch9wavefront6targetE1EEEvT1_.uses_vcc, 0
	.set _ZN7rocprim17ROCPRIM_400000_NS6detail17trampoline_kernelINS0_14default_configENS1_20scan_config_selectorIN3c107complexIfEEEEZZNS1_9scan_implILNS1_25lookback_scan_determinismE0ELb0ELb0ES3_PKS7_PS7_S7_ZZZN2at6native31launch_logcumsumexp_cuda_kernelERKNSE_10TensorBaseESI_lENKUlvE_clEvENKUlvE2_clEvEUlS7_S7_E_S7_EEDaPvRmT3_T4_T5_mT6_P12ihipStream_tbENKUlT_T0_E_clISt17integral_constantIbLb1EESZ_EEDaSU_SV_EUlSU_E_NS1_11comp_targetILNS1_3genE10ELNS1_11target_archE1200ELNS1_3gpuE4ELNS1_3repE0EEENS1_30default_config_static_selectorELNS0_4arch9wavefront6targetE1EEEvT1_.uses_flat_scratch, 0
	.set _ZN7rocprim17ROCPRIM_400000_NS6detail17trampoline_kernelINS0_14default_configENS1_20scan_config_selectorIN3c107complexIfEEEEZZNS1_9scan_implILNS1_25lookback_scan_determinismE0ELb0ELb0ES3_PKS7_PS7_S7_ZZZN2at6native31launch_logcumsumexp_cuda_kernelERKNSE_10TensorBaseESI_lENKUlvE_clEvENKUlvE2_clEvEUlS7_S7_E_S7_EEDaPvRmT3_T4_T5_mT6_P12ihipStream_tbENKUlT_T0_E_clISt17integral_constantIbLb1EESZ_EEDaSU_SV_EUlSU_E_NS1_11comp_targetILNS1_3genE10ELNS1_11target_archE1200ELNS1_3gpuE4ELNS1_3repE0EEENS1_30default_config_static_selectorELNS0_4arch9wavefront6targetE1EEEvT1_.has_dyn_sized_stack, 0
	.set _ZN7rocprim17ROCPRIM_400000_NS6detail17trampoline_kernelINS0_14default_configENS1_20scan_config_selectorIN3c107complexIfEEEEZZNS1_9scan_implILNS1_25lookback_scan_determinismE0ELb0ELb0ES3_PKS7_PS7_S7_ZZZN2at6native31launch_logcumsumexp_cuda_kernelERKNSE_10TensorBaseESI_lENKUlvE_clEvENKUlvE2_clEvEUlS7_S7_E_S7_EEDaPvRmT3_T4_T5_mT6_P12ihipStream_tbENKUlT_T0_E_clISt17integral_constantIbLb1EESZ_EEDaSU_SV_EUlSU_E_NS1_11comp_targetILNS1_3genE10ELNS1_11target_archE1200ELNS1_3gpuE4ELNS1_3repE0EEENS1_30default_config_static_selectorELNS0_4arch9wavefront6targetE1EEEvT1_.has_recursion, 0
	.set _ZN7rocprim17ROCPRIM_400000_NS6detail17trampoline_kernelINS0_14default_configENS1_20scan_config_selectorIN3c107complexIfEEEEZZNS1_9scan_implILNS1_25lookback_scan_determinismE0ELb0ELb0ES3_PKS7_PS7_S7_ZZZN2at6native31launch_logcumsumexp_cuda_kernelERKNSE_10TensorBaseESI_lENKUlvE_clEvENKUlvE2_clEvEUlS7_S7_E_S7_EEDaPvRmT3_T4_T5_mT6_P12ihipStream_tbENKUlT_T0_E_clISt17integral_constantIbLb1EESZ_EEDaSU_SV_EUlSU_E_NS1_11comp_targetILNS1_3genE10ELNS1_11target_archE1200ELNS1_3gpuE4ELNS1_3repE0EEENS1_30default_config_static_selectorELNS0_4arch9wavefront6targetE1EEEvT1_.has_indirect_call, 0
	.section	.AMDGPU.csdata,"",@progbits
; Kernel info:
; codeLenInByte = 0
; TotalNumSgprs: 4
; NumVgprs: 0
; ScratchSize: 0
; MemoryBound: 0
; FloatMode: 240
; IeeeMode: 1
; LDSByteSize: 0 bytes/workgroup (compile time only)
; SGPRBlocks: 0
; VGPRBlocks: 0
; NumSGPRsForWavesPerEU: 4
; NumVGPRsForWavesPerEU: 1
; Occupancy: 10
; WaveLimiterHint : 0
; COMPUTE_PGM_RSRC2:SCRATCH_EN: 0
; COMPUTE_PGM_RSRC2:USER_SGPR: 6
; COMPUTE_PGM_RSRC2:TRAP_HANDLER: 0
; COMPUTE_PGM_RSRC2:TGID_X_EN: 1
; COMPUTE_PGM_RSRC2:TGID_Y_EN: 0
; COMPUTE_PGM_RSRC2:TGID_Z_EN: 0
; COMPUTE_PGM_RSRC2:TIDIG_COMP_CNT: 0
	.section	.text._ZN7rocprim17ROCPRIM_400000_NS6detail17trampoline_kernelINS0_14default_configENS1_20scan_config_selectorIN3c107complexIfEEEEZZNS1_9scan_implILNS1_25lookback_scan_determinismE0ELb0ELb0ES3_PKS7_PS7_S7_ZZZN2at6native31launch_logcumsumexp_cuda_kernelERKNSE_10TensorBaseESI_lENKUlvE_clEvENKUlvE2_clEvEUlS7_S7_E_S7_EEDaPvRmT3_T4_T5_mT6_P12ihipStream_tbENKUlT_T0_E_clISt17integral_constantIbLb1EESZ_EEDaSU_SV_EUlSU_E_NS1_11comp_targetILNS1_3genE9ELNS1_11target_archE1100ELNS1_3gpuE3ELNS1_3repE0EEENS1_30default_config_static_selectorELNS0_4arch9wavefront6targetE1EEEvT1_,"axG",@progbits,_ZN7rocprim17ROCPRIM_400000_NS6detail17trampoline_kernelINS0_14default_configENS1_20scan_config_selectorIN3c107complexIfEEEEZZNS1_9scan_implILNS1_25lookback_scan_determinismE0ELb0ELb0ES3_PKS7_PS7_S7_ZZZN2at6native31launch_logcumsumexp_cuda_kernelERKNSE_10TensorBaseESI_lENKUlvE_clEvENKUlvE2_clEvEUlS7_S7_E_S7_EEDaPvRmT3_T4_T5_mT6_P12ihipStream_tbENKUlT_T0_E_clISt17integral_constantIbLb1EESZ_EEDaSU_SV_EUlSU_E_NS1_11comp_targetILNS1_3genE9ELNS1_11target_archE1100ELNS1_3gpuE3ELNS1_3repE0EEENS1_30default_config_static_selectorELNS0_4arch9wavefront6targetE1EEEvT1_,comdat
	.globl	_ZN7rocprim17ROCPRIM_400000_NS6detail17trampoline_kernelINS0_14default_configENS1_20scan_config_selectorIN3c107complexIfEEEEZZNS1_9scan_implILNS1_25lookback_scan_determinismE0ELb0ELb0ES3_PKS7_PS7_S7_ZZZN2at6native31launch_logcumsumexp_cuda_kernelERKNSE_10TensorBaseESI_lENKUlvE_clEvENKUlvE2_clEvEUlS7_S7_E_S7_EEDaPvRmT3_T4_T5_mT6_P12ihipStream_tbENKUlT_T0_E_clISt17integral_constantIbLb1EESZ_EEDaSU_SV_EUlSU_E_NS1_11comp_targetILNS1_3genE9ELNS1_11target_archE1100ELNS1_3gpuE3ELNS1_3repE0EEENS1_30default_config_static_selectorELNS0_4arch9wavefront6targetE1EEEvT1_ ; -- Begin function _ZN7rocprim17ROCPRIM_400000_NS6detail17trampoline_kernelINS0_14default_configENS1_20scan_config_selectorIN3c107complexIfEEEEZZNS1_9scan_implILNS1_25lookback_scan_determinismE0ELb0ELb0ES3_PKS7_PS7_S7_ZZZN2at6native31launch_logcumsumexp_cuda_kernelERKNSE_10TensorBaseESI_lENKUlvE_clEvENKUlvE2_clEvEUlS7_S7_E_S7_EEDaPvRmT3_T4_T5_mT6_P12ihipStream_tbENKUlT_T0_E_clISt17integral_constantIbLb1EESZ_EEDaSU_SV_EUlSU_E_NS1_11comp_targetILNS1_3genE9ELNS1_11target_archE1100ELNS1_3gpuE3ELNS1_3repE0EEENS1_30default_config_static_selectorELNS0_4arch9wavefront6targetE1EEEvT1_
	.p2align	8
	.type	_ZN7rocprim17ROCPRIM_400000_NS6detail17trampoline_kernelINS0_14default_configENS1_20scan_config_selectorIN3c107complexIfEEEEZZNS1_9scan_implILNS1_25lookback_scan_determinismE0ELb0ELb0ES3_PKS7_PS7_S7_ZZZN2at6native31launch_logcumsumexp_cuda_kernelERKNSE_10TensorBaseESI_lENKUlvE_clEvENKUlvE2_clEvEUlS7_S7_E_S7_EEDaPvRmT3_T4_T5_mT6_P12ihipStream_tbENKUlT_T0_E_clISt17integral_constantIbLb1EESZ_EEDaSU_SV_EUlSU_E_NS1_11comp_targetILNS1_3genE9ELNS1_11target_archE1100ELNS1_3gpuE3ELNS1_3repE0EEENS1_30default_config_static_selectorELNS0_4arch9wavefront6targetE1EEEvT1_,@function
_ZN7rocprim17ROCPRIM_400000_NS6detail17trampoline_kernelINS0_14default_configENS1_20scan_config_selectorIN3c107complexIfEEEEZZNS1_9scan_implILNS1_25lookback_scan_determinismE0ELb0ELb0ES3_PKS7_PS7_S7_ZZZN2at6native31launch_logcumsumexp_cuda_kernelERKNSE_10TensorBaseESI_lENKUlvE_clEvENKUlvE2_clEvEUlS7_S7_E_S7_EEDaPvRmT3_T4_T5_mT6_P12ihipStream_tbENKUlT_T0_E_clISt17integral_constantIbLb1EESZ_EEDaSU_SV_EUlSU_E_NS1_11comp_targetILNS1_3genE9ELNS1_11target_archE1100ELNS1_3gpuE3ELNS1_3repE0EEENS1_30default_config_static_selectorELNS0_4arch9wavefront6targetE1EEEvT1_: ; @_ZN7rocprim17ROCPRIM_400000_NS6detail17trampoline_kernelINS0_14default_configENS1_20scan_config_selectorIN3c107complexIfEEEEZZNS1_9scan_implILNS1_25lookback_scan_determinismE0ELb0ELb0ES3_PKS7_PS7_S7_ZZZN2at6native31launch_logcumsumexp_cuda_kernelERKNSE_10TensorBaseESI_lENKUlvE_clEvENKUlvE2_clEvEUlS7_S7_E_S7_EEDaPvRmT3_T4_T5_mT6_P12ihipStream_tbENKUlT_T0_E_clISt17integral_constantIbLb1EESZ_EEDaSU_SV_EUlSU_E_NS1_11comp_targetILNS1_3genE9ELNS1_11target_archE1100ELNS1_3gpuE3ELNS1_3repE0EEENS1_30default_config_static_selectorELNS0_4arch9wavefront6targetE1EEEvT1_
; %bb.0:
	.section	.rodata,"a",@progbits
	.p2align	6, 0x0
	.amdhsa_kernel _ZN7rocprim17ROCPRIM_400000_NS6detail17trampoline_kernelINS0_14default_configENS1_20scan_config_selectorIN3c107complexIfEEEEZZNS1_9scan_implILNS1_25lookback_scan_determinismE0ELb0ELb0ES3_PKS7_PS7_S7_ZZZN2at6native31launch_logcumsumexp_cuda_kernelERKNSE_10TensorBaseESI_lENKUlvE_clEvENKUlvE2_clEvEUlS7_S7_E_S7_EEDaPvRmT3_T4_T5_mT6_P12ihipStream_tbENKUlT_T0_E_clISt17integral_constantIbLb1EESZ_EEDaSU_SV_EUlSU_E_NS1_11comp_targetILNS1_3genE9ELNS1_11target_archE1100ELNS1_3gpuE3ELNS1_3repE0EEENS1_30default_config_static_selectorELNS0_4arch9wavefront6targetE1EEEvT1_
		.amdhsa_group_segment_fixed_size 0
		.amdhsa_private_segment_fixed_size 0
		.amdhsa_kernarg_size 104
		.amdhsa_user_sgpr_count 6
		.amdhsa_user_sgpr_private_segment_buffer 1
		.amdhsa_user_sgpr_dispatch_ptr 0
		.amdhsa_user_sgpr_queue_ptr 0
		.amdhsa_user_sgpr_kernarg_segment_ptr 1
		.amdhsa_user_sgpr_dispatch_id 0
		.amdhsa_user_sgpr_flat_scratch_init 0
		.amdhsa_user_sgpr_private_segment_size 0
		.amdhsa_uses_dynamic_stack 0
		.amdhsa_system_sgpr_private_segment_wavefront_offset 0
		.amdhsa_system_sgpr_workgroup_id_x 1
		.amdhsa_system_sgpr_workgroup_id_y 0
		.amdhsa_system_sgpr_workgroup_id_z 0
		.amdhsa_system_sgpr_workgroup_info 0
		.amdhsa_system_vgpr_workitem_id 0
		.amdhsa_next_free_vgpr 1
		.amdhsa_next_free_sgpr 0
		.amdhsa_reserve_vcc 0
		.amdhsa_reserve_flat_scratch 0
		.amdhsa_float_round_mode_32 0
		.amdhsa_float_round_mode_16_64 0
		.amdhsa_float_denorm_mode_32 3
		.amdhsa_float_denorm_mode_16_64 3
		.amdhsa_dx10_clamp 1
		.amdhsa_ieee_mode 1
		.amdhsa_fp16_overflow 0
		.amdhsa_exception_fp_ieee_invalid_op 0
		.amdhsa_exception_fp_denorm_src 0
		.amdhsa_exception_fp_ieee_div_zero 0
		.amdhsa_exception_fp_ieee_overflow 0
		.amdhsa_exception_fp_ieee_underflow 0
		.amdhsa_exception_fp_ieee_inexact 0
		.amdhsa_exception_int_div_zero 0
	.end_amdhsa_kernel
	.section	.text._ZN7rocprim17ROCPRIM_400000_NS6detail17trampoline_kernelINS0_14default_configENS1_20scan_config_selectorIN3c107complexIfEEEEZZNS1_9scan_implILNS1_25lookback_scan_determinismE0ELb0ELb0ES3_PKS7_PS7_S7_ZZZN2at6native31launch_logcumsumexp_cuda_kernelERKNSE_10TensorBaseESI_lENKUlvE_clEvENKUlvE2_clEvEUlS7_S7_E_S7_EEDaPvRmT3_T4_T5_mT6_P12ihipStream_tbENKUlT_T0_E_clISt17integral_constantIbLb1EESZ_EEDaSU_SV_EUlSU_E_NS1_11comp_targetILNS1_3genE9ELNS1_11target_archE1100ELNS1_3gpuE3ELNS1_3repE0EEENS1_30default_config_static_selectorELNS0_4arch9wavefront6targetE1EEEvT1_,"axG",@progbits,_ZN7rocprim17ROCPRIM_400000_NS6detail17trampoline_kernelINS0_14default_configENS1_20scan_config_selectorIN3c107complexIfEEEEZZNS1_9scan_implILNS1_25lookback_scan_determinismE0ELb0ELb0ES3_PKS7_PS7_S7_ZZZN2at6native31launch_logcumsumexp_cuda_kernelERKNSE_10TensorBaseESI_lENKUlvE_clEvENKUlvE2_clEvEUlS7_S7_E_S7_EEDaPvRmT3_T4_T5_mT6_P12ihipStream_tbENKUlT_T0_E_clISt17integral_constantIbLb1EESZ_EEDaSU_SV_EUlSU_E_NS1_11comp_targetILNS1_3genE9ELNS1_11target_archE1100ELNS1_3gpuE3ELNS1_3repE0EEENS1_30default_config_static_selectorELNS0_4arch9wavefront6targetE1EEEvT1_,comdat
.Lfunc_end298:
	.size	_ZN7rocprim17ROCPRIM_400000_NS6detail17trampoline_kernelINS0_14default_configENS1_20scan_config_selectorIN3c107complexIfEEEEZZNS1_9scan_implILNS1_25lookback_scan_determinismE0ELb0ELb0ES3_PKS7_PS7_S7_ZZZN2at6native31launch_logcumsumexp_cuda_kernelERKNSE_10TensorBaseESI_lENKUlvE_clEvENKUlvE2_clEvEUlS7_S7_E_S7_EEDaPvRmT3_T4_T5_mT6_P12ihipStream_tbENKUlT_T0_E_clISt17integral_constantIbLb1EESZ_EEDaSU_SV_EUlSU_E_NS1_11comp_targetILNS1_3genE9ELNS1_11target_archE1100ELNS1_3gpuE3ELNS1_3repE0EEENS1_30default_config_static_selectorELNS0_4arch9wavefront6targetE1EEEvT1_, .Lfunc_end298-_ZN7rocprim17ROCPRIM_400000_NS6detail17trampoline_kernelINS0_14default_configENS1_20scan_config_selectorIN3c107complexIfEEEEZZNS1_9scan_implILNS1_25lookback_scan_determinismE0ELb0ELb0ES3_PKS7_PS7_S7_ZZZN2at6native31launch_logcumsumexp_cuda_kernelERKNSE_10TensorBaseESI_lENKUlvE_clEvENKUlvE2_clEvEUlS7_S7_E_S7_EEDaPvRmT3_T4_T5_mT6_P12ihipStream_tbENKUlT_T0_E_clISt17integral_constantIbLb1EESZ_EEDaSU_SV_EUlSU_E_NS1_11comp_targetILNS1_3genE9ELNS1_11target_archE1100ELNS1_3gpuE3ELNS1_3repE0EEENS1_30default_config_static_selectorELNS0_4arch9wavefront6targetE1EEEvT1_
                                        ; -- End function
	.set _ZN7rocprim17ROCPRIM_400000_NS6detail17trampoline_kernelINS0_14default_configENS1_20scan_config_selectorIN3c107complexIfEEEEZZNS1_9scan_implILNS1_25lookback_scan_determinismE0ELb0ELb0ES3_PKS7_PS7_S7_ZZZN2at6native31launch_logcumsumexp_cuda_kernelERKNSE_10TensorBaseESI_lENKUlvE_clEvENKUlvE2_clEvEUlS7_S7_E_S7_EEDaPvRmT3_T4_T5_mT6_P12ihipStream_tbENKUlT_T0_E_clISt17integral_constantIbLb1EESZ_EEDaSU_SV_EUlSU_E_NS1_11comp_targetILNS1_3genE9ELNS1_11target_archE1100ELNS1_3gpuE3ELNS1_3repE0EEENS1_30default_config_static_selectorELNS0_4arch9wavefront6targetE1EEEvT1_.num_vgpr, 0
	.set _ZN7rocprim17ROCPRIM_400000_NS6detail17trampoline_kernelINS0_14default_configENS1_20scan_config_selectorIN3c107complexIfEEEEZZNS1_9scan_implILNS1_25lookback_scan_determinismE0ELb0ELb0ES3_PKS7_PS7_S7_ZZZN2at6native31launch_logcumsumexp_cuda_kernelERKNSE_10TensorBaseESI_lENKUlvE_clEvENKUlvE2_clEvEUlS7_S7_E_S7_EEDaPvRmT3_T4_T5_mT6_P12ihipStream_tbENKUlT_T0_E_clISt17integral_constantIbLb1EESZ_EEDaSU_SV_EUlSU_E_NS1_11comp_targetILNS1_3genE9ELNS1_11target_archE1100ELNS1_3gpuE3ELNS1_3repE0EEENS1_30default_config_static_selectorELNS0_4arch9wavefront6targetE1EEEvT1_.num_agpr, 0
	.set _ZN7rocprim17ROCPRIM_400000_NS6detail17trampoline_kernelINS0_14default_configENS1_20scan_config_selectorIN3c107complexIfEEEEZZNS1_9scan_implILNS1_25lookback_scan_determinismE0ELb0ELb0ES3_PKS7_PS7_S7_ZZZN2at6native31launch_logcumsumexp_cuda_kernelERKNSE_10TensorBaseESI_lENKUlvE_clEvENKUlvE2_clEvEUlS7_S7_E_S7_EEDaPvRmT3_T4_T5_mT6_P12ihipStream_tbENKUlT_T0_E_clISt17integral_constantIbLb1EESZ_EEDaSU_SV_EUlSU_E_NS1_11comp_targetILNS1_3genE9ELNS1_11target_archE1100ELNS1_3gpuE3ELNS1_3repE0EEENS1_30default_config_static_selectorELNS0_4arch9wavefront6targetE1EEEvT1_.numbered_sgpr, 0
	.set _ZN7rocprim17ROCPRIM_400000_NS6detail17trampoline_kernelINS0_14default_configENS1_20scan_config_selectorIN3c107complexIfEEEEZZNS1_9scan_implILNS1_25lookback_scan_determinismE0ELb0ELb0ES3_PKS7_PS7_S7_ZZZN2at6native31launch_logcumsumexp_cuda_kernelERKNSE_10TensorBaseESI_lENKUlvE_clEvENKUlvE2_clEvEUlS7_S7_E_S7_EEDaPvRmT3_T4_T5_mT6_P12ihipStream_tbENKUlT_T0_E_clISt17integral_constantIbLb1EESZ_EEDaSU_SV_EUlSU_E_NS1_11comp_targetILNS1_3genE9ELNS1_11target_archE1100ELNS1_3gpuE3ELNS1_3repE0EEENS1_30default_config_static_selectorELNS0_4arch9wavefront6targetE1EEEvT1_.num_named_barrier, 0
	.set _ZN7rocprim17ROCPRIM_400000_NS6detail17trampoline_kernelINS0_14default_configENS1_20scan_config_selectorIN3c107complexIfEEEEZZNS1_9scan_implILNS1_25lookback_scan_determinismE0ELb0ELb0ES3_PKS7_PS7_S7_ZZZN2at6native31launch_logcumsumexp_cuda_kernelERKNSE_10TensorBaseESI_lENKUlvE_clEvENKUlvE2_clEvEUlS7_S7_E_S7_EEDaPvRmT3_T4_T5_mT6_P12ihipStream_tbENKUlT_T0_E_clISt17integral_constantIbLb1EESZ_EEDaSU_SV_EUlSU_E_NS1_11comp_targetILNS1_3genE9ELNS1_11target_archE1100ELNS1_3gpuE3ELNS1_3repE0EEENS1_30default_config_static_selectorELNS0_4arch9wavefront6targetE1EEEvT1_.private_seg_size, 0
	.set _ZN7rocprim17ROCPRIM_400000_NS6detail17trampoline_kernelINS0_14default_configENS1_20scan_config_selectorIN3c107complexIfEEEEZZNS1_9scan_implILNS1_25lookback_scan_determinismE0ELb0ELb0ES3_PKS7_PS7_S7_ZZZN2at6native31launch_logcumsumexp_cuda_kernelERKNSE_10TensorBaseESI_lENKUlvE_clEvENKUlvE2_clEvEUlS7_S7_E_S7_EEDaPvRmT3_T4_T5_mT6_P12ihipStream_tbENKUlT_T0_E_clISt17integral_constantIbLb1EESZ_EEDaSU_SV_EUlSU_E_NS1_11comp_targetILNS1_3genE9ELNS1_11target_archE1100ELNS1_3gpuE3ELNS1_3repE0EEENS1_30default_config_static_selectorELNS0_4arch9wavefront6targetE1EEEvT1_.uses_vcc, 0
	.set _ZN7rocprim17ROCPRIM_400000_NS6detail17trampoline_kernelINS0_14default_configENS1_20scan_config_selectorIN3c107complexIfEEEEZZNS1_9scan_implILNS1_25lookback_scan_determinismE0ELb0ELb0ES3_PKS7_PS7_S7_ZZZN2at6native31launch_logcumsumexp_cuda_kernelERKNSE_10TensorBaseESI_lENKUlvE_clEvENKUlvE2_clEvEUlS7_S7_E_S7_EEDaPvRmT3_T4_T5_mT6_P12ihipStream_tbENKUlT_T0_E_clISt17integral_constantIbLb1EESZ_EEDaSU_SV_EUlSU_E_NS1_11comp_targetILNS1_3genE9ELNS1_11target_archE1100ELNS1_3gpuE3ELNS1_3repE0EEENS1_30default_config_static_selectorELNS0_4arch9wavefront6targetE1EEEvT1_.uses_flat_scratch, 0
	.set _ZN7rocprim17ROCPRIM_400000_NS6detail17trampoline_kernelINS0_14default_configENS1_20scan_config_selectorIN3c107complexIfEEEEZZNS1_9scan_implILNS1_25lookback_scan_determinismE0ELb0ELb0ES3_PKS7_PS7_S7_ZZZN2at6native31launch_logcumsumexp_cuda_kernelERKNSE_10TensorBaseESI_lENKUlvE_clEvENKUlvE2_clEvEUlS7_S7_E_S7_EEDaPvRmT3_T4_T5_mT6_P12ihipStream_tbENKUlT_T0_E_clISt17integral_constantIbLb1EESZ_EEDaSU_SV_EUlSU_E_NS1_11comp_targetILNS1_3genE9ELNS1_11target_archE1100ELNS1_3gpuE3ELNS1_3repE0EEENS1_30default_config_static_selectorELNS0_4arch9wavefront6targetE1EEEvT1_.has_dyn_sized_stack, 0
	.set _ZN7rocprim17ROCPRIM_400000_NS6detail17trampoline_kernelINS0_14default_configENS1_20scan_config_selectorIN3c107complexIfEEEEZZNS1_9scan_implILNS1_25lookback_scan_determinismE0ELb0ELb0ES3_PKS7_PS7_S7_ZZZN2at6native31launch_logcumsumexp_cuda_kernelERKNSE_10TensorBaseESI_lENKUlvE_clEvENKUlvE2_clEvEUlS7_S7_E_S7_EEDaPvRmT3_T4_T5_mT6_P12ihipStream_tbENKUlT_T0_E_clISt17integral_constantIbLb1EESZ_EEDaSU_SV_EUlSU_E_NS1_11comp_targetILNS1_3genE9ELNS1_11target_archE1100ELNS1_3gpuE3ELNS1_3repE0EEENS1_30default_config_static_selectorELNS0_4arch9wavefront6targetE1EEEvT1_.has_recursion, 0
	.set _ZN7rocprim17ROCPRIM_400000_NS6detail17trampoline_kernelINS0_14default_configENS1_20scan_config_selectorIN3c107complexIfEEEEZZNS1_9scan_implILNS1_25lookback_scan_determinismE0ELb0ELb0ES3_PKS7_PS7_S7_ZZZN2at6native31launch_logcumsumexp_cuda_kernelERKNSE_10TensorBaseESI_lENKUlvE_clEvENKUlvE2_clEvEUlS7_S7_E_S7_EEDaPvRmT3_T4_T5_mT6_P12ihipStream_tbENKUlT_T0_E_clISt17integral_constantIbLb1EESZ_EEDaSU_SV_EUlSU_E_NS1_11comp_targetILNS1_3genE9ELNS1_11target_archE1100ELNS1_3gpuE3ELNS1_3repE0EEENS1_30default_config_static_selectorELNS0_4arch9wavefront6targetE1EEEvT1_.has_indirect_call, 0
	.section	.AMDGPU.csdata,"",@progbits
; Kernel info:
; codeLenInByte = 0
; TotalNumSgprs: 4
; NumVgprs: 0
; ScratchSize: 0
; MemoryBound: 0
; FloatMode: 240
; IeeeMode: 1
; LDSByteSize: 0 bytes/workgroup (compile time only)
; SGPRBlocks: 0
; VGPRBlocks: 0
; NumSGPRsForWavesPerEU: 4
; NumVGPRsForWavesPerEU: 1
; Occupancy: 10
; WaveLimiterHint : 0
; COMPUTE_PGM_RSRC2:SCRATCH_EN: 0
; COMPUTE_PGM_RSRC2:USER_SGPR: 6
; COMPUTE_PGM_RSRC2:TRAP_HANDLER: 0
; COMPUTE_PGM_RSRC2:TGID_X_EN: 1
; COMPUTE_PGM_RSRC2:TGID_Y_EN: 0
; COMPUTE_PGM_RSRC2:TGID_Z_EN: 0
; COMPUTE_PGM_RSRC2:TIDIG_COMP_CNT: 0
	.section	.text._ZN7rocprim17ROCPRIM_400000_NS6detail17trampoline_kernelINS0_14default_configENS1_20scan_config_selectorIN3c107complexIfEEEEZZNS1_9scan_implILNS1_25lookback_scan_determinismE0ELb0ELb0ES3_PKS7_PS7_S7_ZZZN2at6native31launch_logcumsumexp_cuda_kernelERKNSE_10TensorBaseESI_lENKUlvE_clEvENKUlvE2_clEvEUlS7_S7_E_S7_EEDaPvRmT3_T4_T5_mT6_P12ihipStream_tbENKUlT_T0_E_clISt17integral_constantIbLb1EESZ_EEDaSU_SV_EUlSU_E_NS1_11comp_targetILNS1_3genE8ELNS1_11target_archE1030ELNS1_3gpuE2ELNS1_3repE0EEENS1_30default_config_static_selectorELNS0_4arch9wavefront6targetE1EEEvT1_,"axG",@progbits,_ZN7rocprim17ROCPRIM_400000_NS6detail17trampoline_kernelINS0_14default_configENS1_20scan_config_selectorIN3c107complexIfEEEEZZNS1_9scan_implILNS1_25lookback_scan_determinismE0ELb0ELb0ES3_PKS7_PS7_S7_ZZZN2at6native31launch_logcumsumexp_cuda_kernelERKNSE_10TensorBaseESI_lENKUlvE_clEvENKUlvE2_clEvEUlS7_S7_E_S7_EEDaPvRmT3_T4_T5_mT6_P12ihipStream_tbENKUlT_T0_E_clISt17integral_constantIbLb1EESZ_EEDaSU_SV_EUlSU_E_NS1_11comp_targetILNS1_3genE8ELNS1_11target_archE1030ELNS1_3gpuE2ELNS1_3repE0EEENS1_30default_config_static_selectorELNS0_4arch9wavefront6targetE1EEEvT1_,comdat
	.globl	_ZN7rocprim17ROCPRIM_400000_NS6detail17trampoline_kernelINS0_14default_configENS1_20scan_config_selectorIN3c107complexIfEEEEZZNS1_9scan_implILNS1_25lookback_scan_determinismE0ELb0ELb0ES3_PKS7_PS7_S7_ZZZN2at6native31launch_logcumsumexp_cuda_kernelERKNSE_10TensorBaseESI_lENKUlvE_clEvENKUlvE2_clEvEUlS7_S7_E_S7_EEDaPvRmT3_T4_T5_mT6_P12ihipStream_tbENKUlT_T0_E_clISt17integral_constantIbLb1EESZ_EEDaSU_SV_EUlSU_E_NS1_11comp_targetILNS1_3genE8ELNS1_11target_archE1030ELNS1_3gpuE2ELNS1_3repE0EEENS1_30default_config_static_selectorELNS0_4arch9wavefront6targetE1EEEvT1_ ; -- Begin function _ZN7rocprim17ROCPRIM_400000_NS6detail17trampoline_kernelINS0_14default_configENS1_20scan_config_selectorIN3c107complexIfEEEEZZNS1_9scan_implILNS1_25lookback_scan_determinismE0ELb0ELb0ES3_PKS7_PS7_S7_ZZZN2at6native31launch_logcumsumexp_cuda_kernelERKNSE_10TensorBaseESI_lENKUlvE_clEvENKUlvE2_clEvEUlS7_S7_E_S7_EEDaPvRmT3_T4_T5_mT6_P12ihipStream_tbENKUlT_T0_E_clISt17integral_constantIbLb1EESZ_EEDaSU_SV_EUlSU_E_NS1_11comp_targetILNS1_3genE8ELNS1_11target_archE1030ELNS1_3gpuE2ELNS1_3repE0EEENS1_30default_config_static_selectorELNS0_4arch9wavefront6targetE1EEEvT1_
	.p2align	8
	.type	_ZN7rocprim17ROCPRIM_400000_NS6detail17trampoline_kernelINS0_14default_configENS1_20scan_config_selectorIN3c107complexIfEEEEZZNS1_9scan_implILNS1_25lookback_scan_determinismE0ELb0ELb0ES3_PKS7_PS7_S7_ZZZN2at6native31launch_logcumsumexp_cuda_kernelERKNSE_10TensorBaseESI_lENKUlvE_clEvENKUlvE2_clEvEUlS7_S7_E_S7_EEDaPvRmT3_T4_T5_mT6_P12ihipStream_tbENKUlT_T0_E_clISt17integral_constantIbLb1EESZ_EEDaSU_SV_EUlSU_E_NS1_11comp_targetILNS1_3genE8ELNS1_11target_archE1030ELNS1_3gpuE2ELNS1_3repE0EEENS1_30default_config_static_selectorELNS0_4arch9wavefront6targetE1EEEvT1_,@function
_ZN7rocprim17ROCPRIM_400000_NS6detail17trampoline_kernelINS0_14default_configENS1_20scan_config_selectorIN3c107complexIfEEEEZZNS1_9scan_implILNS1_25lookback_scan_determinismE0ELb0ELb0ES3_PKS7_PS7_S7_ZZZN2at6native31launch_logcumsumexp_cuda_kernelERKNSE_10TensorBaseESI_lENKUlvE_clEvENKUlvE2_clEvEUlS7_S7_E_S7_EEDaPvRmT3_T4_T5_mT6_P12ihipStream_tbENKUlT_T0_E_clISt17integral_constantIbLb1EESZ_EEDaSU_SV_EUlSU_E_NS1_11comp_targetILNS1_3genE8ELNS1_11target_archE1030ELNS1_3gpuE2ELNS1_3repE0EEENS1_30default_config_static_selectorELNS0_4arch9wavefront6targetE1EEEvT1_: ; @_ZN7rocprim17ROCPRIM_400000_NS6detail17trampoline_kernelINS0_14default_configENS1_20scan_config_selectorIN3c107complexIfEEEEZZNS1_9scan_implILNS1_25lookback_scan_determinismE0ELb0ELb0ES3_PKS7_PS7_S7_ZZZN2at6native31launch_logcumsumexp_cuda_kernelERKNSE_10TensorBaseESI_lENKUlvE_clEvENKUlvE2_clEvEUlS7_S7_E_S7_EEDaPvRmT3_T4_T5_mT6_P12ihipStream_tbENKUlT_T0_E_clISt17integral_constantIbLb1EESZ_EEDaSU_SV_EUlSU_E_NS1_11comp_targetILNS1_3genE8ELNS1_11target_archE1030ELNS1_3gpuE2ELNS1_3repE0EEENS1_30default_config_static_selectorELNS0_4arch9wavefront6targetE1EEEvT1_
; %bb.0:
	.section	.rodata,"a",@progbits
	.p2align	6, 0x0
	.amdhsa_kernel _ZN7rocprim17ROCPRIM_400000_NS6detail17trampoline_kernelINS0_14default_configENS1_20scan_config_selectorIN3c107complexIfEEEEZZNS1_9scan_implILNS1_25lookback_scan_determinismE0ELb0ELb0ES3_PKS7_PS7_S7_ZZZN2at6native31launch_logcumsumexp_cuda_kernelERKNSE_10TensorBaseESI_lENKUlvE_clEvENKUlvE2_clEvEUlS7_S7_E_S7_EEDaPvRmT3_T4_T5_mT6_P12ihipStream_tbENKUlT_T0_E_clISt17integral_constantIbLb1EESZ_EEDaSU_SV_EUlSU_E_NS1_11comp_targetILNS1_3genE8ELNS1_11target_archE1030ELNS1_3gpuE2ELNS1_3repE0EEENS1_30default_config_static_selectorELNS0_4arch9wavefront6targetE1EEEvT1_
		.amdhsa_group_segment_fixed_size 0
		.amdhsa_private_segment_fixed_size 0
		.amdhsa_kernarg_size 104
		.amdhsa_user_sgpr_count 6
		.amdhsa_user_sgpr_private_segment_buffer 1
		.amdhsa_user_sgpr_dispatch_ptr 0
		.amdhsa_user_sgpr_queue_ptr 0
		.amdhsa_user_sgpr_kernarg_segment_ptr 1
		.amdhsa_user_sgpr_dispatch_id 0
		.amdhsa_user_sgpr_flat_scratch_init 0
		.amdhsa_user_sgpr_private_segment_size 0
		.amdhsa_uses_dynamic_stack 0
		.amdhsa_system_sgpr_private_segment_wavefront_offset 0
		.amdhsa_system_sgpr_workgroup_id_x 1
		.amdhsa_system_sgpr_workgroup_id_y 0
		.amdhsa_system_sgpr_workgroup_id_z 0
		.amdhsa_system_sgpr_workgroup_info 0
		.amdhsa_system_vgpr_workitem_id 0
		.amdhsa_next_free_vgpr 1
		.amdhsa_next_free_sgpr 0
		.amdhsa_reserve_vcc 0
		.amdhsa_reserve_flat_scratch 0
		.amdhsa_float_round_mode_32 0
		.amdhsa_float_round_mode_16_64 0
		.amdhsa_float_denorm_mode_32 3
		.amdhsa_float_denorm_mode_16_64 3
		.amdhsa_dx10_clamp 1
		.amdhsa_ieee_mode 1
		.amdhsa_fp16_overflow 0
		.amdhsa_exception_fp_ieee_invalid_op 0
		.amdhsa_exception_fp_denorm_src 0
		.amdhsa_exception_fp_ieee_div_zero 0
		.amdhsa_exception_fp_ieee_overflow 0
		.amdhsa_exception_fp_ieee_underflow 0
		.amdhsa_exception_fp_ieee_inexact 0
		.amdhsa_exception_int_div_zero 0
	.end_amdhsa_kernel
	.section	.text._ZN7rocprim17ROCPRIM_400000_NS6detail17trampoline_kernelINS0_14default_configENS1_20scan_config_selectorIN3c107complexIfEEEEZZNS1_9scan_implILNS1_25lookback_scan_determinismE0ELb0ELb0ES3_PKS7_PS7_S7_ZZZN2at6native31launch_logcumsumexp_cuda_kernelERKNSE_10TensorBaseESI_lENKUlvE_clEvENKUlvE2_clEvEUlS7_S7_E_S7_EEDaPvRmT3_T4_T5_mT6_P12ihipStream_tbENKUlT_T0_E_clISt17integral_constantIbLb1EESZ_EEDaSU_SV_EUlSU_E_NS1_11comp_targetILNS1_3genE8ELNS1_11target_archE1030ELNS1_3gpuE2ELNS1_3repE0EEENS1_30default_config_static_selectorELNS0_4arch9wavefront6targetE1EEEvT1_,"axG",@progbits,_ZN7rocprim17ROCPRIM_400000_NS6detail17trampoline_kernelINS0_14default_configENS1_20scan_config_selectorIN3c107complexIfEEEEZZNS1_9scan_implILNS1_25lookback_scan_determinismE0ELb0ELb0ES3_PKS7_PS7_S7_ZZZN2at6native31launch_logcumsumexp_cuda_kernelERKNSE_10TensorBaseESI_lENKUlvE_clEvENKUlvE2_clEvEUlS7_S7_E_S7_EEDaPvRmT3_T4_T5_mT6_P12ihipStream_tbENKUlT_T0_E_clISt17integral_constantIbLb1EESZ_EEDaSU_SV_EUlSU_E_NS1_11comp_targetILNS1_3genE8ELNS1_11target_archE1030ELNS1_3gpuE2ELNS1_3repE0EEENS1_30default_config_static_selectorELNS0_4arch9wavefront6targetE1EEEvT1_,comdat
.Lfunc_end299:
	.size	_ZN7rocprim17ROCPRIM_400000_NS6detail17trampoline_kernelINS0_14default_configENS1_20scan_config_selectorIN3c107complexIfEEEEZZNS1_9scan_implILNS1_25lookback_scan_determinismE0ELb0ELb0ES3_PKS7_PS7_S7_ZZZN2at6native31launch_logcumsumexp_cuda_kernelERKNSE_10TensorBaseESI_lENKUlvE_clEvENKUlvE2_clEvEUlS7_S7_E_S7_EEDaPvRmT3_T4_T5_mT6_P12ihipStream_tbENKUlT_T0_E_clISt17integral_constantIbLb1EESZ_EEDaSU_SV_EUlSU_E_NS1_11comp_targetILNS1_3genE8ELNS1_11target_archE1030ELNS1_3gpuE2ELNS1_3repE0EEENS1_30default_config_static_selectorELNS0_4arch9wavefront6targetE1EEEvT1_, .Lfunc_end299-_ZN7rocprim17ROCPRIM_400000_NS6detail17trampoline_kernelINS0_14default_configENS1_20scan_config_selectorIN3c107complexIfEEEEZZNS1_9scan_implILNS1_25lookback_scan_determinismE0ELb0ELb0ES3_PKS7_PS7_S7_ZZZN2at6native31launch_logcumsumexp_cuda_kernelERKNSE_10TensorBaseESI_lENKUlvE_clEvENKUlvE2_clEvEUlS7_S7_E_S7_EEDaPvRmT3_T4_T5_mT6_P12ihipStream_tbENKUlT_T0_E_clISt17integral_constantIbLb1EESZ_EEDaSU_SV_EUlSU_E_NS1_11comp_targetILNS1_3genE8ELNS1_11target_archE1030ELNS1_3gpuE2ELNS1_3repE0EEENS1_30default_config_static_selectorELNS0_4arch9wavefront6targetE1EEEvT1_
                                        ; -- End function
	.set _ZN7rocprim17ROCPRIM_400000_NS6detail17trampoline_kernelINS0_14default_configENS1_20scan_config_selectorIN3c107complexIfEEEEZZNS1_9scan_implILNS1_25lookback_scan_determinismE0ELb0ELb0ES3_PKS7_PS7_S7_ZZZN2at6native31launch_logcumsumexp_cuda_kernelERKNSE_10TensorBaseESI_lENKUlvE_clEvENKUlvE2_clEvEUlS7_S7_E_S7_EEDaPvRmT3_T4_T5_mT6_P12ihipStream_tbENKUlT_T0_E_clISt17integral_constantIbLb1EESZ_EEDaSU_SV_EUlSU_E_NS1_11comp_targetILNS1_3genE8ELNS1_11target_archE1030ELNS1_3gpuE2ELNS1_3repE0EEENS1_30default_config_static_selectorELNS0_4arch9wavefront6targetE1EEEvT1_.num_vgpr, 0
	.set _ZN7rocprim17ROCPRIM_400000_NS6detail17trampoline_kernelINS0_14default_configENS1_20scan_config_selectorIN3c107complexIfEEEEZZNS1_9scan_implILNS1_25lookback_scan_determinismE0ELb0ELb0ES3_PKS7_PS7_S7_ZZZN2at6native31launch_logcumsumexp_cuda_kernelERKNSE_10TensorBaseESI_lENKUlvE_clEvENKUlvE2_clEvEUlS7_S7_E_S7_EEDaPvRmT3_T4_T5_mT6_P12ihipStream_tbENKUlT_T0_E_clISt17integral_constantIbLb1EESZ_EEDaSU_SV_EUlSU_E_NS1_11comp_targetILNS1_3genE8ELNS1_11target_archE1030ELNS1_3gpuE2ELNS1_3repE0EEENS1_30default_config_static_selectorELNS0_4arch9wavefront6targetE1EEEvT1_.num_agpr, 0
	.set _ZN7rocprim17ROCPRIM_400000_NS6detail17trampoline_kernelINS0_14default_configENS1_20scan_config_selectorIN3c107complexIfEEEEZZNS1_9scan_implILNS1_25lookback_scan_determinismE0ELb0ELb0ES3_PKS7_PS7_S7_ZZZN2at6native31launch_logcumsumexp_cuda_kernelERKNSE_10TensorBaseESI_lENKUlvE_clEvENKUlvE2_clEvEUlS7_S7_E_S7_EEDaPvRmT3_T4_T5_mT6_P12ihipStream_tbENKUlT_T0_E_clISt17integral_constantIbLb1EESZ_EEDaSU_SV_EUlSU_E_NS1_11comp_targetILNS1_3genE8ELNS1_11target_archE1030ELNS1_3gpuE2ELNS1_3repE0EEENS1_30default_config_static_selectorELNS0_4arch9wavefront6targetE1EEEvT1_.numbered_sgpr, 0
	.set _ZN7rocprim17ROCPRIM_400000_NS6detail17trampoline_kernelINS0_14default_configENS1_20scan_config_selectorIN3c107complexIfEEEEZZNS1_9scan_implILNS1_25lookback_scan_determinismE0ELb0ELb0ES3_PKS7_PS7_S7_ZZZN2at6native31launch_logcumsumexp_cuda_kernelERKNSE_10TensorBaseESI_lENKUlvE_clEvENKUlvE2_clEvEUlS7_S7_E_S7_EEDaPvRmT3_T4_T5_mT6_P12ihipStream_tbENKUlT_T0_E_clISt17integral_constantIbLb1EESZ_EEDaSU_SV_EUlSU_E_NS1_11comp_targetILNS1_3genE8ELNS1_11target_archE1030ELNS1_3gpuE2ELNS1_3repE0EEENS1_30default_config_static_selectorELNS0_4arch9wavefront6targetE1EEEvT1_.num_named_barrier, 0
	.set _ZN7rocprim17ROCPRIM_400000_NS6detail17trampoline_kernelINS0_14default_configENS1_20scan_config_selectorIN3c107complexIfEEEEZZNS1_9scan_implILNS1_25lookback_scan_determinismE0ELb0ELb0ES3_PKS7_PS7_S7_ZZZN2at6native31launch_logcumsumexp_cuda_kernelERKNSE_10TensorBaseESI_lENKUlvE_clEvENKUlvE2_clEvEUlS7_S7_E_S7_EEDaPvRmT3_T4_T5_mT6_P12ihipStream_tbENKUlT_T0_E_clISt17integral_constantIbLb1EESZ_EEDaSU_SV_EUlSU_E_NS1_11comp_targetILNS1_3genE8ELNS1_11target_archE1030ELNS1_3gpuE2ELNS1_3repE0EEENS1_30default_config_static_selectorELNS0_4arch9wavefront6targetE1EEEvT1_.private_seg_size, 0
	.set _ZN7rocprim17ROCPRIM_400000_NS6detail17trampoline_kernelINS0_14default_configENS1_20scan_config_selectorIN3c107complexIfEEEEZZNS1_9scan_implILNS1_25lookback_scan_determinismE0ELb0ELb0ES3_PKS7_PS7_S7_ZZZN2at6native31launch_logcumsumexp_cuda_kernelERKNSE_10TensorBaseESI_lENKUlvE_clEvENKUlvE2_clEvEUlS7_S7_E_S7_EEDaPvRmT3_T4_T5_mT6_P12ihipStream_tbENKUlT_T0_E_clISt17integral_constantIbLb1EESZ_EEDaSU_SV_EUlSU_E_NS1_11comp_targetILNS1_3genE8ELNS1_11target_archE1030ELNS1_3gpuE2ELNS1_3repE0EEENS1_30default_config_static_selectorELNS0_4arch9wavefront6targetE1EEEvT1_.uses_vcc, 0
	.set _ZN7rocprim17ROCPRIM_400000_NS6detail17trampoline_kernelINS0_14default_configENS1_20scan_config_selectorIN3c107complexIfEEEEZZNS1_9scan_implILNS1_25lookback_scan_determinismE0ELb0ELb0ES3_PKS7_PS7_S7_ZZZN2at6native31launch_logcumsumexp_cuda_kernelERKNSE_10TensorBaseESI_lENKUlvE_clEvENKUlvE2_clEvEUlS7_S7_E_S7_EEDaPvRmT3_T4_T5_mT6_P12ihipStream_tbENKUlT_T0_E_clISt17integral_constantIbLb1EESZ_EEDaSU_SV_EUlSU_E_NS1_11comp_targetILNS1_3genE8ELNS1_11target_archE1030ELNS1_3gpuE2ELNS1_3repE0EEENS1_30default_config_static_selectorELNS0_4arch9wavefront6targetE1EEEvT1_.uses_flat_scratch, 0
	.set _ZN7rocprim17ROCPRIM_400000_NS6detail17trampoline_kernelINS0_14default_configENS1_20scan_config_selectorIN3c107complexIfEEEEZZNS1_9scan_implILNS1_25lookback_scan_determinismE0ELb0ELb0ES3_PKS7_PS7_S7_ZZZN2at6native31launch_logcumsumexp_cuda_kernelERKNSE_10TensorBaseESI_lENKUlvE_clEvENKUlvE2_clEvEUlS7_S7_E_S7_EEDaPvRmT3_T4_T5_mT6_P12ihipStream_tbENKUlT_T0_E_clISt17integral_constantIbLb1EESZ_EEDaSU_SV_EUlSU_E_NS1_11comp_targetILNS1_3genE8ELNS1_11target_archE1030ELNS1_3gpuE2ELNS1_3repE0EEENS1_30default_config_static_selectorELNS0_4arch9wavefront6targetE1EEEvT1_.has_dyn_sized_stack, 0
	.set _ZN7rocprim17ROCPRIM_400000_NS6detail17trampoline_kernelINS0_14default_configENS1_20scan_config_selectorIN3c107complexIfEEEEZZNS1_9scan_implILNS1_25lookback_scan_determinismE0ELb0ELb0ES3_PKS7_PS7_S7_ZZZN2at6native31launch_logcumsumexp_cuda_kernelERKNSE_10TensorBaseESI_lENKUlvE_clEvENKUlvE2_clEvEUlS7_S7_E_S7_EEDaPvRmT3_T4_T5_mT6_P12ihipStream_tbENKUlT_T0_E_clISt17integral_constantIbLb1EESZ_EEDaSU_SV_EUlSU_E_NS1_11comp_targetILNS1_3genE8ELNS1_11target_archE1030ELNS1_3gpuE2ELNS1_3repE0EEENS1_30default_config_static_selectorELNS0_4arch9wavefront6targetE1EEEvT1_.has_recursion, 0
	.set _ZN7rocprim17ROCPRIM_400000_NS6detail17trampoline_kernelINS0_14default_configENS1_20scan_config_selectorIN3c107complexIfEEEEZZNS1_9scan_implILNS1_25lookback_scan_determinismE0ELb0ELb0ES3_PKS7_PS7_S7_ZZZN2at6native31launch_logcumsumexp_cuda_kernelERKNSE_10TensorBaseESI_lENKUlvE_clEvENKUlvE2_clEvEUlS7_S7_E_S7_EEDaPvRmT3_T4_T5_mT6_P12ihipStream_tbENKUlT_T0_E_clISt17integral_constantIbLb1EESZ_EEDaSU_SV_EUlSU_E_NS1_11comp_targetILNS1_3genE8ELNS1_11target_archE1030ELNS1_3gpuE2ELNS1_3repE0EEENS1_30default_config_static_selectorELNS0_4arch9wavefront6targetE1EEEvT1_.has_indirect_call, 0
	.section	.AMDGPU.csdata,"",@progbits
; Kernel info:
; codeLenInByte = 0
; TotalNumSgprs: 4
; NumVgprs: 0
; ScratchSize: 0
; MemoryBound: 0
; FloatMode: 240
; IeeeMode: 1
; LDSByteSize: 0 bytes/workgroup (compile time only)
; SGPRBlocks: 0
; VGPRBlocks: 0
; NumSGPRsForWavesPerEU: 4
; NumVGPRsForWavesPerEU: 1
; Occupancy: 10
; WaveLimiterHint : 0
; COMPUTE_PGM_RSRC2:SCRATCH_EN: 0
; COMPUTE_PGM_RSRC2:USER_SGPR: 6
; COMPUTE_PGM_RSRC2:TRAP_HANDLER: 0
; COMPUTE_PGM_RSRC2:TGID_X_EN: 1
; COMPUTE_PGM_RSRC2:TGID_Y_EN: 0
; COMPUTE_PGM_RSRC2:TGID_Z_EN: 0
; COMPUTE_PGM_RSRC2:TIDIG_COMP_CNT: 0
	.section	.text._ZN7rocprim17ROCPRIM_400000_NS6detail17trampoline_kernelINS0_14default_configENS1_20scan_config_selectorIN3c107complexIfEEEEZZNS1_9scan_implILNS1_25lookback_scan_determinismE0ELb0ELb0ES3_PKS7_PS7_S7_ZZZN2at6native31launch_logcumsumexp_cuda_kernelERKNSE_10TensorBaseESI_lENKUlvE_clEvENKUlvE2_clEvEUlS7_S7_E_S7_EEDaPvRmT3_T4_T5_mT6_P12ihipStream_tbENKUlT_T0_E_clISt17integral_constantIbLb1EESZ_EEDaSU_SV_EUlSU_E0_NS1_11comp_targetILNS1_3genE0ELNS1_11target_archE4294967295ELNS1_3gpuE0ELNS1_3repE0EEENS1_30default_config_static_selectorELNS0_4arch9wavefront6targetE1EEEvT1_,"axG",@progbits,_ZN7rocprim17ROCPRIM_400000_NS6detail17trampoline_kernelINS0_14default_configENS1_20scan_config_selectorIN3c107complexIfEEEEZZNS1_9scan_implILNS1_25lookback_scan_determinismE0ELb0ELb0ES3_PKS7_PS7_S7_ZZZN2at6native31launch_logcumsumexp_cuda_kernelERKNSE_10TensorBaseESI_lENKUlvE_clEvENKUlvE2_clEvEUlS7_S7_E_S7_EEDaPvRmT3_T4_T5_mT6_P12ihipStream_tbENKUlT_T0_E_clISt17integral_constantIbLb1EESZ_EEDaSU_SV_EUlSU_E0_NS1_11comp_targetILNS1_3genE0ELNS1_11target_archE4294967295ELNS1_3gpuE0ELNS1_3repE0EEENS1_30default_config_static_selectorELNS0_4arch9wavefront6targetE1EEEvT1_,comdat
	.globl	_ZN7rocprim17ROCPRIM_400000_NS6detail17trampoline_kernelINS0_14default_configENS1_20scan_config_selectorIN3c107complexIfEEEEZZNS1_9scan_implILNS1_25lookback_scan_determinismE0ELb0ELb0ES3_PKS7_PS7_S7_ZZZN2at6native31launch_logcumsumexp_cuda_kernelERKNSE_10TensorBaseESI_lENKUlvE_clEvENKUlvE2_clEvEUlS7_S7_E_S7_EEDaPvRmT3_T4_T5_mT6_P12ihipStream_tbENKUlT_T0_E_clISt17integral_constantIbLb1EESZ_EEDaSU_SV_EUlSU_E0_NS1_11comp_targetILNS1_3genE0ELNS1_11target_archE4294967295ELNS1_3gpuE0ELNS1_3repE0EEENS1_30default_config_static_selectorELNS0_4arch9wavefront6targetE1EEEvT1_ ; -- Begin function _ZN7rocprim17ROCPRIM_400000_NS6detail17trampoline_kernelINS0_14default_configENS1_20scan_config_selectorIN3c107complexIfEEEEZZNS1_9scan_implILNS1_25lookback_scan_determinismE0ELb0ELb0ES3_PKS7_PS7_S7_ZZZN2at6native31launch_logcumsumexp_cuda_kernelERKNSE_10TensorBaseESI_lENKUlvE_clEvENKUlvE2_clEvEUlS7_S7_E_S7_EEDaPvRmT3_T4_T5_mT6_P12ihipStream_tbENKUlT_T0_E_clISt17integral_constantIbLb1EESZ_EEDaSU_SV_EUlSU_E0_NS1_11comp_targetILNS1_3genE0ELNS1_11target_archE4294967295ELNS1_3gpuE0ELNS1_3repE0EEENS1_30default_config_static_selectorELNS0_4arch9wavefront6targetE1EEEvT1_
	.p2align	8
	.type	_ZN7rocprim17ROCPRIM_400000_NS6detail17trampoline_kernelINS0_14default_configENS1_20scan_config_selectorIN3c107complexIfEEEEZZNS1_9scan_implILNS1_25lookback_scan_determinismE0ELb0ELb0ES3_PKS7_PS7_S7_ZZZN2at6native31launch_logcumsumexp_cuda_kernelERKNSE_10TensorBaseESI_lENKUlvE_clEvENKUlvE2_clEvEUlS7_S7_E_S7_EEDaPvRmT3_T4_T5_mT6_P12ihipStream_tbENKUlT_T0_E_clISt17integral_constantIbLb1EESZ_EEDaSU_SV_EUlSU_E0_NS1_11comp_targetILNS1_3genE0ELNS1_11target_archE4294967295ELNS1_3gpuE0ELNS1_3repE0EEENS1_30default_config_static_selectorELNS0_4arch9wavefront6targetE1EEEvT1_,@function
_ZN7rocprim17ROCPRIM_400000_NS6detail17trampoline_kernelINS0_14default_configENS1_20scan_config_selectorIN3c107complexIfEEEEZZNS1_9scan_implILNS1_25lookback_scan_determinismE0ELb0ELb0ES3_PKS7_PS7_S7_ZZZN2at6native31launch_logcumsumexp_cuda_kernelERKNSE_10TensorBaseESI_lENKUlvE_clEvENKUlvE2_clEvEUlS7_S7_E_S7_EEDaPvRmT3_T4_T5_mT6_P12ihipStream_tbENKUlT_T0_E_clISt17integral_constantIbLb1EESZ_EEDaSU_SV_EUlSU_E0_NS1_11comp_targetILNS1_3genE0ELNS1_11target_archE4294967295ELNS1_3gpuE0ELNS1_3repE0EEENS1_30default_config_static_selectorELNS0_4arch9wavefront6targetE1EEEvT1_: ; @_ZN7rocprim17ROCPRIM_400000_NS6detail17trampoline_kernelINS0_14default_configENS1_20scan_config_selectorIN3c107complexIfEEEEZZNS1_9scan_implILNS1_25lookback_scan_determinismE0ELb0ELb0ES3_PKS7_PS7_S7_ZZZN2at6native31launch_logcumsumexp_cuda_kernelERKNSE_10TensorBaseESI_lENKUlvE_clEvENKUlvE2_clEvEUlS7_S7_E_S7_EEDaPvRmT3_T4_T5_mT6_P12ihipStream_tbENKUlT_T0_E_clISt17integral_constantIbLb1EESZ_EEDaSU_SV_EUlSU_E0_NS1_11comp_targetILNS1_3genE0ELNS1_11target_archE4294967295ELNS1_3gpuE0ELNS1_3repE0EEENS1_30default_config_static_selectorELNS0_4arch9wavefront6targetE1EEEvT1_
; %bb.0:
	.section	.rodata,"a",@progbits
	.p2align	6, 0x0
	.amdhsa_kernel _ZN7rocprim17ROCPRIM_400000_NS6detail17trampoline_kernelINS0_14default_configENS1_20scan_config_selectorIN3c107complexIfEEEEZZNS1_9scan_implILNS1_25lookback_scan_determinismE0ELb0ELb0ES3_PKS7_PS7_S7_ZZZN2at6native31launch_logcumsumexp_cuda_kernelERKNSE_10TensorBaseESI_lENKUlvE_clEvENKUlvE2_clEvEUlS7_S7_E_S7_EEDaPvRmT3_T4_T5_mT6_P12ihipStream_tbENKUlT_T0_E_clISt17integral_constantIbLb1EESZ_EEDaSU_SV_EUlSU_E0_NS1_11comp_targetILNS1_3genE0ELNS1_11target_archE4294967295ELNS1_3gpuE0ELNS1_3repE0EEENS1_30default_config_static_selectorELNS0_4arch9wavefront6targetE1EEEvT1_
		.amdhsa_group_segment_fixed_size 0
		.amdhsa_private_segment_fixed_size 0
		.amdhsa_kernarg_size 40
		.amdhsa_user_sgpr_count 6
		.amdhsa_user_sgpr_private_segment_buffer 1
		.amdhsa_user_sgpr_dispatch_ptr 0
		.amdhsa_user_sgpr_queue_ptr 0
		.amdhsa_user_sgpr_kernarg_segment_ptr 1
		.amdhsa_user_sgpr_dispatch_id 0
		.amdhsa_user_sgpr_flat_scratch_init 0
		.amdhsa_user_sgpr_private_segment_size 0
		.amdhsa_uses_dynamic_stack 0
		.amdhsa_system_sgpr_private_segment_wavefront_offset 0
		.amdhsa_system_sgpr_workgroup_id_x 1
		.amdhsa_system_sgpr_workgroup_id_y 0
		.amdhsa_system_sgpr_workgroup_id_z 0
		.amdhsa_system_sgpr_workgroup_info 0
		.amdhsa_system_vgpr_workitem_id 0
		.amdhsa_next_free_vgpr 1
		.amdhsa_next_free_sgpr 0
		.amdhsa_reserve_vcc 0
		.amdhsa_reserve_flat_scratch 0
		.amdhsa_float_round_mode_32 0
		.amdhsa_float_round_mode_16_64 0
		.amdhsa_float_denorm_mode_32 3
		.amdhsa_float_denorm_mode_16_64 3
		.amdhsa_dx10_clamp 1
		.amdhsa_ieee_mode 1
		.amdhsa_fp16_overflow 0
		.amdhsa_exception_fp_ieee_invalid_op 0
		.amdhsa_exception_fp_denorm_src 0
		.amdhsa_exception_fp_ieee_div_zero 0
		.amdhsa_exception_fp_ieee_overflow 0
		.amdhsa_exception_fp_ieee_underflow 0
		.amdhsa_exception_fp_ieee_inexact 0
		.amdhsa_exception_int_div_zero 0
	.end_amdhsa_kernel
	.section	.text._ZN7rocprim17ROCPRIM_400000_NS6detail17trampoline_kernelINS0_14default_configENS1_20scan_config_selectorIN3c107complexIfEEEEZZNS1_9scan_implILNS1_25lookback_scan_determinismE0ELb0ELb0ES3_PKS7_PS7_S7_ZZZN2at6native31launch_logcumsumexp_cuda_kernelERKNSE_10TensorBaseESI_lENKUlvE_clEvENKUlvE2_clEvEUlS7_S7_E_S7_EEDaPvRmT3_T4_T5_mT6_P12ihipStream_tbENKUlT_T0_E_clISt17integral_constantIbLb1EESZ_EEDaSU_SV_EUlSU_E0_NS1_11comp_targetILNS1_3genE0ELNS1_11target_archE4294967295ELNS1_3gpuE0ELNS1_3repE0EEENS1_30default_config_static_selectorELNS0_4arch9wavefront6targetE1EEEvT1_,"axG",@progbits,_ZN7rocprim17ROCPRIM_400000_NS6detail17trampoline_kernelINS0_14default_configENS1_20scan_config_selectorIN3c107complexIfEEEEZZNS1_9scan_implILNS1_25lookback_scan_determinismE0ELb0ELb0ES3_PKS7_PS7_S7_ZZZN2at6native31launch_logcumsumexp_cuda_kernelERKNSE_10TensorBaseESI_lENKUlvE_clEvENKUlvE2_clEvEUlS7_S7_E_S7_EEDaPvRmT3_T4_T5_mT6_P12ihipStream_tbENKUlT_T0_E_clISt17integral_constantIbLb1EESZ_EEDaSU_SV_EUlSU_E0_NS1_11comp_targetILNS1_3genE0ELNS1_11target_archE4294967295ELNS1_3gpuE0ELNS1_3repE0EEENS1_30default_config_static_selectorELNS0_4arch9wavefront6targetE1EEEvT1_,comdat
.Lfunc_end300:
	.size	_ZN7rocprim17ROCPRIM_400000_NS6detail17trampoline_kernelINS0_14default_configENS1_20scan_config_selectorIN3c107complexIfEEEEZZNS1_9scan_implILNS1_25lookback_scan_determinismE0ELb0ELb0ES3_PKS7_PS7_S7_ZZZN2at6native31launch_logcumsumexp_cuda_kernelERKNSE_10TensorBaseESI_lENKUlvE_clEvENKUlvE2_clEvEUlS7_S7_E_S7_EEDaPvRmT3_T4_T5_mT6_P12ihipStream_tbENKUlT_T0_E_clISt17integral_constantIbLb1EESZ_EEDaSU_SV_EUlSU_E0_NS1_11comp_targetILNS1_3genE0ELNS1_11target_archE4294967295ELNS1_3gpuE0ELNS1_3repE0EEENS1_30default_config_static_selectorELNS0_4arch9wavefront6targetE1EEEvT1_, .Lfunc_end300-_ZN7rocprim17ROCPRIM_400000_NS6detail17trampoline_kernelINS0_14default_configENS1_20scan_config_selectorIN3c107complexIfEEEEZZNS1_9scan_implILNS1_25lookback_scan_determinismE0ELb0ELb0ES3_PKS7_PS7_S7_ZZZN2at6native31launch_logcumsumexp_cuda_kernelERKNSE_10TensorBaseESI_lENKUlvE_clEvENKUlvE2_clEvEUlS7_S7_E_S7_EEDaPvRmT3_T4_T5_mT6_P12ihipStream_tbENKUlT_T0_E_clISt17integral_constantIbLb1EESZ_EEDaSU_SV_EUlSU_E0_NS1_11comp_targetILNS1_3genE0ELNS1_11target_archE4294967295ELNS1_3gpuE0ELNS1_3repE0EEENS1_30default_config_static_selectorELNS0_4arch9wavefront6targetE1EEEvT1_
                                        ; -- End function
	.set _ZN7rocprim17ROCPRIM_400000_NS6detail17trampoline_kernelINS0_14default_configENS1_20scan_config_selectorIN3c107complexIfEEEEZZNS1_9scan_implILNS1_25lookback_scan_determinismE0ELb0ELb0ES3_PKS7_PS7_S7_ZZZN2at6native31launch_logcumsumexp_cuda_kernelERKNSE_10TensorBaseESI_lENKUlvE_clEvENKUlvE2_clEvEUlS7_S7_E_S7_EEDaPvRmT3_T4_T5_mT6_P12ihipStream_tbENKUlT_T0_E_clISt17integral_constantIbLb1EESZ_EEDaSU_SV_EUlSU_E0_NS1_11comp_targetILNS1_3genE0ELNS1_11target_archE4294967295ELNS1_3gpuE0ELNS1_3repE0EEENS1_30default_config_static_selectorELNS0_4arch9wavefront6targetE1EEEvT1_.num_vgpr, 0
	.set _ZN7rocprim17ROCPRIM_400000_NS6detail17trampoline_kernelINS0_14default_configENS1_20scan_config_selectorIN3c107complexIfEEEEZZNS1_9scan_implILNS1_25lookback_scan_determinismE0ELb0ELb0ES3_PKS7_PS7_S7_ZZZN2at6native31launch_logcumsumexp_cuda_kernelERKNSE_10TensorBaseESI_lENKUlvE_clEvENKUlvE2_clEvEUlS7_S7_E_S7_EEDaPvRmT3_T4_T5_mT6_P12ihipStream_tbENKUlT_T0_E_clISt17integral_constantIbLb1EESZ_EEDaSU_SV_EUlSU_E0_NS1_11comp_targetILNS1_3genE0ELNS1_11target_archE4294967295ELNS1_3gpuE0ELNS1_3repE0EEENS1_30default_config_static_selectorELNS0_4arch9wavefront6targetE1EEEvT1_.num_agpr, 0
	.set _ZN7rocprim17ROCPRIM_400000_NS6detail17trampoline_kernelINS0_14default_configENS1_20scan_config_selectorIN3c107complexIfEEEEZZNS1_9scan_implILNS1_25lookback_scan_determinismE0ELb0ELb0ES3_PKS7_PS7_S7_ZZZN2at6native31launch_logcumsumexp_cuda_kernelERKNSE_10TensorBaseESI_lENKUlvE_clEvENKUlvE2_clEvEUlS7_S7_E_S7_EEDaPvRmT3_T4_T5_mT6_P12ihipStream_tbENKUlT_T0_E_clISt17integral_constantIbLb1EESZ_EEDaSU_SV_EUlSU_E0_NS1_11comp_targetILNS1_3genE0ELNS1_11target_archE4294967295ELNS1_3gpuE0ELNS1_3repE0EEENS1_30default_config_static_selectorELNS0_4arch9wavefront6targetE1EEEvT1_.numbered_sgpr, 0
	.set _ZN7rocprim17ROCPRIM_400000_NS6detail17trampoline_kernelINS0_14default_configENS1_20scan_config_selectorIN3c107complexIfEEEEZZNS1_9scan_implILNS1_25lookback_scan_determinismE0ELb0ELb0ES3_PKS7_PS7_S7_ZZZN2at6native31launch_logcumsumexp_cuda_kernelERKNSE_10TensorBaseESI_lENKUlvE_clEvENKUlvE2_clEvEUlS7_S7_E_S7_EEDaPvRmT3_T4_T5_mT6_P12ihipStream_tbENKUlT_T0_E_clISt17integral_constantIbLb1EESZ_EEDaSU_SV_EUlSU_E0_NS1_11comp_targetILNS1_3genE0ELNS1_11target_archE4294967295ELNS1_3gpuE0ELNS1_3repE0EEENS1_30default_config_static_selectorELNS0_4arch9wavefront6targetE1EEEvT1_.num_named_barrier, 0
	.set _ZN7rocprim17ROCPRIM_400000_NS6detail17trampoline_kernelINS0_14default_configENS1_20scan_config_selectorIN3c107complexIfEEEEZZNS1_9scan_implILNS1_25lookback_scan_determinismE0ELb0ELb0ES3_PKS7_PS7_S7_ZZZN2at6native31launch_logcumsumexp_cuda_kernelERKNSE_10TensorBaseESI_lENKUlvE_clEvENKUlvE2_clEvEUlS7_S7_E_S7_EEDaPvRmT3_T4_T5_mT6_P12ihipStream_tbENKUlT_T0_E_clISt17integral_constantIbLb1EESZ_EEDaSU_SV_EUlSU_E0_NS1_11comp_targetILNS1_3genE0ELNS1_11target_archE4294967295ELNS1_3gpuE0ELNS1_3repE0EEENS1_30default_config_static_selectorELNS0_4arch9wavefront6targetE1EEEvT1_.private_seg_size, 0
	.set _ZN7rocprim17ROCPRIM_400000_NS6detail17trampoline_kernelINS0_14default_configENS1_20scan_config_selectorIN3c107complexIfEEEEZZNS1_9scan_implILNS1_25lookback_scan_determinismE0ELb0ELb0ES3_PKS7_PS7_S7_ZZZN2at6native31launch_logcumsumexp_cuda_kernelERKNSE_10TensorBaseESI_lENKUlvE_clEvENKUlvE2_clEvEUlS7_S7_E_S7_EEDaPvRmT3_T4_T5_mT6_P12ihipStream_tbENKUlT_T0_E_clISt17integral_constantIbLb1EESZ_EEDaSU_SV_EUlSU_E0_NS1_11comp_targetILNS1_3genE0ELNS1_11target_archE4294967295ELNS1_3gpuE0ELNS1_3repE0EEENS1_30default_config_static_selectorELNS0_4arch9wavefront6targetE1EEEvT1_.uses_vcc, 0
	.set _ZN7rocprim17ROCPRIM_400000_NS6detail17trampoline_kernelINS0_14default_configENS1_20scan_config_selectorIN3c107complexIfEEEEZZNS1_9scan_implILNS1_25lookback_scan_determinismE0ELb0ELb0ES3_PKS7_PS7_S7_ZZZN2at6native31launch_logcumsumexp_cuda_kernelERKNSE_10TensorBaseESI_lENKUlvE_clEvENKUlvE2_clEvEUlS7_S7_E_S7_EEDaPvRmT3_T4_T5_mT6_P12ihipStream_tbENKUlT_T0_E_clISt17integral_constantIbLb1EESZ_EEDaSU_SV_EUlSU_E0_NS1_11comp_targetILNS1_3genE0ELNS1_11target_archE4294967295ELNS1_3gpuE0ELNS1_3repE0EEENS1_30default_config_static_selectorELNS0_4arch9wavefront6targetE1EEEvT1_.uses_flat_scratch, 0
	.set _ZN7rocprim17ROCPRIM_400000_NS6detail17trampoline_kernelINS0_14default_configENS1_20scan_config_selectorIN3c107complexIfEEEEZZNS1_9scan_implILNS1_25lookback_scan_determinismE0ELb0ELb0ES3_PKS7_PS7_S7_ZZZN2at6native31launch_logcumsumexp_cuda_kernelERKNSE_10TensorBaseESI_lENKUlvE_clEvENKUlvE2_clEvEUlS7_S7_E_S7_EEDaPvRmT3_T4_T5_mT6_P12ihipStream_tbENKUlT_T0_E_clISt17integral_constantIbLb1EESZ_EEDaSU_SV_EUlSU_E0_NS1_11comp_targetILNS1_3genE0ELNS1_11target_archE4294967295ELNS1_3gpuE0ELNS1_3repE0EEENS1_30default_config_static_selectorELNS0_4arch9wavefront6targetE1EEEvT1_.has_dyn_sized_stack, 0
	.set _ZN7rocprim17ROCPRIM_400000_NS6detail17trampoline_kernelINS0_14default_configENS1_20scan_config_selectorIN3c107complexIfEEEEZZNS1_9scan_implILNS1_25lookback_scan_determinismE0ELb0ELb0ES3_PKS7_PS7_S7_ZZZN2at6native31launch_logcumsumexp_cuda_kernelERKNSE_10TensorBaseESI_lENKUlvE_clEvENKUlvE2_clEvEUlS7_S7_E_S7_EEDaPvRmT3_T4_T5_mT6_P12ihipStream_tbENKUlT_T0_E_clISt17integral_constantIbLb1EESZ_EEDaSU_SV_EUlSU_E0_NS1_11comp_targetILNS1_3genE0ELNS1_11target_archE4294967295ELNS1_3gpuE0ELNS1_3repE0EEENS1_30default_config_static_selectorELNS0_4arch9wavefront6targetE1EEEvT1_.has_recursion, 0
	.set _ZN7rocprim17ROCPRIM_400000_NS6detail17trampoline_kernelINS0_14default_configENS1_20scan_config_selectorIN3c107complexIfEEEEZZNS1_9scan_implILNS1_25lookback_scan_determinismE0ELb0ELb0ES3_PKS7_PS7_S7_ZZZN2at6native31launch_logcumsumexp_cuda_kernelERKNSE_10TensorBaseESI_lENKUlvE_clEvENKUlvE2_clEvEUlS7_S7_E_S7_EEDaPvRmT3_T4_T5_mT6_P12ihipStream_tbENKUlT_T0_E_clISt17integral_constantIbLb1EESZ_EEDaSU_SV_EUlSU_E0_NS1_11comp_targetILNS1_3genE0ELNS1_11target_archE4294967295ELNS1_3gpuE0ELNS1_3repE0EEENS1_30default_config_static_selectorELNS0_4arch9wavefront6targetE1EEEvT1_.has_indirect_call, 0
	.section	.AMDGPU.csdata,"",@progbits
; Kernel info:
; codeLenInByte = 0
; TotalNumSgprs: 4
; NumVgprs: 0
; ScratchSize: 0
; MemoryBound: 0
; FloatMode: 240
; IeeeMode: 1
; LDSByteSize: 0 bytes/workgroup (compile time only)
; SGPRBlocks: 0
; VGPRBlocks: 0
; NumSGPRsForWavesPerEU: 4
; NumVGPRsForWavesPerEU: 1
; Occupancy: 10
; WaveLimiterHint : 0
; COMPUTE_PGM_RSRC2:SCRATCH_EN: 0
; COMPUTE_PGM_RSRC2:USER_SGPR: 6
; COMPUTE_PGM_RSRC2:TRAP_HANDLER: 0
; COMPUTE_PGM_RSRC2:TGID_X_EN: 1
; COMPUTE_PGM_RSRC2:TGID_Y_EN: 0
; COMPUTE_PGM_RSRC2:TGID_Z_EN: 0
; COMPUTE_PGM_RSRC2:TIDIG_COMP_CNT: 0
	.section	.text._ZN7rocprim17ROCPRIM_400000_NS6detail17trampoline_kernelINS0_14default_configENS1_20scan_config_selectorIN3c107complexIfEEEEZZNS1_9scan_implILNS1_25lookback_scan_determinismE0ELb0ELb0ES3_PKS7_PS7_S7_ZZZN2at6native31launch_logcumsumexp_cuda_kernelERKNSE_10TensorBaseESI_lENKUlvE_clEvENKUlvE2_clEvEUlS7_S7_E_S7_EEDaPvRmT3_T4_T5_mT6_P12ihipStream_tbENKUlT_T0_E_clISt17integral_constantIbLb1EESZ_EEDaSU_SV_EUlSU_E0_NS1_11comp_targetILNS1_3genE5ELNS1_11target_archE942ELNS1_3gpuE9ELNS1_3repE0EEENS1_30default_config_static_selectorELNS0_4arch9wavefront6targetE1EEEvT1_,"axG",@progbits,_ZN7rocprim17ROCPRIM_400000_NS6detail17trampoline_kernelINS0_14default_configENS1_20scan_config_selectorIN3c107complexIfEEEEZZNS1_9scan_implILNS1_25lookback_scan_determinismE0ELb0ELb0ES3_PKS7_PS7_S7_ZZZN2at6native31launch_logcumsumexp_cuda_kernelERKNSE_10TensorBaseESI_lENKUlvE_clEvENKUlvE2_clEvEUlS7_S7_E_S7_EEDaPvRmT3_T4_T5_mT6_P12ihipStream_tbENKUlT_T0_E_clISt17integral_constantIbLb1EESZ_EEDaSU_SV_EUlSU_E0_NS1_11comp_targetILNS1_3genE5ELNS1_11target_archE942ELNS1_3gpuE9ELNS1_3repE0EEENS1_30default_config_static_selectorELNS0_4arch9wavefront6targetE1EEEvT1_,comdat
	.globl	_ZN7rocprim17ROCPRIM_400000_NS6detail17trampoline_kernelINS0_14default_configENS1_20scan_config_selectorIN3c107complexIfEEEEZZNS1_9scan_implILNS1_25lookback_scan_determinismE0ELb0ELb0ES3_PKS7_PS7_S7_ZZZN2at6native31launch_logcumsumexp_cuda_kernelERKNSE_10TensorBaseESI_lENKUlvE_clEvENKUlvE2_clEvEUlS7_S7_E_S7_EEDaPvRmT3_T4_T5_mT6_P12ihipStream_tbENKUlT_T0_E_clISt17integral_constantIbLb1EESZ_EEDaSU_SV_EUlSU_E0_NS1_11comp_targetILNS1_3genE5ELNS1_11target_archE942ELNS1_3gpuE9ELNS1_3repE0EEENS1_30default_config_static_selectorELNS0_4arch9wavefront6targetE1EEEvT1_ ; -- Begin function _ZN7rocprim17ROCPRIM_400000_NS6detail17trampoline_kernelINS0_14default_configENS1_20scan_config_selectorIN3c107complexIfEEEEZZNS1_9scan_implILNS1_25lookback_scan_determinismE0ELb0ELb0ES3_PKS7_PS7_S7_ZZZN2at6native31launch_logcumsumexp_cuda_kernelERKNSE_10TensorBaseESI_lENKUlvE_clEvENKUlvE2_clEvEUlS7_S7_E_S7_EEDaPvRmT3_T4_T5_mT6_P12ihipStream_tbENKUlT_T0_E_clISt17integral_constantIbLb1EESZ_EEDaSU_SV_EUlSU_E0_NS1_11comp_targetILNS1_3genE5ELNS1_11target_archE942ELNS1_3gpuE9ELNS1_3repE0EEENS1_30default_config_static_selectorELNS0_4arch9wavefront6targetE1EEEvT1_
	.p2align	8
	.type	_ZN7rocprim17ROCPRIM_400000_NS6detail17trampoline_kernelINS0_14default_configENS1_20scan_config_selectorIN3c107complexIfEEEEZZNS1_9scan_implILNS1_25lookback_scan_determinismE0ELb0ELb0ES3_PKS7_PS7_S7_ZZZN2at6native31launch_logcumsumexp_cuda_kernelERKNSE_10TensorBaseESI_lENKUlvE_clEvENKUlvE2_clEvEUlS7_S7_E_S7_EEDaPvRmT3_T4_T5_mT6_P12ihipStream_tbENKUlT_T0_E_clISt17integral_constantIbLb1EESZ_EEDaSU_SV_EUlSU_E0_NS1_11comp_targetILNS1_3genE5ELNS1_11target_archE942ELNS1_3gpuE9ELNS1_3repE0EEENS1_30default_config_static_selectorELNS0_4arch9wavefront6targetE1EEEvT1_,@function
_ZN7rocprim17ROCPRIM_400000_NS6detail17trampoline_kernelINS0_14default_configENS1_20scan_config_selectorIN3c107complexIfEEEEZZNS1_9scan_implILNS1_25lookback_scan_determinismE0ELb0ELb0ES3_PKS7_PS7_S7_ZZZN2at6native31launch_logcumsumexp_cuda_kernelERKNSE_10TensorBaseESI_lENKUlvE_clEvENKUlvE2_clEvEUlS7_S7_E_S7_EEDaPvRmT3_T4_T5_mT6_P12ihipStream_tbENKUlT_T0_E_clISt17integral_constantIbLb1EESZ_EEDaSU_SV_EUlSU_E0_NS1_11comp_targetILNS1_3genE5ELNS1_11target_archE942ELNS1_3gpuE9ELNS1_3repE0EEENS1_30default_config_static_selectorELNS0_4arch9wavefront6targetE1EEEvT1_: ; @_ZN7rocprim17ROCPRIM_400000_NS6detail17trampoline_kernelINS0_14default_configENS1_20scan_config_selectorIN3c107complexIfEEEEZZNS1_9scan_implILNS1_25lookback_scan_determinismE0ELb0ELb0ES3_PKS7_PS7_S7_ZZZN2at6native31launch_logcumsumexp_cuda_kernelERKNSE_10TensorBaseESI_lENKUlvE_clEvENKUlvE2_clEvEUlS7_S7_E_S7_EEDaPvRmT3_T4_T5_mT6_P12ihipStream_tbENKUlT_T0_E_clISt17integral_constantIbLb1EESZ_EEDaSU_SV_EUlSU_E0_NS1_11comp_targetILNS1_3genE5ELNS1_11target_archE942ELNS1_3gpuE9ELNS1_3repE0EEENS1_30default_config_static_selectorELNS0_4arch9wavefront6targetE1EEEvT1_
; %bb.0:
	.section	.rodata,"a",@progbits
	.p2align	6, 0x0
	.amdhsa_kernel _ZN7rocprim17ROCPRIM_400000_NS6detail17trampoline_kernelINS0_14default_configENS1_20scan_config_selectorIN3c107complexIfEEEEZZNS1_9scan_implILNS1_25lookback_scan_determinismE0ELb0ELb0ES3_PKS7_PS7_S7_ZZZN2at6native31launch_logcumsumexp_cuda_kernelERKNSE_10TensorBaseESI_lENKUlvE_clEvENKUlvE2_clEvEUlS7_S7_E_S7_EEDaPvRmT3_T4_T5_mT6_P12ihipStream_tbENKUlT_T0_E_clISt17integral_constantIbLb1EESZ_EEDaSU_SV_EUlSU_E0_NS1_11comp_targetILNS1_3genE5ELNS1_11target_archE942ELNS1_3gpuE9ELNS1_3repE0EEENS1_30default_config_static_selectorELNS0_4arch9wavefront6targetE1EEEvT1_
		.amdhsa_group_segment_fixed_size 0
		.amdhsa_private_segment_fixed_size 0
		.amdhsa_kernarg_size 40
		.amdhsa_user_sgpr_count 6
		.amdhsa_user_sgpr_private_segment_buffer 1
		.amdhsa_user_sgpr_dispatch_ptr 0
		.amdhsa_user_sgpr_queue_ptr 0
		.amdhsa_user_sgpr_kernarg_segment_ptr 1
		.amdhsa_user_sgpr_dispatch_id 0
		.amdhsa_user_sgpr_flat_scratch_init 0
		.amdhsa_user_sgpr_private_segment_size 0
		.amdhsa_uses_dynamic_stack 0
		.amdhsa_system_sgpr_private_segment_wavefront_offset 0
		.amdhsa_system_sgpr_workgroup_id_x 1
		.amdhsa_system_sgpr_workgroup_id_y 0
		.amdhsa_system_sgpr_workgroup_id_z 0
		.amdhsa_system_sgpr_workgroup_info 0
		.amdhsa_system_vgpr_workitem_id 0
		.amdhsa_next_free_vgpr 1
		.amdhsa_next_free_sgpr 0
		.amdhsa_reserve_vcc 0
		.amdhsa_reserve_flat_scratch 0
		.amdhsa_float_round_mode_32 0
		.amdhsa_float_round_mode_16_64 0
		.amdhsa_float_denorm_mode_32 3
		.amdhsa_float_denorm_mode_16_64 3
		.amdhsa_dx10_clamp 1
		.amdhsa_ieee_mode 1
		.amdhsa_fp16_overflow 0
		.amdhsa_exception_fp_ieee_invalid_op 0
		.amdhsa_exception_fp_denorm_src 0
		.amdhsa_exception_fp_ieee_div_zero 0
		.amdhsa_exception_fp_ieee_overflow 0
		.amdhsa_exception_fp_ieee_underflow 0
		.amdhsa_exception_fp_ieee_inexact 0
		.amdhsa_exception_int_div_zero 0
	.end_amdhsa_kernel
	.section	.text._ZN7rocprim17ROCPRIM_400000_NS6detail17trampoline_kernelINS0_14default_configENS1_20scan_config_selectorIN3c107complexIfEEEEZZNS1_9scan_implILNS1_25lookback_scan_determinismE0ELb0ELb0ES3_PKS7_PS7_S7_ZZZN2at6native31launch_logcumsumexp_cuda_kernelERKNSE_10TensorBaseESI_lENKUlvE_clEvENKUlvE2_clEvEUlS7_S7_E_S7_EEDaPvRmT3_T4_T5_mT6_P12ihipStream_tbENKUlT_T0_E_clISt17integral_constantIbLb1EESZ_EEDaSU_SV_EUlSU_E0_NS1_11comp_targetILNS1_3genE5ELNS1_11target_archE942ELNS1_3gpuE9ELNS1_3repE0EEENS1_30default_config_static_selectorELNS0_4arch9wavefront6targetE1EEEvT1_,"axG",@progbits,_ZN7rocprim17ROCPRIM_400000_NS6detail17trampoline_kernelINS0_14default_configENS1_20scan_config_selectorIN3c107complexIfEEEEZZNS1_9scan_implILNS1_25lookback_scan_determinismE0ELb0ELb0ES3_PKS7_PS7_S7_ZZZN2at6native31launch_logcumsumexp_cuda_kernelERKNSE_10TensorBaseESI_lENKUlvE_clEvENKUlvE2_clEvEUlS7_S7_E_S7_EEDaPvRmT3_T4_T5_mT6_P12ihipStream_tbENKUlT_T0_E_clISt17integral_constantIbLb1EESZ_EEDaSU_SV_EUlSU_E0_NS1_11comp_targetILNS1_3genE5ELNS1_11target_archE942ELNS1_3gpuE9ELNS1_3repE0EEENS1_30default_config_static_selectorELNS0_4arch9wavefront6targetE1EEEvT1_,comdat
.Lfunc_end301:
	.size	_ZN7rocprim17ROCPRIM_400000_NS6detail17trampoline_kernelINS0_14default_configENS1_20scan_config_selectorIN3c107complexIfEEEEZZNS1_9scan_implILNS1_25lookback_scan_determinismE0ELb0ELb0ES3_PKS7_PS7_S7_ZZZN2at6native31launch_logcumsumexp_cuda_kernelERKNSE_10TensorBaseESI_lENKUlvE_clEvENKUlvE2_clEvEUlS7_S7_E_S7_EEDaPvRmT3_T4_T5_mT6_P12ihipStream_tbENKUlT_T0_E_clISt17integral_constantIbLb1EESZ_EEDaSU_SV_EUlSU_E0_NS1_11comp_targetILNS1_3genE5ELNS1_11target_archE942ELNS1_3gpuE9ELNS1_3repE0EEENS1_30default_config_static_selectorELNS0_4arch9wavefront6targetE1EEEvT1_, .Lfunc_end301-_ZN7rocprim17ROCPRIM_400000_NS6detail17trampoline_kernelINS0_14default_configENS1_20scan_config_selectorIN3c107complexIfEEEEZZNS1_9scan_implILNS1_25lookback_scan_determinismE0ELb0ELb0ES3_PKS7_PS7_S7_ZZZN2at6native31launch_logcumsumexp_cuda_kernelERKNSE_10TensorBaseESI_lENKUlvE_clEvENKUlvE2_clEvEUlS7_S7_E_S7_EEDaPvRmT3_T4_T5_mT6_P12ihipStream_tbENKUlT_T0_E_clISt17integral_constantIbLb1EESZ_EEDaSU_SV_EUlSU_E0_NS1_11comp_targetILNS1_3genE5ELNS1_11target_archE942ELNS1_3gpuE9ELNS1_3repE0EEENS1_30default_config_static_selectorELNS0_4arch9wavefront6targetE1EEEvT1_
                                        ; -- End function
	.set _ZN7rocprim17ROCPRIM_400000_NS6detail17trampoline_kernelINS0_14default_configENS1_20scan_config_selectorIN3c107complexIfEEEEZZNS1_9scan_implILNS1_25lookback_scan_determinismE0ELb0ELb0ES3_PKS7_PS7_S7_ZZZN2at6native31launch_logcumsumexp_cuda_kernelERKNSE_10TensorBaseESI_lENKUlvE_clEvENKUlvE2_clEvEUlS7_S7_E_S7_EEDaPvRmT3_T4_T5_mT6_P12ihipStream_tbENKUlT_T0_E_clISt17integral_constantIbLb1EESZ_EEDaSU_SV_EUlSU_E0_NS1_11comp_targetILNS1_3genE5ELNS1_11target_archE942ELNS1_3gpuE9ELNS1_3repE0EEENS1_30default_config_static_selectorELNS0_4arch9wavefront6targetE1EEEvT1_.num_vgpr, 0
	.set _ZN7rocprim17ROCPRIM_400000_NS6detail17trampoline_kernelINS0_14default_configENS1_20scan_config_selectorIN3c107complexIfEEEEZZNS1_9scan_implILNS1_25lookback_scan_determinismE0ELb0ELb0ES3_PKS7_PS7_S7_ZZZN2at6native31launch_logcumsumexp_cuda_kernelERKNSE_10TensorBaseESI_lENKUlvE_clEvENKUlvE2_clEvEUlS7_S7_E_S7_EEDaPvRmT3_T4_T5_mT6_P12ihipStream_tbENKUlT_T0_E_clISt17integral_constantIbLb1EESZ_EEDaSU_SV_EUlSU_E0_NS1_11comp_targetILNS1_3genE5ELNS1_11target_archE942ELNS1_3gpuE9ELNS1_3repE0EEENS1_30default_config_static_selectorELNS0_4arch9wavefront6targetE1EEEvT1_.num_agpr, 0
	.set _ZN7rocprim17ROCPRIM_400000_NS6detail17trampoline_kernelINS0_14default_configENS1_20scan_config_selectorIN3c107complexIfEEEEZZNS1_9scan_implILNS1_25lookback_scan_determinismE0ELb0ELb0ES3_PKS7_PS7_S7_ZZZN2at6native31launch_logcumsumexp_cuda_kernelERKNSE_10TensorBaseESI_lENKUlvE_clEvENKUlvE2_clEvEUlS7_S7_E_S7_EEDaPvRmT3_T4_T5_mT6_P12ihipStream_tbENKUlT_T0_E_clISt17integral_constantIbLb1EESZ_EEDaSU_SV_EUlSU_E0_NS1_11comp_targetILNS1_3genE5ELNS1_11target_archE942ELNS1_3gpuE9ELNS1_3repE0EEENS1_30default_config_static_selectorELNS0_4arch9wavefront6targetE1EEEvT1_.numbered_sgpr, 0
	.set _ZN7rocprim17ROCPRIM_400000_NS6detail17trampoline_kernelINS0_14default_configENS1_20scan_config_selectorIN3c107complexIfEEEEZZNS1_9scan_implILNS1_25lookback_scan_determinismE0ELb0ELb0ES3_PKS7_PS7_S7_ZZZN2at6native31launch_logcumsumexp_cuda_kernelERKNSE_10TensorBaseESI_lENKUlvE_clEvENKUlvE2_clEvEUlS7_S7_E_S7_EEDaPvRmT3_T4_T5_mT6_P12ihipStream_tbENKUlT_T0_E_clISt17integral_constantIbLb1EESZ_EEDaSU_SV_EUlSU_E0_NS1_11comp_targetILNS1_3genE5ELNS1_11target_archE942ELNS1_3gpuE9ELNS1_3repE0EEENS1_30default_config_static_selectorELNS0_4arch9wavefront6targetE1EEEvT1_.num_named_barrier, 0
	.set _ZN7rocprim17ROCPRIM_400000_NS6detail17trampoline_kernelINS0_14default_configENS1_20scan_config_selectorIN3c107complexIfEEEEZZNS1_9scan_implILNS1_25lookback_scan_determinismE0ELb0ELb0ES3_PKS7_PS7_S7_ZZZN2at6native31launch_logcumsumexp_cuda_kernelERKNSE_10TensorBaseESI_lENKUlvE_clEvENKUlvE2_clEvEUlS7_S7_E_S7_EEDaPvRmT3_T4_T5_mT6_P12ihipStream_tbENKUlT_T0_E_clISt17integral_constantIbLb1EESZ_EEDaSU_SV_EUlSU_E0_NS1_11comp_targetILNS1_3genE5ELNS1_11target_archE942ELNS1_3gpuE9ELNS1_3repE0EEENS1_30default_config_static_selectorELNS0_4arch9wavefront6targetE1EEEvT1_.private_seg_size, 0
	.set _ZN7rocprim17ROCPRIM_400000_NS6detail17trampoline_kernelINS0_14default_configENS1_20scan_config_selectorIN3c107complexIfEEEEZZNS1_9scan_implILNS1_25lookback_scan_determinismE0ELb0ELb0ES3_PKS7_PS7_S7_ZZZN2at6native31launch_logcumsumexp_cuda_kernelERKNSE_10TensorBaseESI_lENKUlvE_clEvENKUlvE2_clEvEUlS7_S7_E_S7_EEDaPvRmT3_T4_T5_mT6_P12ihipStream_tbENKUlT_T0_E_clISt17integral_constantIbLb1EESZ_EEDaSU_SV_EUlSU_E0_NS1_11comp_targetILNS1_3genE5ELNS1_11target_archE942ELNS1_3gpuE9ELNS1_3repE0EEENS1_30default_config_static_selectorELNS0_4arch9wavefront6targetE1EEEvT1_.uses_vcc, 0
	.set _ZN7rocprim17ROCPRIM_400000_NS6detail17trampoline_kernelINS0_14default_configENS1_20scan_config_selectorIN3c107complexIfEEEEZZNS1_9scan_implILNS1_25lookback_scan_determinismE0ELb0ELb0ES3_PKS7_PS7_S7_ZZZN2at6native31launch_logcumsumexp_cuda_kernelERKNSE_10TensorBaseESI_lENKUlvE_clEvENKUlvE2_clEvEUlS7_S7_E_S7_EEDaPvRmT3_T4_T5_mT6_P12ihipStream_tbENKUlT_T0_E_clISt17integral_constantIbLb1EESZ_EEDaSU_SV_EUlSU_E0_NS1_11comp_targetILNS1_3genE5ELNS1_11target_archE942ELNS1_3gpuE9ELNS1_3repE0EEENS1_30default_config_static_selectorELNS0_4arch9wavefront6targetE1EEEvT1_.uses_flat_scratch, 0
	.set _ZN7rocprim17ROCPRIM_400000_NS6detail17trampoline_kernelINS0_14default_configENS1_20scan_config_selectorIN3c107complexIfEEEEZZNS1_9scan_implILNS1_25lookback_scan_determinismE0ELb0ELb0ES3_PKS7_PS7_S7_ZZZN2at6native31launch_logcumsumexp_cuda_kernelERKNSE_10TensorBaseESI_lENKUlvE_clEvENKUlvE2_clEvEUlS7_S7_E_S7_EEDaPvRmT3_T4_T5_mT6_P12ihipStream_tbENKUlT_T0_E_clISt17integral_constantIbLb1EESZ_EEDaSU_SV_EUlSU_E0_NS1_11comp_targetILNS1_3genE5ELNS1_11target_archE942ELNS1_3gpuE9ELNS1_3repE0EEENS1_30default_config_static_selectorELNS0_4arch9wavefront6targetE1EEEvT1_.has_dyn_sized_stack, 0
	.set _ZN7rocprim17ROCPRIM_400000_NS6detail17trampoline_kernelINS0_14default_configENS1_20scan_config_selectorIN3c107complexIfEEEEZZNS1_9scan_implILNS1_25lookback_scan_determinismE0ELb0ELb0ES3_PKS7_PS7_S7_ZZZN2at6native31launch_logcumsumexp_cuda_kernelERKNSE_10TensorBaseESI_lENKUlvE_clEvENKUlvE2_clEvEUlS7_S7_E_S7_EEDaPvRmT3_T4_T5_mT6_P12ihipStream_tbENKUlT_T0_E_clISt17integral_constantIbLb1EESZ_EEDaSU_SV_EUlSU_E0_NS1_11comp_targetILNS1_3genE5ELNS1_11target_archE942ELNS1_3gpuE9ELNS1_3repE0EEENS1_30default_config_static_selectorELNS0_4arch9wavefront6targetE1EEEvT1_.has_recursion, 0
	.set _ZN7rocprim17ROCPRIM_400000_NS6detail17trampoline_kernelINS0_14default_configENS1_20scan_config_selectorIN3c107complexIfEEEEZZNS1_9scan_implILNS1_25lookback_scan_determinismE0ELb0ELb0ES3_PKS7_PS7_S7_ZZZN2at6native31launch_logcumsumexp_cuda_kernelERKNSE_10TensorBaseESI_lENKUlvE_clEvENKUlvE2_clEvEUlS7_S7_E_S7_EEDaPvRmT3_T4_T5_mT6_P12ihipStream_tbENKUlT_T0_E_clISt17integral_constantIbLb1EESZ_EEDaSU_SV_EUlSU_E0_NS1_11comp_targetILNS1_3genE5ELNS1_11target_archE942ELNS1_3gpuE9ELNS1_3repE0EEENS1_30default_config_static_selectorELNS0_4arch9wavefront6targetE1EEEvT1_.has_indirect_call, 0
	.section	.AMDGPU.csdata,"",@progbits
; Kernel info:
; codeLenInByte = 0
; TotalNumSgprs: 4
; NumVgprs: 0
; ScratchSize: 0
; MemoryBound: 0
; FloatMode: 240
; IeeeMode: 1
; LDSByteSize: 0 bytes/workgroup (compile time only)
; SGPRBlocks: 0
; VGPRBlocks: 0
; NumSGPRsForWavesPerEU: 4
; NumVGPRsForWavesPerEU: 1
; Occupancy: 10
; WaveLimiterHint : 0
; COMPUTE_PGM_RSRC2:SCRATCH_EN: 0
; COMPUTE_PGM_RSRC2:USER_SGPR: 6
; COMPUTE_PGM_RSRC2:TRAP_HANDLER: 0
; COMPUTE_PGM_RSRC2:TGID_X_EN: 1
; COMPUTE_PGM_RSRC2:TGID_Y_EN: 0
; COMPUTE_PGM_RSRC2:TGID_Z_EN: 0
; COMPUTE_PGM_RSRC2:TIDIG_COMP_CNT: 0
	.section	.text._ZN7rocprim17ROCPRIM_400000_NS6detail17trampoline_kernelINS0_14default_configENS1_20scan_config_selectorIN3c107complexIfEEEEZZNS1_9scan_implILNS1_25lookback_scan_determinismE0ELb0ELb0ES3_PKS7_PS7_S7_ZZZN2at6native31launch_logcumsumexp_cuda_kernelERKNSE_10TensorBaseESI_lENKUlvE_clEvENKUlvE2_clEvEUlS7_S7_E_S7_EEDaPvRmT3_T4_T5_mT6_P12ihipStream_tbENKUlT_T0_E_clISt17integral_constantIbLb1EESZ_EEDaSU_SV_EUlSU_E0_NS1_11comp_targetILNS1_3genE4ELNS1_11target_archE910ELNS1_3gpuE8ELNS1_3repE0EEENS1_30default_config_static_selectorELNS0_4arch9wavefront6targetE1EEEvT1_,"axG",@progbits,_ZN7rocprim17ROCPRIM_400000_NS6detail17trampoline_kernelINS0_14default_configENS1_20scan_config_selectorIN3c107complexIfEEEEZZNS1_9scan_implILNS1_25lookback_scan_determinismE0ELb0ELb0ES3_PKS7_PS7_S7_ZZZN2at6native31launch_logcumsumexp_cuda_kernelERKNSE_10TensorBaseESI_lENKUlvE_clEvENKUlvE2_clEvEUlS7_S7_E_S7_EEDaPvRmT3_T4_T5_mT6_P12ihipStream_tbENKUlT_T0_E_clISt17integral_constantIbLb1EESZ_EEDaSU_SV_EUlSU_E0_NS1_11comp_targetILNS1_3genE4ELNS1_11target_archE910ELNS1_3gpuE8ELNS1_3repE0EEENS1_30default_config_static_selectorELNS0_4arch9wavefront6targetE1EEEvT1_,comdat
	.globl	_ZN7rocprim17ROCPRIM_400000_NS6detail17trampoline_kernelINS0_14default_configENS1_20scan_config_selectorIN3c107complexIfEEEEZZNS1_9scan_implILNS1_25lookback_scan_determinismE0ELb0ELb0ES3_PKS7_PS7_S7_ZZZN2at6native31launch_logcumsumexp_cuda_kernelERKNSE_10TensorBaseESI_lENKUlvE_clEvENKUlvE2_clEvEUlS7_S7_E_S7_EEDaPvRmT3_T4_T5_mT6_P12ihipStream_tbENKUlT_T0_E_clISt17integral_constantIbLb1EESZ_EEDaSU_SV_EUlSU_E0_NS1_11comp_targetILNS1_3genE4ELNS1_11target_archE910ELNS1_3gpuE8ELNS1_3repE0EEENS1_30default_config_static_selectorELNS0_4arch9wavefront6targetE1EEEvT1_ ; -- Begin function _ZN7rocprim17ROCPRIM_400000_NS6detail17trampoline_kernelINS0_14default_configENS1_20scan_config_selectorIN3c107complexIfEEEEZZNS1_9scan_implILNS1_25lookback_scan_determinismE0ELb0ELb0ES3_PKS7_PS7_S7_ZZZN2at6native31launch_logcumsumexp_cuda_kernelERKNSE_10TensorBaseESI_lENKUlvE_clEvENKUlvE2_clEvEUlS7_S7_E_S7_EEDaPvRmT3_T4_T5_mT6_P12ihipStream_tbENKUlT_T0_E_clISt17integral_constantIbLb1EESZ_EEDaSU_SV_EUlSU_E0_NS1_11comp_targetILNS1_3genE4ELNS1_11target_archE910ELNS1_3gpuE8ELNS1_3repE0EEENS1_30default_config_static_selectorELNS0_4arch9wavefront6targetE1EEEvT1_
	.p2align	8
	.type	_ZN7rocprim17ROCPRIM_400000_NS6detail17trampoline_kernelINS0_14default_configENS1_20scan_config_selectorIN3c107complexIfEEEEZZNS1_9scan_implILNS1_25lookback_scan_determinismE0ELb0ELb0ES3_PKS7_PS7_S7_ZZZN2at6native31launch_logcumsumexp_cuda_kernelERKNSE_10TensorBaseESI_lENKUlvE_clEvENKUlvE2_clEvEUlS7_S7_E_S7_EEDaPvRmT3_T4_T5_mT6_P12ihipStream_tbENKUlT_T0_E_clISt17integral_constantIbLb1EESZ_EEDaSU_SV_EUlSU_E0_NS1_11comp_targetILNS1_3genE4ELNS1_11target_archE910ELNS1_3gpuE8ELNS1_3repE0EEENS1_30default_config_static_selectorELNS0_4arch9wavefront6targetE1EEEvT1_,@function
_ZN7rocprim17ROCPRIM_400000_NS6detail17trampoline_kernelINS0_14default_configENS1_20scan_config_selectorIN3c107complexIfEEEEZZNS1_9scan_implILNS1_25lookback_scan_determinismE0ELb0ELb0ES3_PKS7_PS7_S7_ZZZN2at6native31launch_logcumsumexp_cuda_kernelERKNSE_10TensorBaseESI_lENKUlvE_clEvENKUlvE2_clEvEUlS7_S7_E_S7_EEDaPvRmT3_T4_T5_mT6_P12ihipStream_tbENKUlT_T0_E_clISt17integral_constantIbLb1EESZ_EEDaSU_SV_EUlSU_E0_NS1_11comp_targetILNS1_3genE4ELNS1_11target_archE910ELNS1_3gpuE8ELNS1_3repE0EEENS1_30default_config_static_selectorELNS0_4arch9wavefront6targetE1EEEvT1_: ; @_ZN7rocprim17ROCPRIM_400000_NS6detail17trampoline_kernelINS0_14default_configENS1_20scan_config_selectorIN3c107complexIfEEEEZZNS1_9scan_implILNS1_25lookback_scan_determinismE0ELb0ELb0ES3_PKS7_PS7_S7_ZZZN2at6native31launch_logcumsumexp_cuda_kernelERKNSE_10TensorBaseESI_lENKUlvE_clEvENKUlvE2_clEvEUlS7_S7_E_S7_EEDaPvRmT3_T4_T5_mT6_P12ihipStream_tbENKUlT_T0_E_clISt17integral_constantIbLb1EESZ_EEDaSU_SV_EUlSU_E0_NS1_11comp_targetILNS1_3genE4ELNS1_11target_archE910ELNS1_3gpuE8ELNS1_3repE0EEENS1_30default_config_static_selectorELNS0_4arch9wavefront6targetE1EEEvT1_
; %bb.0:
	.section	.rodata,"a",@progbits
	.p2align	6, 0x0
	.amdhsa_kernel _ZN7rocprim17ROCPRIM_400000_NS6detail17trampoline_kernelINS0_14default_configENS1_20scan_config_selectorIN3c107complexIfEEEEZZNS1_9scan_implILNS1_25lookback_scan_determinismE0ELb0ELb0ES3_PKS7_PS7_S7_ZZZN2at6native31launch_logcumsumexp_cuda_kernelERKNSE_10TensorBaseESI_lENKUlvE_clEvENKUlvE2_clEvEUlS7_S7_E_S7_EEDaPvRmT3_T4_T5_mT6_P12ihipStream_tbENKUlT_T0_E_clISt17integral_constantIbLb1EESZ_EEDaSU_SV_EUlSU_E0_NS1_11comp_targetILNS1_3genE4ELNS1_11target_archE910ELNS1_3gpuE8ELNS1_3repE0EEENS1_30default_config_static_selectorELNS0_4arch9wavefront6targetE1EEEvT1_
		.amdhsa_group_segment_fixed_size 0
		.amdhsa_private_segment_fixed_size 0
		.amdhsa_kernarg_size 40
		.amdhsa_user_sgpr_count 6
		.amdhsa_user_sgpr_private_segment_buffer 1
		.amdhsa_user_sgpr_dispatch_ptr 0
		.amdhsa_user_sgpr_queue_ptr 0
		.amdhsa_user_sgpr_kernarg_segment_ptr 1
		.amdhsa_user_sgpr_dispatch_id 0
		.amdhsa_user_sgpr_flat_scratch_init 0
		.amdhsa_user_sgpr_private_segment_size 0
		.amdhsa_uses_dynamic_stack 0
		.amdhsa_system_sgpr_private_segment_wavefront_offset 0
		.amdhsa_system_sgpr_workgroup_id_x 1
		.amdhsa_system_sgpr_workgroup_id_y 0
		.amdhsa_system_sgpr_workgroup_id_z 0
		.amdhsa_system_sgpr_workgroup_info 0
		.amdhsa_system_vgpr_workitem_id 0
		.amdhsa_next_free_vgpr 1
		.amdhsa_next_free_sgpr 0
		.amdhsa_reserve_vcc 0
		.amdhsa_reserve_flat_scratch 0
		.amdhsa_float_round_mode_32 0
		.amdhsa_float_round_mode_16_64 0
		.amdhsa_float_denorm_mode_32 3
		.amdhsa_float_denorm_mode_16_64 3
		.amdhsa_dx10_clamp 1
		.amdhsa_ieee_mode 1
		.amdhsa_fp16_overflow 0
		.amdhsa_exception_fp_ieee_invalid_op 0
		.amdhsa_exception_fp_denorm_src 0
		.amdhsa_exception_fp_ieee_div_zero 0
		.amdhsa_exception_fp_ieee_overflow 0
		.amdhsa_exception_fp_ieee_underflow 0
		.amdhsa_exception_fp_ieee_inexact 0
		.amdhsa_exception_int_div_zero 0
	.end_amdhsa_kernel
	.section	.text._ZN7rocprim17ROCPRIM_400000_NS6detail17trampoline_kernelINS0_14default_configENS1_20scan_config_selectorIN3c107complexIfEEEEZZNS1_9scan_implILNS1_25lookback_scan_determinismE0ELb0ELb0ES3_PKS7_PS7_S7_ZZZN2at6native31launch_logcumsumexp_cuda_kernelERKNSE_10TensorBaseESI_lENKUlvE_clEvENKUlvE2_clEvEUlS7_S7_E_S7_EEDaPvRmT3_T4_T5_mT6_P12ihipStream_tbENKUlT_T0_E_clISt17integral_constantIbLb1EESZ_EEDaSU_SV_EUlSU_E0_NS1_11comp_targetILNS1_3genE4ELNS1_11target_archE910ELNS1_3gpuE8ELNS1_3repE0EEENS1_30default_config_static_selectorELNS0_4arch9wavefront6targetE1EEEvT1_,"axG",@progbits,_ZN7rocprim17ROCPRIM_400000_NS6detail17trampoline_kernelINS0_14default_configENS1_20scan_config_selectorIN3c107complexIfEEEEZZNS1_9scan_implILNS1_25lookback_scan_determinismE0ELb0ELb0ES3_PKS7_PS7_S7_ZZZN2at6native31launch_logcumsumexp_cuda_kernelERKNSE_10TensorBaseESI_lENKUlvE_clEvENKUlvE2_clEvEUlS7_S7_E_S7_EEDaPvRmT3_T4_T5_mT6_P12ihipStream_tbENKUlT_T0_E_clISt17integral_constantIbLb1EESZ_EEDaSU_SV_EUlSU_E0_NS1_11comp_targetILNS1_3genE4ELNS1_11target_archE910ELNS1_3gpuE8ELNS1_3repE0EEENS1_30default_config_static_selectorELNS0_4arch9wavefront6targetE1EEEvT1_,comdat
.Lfunc_end302:
	.size	_ZN7rocprim17ROCPRIM_400000_NS6detail17trampoline_kernelINS0_14default_configENS1_20scan_config_selectorIN3c107complexIfEEEEZZNS1_9scan_implILNS1_25lookback_scan_determinismE0ELb0ELb0ES3_PKS7_PS7_S7_ZZZN2at6native31launch_logcumsumexp_cuda_kernelERKNSE_10TensorBaseESI_lENKUlvE_clEvENKUlvE2_clEvEUlS7_S7_E_S7_EEDaPvRmT3_T4_T5_mT6_P12ihipStream_tbENKUlT_T0_E_clISt17integral_constantIbLb1EESZ_EEDaSU_SV_EUlSU_E0_NS1_11comp_targetILNS1_3genE4ELNS1_11target_archE910ELNS1_3gpuE8ELNS1_3repE0EEENS1_30default_config_static_selectorELNS0_4arch9wavefront6targetE1EEEvT1_, .Lfunc_end302-_ZN7rocprim17ROCPRIM_400000_NS6detail17trampoline_kernelINS0_14default_configENS1_20scan_config_selectorIN3c107complexIfEEEEZZNS1_9scan_implILNS1_25lookback_scan_determinismE0ELb0ELb0ES3_PKS7_PS7_S7_ZZZN2at6native31launch_logcumsumexp_cuda_kernelERKNSE_10TensorBaseESI_lENKUlvE_clEvENKUlvE2_clEvEUlS7_S7_E_S7_EEDaPvRmT3_T4_T5_mT6_P12ihipStream_tbENKUlT_T0_E_clISt17integral_constantIbLb1EESZ_EEDaSU_SV_EUlSU_E0_NS1_11comp_targetILNS1_3genE4ELNS1_11target_archE910ELNS1_3gpuE8ELNS1_3repE0EEENS1_30default_config_static_selectorELNS0_4arch9wavefront6targetE1EEEvT1_
                                        ; -- End function
	.set _ZN7rocprim17ROCPRIM_400000_NS6detail17trampoline_kernelINS0_14default_configENS1_20scan_config_selectorIN3c107complexIfEEEEZZNS1_9scan_implILNS1_25lookback_scan_determinismE0ELb0ELb0ES3_PKS7_PS7_S7_ZZZN2at6native31launch_logcumsumexp_cuda_kernelERKNSE_10TensorBaseESI_lENKUlvE_clEvENKUlvE2_clEvEUlS7_S7_E_S7_EEDaPvRmT3_T4_T5_mT6_P12ihipStream_tbENKUlT_T0_E_clISt17integral_constantIbLb1EESZ_EEDaSU_SV_EUlSU_E0_NS1_11comp_targetILNS1_3genE4ELNS1_11target_archE910ELNS1_3gpuE8ELNS1_3repE0EEENS1_30default_config_static_selectorELNS0_4arch9wavefront6targetE1EEEvT1_.num_vgpr, 0
	.set _ZN7rocprim17ROCPRIM_400000_NS6detail17trampoline_kernelINS0_14default_configENS1_20scan_config_selectorIN3c107complexIfEEEEZZNS1_9scan_implILNS1_25lookback_scan_determinismE0ELb0ELb0ES3_PKS7_PS7_S7_ZZZN2at6native31launch_logcumsumexp_cuda_kernelERKNSE_10TensorBaseESI_lENKUlvE_clEvENKUlvE2_clEvEUlS7_S7_E_S7_EEDaPvRmT3_T4_T5_mT6_P12ihipStream_tbENKUlT_T0_E_clISt17integral_constantIbLb1EESZ_EEDaSU_SV_EUlSU_E0_NS1_11comp_targetILNS1_3genE4ELNS1_11target_archE910ELNS1_3gpuE8ELNS1_3repE0EEENS1_30default_config_static_selectorELNS0_4arch9wavefront6targetE1EEEvT1_.num_agpr, 0
	.set _ZN7rocprim17ROCPRIM_400000_NS6detail17trampoline_kernelINS0_14default_configENS1_20scan_config_selectorIN3c107complexIfEEEEZZNS1_9scan_implILNS1_25lookback_scan_determinismE0ELb0ELb0ES3_PKS7_PS7_S7_ZZZN2at6native31launch_logcumsumexp_cuda_kernelERKNSE_10TensorBaseESI_lENKUlvE_clEvENKUlvE2_clEvEUlS7_S7_E_S7_EEDaPvRmT3_T4_T5_mT6_P12ihipStream_tbENKUlT_T0_E_clISt17integral_constantIbLb1EESZ_EEDaSU_SV_EUlSU_E0_NS1_11comp_targetILNS1_3genE4ELNS1_11target_archE910ELNS1_3gpuE8ELNS1_3repE0EEENS1_30default_config_static_selectorELNS0_4arch9wavefront6targetE1EEEvT1_.numbered_sgpr, 0
	.set _ZN7rocprim17ROCPRIM_400000_NS6detail17trampoline_kernelINS0_14default_configENS1_20scan_config_selectorIN3c107complexIfEEEEZZNS1_9scan_implILNS1_25lookback_scan_determinismE0ELb0ELb0ES3_PKS7_PS7_S7_ZZZN2at6native31launch_logcumsumexp_cuda_kernelERKNSE_10TensorBaseESI_lENKUlvE_clEvENKUlvE2_clEvEUlS7_S7_E_S7_EEDaPvRmT3_T4_T5_mT6_P12ihipStream_tbENKUlT_T0_E_clISt17integral_constantIbLb1EESZ_EEDaSU_SV_EUlSU_E0_NS1_11comp_targetILNS1_3genE4ELNS1_11target_archE910ELNS1_3gpuE8ELNS1_3repE0EEENS1_30default_config_static_selectorELNS0_4arch9wavefront6targetE1EEEvT1_.num_named_barrier, 0
	.set _ZN7rocprim17ROCPRIM_400000_NS6detail17trampoline_kernelINS0_14default_configENS1_20scan_config_selectorIN3c107complexIfEEEEZZNS1_9scan_implILNS1_25lookback_scan_determinismE0ELb0ELb0ES3_PKS7_PS7_S7_ZZZN2at6native31launch_logcumsumexp_cuda_kernelERKNSE_10TensorBaseESI_lENKUlvE_clEvENKUlvE2_clEvEUlS7_S7_E_S7_EEDaPvRmT3_T4_T5_mT6_P12ihipStream_tbENKUlT_T0_E_clISt17integral_constantIbLb1EESZ_EEDaSU_SV_EUlSU_E0_NS1_11comp_targetILNS1_3genE4ELNS1_11target_archE910ELNS1_3gpuE8ELNS1_3repE0EEENS1_30default_config_static_selectorELNS0_4arch9wavefront6targetE1EEEvT1_.private_seg_size, 0
	.set _ZN7rocprim17ROCPRIM_400000_NS6detail17trampoline_kernelINS0_14default_configENS1_20scan_config_selectorIN3c107complexIfEEEEZZNS1_9scan_implILNS1_25lookback_scan_determinismE0ELb0ELb0ES3_PKS7_PS7_S7_ZZZN2at6native31launch_logcumsumexp_cuda_kernelERKNSE_10TensorBaseESI_lENKUlvE_clEvENKUlvE2_clEvEUlS7_S7_E_S7_EEDaPvRmT3_T4_T5_mT6_P12ihipStream_tbENKUlT_T0_E_clISt17integral_constantIbLb1EESZ_EEDaSU_SV_EUlSU_E0_NS1_11comp_targetILNS1_3genE4ELNS1_11target_archE910ELNS1_3gpuE8ELNS1_3repE0EEENS1_30default_config_static_selectorELNS0_4arch9wavefront6targetE1EEEvT1_.uses_vcc, 0
	.set _ZN7rocprim17ROCPRIM_400000_NS6detail17trampoline_kernelINS0_14default_configENS1_20scan_config_selectorIN3c107complexIfEEEEZZNS1_9scan_implILNS1_25lookback_scan_determinismE0ELb0ELb0ES3_PKS7_PS7_S7_ZZZN2at6native31launch_logcumsumexp_cuda_kernelERKNSE_10TensorBaseESI_lENKUlvE_clEvENKUlvE2_clEvEUlS7_S7_E_S7_EEDaPvRmT3_T4_T5_mT6_P12ihipStream_tbENKUlT_T0_E_clISt17integral_constantIbLb1EESZ_EEDaSU_SV_EUlSU_E0_NS1_11comp_targetILNS1_3genE4ELNS1_11target_archE910ELNS1_3gpuE8ELNS1_3repE0EEENS1_30default_config_static_selectorELNS0_4arch9wavefront6targetE1EEEvT1_.uses_flat_scratch, 0
	.set _ZN7rocprim17ROCPRIM_400000_NS6detail17trampoline_kernelINS0_14default_configENS1_20scan_config_selectorIN3c107complexIfEEEEZZNS1_9scan_implILNS1_25lookback_scan_determinismE0ELb0ELb0ES3_PKS7_PS7_S7_ZZZN2at6native31launch_logcumsumexp_cuda_kernelERKNSE_10TensorBaseESI_lENKUlvE_clEvENKUlvE2_clEvEUlS7_S7_E_S7_EEDaPvRmT3_T4_T5_mT6_P12ihipStream_tbENKUlT_T0_E_clISt17integral_constantIbLb1EESZ_EEDaSU_SV_EUlSU_E0_NS1_11comp_targetILNS1_3genE4ELNS1_11target_archE910ELNS1_3gpuE8ELNS1_3repE0EEENS1_30default_config_static_selectorELNS0_4arch9wavefront6targetE1EEEvT1_.has_dyn_sized_stack, 0
	.set _ZN7rocprim17ROCPRIM_400000_NS6detail17trampoline_kernelINS0_14default_configENS1_20scan_config_selectorIN3c107complexIfEEEEZZNS1_9scan_implILNS1_25lookback_scan_determinismE0ELb0ELb0ES3_PKS7_PS7_S7_ZZZN2at6native31launch_logcumsumexp_cuda_kernelERKNSE_10TensorBaseESI_lENKUlvE_clEvENKUlvE2_clEvEUlS7_S7_E_S7_EEDaPvRmT3_T4_T5_mT6_P12ihipStream_tbENKUlT_T0_E_clISt17integral_constantIbLb1EESZ_EEDaSU_SV_EUlSU_E0_NS1_11comp_targetILNS1_3genE4ELNS1_11target_archE910ELNS1_3gpuE8ELNS1_3repE0EEENS1_30default_config_static_selectorELNS0_4arch9wavefront6targetE1EEEvT1_.has_recursion, 0
	.set _ZN7rocprim17ROCPRIM_400000_NS6detail17trampoline_kernelINS0_14default_configENS1_20scan_config_selectorIN3c107complexIfEEEEZZNS1_9scan_implILNS1_25lookback_scan_determinismE0ELb0ELb0ES3_PKS7_PS7_S7_ZZZN2at6native31launch_logcumsumexp_cuda_kernelERKNSE_10TensorBaseESI_lENKUlvE_clEvENKUlvE2_clEvEUlS7_S7_E_S7_EEDaPvRmT3_T4_T5_mT6_P12ihipStream_tbENKUlT_T0_E_clISt17integral_constantIbLb1EESZ_EEDaSU_SV_EUlSU_E0_NS1_11comp_targetILNS1_3genE4ELNS1_11target_archE910ELNS1_3gpuE8ELNS1_3repE0EEENS1_30default_config_static_selectorELNS0_4arch9wavefront6targetE1EEEvT1_.has_indirect_call, 0
	.section	.AMDGPU.csdata,"",@progbits
; Kernel info:
; codeLenInByte = 0
; TotalNumSgprs: 4
; NumVgprs: 0
; ScratchSize: 0
; MemoryBound: 0
; FloatMode: 240
; IeeeMode: 1
; LDSByteSize: 0 bytes/workgroup (compile time only)
; SGPRBlocks: 0
; VGPRBlocks: 0
; NumSGPRsForWavesPerEU: 4
; NumVGPRsForWavesPerEU: 1
; Occupancy: 10
; WaveLimiterHint : 0
; COMPUTE_PGM_RSRC2:SCRATCH_EN: 0
; COMPUTE_PGM_RSRC2:USER_SGPR: 6
; COMPUTE_PGM_RSRC2:TRAP_HANDLER: 0
; COMPUTE_PGM_RSRC2:TGID_X_EN: 1
; COMPUTE_PGM_RSRC2:TGID_Y_EN: 0
; COMPUTE_PGM_RSRC2:TGID_Z_EN: 0
; COMPUTE_PGM_RSRC2:TIDIG_COMP_CNT: 0
	.section	.text._ZN7rocprim17ROCPRIM_400000_NS6detail17trampoline_kernelINS0_14default_configENS1_20scan_config_selectorIN3c107complexIfEEEEZZNS1_9scan_implILNS1_25lookback_scan_determinismE0ELb0ELb0ES3_PKS7_PS7_S7_ZZZN2at6native31launch_logcumsumexp_cuda_kernelERKNSE_10TensorBaseESI_lENKUlvE_clEvENKUlvE2_clEvEUlS7_S7_E_S7_EEDaPvRmT3_T4_T5_mT6_P12ihipStream_tbENKUlT_T0_E_clISt17integral_constantIbLb1EESZ_EEDaSU_SV_EUlSU_E0_NS1_11comp_targetILNS1_3genE3ELNS1_11target_archE908ELNS1_3gpuE7ELNS1_3repE0EEENS1_30default_config_static_selectorELNS0_4arch9wavefront6targetE1EEEvT1_,"axG",@progbits,_ZN7rocprim17ROCPRIM_400000_NS6detail17trampoline_kernelINS0_14default_configENS1_20scan_config_selectorIN3c107complexIfEEEEZZNS1_9scan_implILNS1_25lookback_scan_determinismE0ELb0ELb0ES3_PKS7_PS7_S7_ZZZN2at6native31launch_logcumsumexp_cuda_kernelERKNSE_10TensorBaseESI_lENKUlvE_clEvENKUlvE2_clEvEUlS7_S7_E_S7_EEDaPvRmT3_T4_T5_mT6_P12ihipStream_tbENKUlT_T0_E_clISt17integral_constantIbLb1EESZ_EEDaSU_SV_EUlSU_E0_NS1_11comp_targetILNS1_3genE3ELNS1_11target_archE908ELNS1_3gpuE7ELNS1_3repE0EEENS1_30default_config_static_selectorELNS0_4arch9wavefront6targetE1EEEvT1_,comdat
	.globl	_ZN7rocprim17ROCPRIM_400000_NS6detail17trampoline_kernelINS0_14default_configENS1_20scan_config_selectorIN3c107complexIfEEEEZZNS1_9scan_implILNS1_25lookback_scan_determinismE0ELb0ELb0ES3_PKS7_PS7_S7_ZZZN2at6native31launch_logcumsumexp_cuda_kernelERKNSE_10TensorBaseESI_lENKUlvE_clEvENKUlvE2_clEvEUlS7_S7_E_S7_EEDaPvRmT3_T4_T5_mT6_P12ihipStream_tbENKUlT_T0_E_clISt17integral_constantIbLb1EESZ_EEDaSU_SV_EUlSU_E0_NS1_11comp_targetILNS1_3genE3ELNS1_11target_archE908ELNS1_3gpuE7ELNS1_3repE0EEENS1_30default_config_static_selectorELNS0_4arch9wavefront6targetE1EEEvT1_ ; -- Begin function _ZN7rocprim17ROCPRIM_400000_NS6detail17trampoline_kernelINS0_14default_configENS1_20scan_config_selectorIN3c107complexIfEEEEZZNS1_9scan_implILNS1_25lookback_scan_determinismE0ELb0ELb0ES3_PKS7_PS7_S7_ZZZN2at6native31launch_logcumsumexp_cuda_kernelERKNSE_10TensorBaseESI_lENKUlvE_clEvENKUlvE2_clEvEUlS7_S7_E_S7_EEDaPvRmT3_T4_T5_mT6_P12ihipStream_tbENKUlT_T0_E_clISt17integral_constantIbLb1EESZ_EEDaSU_SV_EUlSU_E0_NS1_11comp_targetILNS1_3genE3ELNS1_11target_archE908ELNS1_3gpuE7ELNS1_3repE0EEENS1_30default_config_static_selectorELNS0_4arch9wavefront6targetE1EEEvT1_
	.p2align	8
	.type	_ZN7rocprim17ROCPRIM_400000_NS6detail17trampoline_kernelINS0_14default_configENS1_20scan_config_selectorIN3c107complexIfEEEEZZNS1_9scan_implILNS1_25lookback_scan_determinismE0ELb0ELb0ES3_PKS7_PS7_S7_ZZZN2at6native31launch_logcumsumexp_cuda_kernelERKNSE_10TensorBaseESI_lENKUlvE_clEvENKUlvE2_clEvEUlS7_S7_E_S7_EEDaPvRmT3_T4_T5_mT6_P12ihipStream_tbENKUlT_T0_E_clISt17integral_constantIbLb1EESZ_EEDaSU_SV_EUlSU_E0_NS1_11comp_targetILNS1_3genE3ELNS1_11target_archE908ELNS1_3gpuE7ELNS1_3repE0EEENS1_30default_config_static_selectorELNS0_4arch9wavefront6targetE1EEEvT1_,@function
_ZN7rocprim17ROCPRIM_400000_NS6detail17trampoline_kernelINS0_14default_configENS1_20scan_config_selectorIN3c107complexIfEEEEZZNS1_9scan_implILNS1_25lookback_scan_determinismE0ELb0ELb0ES3_PKS7_PS7_S7_ZZZN2at6native31launch_logcumsumexp_cuda_kernelERKNSE_10TensorBaseESI_lENKUlvE_clEvENKUlvE2_clEvEUlS7_S7_E_S7_EEDaPvRmT3_T4_T5_mT6_P12ihipStream_tbENKUlT_T0_E_clISt17integral_constantIbLb1EESZ_EEDaSU_SV_EUlSU_E0_NS1_11comp_targetILNS1_3genE3ELNS1_11target_archE908ELNS1_3gpuE7ELNS1_3repE0EEENS1_30default_config_static_selectorELNS0_4arch9wavefront6targetE1EEEvT1_: ; @_ZN7rocprim17ROCPRIM_400000_NS6detail17trampoline_kernelINS0_14default_configENS1_20scan_config_selectorIN3c107complexIfEEEEZZNS1_9scan_implILNS1_25lookback_scan_determinismE0ELb0ELb0ES3_PKS7_PS7_S7_ZZZN2at6native31launch_logcumsumexp_cuda_kernelERKNSE_10TensorBaseESI_lENKUlvE_clEvENKUlvE2_clEvEUlS7_S7_E_S7_EEDaPvRmT3_T4_T5_mT6_P12ihipStream_tbENKUlT_T0_E_clISt17integral_constantIbLb1EESZ_EEDaSU_SV_EUlSU_E0_NS1_11comp_targetILNS1_3genE3ELNS1_11target_archE908ELNS1_3gpuE7ELNS1_3repE0EEENS1_30default_config_static_selectorELNS0_4arch9wavefront6targetE1EEEvT1_
; %bb.0:
	.section	.rodata,"a",@progbits
	.p2align	6, 0x0
	.amdhsa_kernel _ZN7rocprim17ROCPRIM_400000_NS6detail17trampoline_kernelINS0_14default_configENS1_20scan_config_selectorIN3c107complexIfEEEEZZNS1_9scan_implILNS1_25lookback_scan_determinismE0ELb0ELb0ES3_PKS7_PS7_S7_ZZZN2at6native31launch_logcumsumexp_cuda_kernelERKNSE_10TensorBaseESI_lENKUlvE_clEvENKUlvE2_clEvEUlS7_S7_E_S7_EEDaPvRmT3_T4_T5_mT6_P12ihipStream_tbENKUlT_T0_E_clISt17integral_constantIbLb1EESZ_EEDaSU_SV_EUlSU_E0_NS1_11comp_targetILNS1_3genE3ELNS1_11target_archE908ELNS1_3gpuE7ELNS1_3repE0EEENS1_30default_config_static_selectorELNS0_4arch9wavefront6targetE1EEEvT1_
		.amdhsa_group_segment_fixed_size 0
		.amdhsa_private_segment_fixed_size 0
		.amdhsa_kernarg_size 40
		.amdhsa_user_sgpr_count 6
		.amdhsa_user_sgpr_private_segment_buffer 1
		.amdhsa_user_sgpr_dispatch_ptr 0
		.amdhsa_user_sgpr_queue_ptr 0
		.amdhsa_user_sgpr_kernarg_segment_ptr 1
		.amdhsa_user_sgpr_dispatch_id 0
		.amdhsa_user_sgpr_flat_scratch_init 0
		.amdhsa_user_sgpr_private_segment_size 0
		.amdhsa_uses_dynamic_stack 0
		.amdhsa_system_sgpr_private_segment_wavefront_offset 0
		.amdhsa_system_sgpr_workgroup_id_x 1
		.amdhsa_system_sgpr_workgroup_id_y 0
		.amdhsa_system_sgpr_workgroup_id_z 0
		.amdhsa_system_sgpr_workgroup_info 0
		.amdhsa_system_vgpr_workitem_id 0
		.amdhsa_next_free_vgpr 1
		.amdhsa_next_free_sgpr 0
		.amdhsa_reserve_vcc 0
		.amdhsa_reserve_flat_scratch 0
		.amdhsa_float_round_mode_32 0
		.amdhsa_float_round_mode_16_64 0
		.amdhsa_float_denorm_mode_32 3
		.amdhsa_float_denorm_mode_16_64 3
		.amdhsa_dx10_clamp 1
		.amdhsa_ieee_mode 1
		.amdhsa_fp16_overflow 0
		.amdhsa_exception_fp_ieee_invalid_op 0
		.amdhsa_exception_fp_denorm_src 0
		.amdhsa_exception_fp_ieee_div_zero 0
		.amdhsa_exception_fp_ieee_overflow 0
		.amdhsa_exception_fp_ieee_underflow 0
		.amdhsa_exception_fp_ieee_inexact 0
		.amdhsa_exception_int_div_zero 0
	.end_amdhsa_kernel
	.section	.text._ZN7rocprim17ROCPRIM_400000_NS6detail17trampoline_kernelINS0_14default_configENS1_20scan_config_selectorIN3c107complexIfEEEEZZNS1_9scan_implILNS1_25lookback_scan_determinismE0ELb0ELb0ES3_PKS7_PS7_S7_ZZZN2at6native31launch_logcumsumexp_cuda_kernelERKNSE_10TensorBaseESI_lENKUlvE_clEvENKUlvE2_clEvEUlS7_S7_E_S7_EEDaPvRmT3_T4_T5_mT6_P12ihipStream_tbENKUlT_T0_E_clISt17integral_constantIbLb1EESZ_EEDaSU_SV_EUlSU_E0_NS1_11comp_targetILNS1_3genE3ELNS1_11target_archE908ELNS1_3gpuE7ELNS1_3repE0EEENS1_30default_config_static_selectorELNS0_4arch9wavefront6targetE1EEEvT1_,"axG",@progbits,_ZN7rocprim17ROCPRIM_400000_NS6detail17trampoline_kernelINS0_14default_configENS1_20scan_config_selectorIN3c107complexIfEEEEZZNS1_9scan_implILNS1_25lookback_scan_determinismE0ELb0ELb0ES3_PKS7_PS7_S7_ZZZN2at6native31launch_logcumsumexp_cuda_kernelERKNSE_10TensorBaseESI_lENKUlvE_clEvENKUlvE2_clEvEUlS7_S7_E_S7_EEDaPvRmT3_T4_T5_mT6_P12ihipStream_tbENKUlT_T0_E_clISt17integral_constantIbLb1EESZ_EEDaSU_SV_EUlSU_E0_NS1_11comp_targetILNS1_3genE3ELNS1_11target_archE908ELNS1_3gpuE7ELNS1_3repE0EEENS1_30default_config_static_selectorELNS0_4arch9wavefront6targetE1EEEvT1_,comdat
.Lfunc_end303:
	.size	_ZN7rocprim17ROCPRIM_400000_NS6detail17trampoline_kernelINS0_14default_configENS1_20scan_config_selectorIN3c107complexIfEEEEZZNS1_9scan_implILNS1_25lookback_scan_determinismE0ELb0ELb0ES3_PKS7_PS7_S7_ZZZN2at6native31launch_logcumsumexp_cuda_kernelERKNSE_10TensorBaseESI_lENKUlvE_clEvENKUlvE2_clEvEUlS7_S7_E_S7_EEDaPvRmT3_T4_T5_mT6_P12ihipStream_tbENKUlT_T0_E_clISt17integral_constantIbLb1EESZ_EEDaSU_SV_EUlSU_E0_NS1_11comp_targetILNS1_3genE3ELNS1_11target_archE908ELNS1_3gpuE7ELNS1_3repE0EEENS1_30default_config_static_selectorELNS0_4arch9wavefront6targetE1EEEvT1_, .Lfunc_end303-_ZN7rocprim17ROCPRIM_400000_NS6detail17trampoline_kernelINS0_14default_configENS1_20scan_config_selectorIN3c107complexIfEEEEZZNS1_9scan_implILNS1_25lookback_scan_determinismE0ELb0ELb0ES3_PKS7_PS7_S7_ZZZN2at6native31launch_logcumsumexp_cuda_kernelERKNSE_10TensorBaseESI_lENKUlvE_clEvENKUlvE2_clEvEUlS7_S7_E_S7_EEDaPvRmT3_T4_T5_mT6_P12ihipStream_tbENKUlT_T0_E_clISt17integral_constantIbLb1EESZ_EEDaSU_SV_EUlSU_E0_NS1_11comp_targetILNS1_3genE3ELNS1_11target_archE908ELNS1_3gpuE7ELNS1_3repE0EEENS1_30default_config_static_selectorELNS0_4arch9wavefront6targetE1EEEvT1_
                                        ; -- End function
	.set _ZN7rocprim17ROCPRIM_400000_NS6detail17trampoline_kernelINS0_14default_configENS1_20scan_config_selectorIN3c107complexIfEEEEZZNS1_9scan_implILNS1_25lookback_scan_determinismE0ELb0ELb0ES3_PKS7_PS7_S7_ZZZN2at6native31launch_logcumsumexp_cuda_kernelERKNSE_10TensorBaseESI_lENKUlvE_clEvENKUlvE2_clEvEUlS7_S7_E_S7_EEDaPvRmT3_T4_T5_mT6_P12ihipStream_tbENKUlT_T0_E_clISt17integral_constantIbLb1EESZ_EEDaSU_SV_EUlSU_E0_NS1_11comp_targetILNS1_3genE3ELNS1_11target_archE908ELNS1_3gpuE7ELNS1_3repE0EEENS1_30default_config_static_selectorELNS0_4arch9wavefront6targetE1EEEvT1_.num_vgpr, 0
	.set _ZN7rocprim17ROCPRIM_400000_NS6detail17trampoline_kernelINS0_14default_configENS1_20scan_config_selectorIN3c107complexIfEEEEZZNS1_9scan_implILNS1_25lookback_scan_determinismE0ELb0ELb0ES3_PKS7_PS7_S7_ZZZN2at6native31launch_logcumsumexp_cuda_kernelERKNSE_10TensorBaseESI_lENKUlvE_clEvENKUlvE2_clEvEUlS7_S7_E_S7_EEDaPvRmT3_T4_T5_mT6_P12ihipStream_tbENKUlT_T0_E_clISt17integral_constantIbLb1EESZ_EEDaSU_SV_EUlSU_E0_NS1_11comp_targetILNS1_3genE3ELNS1_11target_archE908ELNS1_3gpuE7ELNS1_3repE0EEENS1_30default_config_static_selectorELNS0_4arch9wavefront6targetE1EEEvT1_.num_agpr, 0
	.set _ZN7rocprim17ROCPRIM_400000_NS6detail17trampoline_kernelINS0_14default_configENS1_20scan_config_selectorIN3c107complexIfEEEEZZNS1_9scan_implILNS1_25lookback_scan_determinismE0ELb0ELb0ES3_PKS7_PS7_S7_ZZZN2at6native31launch_logcumsumexp_cuda_kernelERKNSE_10TensorBaseESI_lENKUlvE_clEvENKUlvE2_clEvEUlS7_S7_E_S7_EEDaPvRmT3_T4_T5_mT6_P12ihipStream_tbENKUlT_T0_E_clISt17integral_constantIbLb1EESZ_EEDaSU_SV_EUlSU_E0_NS1_11comp_targetILNS1_3genE3ELNS1_11target_archE908ELNS1_3gpuE7ELNS1_3repE0EEENS1_30default_config_static_selectorELNS0_4arch9wavefront6targetE1EEEvT1_.numbered_sgpr, 0
	.set _ZN7rocprim17ROCPRIM_400000_NS6detail17trampoline_kernelINS0_14default_configENS1_20scan_config_selectorIN3c107complexIfEEEEZZNS1_9scan_implILNS1_25lookback_scan_determinismE0ELb0ELb0ES3_PKS7_PS7_S7_ZZZN2at6native31launch_logcumsumexp_cuda_kernelERKNSE_10TensorBaseESI_lENKUlvE_clEvENKUlvE2_clEvEUlS7_S7_E_S7_EEDaPvRmT3_T4_T5_mT6_P12ihipStream_tbENKUlT_T0_E_clISt17integral_constantIbLb1EESZ_EEDaSU_SV_EUlSU_E0_NS1_11comp_targetILNS1_3genE3ELNS1_11target_archE908ELNS1_3gpuE7ELNS1_3repE0EEENS1_30default_config_static_selectorELNS0_4arch9wavefront6targetE1EEEvT1_.num_named_barrier, 0
	.set _ZN7rocprim17ROCPRIM_400000_NS6detail17trampoline_kernelINS0_14default_configENS1_20scan_config_selectorIN3c107complexIfEEEEZZNS1_9scan_implILNS1_25lookback_scan_determinismE0ELb0ELb0ES3_PKS7_PS7_S7_ZZZN2at6native31launch_logcumsumexp_cuda_kernelERKNSE_10TensorBaseESI_lENKUlvE_clEvENKUlvE2_clEvEUlS7_S7_E_S7_EEDaPvRmT3_T4_T5_mT6_P12ihipStream_tbENKUlT_T0_E_clISt17integral_constantIbLb1EESZ_EEDaSU_SV_EUlSU_E0_NS1_11comp_targetILNS1_3genE3ELNS1_11target_archE908ELNS1_3gpuE7ELNS1_3repE0EEENS1_30default_config_static_selectorELNS0_4arch9wavefront6targetE1EEEvT1_.private_seg_size, 0
	.set _ZN7rocprim17ROCPRIM_400000_NS6detail17trampoline_kernelINS0_14default_configENS1_20scan_config_selectorIN3c107complexIfEEEEZZNS1_9scan_implILNS1_25lookback_scan_determinismE0ELb0ELb0ES3_PKS7_PS7_S7_ZZZN2at6native31launch_logcumsumexp_cuda_kernelERKNSE_10TensorBaseESI_lENKUlvE_clEvENKUlvE2_clEvEUlS7_S7_E_S7_EEDaPvRmT3_T4_T5_mT6_P12ihipStream_tbENKUlT_T0_E_clISt17integral_constantIbLb1EESZ_EEDaSU_SV_EUlSU_E0_NS1_11comp_targetILNS1_3genE3ELNS1_11target_archE908ELNS1_3gpuE7ELNS1_3repE0EEENS1_30default_config_static_selectorELNS0_4arch9wavefront6targetE1EEEvT1_.uses_vcc, 0
	.set _ZN7rocprim17ROCPRIM_400000_NS6detail17trampoline_kernelINS0_14default_configENS1_20scan_config_selectorIN3c107complexIfEEEEZZNS1_9scan_implILNS1_25lookback_scan_determinismE0ELb0ELb0ES3_PKS7_PS7_S7_ZZZN2at6native31launch_logcumsumexp_cuda_kernelERKNSE_10TensorBaseESI_lENKUlvE_clEvENKUlvE2_clEvEUlS7_S7_E_S7_EEDaPvRmT3_T4_T5_mT6_P12ihipStream_tbENKUlT_T0_E_clISt17integral_constantIbLb1EESZ_EEDaSU_SV_EUlSU_E0_NS1_11comp_targetILNS1_3genE3ELNS1_11target_archE908ELNS1_3gpuE7ELNS1_3repE0EEENS1_30default_config_static_selectorELNS0_4arch9wavefront6targetE1EEEvT1_.uses_flat_scratch, 0
	.set _ZN7rocprim17ROCPRIM_400000_NS6detail17trampoline_kernelINS0_14default_configENS1_20scan_config_selectorIN3c107complexIfEEEEZZNS1_9scan_implILNS1_25lookback_scan_determinismE0ELb0ELb0ES3_PKS7_PS7_S7_ZZZN2at6native31launch_logcumsumexp_cuda_kernelERKNSE_10TensorBaseESI_lENKUlvE_clEvENKUlvE2_clEvEUlS7_S7_E_S7_EEDaPvRmT3_T4_T5_mT6_P12ihipStream_tbENKUlT_T0_E_clISt17integral_constantIbLb1EESZ_EEDaSU_SV_EUlSU_E0_NS1_11comp_targetILNS1_3genE3ELNS1_11target_archE908ELNS1_3gpuE7ELNS1_3repE0EEENS1_30default_config_static_selectorELNS0_4arch9wavefront6targetE1EEEvT1_.has_dyn_sized_stack, 0
	.set _ZN7rocprim17ROCPRIM_400000_NS6detail17trampoline_kernelINS0_14default_configENS1_20scan_config_selectorIN3c107complexIfEEEEZZNS1_9scan_implILNS1_25lookback_scan_determinismE0ELb0ELb0ES3_PKS7_PS7_S7_ZZZN2at6native31launch_logcumsumexp_cuda_kernelERKNSE_10TensorBaseESI_lENKUlvE_clEvENKUlvE2_clEvEUlS7_S7_E_S7_EEDaPvRmT3_T4_T5_mT6_P12ihipStream_tbENKUlT_T0_E_clISt17integral_constantIbLb1EESZ_EEDaSU_SV_EUlSU_E0_NS1_11comp_targetILNS1_3genE3ELNS1_11target_archE908ELNS1_3gpuE7ELNS1_3repE0EEENS1_30default_config_static_selectorELNS0_4arch9wavefront6targetE1EEEvT1_.has_recursion, 0
	.set _ZN7rocprim17ROCPRIM_400000_NS6detail17trampoline_kernelINS0_14default_configENS1_20scan_config_selectorIN3c107complexIfEEEEZZNS1_9scan_implILNS1_25lookback_scan_determinismE0ELb0ELb0ES3_PKS7_PS7_S7_ZZZN2at6native31launch_logcumsumexp_cuda_kernelERKNSE_10TensorBaseESI_lENKUlvE_clEvENKUlvE2_clEvEUlS7_S7_E_S7_EEDaPvRmT3_T4_T5_mT6_P12ihipStream_tbENKUlT_T0_E_clISt17integral_constantIbLb1EESZ_EEDaSU_SV_EUlSU_E0_NS1_11comp_targetILNS1_3genE3ELNS1_11target_archE908ELNS1_3gpuE7ELNS1_3repE0EEENS1_30default_config_static_selectorELNS0_4arch9wavefront6targetE1EEEvT1_.has_indirect_call, 0
	.section	.AMDGPU.csdata,"",@progbits
; Kernel info:
; codeLenInByte = 0
; TotalNumSgprs: 4
; NumVgprs: 0
; ScratchSize: 0
; MemoryBound: 0
; FloatMode: 240
; IeeeMode: 1
; LDSByteSize: 0 bytes/workgroup (compile time only)
; SGPRBlocks: 0
; VGPRBlocks: 0
; NumSGPRsForWavesPerEU: 4
; NumVGPRsForWavesPerEU: 1
; Occupancy: 10
; WaveLimiterHint : 0
; COMPUTE_PGM_RSRC2:SCRATCH_EN: 0
; COMPUTE_PGM_RSRC2:USER_SGPR: 6
; COMPUTE_PGM_RSRC2:TRAP_HANDLER: 0
; COMPUTE_PGM_RSRC2:TGID_X_EN: 1
; COMPUTE_PGM_RSRC2:TGID_Y_EN: 0
; COMPUTE_PGM_RSRC2:TGID_Z_EN: 0
; COMPUTE_PGM_RSRC2:TIDIG_COMP_CNT: 0
	.section	.text._ZN7rocprim17ROCPRIM_400000_NS6detail17trampoline_kernelINS0_14default_configENS1_20scan_config_selectorIN3c107complexIfEEEEZZNS1_9scan_implILNS1_25lookback_scan_determinismE0ELb0ELb0ES3_PKS7_PS7_S7_ZZZN2at6native31launch_logcumsumexp_cuda_kernelERKNSE_10TensorBaseESI_lENKUlvE_clEvENKUlvE2_clEvEUlS7_S7_E_S7_EEDaPvRmT3_T4_T5_mT6_P12ihipStream_tbENKUlT_T0_E_clISt17integral_constantIbLb1EESZ_EEDaSU_SV_EUlSU_E0_NS1_11comp_targetILNS1_3genE2ELNS1_11target_archE906ELNS1_3gpuE6ELNS1_3repE0EEENS1_30default_config_static_selectorELNS0_4arch9wavefront6targetE1EEEvT1_,"axG",@progbits,_ZN7rocprim17ROCPRIM_400000_NS6detail17trampoline_kernelINS0_14default_configENS1_20scan_config_selectorIN3c107complexIfEEEEZZNS1_9scan_implILNS1_25lookback_scan_determinismE0ELb0ELb0ES3_PKS7_PS7_S7_ZZZN2at6native31launch_logcumsumexp_cuda_kernelERKNSE_10TensorBaseESI_lENKUlvE_clEvENKUlvE2_clEvEUlS7_S7_E_S7_EEDaPvRmT3_T4_T5_mT6_P12ihipStream_tbENKUlT_T0_E_clISt17integral_constantIbLb1EESZ_EEDaSU_SV_EUlSU_E0_NS1_11comp_targetILNS1_3genE2ELNS1_11target_archE906ELNS1_3gpuE6ELNS1_3repE0EEENS1_30default_config_static_selectorELNS0_4arch9wavefront6targetE1EEEvT1_,comdat
	.globl	_ZN7rocprim17ROCPRIM_400000_NS6detail17trampoline_kernelINS0_14default_configENS1_20scan_config_selectorIN3c107complexIfEEEEZZNS1_9scan_implILNS1_25lookback_scan_determinismE0ELb0ELb0ES3_PKS7_PS7_S7_ZZZN2at6native31launch_logcumsumexp_cuda_kernelERKNSE_10TensorBaseESI_lENKUlvE_clEvENKUlvE2_clEvEUlS7_S7_E_S7_EEDaPvRmT3_T4_T5_mT6_P12ihipStream_tbENKUlT_T0_E_clISt17integral_constantIbLb1EESZ_EEDaSU_SV_EUlSU_E0_NS1_11comp_targetILNS1_3genE2ELNS1_11target_archE906ELNS1_3gpuE6ELNS1_3repE0EEENS1_30default_config_static_selectorELNS0_4arch9wavefront6targetE1EEEvT1_ ; -- Begin function _ZN7rocprim17ROCPRIM_400000_NS6detail17trampoline_kernelINS0_14default_configENS1_20scan_config_selectorIN3c107complexIfEEEEZZNS1_9scan_implILNS1_25lookback_scan_determinismE0ELb0ELb0ES3_PKS7_PS7_S7_ZZZN2at6native31launch_logcumsumexp_cuda_kernelERKNSE_10TensorBaseESI_lENKUlvE_clEvENKUlvE2_clEvEUlS7_S7_E_S7_EEDaPvRmT3_T4_T5_mT6_P12ihipStream_tbENKUlT_T0_E_clISt17integral_constantIbLb1EESZ_EEDaSU_SV_EUlSU_E0_NS1_11comp_targetILNS1_3genE2ELNS1_11target_archE906ELNS1_3gpuE6ELNS1_3repE0EEENS1_30default_config_static_selectorELNS0_4arch9wavefront6targetE1EEEvT1_
	.p2align	8
	.type	_ZN7rocprim17ROCPRIM_400000_NS6detail17trampoline_kernelINS0_14default_configENS1_20scan_config_selectorIN3c107complexIfEEEEZZNS1_9scan_implILNS1_25lookback_scan_determinismE0ELb0ELb0ES3_PKS7_PS7_S7_ZZZN2at6native31launch_logcumsumexp_cuda_kernelERKNSE_10TensorBaseESI_lENKUlvE_clEvENKUlvE2_clEvEUlS7_S7_E_S7_EEDaPvRmT3_T4_T5_mT6_P12ihipStream_tbENKUlT_T0_E_clISt17integral_constantIbLb1EESZ_EEDaSU_SV_EUlSU_E0_NS1_11comp_targetILNS1_3genE2ELNS1_11target_archE906ELNS1_3gpuE6ELNS1_3repE0EEENS1_30default_config_static_selectorELNS0_4arch9wavefront6targetE1EEEvT1_,@function
_ZN7rocprim17ROCPRIM_400000_NS6detail17trampoline_kernelINS0_14default_configENS1_20scan_config_selectorIN3c107complexIfEEEEZZNS1_9scan_implILNS1_25lookback_scan_determinismE0ELb0ELb0ES3_PKS7_PS7_S7_ZZZN2at6native31launch_logcumsumexp_cuda_kernelERKNSE_10TensorBaseESI_lENKUlvE_clEvENKUlvE2_clEvEUlS7_S7_E_S7_EEDaPvRmT3_T4_T5_mT6_P12ihipStream_tbENKUlT_T0_E_clISt17integral_constantIbLb1EESZ_EEDaSU_SV_EUlSU_E0_NS1_11comp_targetILNS1_3genE2ELNS1_11target_archE906ELNS1_3gpuE6ELNS1_3repE0EEENS1_30default_config_static_selectorELNS0_4arch9wavefront6targetE1EEEvT1_: ; @_ZN7rocprim17ROCPRIM_400000_NS6detail17trampoline_kernelINS0_14default_configENS1_20scan_config_selectorIN3c107complexIfEEEEZZNS1_9scan_implILNS1_25lookback_scan_determinismE0ELb0ELb0ES3_PKS7_PS7_S7_ZZZN2at6native31launch_logcumsumexp_cuda_kernelERKNSE_10TensorBaseESI_lENKUlvE_clEvENKUlvE2_clEvEUlS7_S7_E_S7_EEDaPvRmT3_T4_T5_mT6_P12ihipStream_tbENKUlT_T0_E_clISt17integral_constantIbLb1EESZ_EEDaSU_SV_EUlSU_E0_NS1_11comp_targetILNS1_3genE2ELNS1_11target_archE906ELNS1_3gpuE6ELNS1_3repE0EEENS1_30default_config_static_selectorELNS0_4arch9wavefront6targetE1EEEvT1_
; %bb.0:
	s_mov_b64 s[52:53], s[4:5]
	s_add_u32 s0, s0, s7
	s_load_dwordx4 s[4:7], s[52:53], 0x0
	v_mov_b32_e32 v74, v0
	s_addc_u32 s1, s1, 0
	v_lshlrev_b32_e32 v77, 3, v74
	s_mov_b32 s32, 0
	s_waitcnt lgkmcnt(0)
	s_load_dwordx2 s[8:9], s[4:5], 0x0
	v_cmp_gt_u32_e64 s[20:21], s6, v74
	s_waitcnt lgkmcnt(0)
	v_mov_b32_e32 v1, s9
	v_mov_b32_e32 v0, s8
	s_and_saveexec_b64 s[10:11], s[20:21]
	s_cbranch_execz .LBB304_2
; %bb.1:
	global_load_dwordx2 v[0:1], v77, s[4:5]
.LBB304_2:
	s_or_b64 exec, exec, s[10:11]
	v_or_b32_e32 v2, 64, v74
	v_cmp_gt_u32_e64 s[22:23], s6, v2
	v_mov_b32_e32 v3, s9
	v_mov_b32_e32 v2, s8
	s_and_saveexec_b64 s[10:11], s[22:23]
	s_cbranch_execz .LBB304_4
; %bb.3:
	global_load_dwordx2 v[2:3], v77, s[4:5] offset:512
.LBB304_4:
	s_or_b64 exec, exec, s[10:11]
	v_or_b32_e32 v4, 0x80, v74
	v_cmp_gt_u32_e64 s[24:25], s6, v4
	v_mov_b32_e32 v5, s9
	v_mov_b32_e32 v4, s8
	s_and_saveexec_b64 s[10:11], s[24:25]
	s_cbranch_execz .LBB304_6
; %bb.5:
	global_load_dwordx2 v[4:5], v77, s[4:5] offset:1024
.LBB304_6:
	;; [unrolled: 10-line block ×7, first 2 shown]
	s_or_b64 exec, exec, s[10:11]
	v_or_b32_e32 v18, 0x200, v74
	v_cmp_gt_u32_e64 s[40:41], s6, v18
	v_mov_b32_e32 v17, s9
	v_mov_b32_e32 v16, s8
	s_and_saveexec_b64 s[10:11], s[40:41]
	s_cbranch_execz .LBB304_18
; %bb.17:
	v_lshlrev_b32_e32 v16, 3, v18
	global_load_dwordx2 v[16:17], v16, s[4:5]
.LBB304_18:
	s_or_b64 exec, exec, s[10:11]
	v_or_b32_e32 v20, 0x240, v74
	v_cmp_gt_u32_e64 s[42:43], s6, v20
	v_mov_b32_e32 v19, s9
	v_mov_b32_e32 v18, s8
	s_and_saveexec_b64 s[10:11], s[42:43]
	s_cbranch_execz .LBB304_20
; %bb.19:
	v_lshlrev_b32_e32 v18, 3, v20
	global_load_dwordx2 v[18:19], v18, s[4:5]
.LBB304_20:
	;; [unrolled: 11-line block ×6, first 2 shown]
	s_or_b64 exec, exec, s[6:7]
	s_movk_i32 s4, 0x68
	s_waitcnt vmcnt(0)
	ds_write2st64_b64 v77, v[0:1], v[2:3] offset1:1
	ds_write2st64_b64 v77, v[4:5], v[6:7] offset0:2 offset1:3
	ds_write2st64_b64 v77, v[8:9], v[10:11] offset0:4 offset1:5
	;; [unrolled: 1-line block ×6, first 2 shown]
	v_mad_u32_u24 v0, v74, s4, v77
	s_waitcnt lgkmcnt(0)
	; wave barrier
	ds_read_b128 v[22:25], v0
	ds_read_b128 v[58:61], v0 offset:16
	ds_read_b128 v[54:57], v0 offset:32
	ds_read_b128 v[46:49], v0 offset:48
	ds_read_b128 v[42:45], v0 offset:64
	ds_read_b128 v[34:37], v0 offset:80
	ds_read_b128 v[30:33], v0 offset:96
	s_getpc_b64 s[54:55]
	s_add_u32 s54, s54, _ZZZZN2at6native31launch_logcumsumexp_cuda_kernelERKNS_10TensorBaseES3_lENKUlvE_clEvENKUlvE2_clEvENKUlN3c107complexIfEES8_E_clES8_S8_@rel32@lo+4
	s_addc_u32 s55, s55, _ZZZZN2at6native31launch_logcumsumexp_cuda_kernelERKNS_10TensorBaseES3_lENKUlvE_clEvENKUlvE2_clEvENKUlN3c107complexIfEES8_E_clES8_S8_@rel32@hi+12
	s_waitcnt lgkmcnt(6)
	v_mov_b32_e32 v0, v22
	v_mov_b32_e32 v1, v23
	;; [unrolled: 1-line block ×4, first 2 shown]
	s_waitcnt lgkmcnt(0)
	; wave barrier
	s_swappc_b64 s[30:31], s[54:55]
	v_mov_b32_e32 v2, v58
	v_mov_b32_e32 v3, v59
	v_mov_b32_e32 v75, v0
	v_mov_b32_e32 v76, v1
	s_swappc_b64 s[30:31], s[54:55]
	v_mov_b32_e32 v2, v60
	v_mov_b32_e32 v3, v61
	v_mov_b32_e32 v26, v0
	v_mov_b32_e32 v27, v1
	s_swappc_b64 s[30:31], s[54:55]
	v_mov_b32_e32 v2, v54
	v_mov_b32_e32 v3, v55
	v_mov_b32_e32 v28, v0
	v_mov_b32_e32 v29, v1
	s_swappc_b64 s[30:31], s[54:55]
	v_mov_b32_e32 v2, v56
	v_mov_b32_e32 v3, v57
	v_mov_b32_e32 v38, v0
	v_mov_b32_e32 v39, v1
	s_swappc_b64 s[30:31], s[54:55]
	v_mov_b32_e32 v2, v46
	v_mov_b32_e32 v3, v47
	v_mov_b32_e32 v40, v0
	v_mov_b32_e32 v41, v1
	s_swappc_b64 s[30:31], s[54:55]
	v_mov_b32_e32 v2, v48
	v_mov_b32_e32 v3, v49
	v_mov_b32_e32 v50, v0
	v_mov_b32_e32 v51, v1
	s_swappc_b64 s[30:31], s[54:55]
	v_mov_b32_e32 v2, v42
	v_mov_b32_e32 v3, v43
	v_mov_b32_e32 v52, v0
	v_mov_b32_e32 v53, v1
	s_swappc_b64 s[30:31], s[54:55]
	v_mov_b32_e32 v2, v44
	v_mov_b32_e32 v3, v45
	v_mov_b32_e32 v62, v0
	v_mov_b32_e32 v63, v1
	s_swappc_b64 s[30:31], s[54:55]
	v_mov_b32_e32 v2, v34
	v_mov_b32_e32 v3, v35
	v_mov_b32_e32 v64, v0
	v_mov_b32_e32 v65, v1
	s_swappc_b64 s[30:31], s[54:55]
	v_mov_b32_e32 v2, v36
	v_mov_b32_e32 v3, v37
	v_mov_b32_e32 v66, v0
	v_mov_b32_e32 v67, v1
	s_swappc_b64 s[30:31], s[54:55]
	v_mov_b32_e32 v2, v30
	v_mov_b32_e32 v3, v31
	v_mov_b32_e32 v68, v0
	v_mov_b32_e32 v69, v1
	s_swappc_b64 s[30:31], s[54:55]
	v_mov_b32_e32 v2, v32
	v_mov_b32_e32 v3, v33
	v_mov_b32_e32 v70, v0
	v_mov_b32_e32 v71, v1
	s_swappc_b64 s[30:31], s[54:55]
	v_mov_b32_e32 v72, v0
	v_mbcnt_lo_u32_b32 v0, -1, 0
	v_mbcnt_hi_u32_b32 v78, -1, v0
	v_mov_b32_e32 v73, v1
	v_and_b32_e32 v79, 15, v78
	v_mov_b32_dpp v0, v72 row_shr:1 row_mask:0xf bank_mask:0xf
	v_mov_b32_dpp v1, v73 row_shr:1 row_mask:0xf bank_mask:0xf
	v_cmp_ne_u32_e32 vcc, 0, v79
	v_mov_b32_e32 v5, v73
	v_mov_b32_e32 v4, v72
	;; [unrolled: 1-line block ×4, first 2 shown]
	s_and_saveexec_b64 s[56:57], vcc
	s_cbranch_execz .LBB304_30
; %bb.29:
	v_mov_b32_e32 v2, v72
	v_mov_b32_e32 v3, v73
	s_swappc_b64 s[30:31], s[54:55]
	v_mov_b32_e32 v4, v0
	v_mov_b32_e32 v5, v1
	;; [unrolled: 1-line block ×4, first 2 shown]
.LBB304_30:
	s_or_b64 exec, exec, s[56:57]
	v_mov_b32_dpp v0, v4 row_shr:2 row_mask:0xf bank_mask:0xf
	v_mov_b32_dpp v1, v5 row_shr:2 row_mask:0xf bank_mask:0xf
	v_cmp_lt_u32_e32 vcc, 1, v79
	s_and_saveexec_b64 s[54:55], vcc
	s_cbranch_execz .LBB304_32
; %bb.31:
	s_getpc_b64 s[4:5]
	s_add_u32 s4, s4, _ZZZZN2at6native31launch_logcumsumexp_cuda_kernelERKNS_10TensorBaseES3_lENKUlvE_clEvENKUlvE2_clEvENKUlN3c107complexIfEES8_E_clES8_S8_@rel32@lo+4
	s_addc_u32 s5, s5, _ZZZZN2at6native31launch_logcumsumexp_cuda_kernelERKNS_10TensorBaseES3_lENKUlvE_clEvENKUlvE2_clEvENKUlN3c107complexIfEES8_E_clES8_S8_@rel32@hi+12
	s_swappc_b64 s[30:31], s[4:5]
	v_mov_b32_e32 v4, v0
	v_mov_b32_e32 v5, v1
.LBB304_32:
	s_or_b64 exec, exec, s[54:55]
	v_mov_b32_dpp v0, v4 row_shr:4 row_mask:0xf bank_mask:0xf
	v_mov_b32_dpp v1, v5 row_shr:4 row_mask:0xf bank_mask:0xf
	v_cmp_lt_u32_e32 vcc, 3, v79
	s_and_saveexec_b64 s[54:55], vcc
	s_cbranch_execz .LBB304_34
; %bb.33:
	s_getpc_b64 s[4:5]
	s_add_u32 s4, s4, _ZZZZN2at6native31launch_logcumsumexp_cuda_kernelERKNS_10TensorBaseES3_lENKUlvE_clEvENKUlvE2_clEvENKUlN3c107complexIfEES8_E_clES8_S8_@rel32@lo+4
	s_addc_u32 s5, s5, _ZZZZN2at6native31launch_logcumsumexp_cuda_kernelERKNS_10TensorBaseES3_lENKUlvE_clEvENKUlvE2_clEvENKUlN3c107complexIfEES8_E_clES8_S8_@rel32@hi+12
	v_mov_b32_e32 v2, v4
	v_mov_b32_e32 v3, v5
	s_swappc_b64 s[30:31], s[4:5]
	v_mov_b32_e32 v4, v0
	v_mov_b32_e32 v5, v1
.LBB304_34:
	s_or_b64 exec, exec, s[54:55]
	v_mov_b32_dpp v0, v4 row_shr:8 row_mask:0xf bank_mask:0xf
	v_mov_b32_dpp v1, v5 row_shr:8 row_mask:0xf bank_mask:0xf
	v_cmp_lt_u32_e32 vcc, 7, v79
	s_and_saveexec_b64 s[54:55], vcc
	s_cbranch_execz .LBB304_36
; %bb.35:
	s_getpc_b64 s[4:5]
	s_add_u32 s4, s4, _ZZZZN2at6native31launch_logcumsumexp_cuda_kernelERKNS_10TensorBaseES3_lENKUlvE_clEvENKUlvE2_clEvENKUlN3c107complexIfEES8_E_clES8_S8_@rel32@lo+4
	s_addc_u32 s5, s5, _ZZZZN2at6native31launch_logcumsumexp_cuda_kernelERKNS_10TensorBaseES3_lENKUlvE_clEvENKUlvE2_clEvENKUlN3c107complexIfEES8_E_clES8_S8_@rel32@hi+12
	v_mov_b32_e32 v2, v4
	v_mov_b32_e32 v3, v5
	s_swappc_b64 s[30:31], s[4:5]
	v_mov_b32_e32 v4, v0
	v_mov_b32_e32 v5, v1
.LBB304_36:
	s_or_b64 exec, exec, s[54:55]
	v_and_b32_e32 v2, 16, v78
	v_mov_b32_dpp v0, v4 row_bcast:15 row_mask:0xf bank_mask:0xf
	v_mov_b32_dpp v1, v5 row_bcast:15 row_mask:0xf bank_mask:0xf
	v_cmp_ne_u32_e32 vcc, 0, v2
	s_and_saveexec_b64 s[54:55], vcc
	s_cbranch_execz .LBB304_38
; %bb.37:
	s_getpc_b64 s[4:5]
	s_add_u32 s4, s4, _ZZZZN2at6native31launch_logcumsumexp_cuda_kernelERKNS_10TensorBaseES3_lENKUlvE_clEvENKUlvE2_clEvENKUlN3c107complexIfEES8_E_clES8_S8_@rel32@lo+4
	s_addc_u32 s5, s5, _ZZZZN2at6native31launch_logcumsumexp_cuda_kernelERKNS_10TensorBaseES3_lENKUlvE_clEvENKUlvE2_clEvENKUlN3c107complexIfEES8_E_clES8_S8_@rel32@hi+12
	v_mov_b32_e32 v2, v4
	v_mov_b32_e32 v3, v5
	s_swappc_b64 s[30:31], s[4:5]
	v_mov_b32_e32 v4, v0
	v_mov_b32_e32 v5, v1
.LBB304_38:
	s_or_b64 exec, exec, s[54:55]
	v_mov_b32_dpp v0, v4 row_bcast:31 row_mask:0xf bank_mask:0xf
	v_mov_b32_dpp v1, v5 row_bcast:31 row_mask:0xf bank_mask:0xf
	v_cmp_lt_u32_e32 vcc, 31, v78
	s_and_saveexec_b64 s[54:55], vcc
	s_cbranch_execz .LBB304_40
; %bb.39:
	s_getpc_b64 s[4:5]
	s_add_u32 s4, s4, _ZZZZN2at6native31launch_logcumsumexp_cuda_kernelERKNS_10TensorBaseES3_lENKUlvE_clEvENKUlvE2_clEvENKUlN3c107complexIfEES8_E_clES8_S8_@rel32@lo+4
	s_addc_u32 s5, s5, _ZZZZN2at6native31launch_logcumsumexp_cuda_kernelERKNS_10TensorBaseES3_lENKUlvE_clEvENKUlvE2_clEvENKUlN3c107complexIfEES8_E_clES8_S8_@rel32@hi+12
	v_mov_b32_e32 v2, v4
	v_mov_b32_e32 v3, v5
	s_swappc_b64 s[30:31], s[4:5]
	v_mov_b32_e32 v4, v0
	v_mov_b32_e32 v5, v1
.LBB304_40:
	s_or_b64 exec, exec, s[54:55]
	s_load_dwordx2 s[52:53], s[52:53], 0x20
	v_cmp_eq_u32_e32 vcc, 63, v74
	s_and_saveexec_b64 s[4:5], vcc
; %bb.41:
	v_mov_b32_e32 v0, 0
	ds_write_b64 v0, v[4:5]
; %bb.42:
	s_or_b64 exec, exec, s[4:5]
	v_add_u32_e32 v0, -1, v78
	v_and_b32_e32 v1, 64, v78
	v_cmp_lt_i32_e32 vcc, v0, v1
	v_cndmask_b32_e32 v0, v0, v78, vcc
	v_lshlrev_b32_e32 v1, 2, v0
	ds_bpermute_b32 v0, v1, v4
	ds_bpermute_b32 v1, v1, v5
	v_mul_u32_u24_e32 v78, 0x68, v74
	v_cmp_ne_u32_e32 vcc, 0, v74
	s_waitcnt lgkmcnt(0)
	; wave barrier
	s_and_saveexec_b64 s[54:55], vcc
	s_cbranch_execz .LBB304_44
; %bb.43:
	s_getpc_b64 s[56:57]
	s_add_u32 s56, s56, _ZZZZN2at6native31launch_logcumsumexp_cuda_kernelERKNS_10TensorBaseES3_lENKUlvE_clEvENKUlvE2_clEvENKUlN3c107complexIfEES8_E_clES8_S8_@rel32@lo+4
	s_addc_u32 s57, s57, _ZZZZN2at6native31launch_logcumsumexp_cuda_kernelERKNS_10TensorBaseES3_lENKUlvE_clEvENKUlvE2_clEvENKUlN3c107complexIfEES8_E_clES8_S8_@rel32@hi+12
	v_mov_b32_e32 v2, v22
	v_mov_b32_e32 v3, v23
	s_swappc_b64 s[30:31], s[56:57]
	v_mov_b32_e32 v2, v24
	v_mov_b32_e32 v3, v25
	;; [unrolled: 1-line block ×4, first 2 shown]
	;;#ASMSTART
	;;#ASMEND
	s_swappc_b64 s[30:31], s[56:57]
	v_mov_b32_e32 v2, v58
	v_mov_b32_e32 v3, v59
	v_mov_b32_e32 v75, v0
	v_mov_b32_e32 v76, v1
	s_swappc_b64 s[30:31], s[56:57]
	v_mov_b32_e32 v2, v60
	v_mov_b32_e32 v3, v61
	v_mov_b32_e32 v26, v0
	v_mov_b32_e32 v27, v1
	;; [unrolled: 5-line block ×12, first 2 shown]
	s_swappc_b64 s[30:31], s[56:57]
	v_mov_b32_e32 v72, v0
	v_mov_b32_e32 v73, v1
.LBB304_44:
	s_or_b64 exec, exec, s[54:55]
	v_add_u32_e32 v0, v77, v78
	v_mov_b32_e32 v24, v75
	v_mov_b32_e32 v25, v76
	; wave barrier
	ds_write_b128 v0, v[22:25]
	ds_write_b128 v0, v[26:29] offset:16
	ds_write_b128 v0, v[38:41] offset:32
	;; [unrolled: 1-line block ×6, first 2 shown]
	s_waitcnt lgkmcnt(0)
	; wave barrier
	ds_read2st64_b64 v[20:23], v77 offset0:1 offset1:2
	ds_read2st64_b64 v[16:19], v77 offset0:3 offset1:4
	;; [unrolled: 1-line block ×6, first 2 shown]
	ds_read_b64 v[24:25], v77 offset:6656
	v_mov_b32_e32 v27, s53
	v_add_co_u32_e32 v26, vcc, s52, v77
	v_addc_co_u32_e32 v27, vcc, 0, v27, vcc
	s_and_saveexec_b64 s[4:5], s[20:21]
	s_cbranch_execnz .LBB304_59
; %bb.45:
	s_or_b64 exec, exec, s[4:5]
	s_and_saveexec_b64 s[4:5], s[22:23]
	s_cbranch_execnz .LBB304_60
.LBB304_46:
	s_or_b64 exec, exec, s[4:5]
	s_and_saveexec_b64 s[4:5], s[24:25]
	s_cbranch_execnz .LBB304_61
.LBB304_47:
	s_or_b64 exec, exec, s[4:5]
	s_and_saveexec_b64 s[4:5], s[26:27]
	s_cbranch_execnz .LBB304_62
.LBB304_48:
	s_or_b64 exec, exec, s[4:5]
	s_and_saveexec_b64 s[4:5], s[28:29]
	s_cbranch_execnz .LBB304_63
.LBB304_49:
	s_or_b64 exec, exec, s[4:5]
	s_and_saveexec_b64 s[4:5], s[34:35]
	s_cbranch_execnz .LBB304_64
.LBB304_50:
	s_or_b64 exec, exec, s[4:5]
	s_and_saveexec_b64 s[4:5], s[36:37]
	s_cbranch_execnz .LBB304_65
.LBB304_51:
	s_or_b64 exec, exec, s[4:5]
	s_and_saveexec_b64 s[4:5], s[38:39]
	s_cbranch_execnz .LBB304_66
.LBB304_52:
	s_or_b64 exec, exec, s[4:5]
	s_and_saveexec_b64 s[4:5], s[40:41]
	s_cbranch_execnz .LBB304_67
.LBB304_53:
	s_or_b64 exec, exec, s[4:5]
	s_and_saveexec_b64 s[4:5], s[42:43]
	s_cbranch_execnz .LBB304_68
.LBB304_54:
	s_or_b64 exec, exec, s[4:5]
	s_and_saveexec_b64 s[4:5], s[44:45]
	s_cbranch_execnz .LBB304_69
.LBB304_55:
	s_or_b64 exec, exec, s[4:5]
	s_and_saveexec_b64 s[4:5], s[46:47]
	s_cbranch_execnz .LBB304_70
.LBB304_56:
	s_or_b64 exec, exec, s[4:5]
	s_and_saveexec_b64 s[4:5], s[48:49]
	s_cbranch_execnz .LBB304_71
.LBB304_57:
	s_or_b64 exec, exec, s[4:5]
	s_and_saveexec_b64 s[4:5], s[50:51]
	s_cbranch_execnz .LBB304_72
.LBB304_58:
	s_endpgm
.LBB304_59:
	ds_read_b64 v[28:29], v77
	s_waitcnt lgkmcnt(0)
	global_store_dwordx2 v[26:27], v[28:29], off
	s_or_b64 exec, exec, s[4:5]
	s_and_saveexec_b64 s[4:5], s[22:23]
	s_cbranch_execz .LBB304_46
.LBB304_60:
	s_waitcnt lgkmcnt(6)
	global_store_dwordx2 v[26:27], v[20:21], off offset:512
	s_or_b64 exec, exec, s[4:5]
	s_and_saveexec_b64 s[4:5], s[24:25]
	s_cbranch_execz .LBB304_47
.LBB304_61:
	s_waitcnt lgkmcnt(6)
	global_store_dwordx2 v[26:27], v[22:23], off offset:1024
	s_or_b64 exec, exec, s[4:5]
	s_and_saveexec_b64 s[4:5], s[26:27]
	s_cbranch_execz .LBB304_48
.LBB304_62:
	s_waitcnt lgkmcnt(5)
	global_store_dwordx2 v[26:27], v[16:17], off offset:1536
	s_or_b64 exec, exec, s[4:5]
	s_and_saveexec_b64 s[4:5], s[28:29]
	s_cbranch_execz .LBB304_49
.LBB304_63:
	s_waitcnt lgkmcnt(5)
	global_store_dwordx2 v[26:27], v[18:19], off offset:2048
	s_or_b64 exec, exec, s[4:5]
	s_and_saveexec_b64 s[4:5], s[34:35]
	s_cbranch_execz .LBB304_50
.LBB304_64:
	s_waitcnt lgkmcnt(4)
	global_store_dwordx2 v[26:27], v[12:13], off offset:2560
	s_or_b64 exec, exec, s[4:5]
	s_and_saveexec_b64 s[4:5], s[36:37]
	s_cbranch_execz .LBB304_51
.LBB304_65:
	s_waitcnt lgkmcnt(4)
	global_store_dwordx2 v[26:27], v[14:15], off offset:3072
	s_or_b64 exec, exec, s[4:5]
	s_and_saveexec_b64 s[4:5], s[38:39]
	s_cbranch_execz .LBB304_52
.LBB304_66:
	s_waitcnt lgkmcnt(3)
	global_store_dwordx2 v[26:27], v[8:9], off offset:3584
	s_or_b64 exec, exec, s[4:5]
	s_and_saveexec_b64 s[4:5], s[40:41]
	s_cbranch_execz .LBB304_53
.LBB304_67:
	s_waitcnt lgkmcnt(3)
	v_add_co_u32_e32 v8, vcc, 0x1000, v26
	v_addc_co_u32_e32 v9, vcc, 0, v27, vcc
	global_store_dwordx2 v[8:9], v[10:11], off
	s_or_b64 exec, exec, s[4:5]
	s_and_saveexec_b64 s[4:5], s[42:43]
	s_cbranch_execz .LBB304_54
.LBB304_68:
	s_waitcnt lgkmcnt(3)
	v_add_co_u32_e32 v8, vcc, 0x1000, v26
	v_addc_co_u32_e32 v9, vcc, 0, v27, vcc
	s_waitcnt lgkmcnt(2)
	global_store_dwordx2 v[8:9], v[4:5], off offset:512
	s_or_b64 exec, exec, s[4:5]
	s_and_saveexec_b64 s[4:5], s[44:45]
	s_cbranch_execz .LBB304_55
.LBB304_69:
	s_waitcnt lgkmcnt(2)
	v_add_co_u32_e32 v4, vcc, 0x1000, v26
	v_addc_co_u32_e32 v5, vcc, 0, v27, vcc
	global_store_dwordx2 v[4:5], v[6:7], off offset:1024
	s_or_b64 exec, exec, s[4:5]
	s_and_saveexec_b64 s[4:5], s[46:47]
	s_cbranch_execz .LBB304_56
.LBB304_70:
	s_waitcnt lgkmcnt(2)
	v_add_co_u32_e32 v4, vcc, 0x1000, v26
	v_addc_co_u32_e32 v5, vcc, 0, v27, vcc
	s_waitcnt lgkmcnt(1)
	global_store_dwordx2 v[4:5], v[0:1], off offset:1536
	s_or_b64 exec, exec, s[4:5]
	s_and_saveexec_b64 s[4:5], s[48:49]
	s_cbranch_execz .LBB304_57
.LBB304_71:
	s_waitcnt lgkmcnt(1)
	v_add_co_u32_e32 v0, vcc, 0x1000, v26
	v_addc_co_u32_e32 v1, vcc, 0, v27, vcc
	global_store_dwordx2 v[0:1], v[2:3], off offset:2048
	s_or_b64 exec, exec, s[4:5]
	s_and_saveexec_b64 s[4:5], s[50:51]
	s_cbranch_execz .LBB304_58
.LBB304_72:
	s_waitcnt lgkmcnt(1)
	v_add_co_u32_e32 v0, vcc, 0x1000, v26
	v_addc_co_u32_e32 v1, vcc, 0, v27, vcc
	s_waitcnt lgkmcnt(0)
	global_store_dwordx2 v[0:1], v[24:25], off offset:2560
	s_endpgm
	.section	.rodata,"a",@progbits
	.p2align	6, 0x0
	.amdhsa_kernel _ZN7rocprim17ROCPRIM_400000_NS6detail17trampoline_kernelINS0_14default_configENS1_20scan_config_selectorIN3c107complexIfEEEEZZNS1_9scan_implILNS1_25lookback_scan_determinismE0ELb0ELb0ES3_PKS7_PS7_S7_ZZZN2at6native31launch_logcumsumexp_cuda_kernelERKNSE_10TensorBaseESI_lENKUlvE_clEvENKUlvE2_clEvEUlS7_S7_E_S7_EEDaPvRmT3_T4_T5_mT6_P12ihipStream_tbENKUlT_T0_E_clISt17integral_constantIbLb1EESZ_EEDaSU_SV_EUlSU_E0_NS1_11comp_targetILNS1_3genE2ELNS1_11target_archE906ELNS1_3gpuE6ELNS1_3repE0EEENS1_30default_config_static_selectorELNS0_4arch9wavefront6targetE1EEEvT1_
		.amdhsa_group_segment_fixed_size 7168
		.amdhsa_private_segment_fixed_size 0
		.amdhsa_kernarg_size 40
		.amdhsa_user_sgpr_count 6
		.amdhsa_user_sgpr_private_segment_buffer 1
		.amdhsa_user_sgpr_dispatch_ptr 0
		.amdhsa_user_sgpr_queue_ptr 0
		.amdhsa_user_sgpr_kernarg_segment_ptr 1
		.amdhsa_user_sgpr_dispatch_id 0
		.amdhsa_user_sgpr_flat_scratch_init 0
		.amdhsa_user_sgpr_private_segment_size 0
		.amdhsa_uses_dynamic_stack 0
		.amdhsa_system_sgpr_private_segment_wavefront_offset 0
		.amdhsa_system_sgpr_workgroup_id_x 1
		.amdhsa_system_sgpr_workgroup_id_y 0
		.amdhsa_system_sgpr_workgroup_id_z 0
		.amdhsa_system_sgpr_workgroup_info 0
		.amdhsa_system_vgpr_workitem_id 0
		.amdhsa_next_free_vgpr 80
		.amdhsa_next_free_sgpr 98
		.amdhsa_reserve_vcc 1
		.amdhsa_reserve_flat_scratch 0
		.amdhsa_float_round_mode_32 0
		.amdhsa_float_round_mode_16_64 0
		.amdhsa_float_denorm_mode_32 3
		.amdhsa_float_denorm_mode_16_64 3
		.amdhsa_dx10_clamp 1
		.amdhsa_ieee_mode 1
		.amdhsa_fp16_overflow 0
		.amdhsa_exception_fp_ieee_invalid_op 0
		.amdhsa_exception_fp_denorm_src 0
		.amdhsa_exception_fp_ieee_div_zero 0
		.amdhsa_exception_fp_ieee_overflow 0
		.amdhsa_exception_fp_ieee_underflow 0
		.amdhsa_exception_fp_ieee_inexact 0
		.amdhsa_exception_int_div_zero 0
	.end_amdhsa_kernel
	.section	.text._ZN7rocprim17ROCPRIM_400000_NS6detail17trampoline_kernelINS0_14default_configENS1_20scan_config_selectorIN3c107complexIfEEEEZZNS1_9scan_implILNS1_25lookback_scan_determinismE0ELb0ELb0ES3_PKS7_PS7_S7_ZZZN2at6native31launch_logcumsumexp_cuda_kernelERKNSE_10TensorBaseESI_lENKUlvE_clEvENKUlvE2_clEvEUlS7_S7_E_S7_EEDaPvRmT3_T4_T5_mT6_P12ihipStream_tbENKUlT_T0_E_clISt17integral_constantIbLb1EESZ_EEDaSU_SV_EUlSU_E0_NS1_11comp_targetILNS1_3genE2ELNS1_11target_archE906ELNS1_3gpuE6ELNS1_3repE0EEENS1_30default_config_static_selectorELNS0_4arch9wavefront6targetE1EEEvT1_,"axG",@progbits,_ZN7rocprim17ROCPRIM_400000_NS6detail17trampoline_kernelINS0_14default_configENS1_20scan_config_selectorIN3c107complexIfEEEEZZNS1_9scan_implILNS1_25lookback_scan_determinismE0ELb0ELb0ES3_PKS7_PS7_S7_ZZZN2at6native31launch_logcumsumexp_cuda_kernelERKNSE_10TensorBaseESI_lENKUlvE_clEvENKUlvE2_clEvEUlS7_S7_E_S7_EEDaPvRmT3_T4_T5_mT6_P12ihipStream_tbENKUlT_T0_E_clISt17integral_constantIbLb1EESZ_EEDaSU_SV_EUlSU_E0_NS1_11comp_targetILNS1_3genE2ELNS1_11target_archE906ELNS1_3gpuE6ELNS1_3repE0EEENS1_30default_config_static_selectorELNS0_4arch9wavefront6targetE1EEEvT1_,comdat
.Lfunc_end304:
	.size	_ZN7rocprim17ROCPRIM_400000_NS6detail17trampoline_kernelINS0_14default_configENS1_20scan_config_selectorIN3c107complexIfEEEEZZNS1_9scan_implILNS1_25lookback_scan_determinismE0ELb0ELb0ES3_PKS7_PS7_S7_ZZZN2at6native31launch_logcumsumexp_cuda_kernelERKNSE_10TensorBaseESI_lENKUlvE_clEvENKUlvE2_clEvEUlS7_S7_E_S7_EEDaPvRmT3_T4_T5_mT6_P12ihipStream_tbENKUlT_T0_E_clISt17integral_constantIbLb1EESZ_EEDaSU_SV_EUlSU_E0_NS1_11comp_targetILNS1_3genE2ELNS1_11target_archE906ELNS1_3gpuE6ELNS1_3repE0EEENS1_30default_config_static_selectorELNS0_4arch9wavefront6targetE1EEEvT1_, .Lfunc_end304-_ZN7rocprim17ROCPRIM_400000_NS6detail17trampoline_kernelINS0_14default_configENS1_20scan_config_selectorIN3c107complexIfEEEEZZNS1_9scan_implILNS1_25lookback_scan_determinismE0ELb0ELb0ES3_PKS7_PS7_S7_ZZZN2at6native31launch_logcumsumexp_cuda_kernelERKNSE_10TensorBaseESI_lENKUlvE_clEvENKUlvE2_clEvEUlS7_S7_E_S7_EEDaPvRmT3_T4_T5_mT6_P12ihipStream_tbENKUlT_T0_E_clISt17integral_constantIbLb1EESZ_EEDaSU_SV_EUlSU_E0_NS1_11comp_targetILNS1_3genE2ELNS1_11target_archE906ELNS1_3gpuE6ELNS1_3repE0EEENS1_30default_config_static_selectorELNS0_4arch9wavefront6targetE1EEEvT1_
                                        ; -- End function
	.set _ZN7rocprim17ROCPRIM_400000_NS6detail17trampoline_kernelINS0_14default_configENS1_20scan_config_selectorIN3c107complexIfEEEEZZNS1_9scan_implILNS1_25lookback_scan_determinismE0ELb0ELb0ES3_PKS7_PS7_S7_ZZZN2at6native31launch_logcumsumexp_cuda_kernelERKNSE_10TensorBaseESI_lENKUlvE_clEvENKUlvE2_clEvEUlS7_S7_E_S7_EEDaPvRmT3_T4_T5_mT6_P12ihipStream_tbENKUlT_T0_E_clISt17integral_constantIbLb1EESZ_EEDaSU_SV_EUlSU_E0_NS1_11comp_targetILNS1_3genE2ELNS1_11target_archE906ELNS1_3gpuE6ELNS1_3repE0EEENS1_30default_config_static_selectorELNS0_4arch9wavefront6targetE1EEEvT1_.num_vgpr, max(80, .L_ZZZZN2at6native31launch_logcumsumexp_cuda_kernelERKNS_10TensorBaseES3_lENKUlvE_clEvENKUlvE2_clEvENKUlN3c107complexIfEES8_E_clES8_S8_.num_vgpr)
	.set _ZN7rocprim17ROCPRIM_400000_NS6detail17trampoline_kernelINS0_14default_configENS1_20scan_config_selectorIN3c107complexIfEEEEZZNS1_9scan_implILNS1_25lookback_scan_determinismE0ELb0ELb0ES3_PKS7_PS7_S7_ZZZN2at6native31launch_logcumsumexp_cuda_kernelERKNSE_10TensorBaseESI_lENKUlvE_clEvENKUlvE2_clEvEUlS7_S7_E_S7_EEDaPvRmT3_T4_T5_mT6_P12ihipStream_tbENKUlT_T0_E_clISt17integral_constantIbLb1EESZ_EEDaSU_SV_EUlSU_E0_NS1_11comp_targetILNS1_3genE2ELNS1_11target_archE906ELNS1_3gpuE6ELNS1_3repE0EEENS1_30default_config_static_selectorELNS0_4arch9wavefront6targetE1EEEvT1_.num_agpr, max(0, .L_ZZZZN2at6native31launch_logcumsumexp_cuda_kernelERKNS_10TensorBaseES3_lENKUlvE_clEvENKUlvE2_clEvENKUlN3c107complexIfEES8_E_clES8_S8_.num_agpr)
	.set _ZN7rocprim17ROCPRIM_400000_NS6detail17trampoline_kernelINS0_14default_configENS1_20scan_config_selectorIN3c107complexIfEEEEZZNS1_9scan_implILNS1_25lookback_scan_determinismE0ELb0ELb0ES3_PKS7_PS7_S7_ZZZN2at6native31launch_logcumsumexp_cuda_kernelERKNSE_10TensorBaseESI_lENKUlvE_clEvENKUlvE2_clEvEUlS7_S7_E_S7_EEDaPvRmT3_T4_T5_mT6_P12ihipStream_tbENKUlT_T0_E_clISt17integral_constantIbLb1EESZ_EEDaSU_SV_EUlSU_E0_NS1_11comp_targetILNS1_3genE2ELNS1_11target_archE906ELNS1_3gpuE6ELNS1_3repE0EEENS1_30default_config_static_selectorELNS0_4arch9wavefront6targetE1EEEvT1_.numbered_sgpr, max(58, .L_ZZZZN2at6native31launch_logcumsumexp_cuda_kernelERKNS_10TensorBaseES3_lENKUlvE_clEvENKUlvE2_clEvENKUlN3c107complexIfEES8_E_clES8_S8_.numbered_sgpr)
	.set _ZN7rocprim17ROCPRIM_400000_NS6detail17trampoline_kernelINS0_14default_configENS1_20scan_config_selectorIN3c107complexIfEEEEZZNS1_9scan_implILNS1_25lookback_scan_determinismE0ELb0ELb0ES3_PKS7_PS7_S7_ZZZN2at6native31launch_logcumsumexp_cuda_kernelERKNSE_10TensorBaseESI_lENKUlvE_clEvENKUlvE2_clEvEUlS7_S7_E_S7_EEDaPvRmT3_T4_T5_mT6_P12ihipStream_tbENKUlT_T0_E_clISt17integral_constantIbLb1EESZ_EEDaSU_SV_EUlSU_E0_NS1_11comp_targetILNS1_3genE2ELNS1_11target_archE906ELNS1_3gpuE6ELNS1_3repE0EEENS1_30default_config_static_selectorELNS0_4arch9wavefront6targetE1EEEvT1_.num_named_barrier, max(0, .L_ZZZZN2at6native31launch_logcumsumexp_cuda_kernelERKNS_10TensorBaseES3_lENKUlvE_clEvENKUlvE2_clEvENKUlN3c107complexIfEES8_E_clES8_S8_.num_named_barrier)
	.set _ZN7rocprim17ROCPRIM_400000_NS6detail17trampoline_kernelINS0_14default_configENS1_20scan_config_selectorIN3c107complexIfEEEEZZNS1_9scan_implILNS1_25lookback_scan_determinismE0ELb0ELb0ES3_PKS7_PS7_S7_ZZZN2at6native31launch_logcumsumexp_cuda_kernelERKNSE_10TensorBaseESI_lENKUlvE_clEvENKUlvE2_clEvEUlS7_S7_E_S7_EEDaPvRmT3_T4_T5_mT6_P12ihipStream_tbENKUlT_T0_E_clISt17integral_constantIbLb1EESZ_EEDaSU_SV_EUlSU_E0_NS1_11comp_targetILNS1_3genE2ELNS1_11target_archE906ELNS1_3gpuE6ELNS1_3repE0EEENS1_30default_config_static_selectorELNS0_4arch9wavefront6targetE1EEEvT1_.private_seg_size, 0+max(.L_ZZZZN2at6native31launch_logcumsumexp_cuda_kernelERKNS_10TensorBaseES3_lENKUlvE_clEvENKUlvE2_clEvENKUlN3c107complexIfEES8_E_clES8_S8_.private_seg_size)
	.set _ZN7rocprim17ROCPRIM_400000_NS6detail17trampoline_kernelINS0_14default_configENS1_20scan_config_selectorIN3c107complexIfEEEEZZNS1_9scan_implILNS1_25lookback_scan_determinismE0ELb0ELb0ES3_PKS7_PS7_S7_ZZZN2at6native31launch_logcumsumexp_cuda_kernelERKNSE_10TensorBaseESI_lENKUlvE_clEvENKUlvE2_clEvEUlS7_S7_E_S7_EEDaPvRmT3_T4_T5_mT6_P12ihipStream_tbENKUlT_T0_E_clISt17integral_constantIbLb1EESZ_EEDaSU_SV_EUlSU_E0_NS1_11comp_targetILNS1_3genE2ELNS1_11target_archE906ELNS1_3gpuE6ELNS1_3repE0EEENS1_30default_config_static_selectorELNS0_4arch9wavefront6targetE1EEEvT1_.uses_vcc, or(1, .L_ZZZZN2at6native31launch_logcumsumexp_cuda_kernelERKNS_10TensorBaseES3_lENKUlvE_clEvENKUlvE2_clEvENKUlN3c107complexIfEES8_E_clES8_S8_.uses_vcc)
	.set _ZN7rocprim17ROCPRIM_400000_NS6detail17trampoline_kernelINS0_14default_configENS1_20scan_config_selectorIN3c107complexIfEEEEZZNS1_9scan_implILNS1_25lookback_scan_determinismE0ELb0ELb0ES3_PKS7_PS7_S7_ZZZN2at6native31launch_logcumsumexp_cuda_kernelERKNSE_10TensorBaseESI_lENKUlvE_clEvENKUlvE2_clEvEUlS7_S7_E_S7_EEDaPvRmT3_T4_T5_mT6_P12ihipStream_tbENKUlT_T0_E_clISt17integral_constantIbLb1EESZ_EEDaSU_SV_EUlSU_E0_NS1_11comp_targetILNS1_3genE2ELNS1_11target_archE906ELNS1_3gpuE6ELNS1_3repE0EEENS1_30default_config_static_selectorELNS0_4arch9wavefront6targetE1EEEvT1_.uses_flat_scratch, or(0, .L_ZZZZN2at6native31launch_logcumsumexp_cuda_kernelERKNS_10TensorBaseES3_lENKUlvE_clEvENKUlvE2_clEvENKUlN3c107complexIfEES8_E_clES8_S8_.uses_flat_scratch)
	.set _ZN7rocprim17ROCPRIM_400000_NS6detail17trampoline_kernelINS0_14default_configENS1_20scan_config_selectorIN3c107complexIfEEEEZZNS1_9scan_implILNS1_25lookback_scan_determinismE0ELb0ELb0ES3_PKS7_PS7_S7_ZZZN2at6native31launch_logcumsumexp_cuda_kernelERKNSE_10TensorBaseESI_lENKUlvE_clEvENKUlvE2_clEvEUlS7_S7_E_S7_EEDaPvRmT3_T4_T5_mT6_P12ihipStream_tbENKUlT_T0_E_clISt17integral_constantIbLb1EESZ_EEDaSU_SV_EUlSU_E0_NS1_11comp_targetILNS1_3genE2ELNS1_11target_archE906ELNS1_3gpuE6ELNS1_3repE0EEENS1_30default_config_static_selectorELNS0_4arch9wavefront6targetE1EEEvT1_.has_dyn_sized_stack, or(0, .L_ZZZZN2at6native31launch_logcumsumexp_cuda_kernelERKNS_10TensorBaseES3_lENKUlvE_clEvENKUlvE2_clEvENKUlN3c107complexIfEES8_E_clES8_S8_.has_dyn_sized_stack)
	.set _ZN7rocprim17ROCPRIM_400000_NS6detail17trampoline_kernelINS0_14default_configENS1_20scan_config_selectorIN3c107complexIfEEEEZZNS1_9scan_implILNS1_25lookback_scan_determinismE0ELb0ELb0ES3_PKS7_PS7_S7_ZZZN2at6native31launch_logcumsumexp_cuda_kernelERKNSE_10TensorBaseESI_lENKUlvE_clEvENKUlvE2_clEvEUlS7_S7_E_S7_EEDaPvRmT3_T4_T5_mT6_P12ihipStream_tbENKUlT_T0_E_clISt17integral_constantIbLb1EESZ_EEDaSU_SV_EUlSU_E0_NS1_11comp_targetILNS1_3genE2ELNS1_11target_archE906ELNS1_3gpuE6ELNS1_3repE0EEENS1_30default_config_static_selectorELNS0_4arch9wavefront6targetE1EEEvT1_.has_recursion, or(0, .L_ZZZZN2at6native31launch_logcumsumexp_cuda_kernelERKNS_10TensorBaseES3_lENKUlvE_clEvENKUlvE2_clEvENKUlN3c107complexIfEES8_E_clES8_S8_.has_recursion)
	.set _ZN7rocprim17ROCPRIM_400000_NS6detail17trampoline_kernelINS0_14default_configENS1_20scan_config_selectorIN3c107complexIfEEEEZZNS1_9scan_implILNS1_25lookback_scan_determinismE0ELb0ELb0ES3_PKS7_PS7_S7_ZZZN2at6native31launch_logcumsumexp_cuda_kernelERKNSE_10TensorBaseESI_lENKUlvE_clEvENKUlvE2_clEvEUlS7_S7_E_S7_EEDaPvRmT3_T4_T5_mT6_P12ihipStream_tbENKUlT_T0_E_clISt17integral_constantIbLb1EESZ_EEDaSU_SV_EUlSU_E0_NS1_11comp_targetILNS1_3genE2ELNS1_11target_archE906ELNS1_3gpuE6ELNS1_3repE0EEENS1_30default_config_static_selectorELNS0_4arch9wavefront6targetE1EEEvT1_.has_indirect_call, or(0, .L_ZZZZN2at6native31launch_logcumsumexp_cuda_kernelERKNS_10TensorBaseES3_lENKUlvE_clEvENKUlvE2_clEvENKUlN3c107complexIfEES8_E_clES8_S8_.has_indirect_call)
	.section	.AMDGPU.csdata,"",@progbits
; Kernel info:
; codeLenInByte = 2680
; TotalNumSgprs: 62
; NumVgprs: 80
; ScratchSize: 0
; MemoryBound: 0
; FloatMode: 240
; IeeeMode: 1
; LDSByteSize: 7168 bytes/workgroup (compile time only)
; SGPRBlocks: 12
; VGPRBlocks: 19
; NumSGPRsForWavesPerEU: 102
; NumVGPRsForWavesPerEU: 80
; Occupancy: 3
; WaveLimiterHint : 0
; COMPUTE_PGM_RSRC2:SCRATCH_EN: 0
; COMPUTE_PGM_RSRC2:USER_SGPR: 6
; COMPUTE_PGM_RSRC2:TRAP_HANDLER: 0
; COMPUTE_PGM_RSRC2:TGID_X_EN: 1
; COMPUTE_PGM_RSRC2:TGID_Y_EN: 0
; COMPUTE_PGM_RSRC2:TGID_Z_EN: 0
; COMPUTE_PGM_RSRC2:TIDIG_COMP_CNT: 0
	.section	.text._ZN7rocprim17ROCPRIM_400000_NS6detail17trampoline_kernelINS0_14default_configENS1_20scan_config_selectorIN3c107complexIfEEEEZZNS1_9scan_implILNS1_25lookback_scan_determinismE0ELb0ELb0ES3_PKS7_PS7_S7_ZZZN2at6native31launch_logcumsumexp_cuda_kernelERKNSE_10TensorBaseESI_lENKUlvE_clEvENKUlvE2_clEvEUlS7_S7_E_S7_EEDaPvRmT3_T4_T5_mT6_P12ihipStream_tbENKUlT_T0_E_clISt17integral_constantIbLb1EESZ_EEDaSU_SV_EUlSU_E0_NS1_11comp_targetILNS1_3genE10ELNS1_11target_archE1201ELNS1_3gpuE5ELNS1_3repE0EEENS1_30default_config_static_selectorELNS0_4arch9wavefront6targetE1EEEvT1_,"axG",@progbits,_ZN7rocprim17ROCPRIM_400000_NS6detail17trampoline_kernelINS0_14default_configENS1_20scan_config_selectorIN3c107complexIfEEEEZZNS1_9scan_implILNS1_25lookback_scan_determinismE0ELb0ELb0ES3_PKS7_PS7_S7_ZZZN2at6native31launch_logcumsumexp_cuda_kernelERKNSE_10TensorBaseESI_lENKUlvE_clEvENKUlvE2_clEvEUlS7_S7_E_S7_EEDaPvRmT3_T4_T5_mT6_P12ihipStream_tbENKUlT_T0_E_clISt17integral_constantIbLb1EESZ_EEDaSU_SV_EUlSU_E0_NS1_11comp_targetILNS1_3genE10ELNS1_11target_archE1201ELNS1_3gpuE5ELNS1_3repE0EEENS1_30default_config_static_selectorELNS0_4arch9wavefront6targetE1EEEvT1_,comdat
	.globl	_ZN7rocprim17ROCPRIM_400000_NS6detail17trampoline_kernelINS0_14default_configENS1_20scan_config_selectorIN3c107complexIfEEEEZZNS1_9scan_implILNS1_25lookback_scan_determinismE0ELb0ELb0ES3_PKS7_PS7_S7_ZZZN2at6native31launch_logcumsumexp_cuda_kernelERKNSE_10TensorBaseESI_lENKUlvE_clEvENKUlvE2_clEvEUlS7_S7_E_S7_EEDaPvRmT3_T4_T5_mT6_P12ihipStream_tbENKUlT_T0_E_clISt17integral_constantIbLb1EESZ_EEDaSU_SV_EUlSU_E0_NS1_11comp_targetILNS1_3genE10ELNS1_11target_archE1201ELNS1_3gpuE5ELNS1_3repE0EEENS1_30default_config_static_selectorELNS0_4arch9wavefront6targetE1EEEvT1_ ; -- Begin function _ZN7rocprim17ROCPRIM_400000_NS6detail17trampoline_kernelINS0_14default_configENS1_20scan_config_selectorIN3c107complexIfEEEEZZNS1_9scan_implILNS1_25lookback_scan_determinismE0ELb0ELb0ES3_PKS7_PS7_S7_ZZZN2at6native31launch_logcumsumexp_cuda_kernelERKNSE_10TensorBaseESI_lENKUlvE_clEvENKUlvE2_clEvEUlS7_S7_E_S7_EEDaPvRmT3_T4_T5_mT6_P12ihipStream_tbENKUlT_T0_E_clISt17integral_constantIbLb1EESZ_EEDaSU_SV_EUlSU_E0_NS1_11comp_targetILNS1_3genE10ELNS1_11target_archE1201ELNS1_3gpuE5ELNS1_3repE0EEENS1_30default_config_static_selectorELNS0_4arch9wavefront6targetE1EEEvT1_
	.p2align	8
	.type	_ZN7rocprim17ROCPRIM_400000_NS6detail17trampoline_kernelINS0_14default_configENS1_20scan_config_selectorIN3c107complexIfEEEEZZNS1_9scan_implILNS1_25lookback_scan_determinismE0ELb0ELb0ES3_PKS7_PS7_S7_ZZZN2at6native31launch_logcumsumexp_cuda_kernelERKNSE_10TensorBaseESI_lENKUlvE_clEvENKUlvE2_clEvEUlS7_S7_E_S7_EEDaPvRmT3_T4_T5_mT6_P12ihipStream_tbENKUlT_T0_E_clISt17integral_constantIbLb1EESZ_EEDaSU_SV_EUlSU_E0_NS1_11comp_targetILNS1_3genE10ELNS1_11target_archE1201ELNS1_3gpuE5ELNS1_3repE0EEENS1_30default_config_static_selectorELNS0_4arch9wavefront6targetE1EEEvT1_,@function
_ZN7rocprim17ROCPRIM_400000_NS6detail17trampoline_kernelINS0_14default_configENS1_20scan_config_selectorIN3c107complexIfEEEEZZNS1_9scan_implILNS1_25lookback_scan_determinismE0ELb0ELb0ES3_PKS7_PS7_S7_ZZZN2at6native31launch_logcumsumexp_cuda_kernelERKNSE_10TensorBaseESI_lENKUlvE_clEvENKUlvE2_clEvEUlS7_S7_E_S7_EEDaPvRmT3_T4_T5_mT6_P12ihipStream_tbENKUlT_T0_E_clISt17integral_constantIbLb1EESZ_EEDaSU_SV_EUlSU_E0_NS1_11comp_targetILNS1_3genE10ELNS1_11target_archE1201ELNS1_3gpuE5ELNS1_3repE0EEENS1_30default_config_static_selectorELNS0_4arch9wavefront6targetE1EEEvT1_: ; @_ZN7rocprim17ROCPRIM_400000_NS6detail17trampoline_kernelINS0_14default_configENS1_20scan_config_selectorIN3c107complexIfEEEEZZNS1_9scan_implILNS1_25lookback_scan_determinismE0ELb0ELb0ES3_PKS7_PS7_S7_ZZZN2at6native31launch_logcumsumexp_cuda_kernelERKNSE_10TensorBaseESI_lENKUlvE_clEvENKUlvE2_clEvEUlS7_S7_E_S7_EEDaPvRmT3_T4_T5_mT6_P12ihipStream_tbENKUlT_T0_E_clISt17integral_constantIbLb1EESZ_EEDaSU_SV_EUlSU_E0_NS1_11comp_targetILNS1_3genE10ELNS1_11target_archE1201ELNS1_3gpuE5ELNS1_3repE0EEENS1_30default_config_static_selectorELNS0_4arch9wavefront6targetE1EEEvT1_
; %bb.0:
	.section	.rodata,"a",@progbits
	.p2align	6, 0x0
	.amdhsa_kernel _ZN7rocprim17ROCPRIM_400000_NS6detail17trampoline_kernelINS0_14default_configENS1_20scan_config_selectorIN3c107complexIfEEEEZZNS1_9scan_implILNS1_25lookback_scan_determinismE0ELb0ELb0ES3_PKS7_PS7_S7_ZZZN2at6native31launch_logcumsumexp_cuda_kernelERKNSE_10TensorBaseESI_lENKUlvE_clEvENKUlvE2_clEvEUlS7_S7_E_S7_EEDaPvRmT3_T4_T5_mT6_P12ihipStream_tbENKUlT_T0_E_clISt17integral_constantIbLb1EESZ_EEDaSU_SV_EUlSU_E0_NS1_11comp_targetILNS1_3genE10ELNS1_11target_archE1201ELNS1_3gpuE5ELNS1_3repE0EEENS1_30default_config_static_selectorELNS0_4arch9wavefront6targetE1EEEvT1_
		.amdhsa_group_segment_fixed_size 0
		.amdhsa_private_segment_fixed_size 0
		.amdhsa_kernarg_size 40
		.amdhsa_user_sgpr_count 6
		.amdhsa_user_sgpr_private_segment_buffer 1
		.amdhsa_user_sgpr_dispatch_ptr 0
		.amdhsa_user_sgpr_queue_ptr 0
		.amdhsa_user_sgpr_kernarg_segment_ptr 1
		.amdhsa_user_sgpr_dispatch_id 0
		.amdhsa_user_sgpr_flat_scratch_init 0
		.amdhsa_user_sgpr_private_segment_size 0
		.amdhsa_uses_dynamic_stack 0
		.amdhsa_system_sgpr_private_segment_wavefront_offset 0
		.amdhsa_system_sgpr_workgroup_id_x 1
		.amdhsa_system_sgpr_workgroup_id_y 0
		.amdhsa_system_sgpr_workgroup_id_z 0
		.amdhsa_system_sgpr_workgroup_info 0
		.amdhsa_system_vgpr_workitem_id 0
		.amdhsa_next_free_vgpr 1
		.amdhsa_next_free_sgpr 0
		.amdhsa_reserve_vcc 0
		.amdhsa_reserve_flat_scratch 0
		.amdhsa_float_round_mode_32 0
		.amdhsa_float_round_mode_16_64 0
		.amdhsa_float_denorm_mode_32 3
		.amdhsa_float_denorm_mode_16_64 3
		.amdhsa_dx10_clamp 1
		.amdhsa_ieee_mode 1
		.amdhsa_fp16_overflow 0
		.amdhsa_exception_fp_ieee_invalid_op 0
		.amdhsa_exception_fp_denorm_src 0
		.amdhsa_exception_fp_ieee_div_zero 0
		.amdhsa_exception_fp_ieee_overflow 0
		.amdhsa_exception_fp_ieee_underflow 0
		.amdhsa_exception_fp_ieee_inexact 0
		.amdhsa_exception_int_div_zero 0
	.end_amdhsa_kernel
	.section	.text._ZN7rocprim17ROCPRIM_400000_NS6detail17trampoline_kernelINS0_14default_configENS1_20scan_config_selectorIN3c107complexIfEEEEZZNS1_9scan_implILNS1_25lookback_scan_determinismE0ELb0ELb0ES3_PKS7_PS7_S7_ZZZN2at6native31launch_logcumsumexp_cuda_kernelERKNSE_10TensorBaseESI_lENKUlvE_clEvENKUlvE2_clEvEUlS7_S7_E_S7_EEDaPvRmT3_T4_T5_mT6_P12ihipStream_tbENKUlT_T0_E_clISt17integral_constantIbLb1EESZ_EEDaSU_SV_EUlSU_E0_NS1_11comp_targetILNS1_3genE10ELNS1_11target_archE1201ELNS1_3gpuE5ELNS1_3repE0EEENS1_30default_config_static_selectorELNS0_4arch9wavefront6targetE1EEEvT1_,"axG",@progbits,_ZN7rocprim17ROCPRIM_400000_NS6detail17trampoline_kernelINS0_14default_configENS1_20scan_config_selectorIN3c107complexIfEEEEZZNS1_9scan_implILNS1_25lookback_scan_determinismE0ELb0ELb0ES3_PKS7_PS7_S7_ZZZN2at6native31launch_logcumsumexp_cuda_kernelERKNSE_10TensorBaseESI_lENKUlvE_clEvENKUlvE2_clEvEUlS7_S7_E_S7_EEDaPvRmT3_T4_T5_mT6_P12ihipStream_tbENKUlT_T0_E_clISt17integral_constantIbLb1EESZ_EEDaSU_SV_EUlSU_E0_NS1_11comp_targetILNS1_3genE10ELNS1_11target_archE1201ELNS1_3gpuE5ELNS1_3repE0EEENS1_30default_config_static_selectorELNS0_4arch9wavefront6targetE1EEEvT1_,comdat
.Lfunc_end305:
	.size	_ZN7rocprim17ROCPRIM_400000_NS6detail17trampoline_kernelINS0_14default_configENS1_20scan_config_selectorIN3c107complexIfEEEEZZNS1_9scan_implILNS1_25lookback_scan_determinismE0ELb0ELb0ES3_PKS7_PS7_S7_ZZZN2at6native31launch_logcumsumexp_cuda_kernelERKNSE_10TensorBaseESI_lENKUlvE_clEvENKUlvE2_clEvEUlS7_S7_E_S7_EEDaPvRmT3_T4_T5_mT6_P12ihipStream_tbENKUlT_T0_E_clISt17integral_constantIbLb1EESZ_EEDaSU_SV_EUlSU_E0_NS1_11comp_targetILNS1_3genE10ELNS1_11target_archE1201ELNS1_3gpuE5ELNS1_3repE0EEENS1_30default_config_static_selectorELNS0_4arch9wavefront6targetE1EEEvT1_, .Lfunc_end305-_ZN7rocprim17ROCPRIM_400000_NS6detail17trampoline_kernelINS0_14default_configENS1_20scan_config_selectorIN3c107complexIfEEEEZZNS1_9scan_implILNS1_25lookback_scan_determinismE0ELb0ELb0ES3_PKS7_PS7_S7_ZZZN2at6native31launch_logcumsumexp_cuda_kernelERKNSE_10TensorBaseESI_lENKUlvE_clEvENKUlvE2_clEvEUlS7_S7_E_S7_EEDaPvRmT3_T4_T5_mT6_P12ihipStream_tbENKUlT_T0_E_clISt17integral_constantIbLb1EESZ_EEDaSU_SV_EUlSU_E0_NS1_11comp_targetILNS1_3genE10ELNS1_11target_archE1201ELNS1_3gpuE5ELNS1_3repE0EEENS1_30default_config_static_selectorELNS0_4arch9wavefront6targetE1EEEvT1_
                                        ; -- End function
	.set _ZN7rocprim17ROCPRIM_400000_NS6detail17trampoline_kernelINS0_14default_configENS1_20scan_config_selectorIN3c107complexIfEEEEZZNS1_9scan_implILNS1_25lookback_scan_determinismE0ELb0ELb0ES3_PKS7_PS7_S7_ZZZN2at6native31launch_logcumsumexp_cuda_kernelERKNSE_10TensorBaseESI_lENKUlvE_clEvENKUlvE2_clEvEUlS7_S7_E_S7_EEDaPvRmT3_T4_T5_mT6_P12ihipStream_tbENKUlT_T0_E_clISt17integral_constantIbLb1EESZ_EEDaSU_SV_EUlSU_E0_NS1_11comp_targetILNS1_3genE10ELNS1_11target_archE1201ELNS1_3gpuE5ELNS1_3repE0EEENS1_30default_config_static_selectorELNS0_4arch9wavefront6targetE1EEEvT1_.num_vgpr, 0
	.set _ZN7rocprim17ROCPRIM_400000_NS6detail17trampoline_kernelINS0_14default_configENS1_20scan_config_selectorIN3c107complexIfEEEEZZNS1_9scan_implILNS1_25lookback_scan_determinismE0ELb0ELb0ES3_PKS7_PS7_S7_ZZZN2at6native31launch_logcumsumexp_cuda_kernelERKNSE_10TensorBaseESI_lENKUlvE_clEvENKUlvE2_clEvEUlS7_S7_E_S7_EEDaPvRmT3_T4_T5_mT6_P12ihipStream_tbENKUlT_T0_E_clISt17integral_constantIbLb1EESZ_EEDaSU_SV_EUlSU_E0_NS1_11comp_targetILNS1_3genE10ELNS1_11target_archE1201ELNS1_3gpuE5ELNS1_3repE0EEENS1_30default_config_static_selectorELNS0_4arch9wavefront6targetE1EEEvT1_.num_agpr, 0
	.set _ZN7rocprim17ROCPRIM_400000_NS6detail17trampoline_kernelINS0_14default_configENS1_20scan_config_selectorIN3c107complexIfEEEEZZNS1_9scan_implILNS1_25lookback_scan_determinismE0ELb0ELb0ES3_PKS7_PS7_S7_ZZZN2at6native31launch_logcumsumexp_cuda_kernelERKNSE_10TensorBaseESI_lENKUlvE_clEvENKUlvE2_clEvEUlS7_S7_E_S7_EEDaPvRmT3_T4_T5_mT6_P12ihipStream_tbENKUlT_T0_E_clISt17integral_constantIbLb1EESZ_EEDaSU_SV_EUlSU_E0_NS1_11comp_targetILNS1_3genE10ELNS1_11target_archE1201ELNS1_3gpuE5ELNS1_3repE0EEENS1_30default_config_static_selectorELNS0_4arch9wavefront6targetE1EEEvT1_.numbered_sgpr, 0
	.set _ZN7rocprim17ROCPRIM_400000_NS6detail17trampoline_kernelINS0_14default_configENS1_20scan_config_selectorIN3c107complexIfEEEEZZNS1_9scan_implILNS1_25lookback_scan_determinismE0ELb0ELb0ES3_PKS7_PS7_S7_ZZZN2at6native31launch_logcumsumexp_cuda_kernelERKNSE_10TensorBaseESI_lENKUlvE_clEvENKUlvE2_clEvEUlS7_S7_E_S7_EEDaPvRmT3_T4_T5_mT6_P12ihipStream_tbENKUlT_T0_E_clISt17integral_constantIbLb1EESZ_EEDaSU_SV_EUlSU_E0_NS1_11comp_targetILNS1_3genE10ELNS1_11target_archE1201ELNS1_3gpuE5ELNS1_3repE0EEENS1_30default_config_static_selectorELNS0_4arch9wavefront6targetE1EEEvT1_.num_named_barrier, 0
	.set _ZN7rocprim17ROCPRIM_400000_NS6detail17trampoline_kernelINS0_14default_configENS1_20scan_config_selectorIN3c107complexIfEEEEZZNS1_9scan_implILNS1_25lookback_scan_determinismE0ELb0ELb0ES3_PKS7_PS7_S7_ZZZN2at6native31launch_logcumsumexp_cuda_kernelERKNSE_10TensorBaseESI_lENKUlvE_clEvENKUlvE2_clEvEUlS7_S7_E_S7_EEDaPvRmT3_T4_T5_mT6_P12ihipStream_tbENKUlT_T0_E_clISt17integral_constantIbLb1EESZ_EEDaSU_SV_EUlSU_E0_NS1_11comp_targetILNS1_3genE10ELNS1_11target_archE1201ELNS1_3gpuE5ELNS1_3repE0EEENS1_30default_config_static_selectorELNS0_4arch9wavefront6targetE1EEEvT1_.private_seg_size, 0
	.set _ZN7rocprim17ROCPRIM_400000_NS6detail17trampoline_kernelINS0_14default_configENS1_20scan_config_selectorIN3c107complexIfEEEEZZNS1_9scan_implILNS1_25lookback_scan_determinismE0ELb0ELb0ES3_PKS7_PS7_S7_ZZZN2at6native31launch_logcumsumexp_cuda_kernelERKNSE_10TensorBaseESI_lENKUlvE_clEvENKUlvE2_clEvEUlS7_S7_E_S7_EEDaPvRmT3_T4_T5_mT6_P12ihipStream_tbENKUlT_T0_E_clISt17integral_constantIbLb1EESZ_EEDaSU_SV_EUlSU_E0_NS1_11comp_targetILNS1_3genE10ELNS1_11target_archE1201ELNS1_3gpuE5ELNS1_3repE0EEENS1_30default_config_static_selectorELNS0_4arch9wavefront6targetE1EEEvT1_.uses_vcc, 0
	.set _ZN7rocprim17ROCPRIM_400000_NS6detail17trampoline_kernelINS0_14default_configENS1_20scan_config_selectorIN3c107complexIfEEEEZZNS1_9scan_implILNS1_25lookback_scan_determinismE0ELb0ELb0ES3_PKS7_PS7_S7_ZZZN2at6native31launch_logcumsumexp_cuda_kernelERKNSE_10TensorBaseESI_lENKUlvE_clEvENKUlvE2_clEvEUlS7_S7_E_S7_EEDaPvRmT3_T4_T5_mT6_P12ihipStream_tbENKUlT_T0_E_clISt17integral_constantIbLb1EESZ_EEDaSU_SV_EUlSU_E0_NS1_11comp_targetILNS1_3genE10ELNS1_11target_archE1201ELNS1_3gpuE5ELNS1_3repE0EEENS1_30default_config_static_selectorELNS0_4arch9wavefront6targetE1EEEvT1_.uses_flat_scratch, 0
	.set _ZN7rocprim17ROCPRIM_400000_NS6detail17trampoline_kernelINS0_14default_configENS1_20scan_config_selectorIN3c107complexIfEEEEZZNS1_9scan_implILNS1_25lookback_scan_determinismE0ELb0ELb0ES3_PKS7_PS7_S7_ZZZN2at6native31launch_logcumsumexp_cuda_kernelERKNSE_10TensorBaseESI_lENKUlvE_clEvENKUlvE2_clEvEUlS7_S7_E_S7_EEDaPvRmT3_T4_T5_mT6_P12ihipStream_tbENKUlT_T0_E_clISt17integral_constantIbLb1EESZ_EEDaSU_SV_EUlSU_E0_NS1_11comp_targetILNS1_3genE10ELNS1_11target_archE1201ELNS1_3gpuE5ELNS1_3repE0EEENS1_30default_config_static_selectorELNS0_4arch9wavefront6targetE1EEEvT1_.has_dyn_sized_stack, 0
	.set _ZN7rocprim17ROCPRIM_400000_NS6detail17trampoline_kernelINS0_14default_configENS1_20scan_config_selectorIN3c107complexIfEEEEZZNS1_9scan_implILNS1_25lookback_scan_determinismE0ELb0ELb0ES3_PKS7_PS7_S7_ZZZN2at6native31launch_logcumsumexp_cuda_kernelERKNSE_10TensorBaseESI_lENKUlvE_clEvENKUlvE2_clEvEUlS7_S7_E_S7_EEDaPvRmT3_T4_T5_mT6_P12ihipStream_tbENKUlT_T0_E_clISt17integral_constantIbLb1EESZ_EEDaSU_SV_EUlSU_E0_NS1_11comp_targetILNS1_3genE10ELNS1_11target_archE1201ELNS1_3gpuE5ELNS1_3repE0EEENS1_30default_config_static_selectorELNS0_4arch9wavefront6targetE1EEEvT1_.has_recursion, 0
	.set _ZN7rocprim17ROCPRIM_400000_NS6detail17trampoline_kernelINS0_14default_configENS1_20scan_config_selectorIN3c107complexIfEEEEZZNS1_9scan_implILNS1_25lookback_scan_determinismE0ELb0ELb0ES3_PKS7_PS7_S7_ZZZN2at6native31launch_logcumsumexp_cuda_kernelERKNSE_10TensorBaseESI_lENKUlvE_clEvENKUlvE2_clEvEUlS7_S7_E_S7_EEDaPvRmT3_T4_T5_mT6_P12ihipStream_tbENKUlT_T0_E_clISt17integral_constantIbLb1EESZ_EEDaSU_SV_EUlSU_E0_NS1_11comp_targetILNS1_3genE10ELNS1_11target_archE1201ELNS1_3gpuE5ELNS1_3repE0EEENS1_30default_config_static_selectorELNS0_4arch9wavefront6targetE1EEEvT1_.has_indirect_call, 0
	.section	.AMDGPU.csdata,"",@progbits
; Kernel info:
; codeLenInByte = 0
; TotalNumSgprs: 4
; NumVgprs: 0
; ScratchSize: 0
; MemoryBound: 0
; FloatMode: 240
; IeeeMode: 1
; LDSByteSize: 0 bytes/workgroup (compile time only)
; SGPRBlocks: 0
; VGPRBlocks: 0
; NumSGPRsForWavesPerEU: 4
; NumVGPRsForWavesPerEU: 1
; Occupancy: 10
; WaveLimiterHint : 0
; COMPUTE_PGM_RSRC2:SCRATCH_EN: 0
; COMPUTE_PGM_RSRC2:USER_SGPR: 6
; COMPUTE_PGM_RSRC2:TRAP_HANDLER: 0
; COMPUTE_PGM_RSRC2:TGID_X_EN: 1
; COMPUTE_PGM_RSRC2:TGID_Y_EN: 0
; COMPUTE_PGM_RSRC2:TGID_Z_EN: 0
; COMPUTE_PGM_RSRC2:TIDIG_COMP_CNT: 0
	.section	.text._ZN7rocprim17ROCPRIM_400000_NS6detail17trampoline_kernelINS0_14default_configENS1_20scan_config_selectorIN3c107complexIfEEEEZZNS1_9scan_implILNS1_25lookback_scan_determinismE0ELb0ELb0ES3_PKS7_PS7_S7_ZZZN2at6native31launch_logcumsumexp_cuda_kernelERKNSE_10TensorBaseESI_lENKUlvE_clEvENKUlvE2_clEvEUlS7_S7_E_S7_EEDaPvRmT3_T4_T5_mT6_P12ihipStream_tbENKUlT_T0_E_clISt17integral_constantIbLb1EESZ_EEDaSU_SV_EUlSU_E0_NS1_11comp_targetILNS1_3genE10ELNS1_11target_archE1200ELNS1_3gpuE4ELNS1_3repE0EEENS1_30default_config_static_selectorELNS0_4arch9wavefront6targetE1EEEvT1_,"axG",@progbits,_ZN7rocprim17ROCPRIM_400000_NS6detail17trampoline_kernelINS0_14default_configENS1_20scan_config_selectorIN3c107complexIfEEEEZZNS1_9scan_implILNS1_25lookback_scan_determinismE0ELb0ELb0ES3_PKS7_PS7_S7_ZZZN2at6native31launch_logcumsumexp_cuda_kernelERKNSE_10TensorBaseESI_lENKUlvE_clEvENKUlvE2_clEvEUlS7_S7_E_S7_EEDaPvRmT3_T4_T5_mT6_P12ihipStream_tbENKUlT_T0_E_clISt17integral_constantIbLb1EESZ_EEDaSU_SV_EUlSU_E0_NS1_11comp_targetILNS1_3genE10ELNS1_11target_archE1200ELNS1_3gpuE4ELNS1_3repE0EEENS1_30default_config_static_selectorELNS0_4arch9wavefront6targetE1EEEvT1_,comdat
	.globl	_ZN7rocprim17ROCPRIM_400000_NS6detail17trampoline_kernelINS0_14default_configENS1_20scan_config_selectorIN3c107complexIfEEEEZZNS1_9scan_implILNS1_25lookback_scan_determinismE0ELb0ELb0ES3_PKS7_PS7_S7_ZZZN2at6native31launch_logcumsumexp_cuda_kernelERKNSE_10TensorBaseESI_lENKUlvE_clEvENKUlvE2_clEvEUlS7_S7_E_S7_EEDaPvRmT3_T4_T5_mT6_P12ihipStream_tbENKUlT_T0_E_clISt17integral_constantIbLb1EESZ_EEDaSU_SV_EUlSU_E0_NS1_11comp_targetILNS1_3genE10ELNS1_11target_archE1200ELNS1_3gpuE4ELNS1_3repE0EEENS1_30default_config_static_selectorELNS0_4arch9wavefront6targetE1EEEvT1_ ; -- Begin function _ZN7rocprim17ROCPRIM_400000_NS6detail17trampoline_kernelINS0_14default_configENS1_20scan_config_selectorIN3c107complexIfEEEEZZNS1_9scan_implILNS1_25lookback_scan_determinismE0ELb0ELb0ES3_PKS7_PS7_S7_ZZZN2at6native31launch_logcumsumexp_cuda_kernelERKNSE_10TensorBaseESI_lENKUlvE_clEvENKUlvE2_clEvEUlS7_S7_E_S7_EEDaPvRmT3_T4_T5_mT6_P12ihipStream_tbENKUlT_T0_E_clISt17integral_constantIbLb1EESZ_EEDaSU_SV_EUlSU_E0_NS1_11comp_targetILNS1_3genE10ELNS1_11target_archE1200ELNS1_3gpuE4ELNS1_3repE0EEENS1_30default_config_static_selectorELNS0_4arch9wavefront6targetE1EEEvT1_
	.p2align	8
	.type	_ZN7rocprim17ROCPRIM_400000_NS6detail17trampoline_kernelINS0_14default_configENS1_20scan_config_selectorIN3c107complexIfEEEEZZNS1_9scan_implILNS1_25lookback_scan_determinismE0ELb0ELb0ES3_PKS7_PS7_S7_ZZZN2at6native31launch_logcumsumexp_cuda_kernelERKNSE_10TensorBaseESI_lENKUlvE_clEvENKUlvE2_clEvEUlS7_S7_E_S7_EEDaPvRmT3_T4_T5_mT6_P12ihipStream_tbENKUlT_T0_E_clISt17integral_constantIbLb1EESZ_EEDaSU_SV_EUlSU_E0_NS1_11comp_targetILNS1_3genE10ELNS1_11target_archE1200ELNS1_3gpuE4ELNS1_3repE0EEENS1_30default_config_static_selectorELNS0_4arch9wavefront6targetE1EEEvT1_,@function
_ZN7rocprim17ROCPRIM_400000_NS6detail17trampoline_kernelINS0_14default_configENS1_20scan_config_selectorIN3c107complexIfEEEEZZNS1_9scan_implILNS1_25lookback_scan_determinismE0ELb0ELb0ES3_PKS7_PS7_S7_ZZZN2at6native31launch_logcumsumexp_cuda_kernelERKNSE_10TensorBaseESI_lENKUlvE_clEvENKUlvE2_clEvEUlS7_S7_E_S7_EEDaPvRmT3_T4_T5_mT6_P12ihipStream_tbENKUlT_T0_E_clISt17integral_constantIbLb1EESZ_EEDaSU_SV_EUlSU_E0_NS1_11comp_targetILNS1_3genE10ELNS1_11target_archE1200ELNS1_3gpuE4ELNS1_3repE0EEENS1_30default_config_static_selectorELNS0_4arch9wavefront6targetE1EEEvT1_: ; @_ZN7rocprim17ROCPRIM_400000_NS6detail17trampoline_kernelINS0_14default_configENS1_20scan_config_selectorIN3c107complexIfEEEEZZNS1_9scan_implILNS1_25lookback_scan_determinismE0ELb0ELb0ES3_PKS7_PS7_S7_ZZZN2at6native31launch_logcumsumexp_cuda_kernelERKNSE_10TensorBaseESI_lENKUlvE_clEvENKUlvE2_clEvEUlS7_S7_E_S7_EEDaPvRmT3_T4_T5_mT6_P12ihipStream_tbENKUlT_T0_E_clISt17integral_constantIbLb1EESZ_EEDaSU_SV_EUlSU_E0_NS1_11comp_targetILNS1_3genE10ELNS1_11target_archE1200ELNS1_3gpuE4ELNS1_3repE0EEENS1_30default_config_static_selectorELNS0_4arch9wavefront6targetE1EEEvT1_
; %bb.0:
	.section	.rodata,"a",@progbits
	.p2align	6, 0x0
	.amdhsa_kernel _ZN7rocprim17ROCPRIM_400000_NS6detail17trampoline_kernelINS0_14default_configENS1_20scan_config_selectorIN3c107complexIfEEEEZZNS1_9scan_implILNS1_25lookback_scan_determinismE0ELb0ELb0ES3_PKS7_PS7_S7_ZZZN2at6native31launch_logcumsumexp_cuda_kernelERKNSE_10TensorBaseESI_lENKUlvE_clEvENKUlvE2_clEvEUlS7_S7_E_S7_EEDaPvRmT3_T4_T5_mT6_P12ihipStream_tbENKUlT_T0_E_clISt17integral_constantIbLb1EESZ_EEDaSU_SV_EUlSU_E0_NS1_11comp_targetILNS1_3genE10ELNS1_11target_archE1200ELNS1_3gpuE4ELNS1_3repE0EEENS1_30default_config_static_selectorELNS0_4arch9wavefront6targetE1EEEvT1_
		.amdhsa_group_segment_fixed_size 0
		.amdhsa_private_segment_fixed_size 0
		.amdhsa_kernarg_size 40
		.amdhsa_user_sgpr_count 6
		.amdhsa_user_sgpr_private_segment_buffer 1
		.amdhsa_user_sgpr_dispatch_ptr 0
		.amdhsa_user_sgpr_queue_ptr 0
		.amdhsa_user_sgpr_kernarg_segment_ptr 1
		.amdhsa_user_sgpr_dispatch_id 0
		.amdhsa_user_sgpr_flat_scratch_init 0
		.amdhsa_user_sgpr_private_segment_size 0
		.amdhsa_uses_dynamic_stack 0
		.amdhsa_system_sgpr_private_segment_wavefront_offset 0
		.amdhsa_system_sgpr_workgroup_id_x 1
		.amdhsa_system_sgpr_workgroup_id_y 0
		.amdhsa_system_sgpr_workgroup_id_z 0
		.amdhsa_system_sgpr_workgroup_info 0
		.amdhsa_system_vgpr_workitem_id 0
		.amdhsa_next_free_vgpr 1
		.amdhsa_next_free_sgpr 0
		.amdhsa_reserve_vcc 0
		.amdhsa_reserve_flat_scratch 0
		.amdhsa_float_round_mode_32 0
		.amdhsa_float_round_mode_16_64 0
		.amdhsa_float_denorm_mode_32 3
		.amdhsa_float_denorm_mode_16_64 3
		.amdhsa_dx10_clamp 1
		.amdhsa_ieee_mode 1
		.amdhsa_fp16_overflow 0
		.amdhsa_exception_fp_ieee_invalid_op 0
		.amdhsa_exception_fp_denorm_src 0
		.amdhsa_exception_fp_ieee_div_zero 0
		.amdhsa_exception_fp_ieee_overflow 0
		.amdhsa_exception_fp_ieee_underflow 0
		.amdhsa_exception_fp_ieee_inexact 0
		.amdhsa_exception_int_div_zero 0
	.end_amdhsa_kernel
	.section	.text._ZN7rocprim17ROCPRIM_400000_NS6detail17trampoline_kernelINS0_14default_configENS1_20scan_config_selectorIN3c107complexIfEEEEZZNS1_9scan_implILNS1_25lookback_scan_determinismE0ELb0ELb0ES3_PKS7_PS7_S7_ZZZN2at6native31launch_logcumsumexp_cuda_kernelERKNSE_10TensorBaseESI_lENKUlvE_clEvENKUlvE2_clEvEUlS7_S7_E_S7_EEDaPvRmT3_T4_T5_mT6_P12ihipStream_tbENKUlT_T0_E_clISt17integral_constantIbLb1EESZ_EEDaSU_SV_EUlSU_E0_NS1_11comp_targetILNS1_3genE10ELNS1_11target_archE1200ELNS1_3gpuE4ELNS1_3repE0EEENS1_30default_config_static_selectorELNS0_4arch9wavefront6targetE1EEEvT1_,"axG",@progbits,_ZN7rocprim17ROCPRIM_400000_NS6detail17trampoline_kernelINS0_14default_configENS1_20scan_config_selectorIN3c107complexIfEEEEZZNS1_9scan_implILNS1_25lookback_scan_determinismE0ELb0ELb0ES3_PKS7_PS7_S7_ZZZN2at6native31launch_logcumsumexp_cuda_kernelERKNSE_10TensorBaseESI_lENKUlvE_clEvENKUlvE2_clEvEUlS7_S7_E_S7_EEDaPvRmT3_T4_T5_mT6_P12ihipStream_tbENKUlT_T0_E_clISt17integral_constantIbLb1EESZ_EEDaSU_SV_EUlSU_E0_NS1_11comp_targetILNS1_3genE10ELNS1_11target_archE1200ELNS1_3gpuE4ELNS1_3repE0EEENS1_30default_config_static_selectorELNS0_4arch9wavefront6targetE1EEEvT1_,comdat
.Lfunc_end306:
	.size	_ZN7rocprim17ROCPRIM_400000_NS6detail17trampoline_kernelINS0_14default_configENS1_20scan_config_selectorIN3c107complexIfEEEEZZNS1_9scan_implILNS1_25lookback_scan_determinismE0ELb0ELb0ES3_PKS7_PS7_S7_ZZZN2at6native31launch_logcumsumexp_cuda_kernelERKNSE_10TensorBaseESI_lENKUlvE_clEvENKUlvE2_clEvEUlS7_S7_E_S7_EEDaPvRmT3_T4_T5_mT6_P12ihipStream_tbENKUlT_T0_E_clISt17integral_constantIbLb1EESZ_EEDaSU_SV_EUlSU_E0_NS1_11comp_targetILNS1_3genE10ELNS1_11target_archE1200ELNS1_3gpuE4ELNS1_3repE0EEENS1_30default_config_static_selectorELNS0_4arch9wavefront6targetE1EEEvT1_, .Lfunc_end306-_ZN7rocprim17ROCPRIM_400000_NS6detail17trampoline_kernelINS0_14default_configENS1_20scan_config_selectorIN3c107complexIfEEEEZZNS1_9scan_implILNS1_25lookback_scan_determinismE0ELb0ELb0ES3_PKS7_PS7_S7_ZZZN2at6native31launch_logcumsumexp_cuda_kernelERKNSE_10TensorBaseESI_lENKUlvE_clEvENKUlvE2_clEvEUlS7_S7_E_S7_EEDaPvRmT3_T4_T5_mT6_P12ihipStream_tbENKUlT_T0_E_clISt17integral_constantIbLb1EESZ_EEDaSU_SV_EUlSU_E0_NS1_11comp_targetILNS1_3genE10ELNS1_11target_archE1200ELNS1_3gpuE4ELNS1_3repE0EEENS1_30default_config_static_selectorELNS0_4arch9wavefront6targetE1EEEvT1_
                                        ; -- End function
	.set _ZN7rocprim17ROCPRIM_400000_NS6detail17trampoline_kernelINS0_14default_configENS1_20scan_config_selectorIN3c107complexIfEEEEZZNS1_9scan_implILNS1_25lookback_scan_determinismE0ELb0ELb0ES3_PKS7_PS7_S7_ZZZN2at6native31launch_logcumsumexp_cuda_kernelERKNSE_10TensorBaseESI_lENKUlvE_clEvENKUlvE2_clEvEUlS7_S7_E_S7_EEDaPvRmT3_T4_T5_mT6_P12ihipStream_tbENKUlT_T0_E_clISt17integral_constantIbLb1EESZ_EEDaSU_SV_EUlSU_E0_NS1_11comp_targetILNS1_3genE10ELNS1_11target_archE1200ELNS1_3gpuE4ELNS1_3repE0EEENS1_30default_config_static_selectorELNS0_4arch9wavefront6targetE1EEEvT1_.num_vgpr, 0
	.set _ZN7rocprim17ROCPRIM_400000_NS6detail17trampoline_kernelINS0_14default_configENS1_20scan_config_selectorIN3c107complexIfEEEEZZNS1_9scan_implILNS1_25lookback_scan_determinismE0ELb0ELb0ES3_PKS7_PS7_S7_ZZZN2at6native31launch_logcumsumexp_cuda_kernelERKNSE_10TensorBaseESI_lENKUlvE_clEvENKUlvE2_clEvEUlS7_S7_E_S7_EEDaPvRmT3_T4_T5_mT6_P12ihipStream_tbENKUlT_T0_E_clISt17integral_constantIbLb1EESZ_EEDaSU_SV_EUlSU_E0_NS1_11comp_targetILNS1_3genE10ELNS1_11target_archE1200ELNS1_3gpuE4ELNS1_3repE0EEENS1_30default_config_static_selectorELNS0_4arch9wavefront6targetE1EEEvT1_.num_agpr, 0
	.set _ZN7rocprim17ROCPRIM_400000_NS6detail17trampoline_kernelINS0_14default_configENS1_20scan_config_selectorIN3c107complexIfEEEEZZNS1_9scan_implILNS1_25lookback_scan_determinismE0ELb0ELb0ES3_PKS7_PS7_S7_ZZZN2at6native31launch_logcumsumexp_cuda_kernelERKNSE_10TensorBaseESI_lENKUlvE_clEvENKUlvE2_clEvEUlS7_S7_E_S7_EEDaPvRmT3_T4_T5_mT6_P12ihipStream_tbENKUlT_T0_E_clISt17integral_constantIbLb1EESZ_EEDaSU_SV_EUlSU_E0_NS1_11comp_targetILNS1_3genE10ELNS1_11target_archE1200ELNS1_3gpuE4ELNS1_3repE0EEENS1_30default_config_static_selectorELNS0_4arch9wavefront6targetE1EEEvT1_.numbered_sgpr, 0
	.set _ZN7rocprim17ROCPRIM_400000_NS6detail17trampoline_kernelINS0_14default_configENS1_20scan_config_selectorIN3c107complexIfEEEEZZNS1_9scan_implILNS1_25lookback_scan_determinismE0ELb0ELb0ES3_PKS7_PS7_S7_ZZZN2at6native31launch_logcumsumexp_cuda_kernelERKNSE_10TensorBaseESI_lENKUlvE_clEvENKUlvE2_clEvEUlS7_S7_E_S7_EEDaPvRmT3_T4_T5_mT6_P12ihipStream_tbENKUlT_T0_E_clISt17integral_constantIbLb1EESZ_EEDaSU_SV_EUlSU_E0_NS1_11comp_targetILNS1_3genE10ELNS1_11target_archE1200ELNS1_3gpuE4ELNS1_3repE0EEENS1_30default_config_static_selectorELNS0_4arch9wavefront6targetE1EEEvT1_.num_named_barrier, 0
	.set _ZN7rocprim17ROCPRIM_400000_NS6detail17trampoline_kernelINS0_14default_configENS1_20scan_config_selectorIN3c107complexIfEEEEZZNS1_9scan_implILNS1_25lookback_scan_determinismE0ELb0ELb0ES3_PKS7_PS7_S7_ZZZN2at6native31launch_logcumsumexp_cuda_kernelERKNSE_10TensorBaseESI_lENKUlvE_clEvENKUlvE2_clEvEUlS7_S7_E_S7_EEDaPvRmT3_T4_T5_mT6_P12ihipStream_tbENKUlT_T0_E_clISt17integral_constantIbLb1EESZ_EEDaSU_SV_EUlSU_E0_NS1_11comp_targetILNS1_3genE10ELNS1_11target_archE1200ELNS1_3gpuE4ELNS1_3repE0EEENS1_30default_config_static_selectorELNS0_4arch9wavefront6targetE1EEEvT1_.private_seg_size, 0
	.set _ZN7rocprim17ROCPRIM_400000_NS6detail17trampoline_kernelINS0_14default_configENS1_20scan_config_selectorIN3c107complexIfEEEEZZNS1_9scan_implILNS1_25lookback_scan_determinismE0ELb0ELb0ES3_PKS7_PS7_S7_ZZZN2at6native31launch_logcumsumexp_cuda_kernelERKNSE_10TensorBaseESI_lENKUlvE_clEvENKUlvE2_clEvEUlS7_S7_E_S7_EEDaPvRmT3_T4_T5_mT6_P12ihipStream_tbENKUlT_T0_E_clISt17integral_constantIbLb1EESZ_EEDaSU_SV_EUlSU_E0_NS1_11comp_targetILNS1_3genE10ELNS1_11target_archE1200ELNS1_3gpuE4ELNS1_3repE0EEENS1_30default_config_static_selectorELNS0_4arch9wavefront6targetE1EEEvT1_.uses_vcc, 0
	.set _ZN7rocprim17ROCPRIM_400000_NS6detail17trampoline_kernelINS0_14default_configENS1_20scan_config_selectorIN3c107complexIfEEEEZZNS1_9scan_implILNS1_25lookback_scan_determinismE0ELb0ELb0ES3_PKS7_PS7_S7_ZZZN2at6native31launch_logcumsumexp_cuda_kernelERKNSE_10TensorBaseESI_lENKUlvE_clEvENKUlvE2_clEvEUlS7_S7_E_S7_EEDaPvRmT3_T4_T5_mT6_P12ihipStream_tbENKUlT_T0_E_clISt17integral_constantIbLb1EESZ_EEDaSU_SV_EUlSU_E0_NS1_11comp_targetILNS1_3genE10ELNS1_11target_archE1200ELNS1_3gpuE4ELNS1_3repE0EEENS1_30default_config_static_selectorELNS0_4arch9wavefront6targetE1EEEvT1_.uses_flat_scratch, 0
	.set _ZN7rocprim17ROCPRIM_400000_NS6detail17trampoline_kernelINS0_14default_configENS1_20scan_config_selectorIN3c107complexIfEEEEZZNS1_9scan_implILNS1_25lookback_scan_determinismE0ELb0ELb0ES3_PKS7_PS7_S7_ZZZN2at6native31launch_logcumsumexp_cuda_kernelERKNSE_10TensorBaseESI_lENKUlvE_clEvENKUlvE2_clEvEUlS7_S7_E_S7_EEDaPvRmT3_T4_T5_mT6_P12ihipStream_tbENKUlT_T0_E_clISt17integral_constantIbLb1EESZ_EEDaSU_SV_EUlSU_E0_NS1_11comp_targetILNS1_3genE10ELNS1_11target_archE1200ELNS1_3gpuE4ELNS1_3repE0EEENS1_30default_config_static_selectorELNS0_4arch9wavefront6targetE1EEEvT1_.has_dyn_sized_stack, 0
	.set _ZN7rocprim17ROCPRIM_400000_NS6detail17trampoline_kernelINS0_14default_configENS1_20scan_config_selectorIN3c107complexIfEEEEZZNS1_9scan_implILNS1_25lookback_scan_determinismE0ELb0ELb0ES3_PKS7_PS7_S7_ZZZN2at6native31launch_logcumsumexp_cuda_kernelERKNSE_10TensorBaseESI_lENKUlvE_clEvENKUlvE2_clEvEUlS7_S7_E_S7_EEDaPvRmT3_T4_T5_mT6_P12ihipStream_tbENKUlT_T0_E_clISt17integral_constantIbLb1EESZ_EEDaSU_SV_EUlSU_E0_NS1_11comp_targetILNS1_3genE10ELNS1_11target_archE1200ELNS1_3gpuE4ELNS1_3repE0EEENS1_30default_config_static_selectorELNS0_4arch9wavefront6targetE1EEEvT1_.has_recursion, 0
	.set _ZN7rocprim17ROCPRIM_400000_NS6detail17trampoline_kernelINS0_14default_configENS1_20scan_config_selectorIN3c107complexIfEEEEZZNS1_9scan_implILNS1_25lookback_scan_determinismE0ELb0ELb0ES3_PKS7_PS7_S7_ZZZN2at6native31launch_logcumsumexp_cuda_kernelERKNSE_10TensorBaseESI_lENKUlvE_clEvENKUlvE2_clEvEUlS7_S7_E_S7_EEDaPvRmT3_T4_T5_mT6_P12ihipStream_tbENKUlT_T0_E_clISt17integral_constantIbLb1EESZ_EEDaSU_SV_EUlSU_E0_NS1_11comp_targetILNS1_3genE10ELNS1_11target_archE1200ELNS1_3gpuE4ELNS1_3repE0EEENS1_30default_config_static_selectorELNS0_4arch9wavefront6targetE1EEEvT1_.has_indirect_call, 0
	.section	.AMDGPU.csdata,"",@progbits
; Kernel info:
; codeLenInByte = 0
; TotalNumSgprs: 4
; NumVgprs: 0
; ScratchSize: 0
; MemoryBound: 0
; FloatMode: 240
; IeeeMode: 1
; LDSByteSize: 0 bytes/workgroup (compile time only)
; SGPRBlocks: 0
; VGPRBlocks: 0
; NumSGPRsForWavesPerEU: 4
; NumVGPRsForWavesPerEU: 1
; Occupancy: 10
; WaveLimiterHint : 0
; COMPUTE_PGM_RSRC2:SCRATCH_EN: 0
; COMPUTE_PGM_RSRC2:USER_SGPR: 6
; COMPUTE_PGM_RSRC2:TRAP_HANDLER: 0
; COMPUTE_PGM_RSRC2:TGID_X_EN: 1
; COMPUTE_PGM_RSRC2:TGID_Y_EN: 0
; COMPUTE_PGM_RSRC2:TGID_Z_EN: 0
; COMPUTE_PGM_RSRC2:TIDIG_COMP_CNT: 0
	.section	.text._ZN7rocprim17ROCPRIM_400000_NS6detail17trampoline_kernelINS0_14default_configENS1_20scan_config_selectorIN3c107complexIfEEEEZZNS1_9scan_implILNS1_25lookback_scan_determinismE0ELb0ELb0ES3_PKS7_PS7_S7_ZZZN2at6native31launch_logcumsumexp_cuda_kernelERKNSE_10TensorBaseESI_lENKUlvE_clEvENKUlvE2_clEvEUlS7_S7_E_S7_EEDaPvRmT3_T4_T5_mT6_P12ihipStream_tbENKUlT_T0_E_clISt17integral_constantIbLb1EESZ_EEDaSU_SV_EUlSU_E0_NS1_11comp_targetILNS1_3genE9ELNS1_11target_archE1100ELNS1_3gpuE3ELNS1_3repE0EEENS1_30default_config_static_selectorELNS0_4arch9wavefront6targetE1EEEvT1_,"axG",@progbits,_ZN7rocprim17ROCPRIM_400000_NS6detail17trampoline_kernelINS0_14default_configENS1_20scan_config_selectorIN3c107complexIfEEEEZZNS1_9scan_implILNS1_25lookback_scan_determinismE0ELb0ELb0ES3_PKS7_PS7_S7_ZZZN2at6native31launch_logcumsumexp_cuda_kernelERKNSE_10TensorBaseESI_lENKUlvE_clEvENKUlvE2_clEvEUlS7_S7_E_S7_EEDaPvRmT3_T4_T5_mT6_P12ihipStream_tbENKUlT_T0_E_clISt17integral_constantIbLb1EESZ_EEDaSU_SV_EUlSU_E0_NS1_11comp_targetILNS1_3genE9ELNS1_11target_archE1100ELNS1_3gpuE3ELNS1_3repE0EEENS1_30default_config_static_selectorELNS0_4arch9wavefront6targetE1EEEvT1_,comdat
	.globl	_ZN7rocprim17ROCPRIM_400000_NS6detail17trampoline_kernelINS0_14default_configENS1_20scan_config_selectorIN3c107complexIfEEEEZZNS1_9scan_implILNS1_25lookback_scan_determinismE0ELb0ELb0ES3_PKS7_PS7_S7_ZZZN2at6native31launch_logcumsumexp_cuda_kernelERKNSE_10TensorBaseESI_lENKUlvE_clEvENKUlvE2_clEvEUlS7_S7_E_S7_EEDaPvRmT3_T4_T5_mT6_P12ihipStream_tbENKUlT_T0_E_clISt17integral_constantIbLb1EESZ_EEDaSU_SV_EUlSU_E0_NS1_11comp_targetILNS1_3genE9ELNS1_11target_archE1100ELNS1_3gpuE3ELNS1_3repE0EEENS1_30default_config_static_selectorELNS0_4arch9wavefront6targetE1EEEvT1_ ; -- Begin function _ZN7rocprim17ROCPRIM_400000_NS6detail17trampoline_kernelINS0_14default_configENS1_20scan_config_selectorIN3c107complexIfEEEEZZNS1_9scan_implILNS1_25lookback_scan_determinismE0ELb0ELb0ES3_PKS7_PS7_S7_ZZZN2at6native31launch_logcumsumexp_cuda_kernelERKNSE_10TensorBaseESI_lENKUlvE_clEvENKUlvE2_clEvEUlS7_S7_E_S7_EEDaPvRmT3_T4_T5_mT6_P12ihipStream_tbENKUlT_T0_E_clISt17integral_constantIbLb1EESZ_EEDaSU_SV_EUlSU_E0_NS1_11comp_targetILNS1_3genE9ELNS1_11target_archE1100ELNS1_3gpuE3ELNS1_3repE0EEENS1_30default_config_static_selectorELNS0_4arch9wavefront6targetE1EEEvT1_
	.p2align	8
	.type	_ZN7rocprim17ROCPRIM_400000_NS6detail17trampoline_kernelINS0_14default_configENS1_20scan_config_selectorIN3c107complexIfEEEEZZNS1_9scan_implILNS1_25lookback_scan_determinismE0ELb0ELb0ES3_PKS7_PS7_S7_ZZZN2at6native31launch_logcumsumexp_cuda_kernelERKNSE_10TensorBaseESI_lENKUlvE_clEvENKUlvE2_clEvEUlS7_S7_E_S7_EEDaPvRmT3_T4_T5_mT6_P12ihipStream_tbENKUlT_T0_E_clISt17integral_constantIbLb1EESZ_EEDaSU_SV_EUlSU_E0_NS1_11comp_targetILNS1_3genE9ELNS1_11target_archE1100ELNS1_3gpuE3ELNS1_3repE0EEENS1_30default_config_static_selectorELNS0_4arch9wavefront6targetE1EEEvT1_,@function
_ZN7rocprim17ROCPRIM_400000_NS6detail17trampoline_kernelINS0_14default_configENS1_20scan_config_selectorIN3c107complexIfEEEEZZNS1_9scan_implILNS1_25lookback_scan_determinismE0ELb0ELb0ES3_PKS7_PS7_S7_ZZZN2at6native31launch_logcumsumexp_cuda_kernelERKNSE_10TensorBaseESI_lENKUlvE_clEvENKUlvE2_clEvEUlS7_S7_E_S7_EEDaPvRmT3_T4_T5_mT6_P12ihipStream_tbENKUlT_T0_E_clISt17integral_constantIbLb1EESZ_EEDaSU_SV_EUlSU_E0_NS1_11comp_targetILNS1_3genE9ELNS1_11target_archE1100ELNS1_3gpuE3ELNS1_3repE0EEENS1_30default_config_static_selectorELNS0_4arch9wavefront6targetE1EEEvT1_: ; @_ZN7rocprim17ROCPRIM_400000_NS6detail17trampoline_kernelINS0_14default_configENS1_20scan_config_selectorIN3c107complexIfEEEEZZNS1_9scan_implILNS1_25lookback_scan_determinismE0ELb0ELb0ES3_PKS7_PS7_S7_ZZZN2at6native31launch_logcumsumexp_cuda_kernelERKNSE_10TensorBaseESI_lENKUlvE_clEvENKUlvE2_clEvEUlS7_S7_E_S7_EEDaPvRmT3_T4_T5_mT6_P12ihipStream_tbENKUlT_T0_E_clISt17integral_constantIbLb1EESZ_EEDaSU_SV_EUlSU_E0_NS1_11comp_targetILNS1_3genE9ELNS1_11target_archE1100ELNS1_3gpuE3ELNS1_3repE0EEENS1_30default_config_static_selectorELNS0_4arch9wavefront6targetE1EEEvT1_
; %bb.0:
	.section	.rodata,"a",@progbits
	.p2align	6, 0x0
	.amdhsa_kernel _ZN7rocprim17ROCPRIM_400000_NS6detail17trampoline_kernelINS0_14default_configENS1_20scan_config_selectorIN3c107complexIfEEEEZZNS1_9scan_implILNS1_25lookback_scan_determinismE0ELb0ELb0ES3_PKS7_PS7_S7_ZZZN2at6native31launch_logcumsumexp_cuda_kernelERKNSE_10TensorBaseESI_lENKUlvE_clEvENKUlvE2_clEvEUlS7_S7_E_S7_EEDaPvRmT3_T4_T5_mT6_P12ihipStream_tbENKUlT_T0_E_clISt17integral_constantIbLb1EESZ_EEDaSU_SV_EUlSU_E0_NS1_11comp_targetILNS1_3genE9ELNS1_11target_archE1100ELNS1_3gpuE3ELNS1_3repE0EEENS1_30default_config_static_selectorELNS0_4arch9wavefront6targetE1EEEvT1_
		.amdhsa_group_segment_fixed_size 0
		.amdhsa_private_segment_fixed_size 0
		.amdhsa_kernarg_size 40
		.amdhsa_user_sgpr_count 6
		.amdhsa_user_sgpr_private_segment_buffer 1
		.amdhsa_user_sgpr_dispatch_ptr 0
		.amdhsa_user_sgpr_queue_ptr 0
		.amdhsa_user_sgpr_kernarg_segment_ptr 1
		.amdhsa_user_sgpr_dispatch_id 0
		.amdhsa_user_sgpr_flat_scratch_init 0
		.amdhsa_user_sgpr_private_segment_size 0
		.amdhsa_uses_dynamic_stack 0
		.amdhsa_system_sgpr_private_segment_wavefront_offset 0
		.amdhsa_system_sgpr_workgroup_id_x 1
		.amdhsa_system_sgpr_workgroup_id_y 0
		.amdhsa_system_sgpr_workgroup_id_z 0
		.amdhsa_system_sgpr_workgroup_info 0
		.amdhsa_system_vgpr_workitem_id 0
		.amdhsa_next_free_vgpr 1
		.amdhsa_next_free_sgpr 0
		.amdhsa_reserve_vcc 0
		.amdhsa_reserve_flat_scratch 0
		.amdhsa_float_round_mode_32 0
		.amdhsa_float_round_mode_16_64 0
		.amdhsa_float_denorm_mode_32 3
		.amdhsa_float_denorm_mode_16_64 3
		.amdhsa_dx10_clamp 1
		.amdhsa_ieee_mode 1
		.amdhsa_fp16_overflow 0
		.amdhsa_exception_fp_ieee_invalid_op 0
		.amdhsa_exception_fp_denorm_src 0
		.amdhsa_exception_fp_ieee_div_zero 0
		.amdhsa_exception_fp_ieee_overflow 0
		.amdhsa_exception_fp_ieee_underflow 0
		.amdhsa_exception_fp_ieee_inexact 0
		.amdhsa_exception_int_div_zero 0
	.end_amdhsa_kernel
	.section	.text._ZN7rocprim17ROCPRIM_400000_NS6detail17trampoline_kernelINS0_14default_configENS1_20scan_config_selectorIN3c107complexIfEEEEZZNS1_9scan_implILNS1_25lookback_scan_determinismE0ELb0ELb0ES3_PKS7_PS7_S7_ZZZN2at6native31launch_logcumsumexp_cuda_kernelERKNSE_10TensorBaseESI_lENKUlvE_clEvENKUlvE2_clEvEUlS7_S7_E_S7_EEDaPvRmT3_T4_T5_mT6_P12ihipStream_tbENKUlT_T0_E_clISt17integral_constantIbLb1EESZ_EEDaSU_SV_EUlSU_E0_NS1_11comp_targetILNS1_3genE9ELNS1_11target_archE1100ELNS1_3gpuE3ELNS1_3repE0EEENS1_30default_config_static_selectorELNS0_4arch9wavefront6targetE1EEEvT1_,"axG",@progbits,_ZN7rocprim17ROCPRIM_400000_NS6detail17trampoline_kernelINS0_14default_configENS1_20scan_config_selectorIN3c107complexIfEEEEZZNS1_9scan_implILNS1_25lookback_scan_determinismE0ELb0ELb0ES3_PKS7_PS7_S7_ZZZN2at6native31launch_logcumsumexp_cuda_kernelERKNSE_10TensorBaseESI_lENKUlvE_clEvENKUlvE2_clEvEUlS7_S7_E_S7_EEDaPvRmT3_T4_T5_mT6_P12ihipStream_tbENKUlT_T0_E_clISt17integral_constantIbLb1EESZ_EEDaSU_SV_EUlSU_E0_NS1_11comp_targetILNS1_3genE9ELNS1_11target_archE1100ELNS1_3gpuE3ELNS1_3repE0EEENS1_30default_config_static_selectorELNS0_4arch9wavefront6targetE1EEEvT1_,comdat
.Lfunc_end307:
	.size	_ZN7rocprim17ROCPRIM_400000_NS6detail17trampoline_kernelINS0_14default_configENS1_20scan_config_selectorIN3c107complexIfEEEEZZNS1_9scan_implILNS1_25lookback_scan_determinismE0ELb0ELb0ES3_PKS7_PS7_S7_ZZZN2at6native31launch_logcumsumexp_cuda_kernelERKNSE_10TensorBaseESI_lENKUlvE_clEvENKUlvE2_clEvEUlS7_S7_E_S7_EEDaPvRmT3_T4_T5_mT6_P12ihipStream_tbENKUlT_T0_E_clISt17integral_constantIbLb1EESZ_EEDaSU_SV_EUlSU_E0_NS1_11comp_targetILNS1_3genE9ELNS1_11target_archE1100ELNS1_3gpuE3ELNS1_3repE0EEENS1_30default_config_static_selectorELNS0_4arch9wavefront6targetE1EEEvT1_, .Lfunc_end307-_ZN7rocprim17ROCPRIM_400000_NS6detail17trampoline_kernelINS0_14default_configENS1_20scan_config_selectorIN3c107complexIfEEEEZZNS1_9scan_implILNS1_25lookback_scan_determinismE0ELb0ELb0ES3_PKS7_PS7_S7_ZZZN2at6native31launch_logcumsumexp_cuda_kernelERKNSE_10TensorBaseESI_lENKUlvE_clEvENKUlvE2_clEvEUlS7_S7_E_S7_EEDaPvRmT3_T4_T5_mT6_P12ihipStream_tbENKUlT_T0_E_clISt17integral_constantIbLb1EESZ_EEDaSU_SV_EUlSU_E0_NS1_11comp_targetILNS1_3genE9ELNS1_11target_archE1100ELNS1_3gpuE3ELNS1_3repE0EEENS1_30default_config_static_selectorELNS0_4arch9wavefront6targetE1EEEvT1_
                                        ; -- End function
	.set _ZN7rocprim17ROCPRIM_400000_NS6detail17trampoline_kernelINS0_14default_configENS1_20scan_config_selectorIN3c107complexIfEEEEZZNS1_9scan_implILNS1_25lookback_scan_determinismE0ELb0ELb0ES3_PKS7_PS7_S7_ZZZN2at6native31launch_logcumsumexp_cuda_kernelERKNSE_10TensorBaseESI_lENKUlvE_clEvENKUlvE2_clEvEUlS7_S7_E_S7_EEDaPvRmT3_T4_T5_mT6_P12ihipStream_tbENKUlT_T0_E_clISt17integral_constantIbLb1EESZ_EEDaSU_SV_EUlSU_E0_NS1_11comp_targetILNS1_3genE9ELNS1_11target_archE1100ELNS1_3gpuE3ELNS1_3repE0EEENS1_30default_config_static_selectorELNS0_4arch9wavefront6targetE1EEEvT1_.num_vgpr, 0
	.set _ZN7rocprim17ROCPRIM_400000_NS6detail17trampoline_kernelINS0_14default_configENS1_20scan_config_selectorIN3c107complexIfEEEEZZNS1_9scan_implILNS1_25lookback_scan_determinismE0ELb0ELb0ES3_PKS7_PS7_S7_ZZZN2at6native31launch_logcumsumexp_cuda_kernelERKNSE_10TensorBaseESI_lENKUlvE_clEvENKUlvE2_clEvEUlS7_S7_E_S7_EEDaPvRmT3_T4_T5_mT6_P12ihipStream_tbENKUlT_T0_E_clISt17integral_constantIbLb1EESZ_EEDaSU_SV_EUlSU_E0_NS1_11comp_targetILNS1_3genE9ELNS1_11target_archE1100ELNS1_3gpuE3ELNS1_3repE0EEENS1_30default_config_static_selectorELNS0_4arch9wavefront6targetE1EEEvT1_.num_agpr, 0
	.set _ZN7rocprim17ROCPRIM_400000_NS6detail17trampoline_kernelINS0_14default_configENS1_20scan_config_selectorIN3c107complexIfEEEEZZNS1_9scan_implILNS1_25lookback_scan_determinismE0ELb0ELb0ES3_PKS7_PS7_S7_ZZZN2at6native31launch_logcumsumexp_cuda_kernelERKNSE_10TensorBaseESI_lENKUlvE_clEvENKUlvE2_clEvEUlS7_S7_E_S7_EEDaPvRmT3_T4_T5_mT6_P12ihipStream_tbENKUlT_T0_E_clISt17integral_constantIbLb1EESZ_EEDaSU_SV_EUlSU_E0_NS1_11comp_targetILNS1_3genE9ELNS1_11target_archE1100ELNS1_3gpuE3ELNS1_3repE0EEENS1_30default_config_static_selectorELNS0_4arch9wavefront6targetE1EEEvT1_.numbered_sgpr, 0
	.set _ZN7rocprim17ROCPRIM_400000_NS6detail17trampoline_kernelINS0_14default_configENS1_20scan_config_selectorIN3c107complexIfEEEEZZNS1_9scan_implILNS1_25lookback_scan_determinismE0ELb0ELb0ES3_PKS7_PS7_S7_ZZZN2at6native31launch_logcumsumexp_cuda_kernelERKNSE_10TensorBaseESI_lENKUlvE_clEvENKUlvE2_clEvEUlS7_S7_E_S7_EEDaPvRmT3_T4_T5_mT6_P12ihipStream_tbENKUlT_T0_E_clISt17integral_constantIbLb1EESZ_EEDaSU_SV_EUlSU_E0_NS1_11comp_targetILNS1_3genE9ELNS1_11target_archE1100ELNS1_3gpuE3ELNS1_3repE0EEENS1_30default_config_static_selectorELNS0_4arch9wavefront6targetE1EEEvT1_.num_named_barrier, 0
	.set _ZN7rocprim17ROCPRIM_400000_NS6detail17trampoline_kernelINS0_14default_configENS1_20scan_config_selectorIN3c107complexIfEEEEZZNS1_9scan_implILNS1_25lookback_scan_determinismE0ELb0ELb0ES3_PKS7_PS7_S7_ZZZN2at6native31launch_logcumsumexp_cuda_kernelERKNSE_10TensorBaseESI_lENKUlvE_clEvENKUlvE2_clEvEUlS7_S7_E_S7_EEDaPvRmT3_T4_T5_mT6_P12ihipStream_tbENKUlT_T0_E_clISt17integral_constantIbLb1EESZ_EEDaSU_SV_EUlSU_E0_NS1_11comp_targetILNS1_3genE9ELNS1_11target_archE1100ELNS1_3gpuE3ELNS1_3repE0EEENS1_30default_config_static_selectorELNS0_4arch9wavefront6targetE1EEEvT1_.private_seg_size, 0
	.set _ZN7rocprim17ROCPRIM_400000_NS6detail17trampoline_kernelINS0_14default_configENS1_20scan_config_selectorIN3c107complexIfEEEEZZNS1_9scan_implILNS1_25lookback_scan_determinismE0ELb0ELb0ES3_PKS7_PS7_S7_ZZZN2at6native31launch_logcumsumexp_cuda_kernelERKNSE_10TensorBaseESI_lENKUlvE_clEvENKUlvE2_clEvEUlS7_S7_E_S7_EEDaPvRmT3_T4_T5_mT6_P12ihipStream_tbENKUlT_T0_E_clISt17integral_constantIbLb1EESZ_EEDaSU_SV_EUlSU_E0_NS1_11comp_targetILNS1_3genE9ELNS1_11target_archE1100ELNS1_3gpuE3ELNS1_3repE0EEENS1_30default_config_static_selectorELNS0_4arch9wavefront6targetE1EEEvT1_.uses_vcc, 0
	.set _ZN7rocprim17ROCPRIM_400000_NS6detail17trampoline_kernelINS0_14default_configENS1_20scan_config_selectorIN3c107complexIfEEEEZZNS1_9scan_implILNS1_25lookback_scan_determinismE0ELb0ELb0ES3_PKS7_PS7_S7_ZZZN2at6native31launch_logcumsumexp_cuda_kernelERKNSE_10TensorBaseESI_lENKUlvE_clEvENKUlvE2_clEvEUlS7_S7_E_S7_EEDaPvRmT3_T4_T5_mT6_P12ihipStream_tbENKUlT_T0_E_clISt17integral_constantIbLb1EESZ_EEDaSU_SV_EUlSU_E0_NS1_11comp_targetILNS1_3genE9ELNS1_11target_archE1100ELNS1_3gpuE3ELNS1_3repE0EEENS1_30default_config_static_selectorELNS0_4arch9wavefront6targetE1EEEvT1_.uses_flat_scratch, 0
	.set _ZN7rocprim17ROCPRIM_400000_NS6detail17trampoline_kernelINS0_14default_configENS1_20scan_config_selectorIN3c107complexIfEEEEZZNS1_9scan_implILNS1_25lookback_scan_determinismE0ELb0ELb0ES3_PKS7_PS7_S7_ZZZN2at6native31launch_logcumsumexp_cuda_kernelERKNSE_10TensorBaseESI_lENKUlvE_clEvENKUlvE2_clEvEUlS7_S7_E_S7_EEDaPvRmT3_T4_T5_mT6_P12ihipStream_tbENKUlT_T0_E_clISt17integral_constantIbLb1EESZ_EEDaSU_SV_EUlSU_E0_NS1_11comp_targetILNS1_3genE9ELNS1_11target_archE1100ELNS1_3gpuE3ELNS1_3repE0EEENS1_30default_config_static_selectorELNS0_4arch9wavefront6targetE1EEEvT1_.has_dyn_sized_stack, 0
	.set _ZN7rocprim17ROCPRIM_400000_NS6detail17trampoline_kernelINS0_14default_configENS1_20scan_config_selectorIN3c107complexIfEEEEZZNS1_9scan_implILNS1_25lookback_scan_determinismE0ELb0ELb0ES3_PKS7_PS7_S7_ZZZN2at6native31launch_logcumsumexp_cuda_kernelERKNSE_10TensorBaseESI_lENKUlvE_clEvENKUlvE2_clEvEUlS7_S7_E_S7_EEDaPvRmT3_T4_T5_mT6_P12ihipStream_tbENKUlT_T0_E_clISt17integral_constantIbLb1EESZ_EEDaSU_SV_EUlSU_E0_NS1_11comp_targetILNS1_3genE9ELNS1_11target_archE1100ELNS1_3gpuE3ELNS1_3repE0EEENS1_30default_config_static_selectorELNS0_4arch9wavefront6targetE1EEEvT1_.has_recursion, 0
	.set _ZN7rocprim17ROCPRIM_400000_NS6detail17trampoline_kernelINS0_14default_configENS1_20scan_config_selectorIN3c107complexIfEEEEZZNS1_9scan_implILNS1_25lookback_scan_determinismE0ELb0ELb0ES3_PKS7_PS7_S7_ZZZN2at6native31launch_logcumsumexp_cuda_kernelERKNSE_10TensorBaseESI_lENKUlvE_clEvENKUlvE2_clEvEUlS7_S7_E_S7_EEDaPvRmT3_T4_T5_mT6_P12ihipStream_tbENKUlT_T0_E_clISt17integral_constantIbLb1EESZ_EEDaSU_SV_EUlSU_E0_NS1_11comp_targetILNS1_3genE9ELNS1_11target_archE1100ELNS1_3gpuE3ELNS1_3repE0EEENS1_30default_config_static_selectorELNS0_4arch9wavefront6targetE1EEEvT1_.has_indirect_call, 0
	.section	.AMDGPU.csdata,"",@progbits
; Kernel info:
; codeLenInByte = 0
; TotalNumSgprs: 4
; NumVgprs: 0
; ScratchSize: 0
; MemoryBound: 0
; FloatMode: 240
; IeeeMode: 1
; LDSByteSize: 0 bytes/workgroup (compile time only)
; SGPRBlocks: 0
; VGPRBlocks: 0
; NumSGPRsForWavesPerEU: 4
; NumVGPRsForWavesPerEU: 1
; Occupancy: 10
; WaveLimiterHint : 0
; COMPUTE_PGM_RSRC2:SCRATCH_EN: 0
; COMPUTE_PGM_RSRC2:USER_SGPR: 6
; COMPUTE_PGM_RSRC2:TRAP_HANDLER: 0
; COMPUTE_PGM_RSRC2:TGID_X_EN: 1
; COMPUTE_PGM_RSRC2:TGID_Y_EN: 0
; COMPUTE_PGM_RSRC2:TGID_Z_EN: 0
; COMPUTE_PGM_RSRC2:TIDIG_COMP_CNT: 0
	.section	.text._ZN7rocprim17ROCPRIM_400000_NS6detail17trampoline_kernelINS0_14default_configENS1_20scan_config_selectorIN3c107complexIfEEEEZZNS1_9scan_implILNS1_25lookback_scan_determinismE0ELb0ELb0ES3_PKS7_PS7_S7_ZZZN2at6native31launch_logcumsumexp_cuda_kernelERKNSE_10TensorBaseESI_lENKUlvE_clEvENKUlvE2_clEvEUlS7_S7_E_S7_EEDaPvRmT3_T4_T5_mT6_P12ihipStream_tbENKUlT_T0_E_clISt17integral_constantIbLb1EESZ_EEDaSU_SV_EUlSU_E0_NS1_11comp_targetILNS1_3genE8ELNS1_11target_archE1030ELNS1_3gpuE2ELNS1_3repE0EEENS1_30default_config_static_selectorELNS0_4arch9wavefront6targetE1EEEvT1_,"axG",@progbits,_ZN7rocprim17ROCPRIM_400000_NS6detail17trampoline_kernelINS0_14default_configENS1_20scan_config_selectorIN3c107complexIfEEEEZZNS1_9scan_implILNS1_25lookback_scan_determinismE0ELb0ELb0ES3_PKS7_PS7_S7_ZZZN2at6native31launch_logcumsumexp_cuda_kernelERKNSE_10TensorBaseESI_lENKUlvE_clEvENKUlvE2_clEvEUlS7_S7_E_S7_EEDaPvRmT3_T4_T5_mT6_P12ihipStream_tbENKUlT_T0_E_clISt17integral_constantIbLb1EESZ_EEDaSU_SV_EUlSU_E0_NS1_11comp_targetILNS1_3genE8ELNS1_11target_archE1030ELNS1_3gpuE2ELNS1_3repE0EEENS1_30default_config_static_selectorELNS0_4arch9wavefront6targetE1EEEvT1_,comdat
	.globl	_ZN7rocprim17ROCPRIM_400000_NS6detail17trampoline_kernelINS0_14default_configENS1_20scan_config_selectorIN3c107complexIfEEEEZZNS1_9scan_implILNS1_25lookback_scan_determinismE0ELb0ELb0ES3_PKS7_PS7_S7_ZZZN2at6native31launch_logcumsumexp_cuda_kernelERKNSE_10TensorBaseESI_lENKUlvE_clEvENKUlvE2_clEvEUlS7_S7_E_S7_EEDaPvRmT3_T4_T5_mT6_P12ihipStream_tbENKUlT_T0_E_clISt17integral_constantIbLb1EESZ_EEDaSU_SV_EUlSU_E0_NS1_11comp_targetILNS1_3genE8ELNS1_11target_archE1030ELNS1_3gpuE2ELNS1_3repE0EEENS1_30default_config_static_selectorELNS0_4arch9wavefront6targetE1EEEvT1_ ; -- Begin function _ZN7rocprim17ROCPRIM_400000_NS6detail17trampoline_kernelINS0_14default_configENS1_20scan_config_selectorIN3c107complexIfEEEEZZNS1_9scan_implILNS1_25lookback_scan_determinismE0ELb0ELb0ES3_PKS7_PS7_S7_ZZZN2at6native31launch_logcumsumexp_cuda_kernelERKNSE_10TensorBaseESI_lENKUlvE_clEvENKUlvE2_clEvEUlS7_S7_E_S7_EEDaPvRmT3_T4_T5_mT6_P12ihipStream_tbENKUlT_T0_E_clISt17integral_constantIbLb1EESZ_EEDaSU_SV_EUlSU_E0_NS1_11comp_targetILNS1_3genE8ELNS1_11target_archE1030ELNS1_3gpuE2ELNS1_3repE0EEENS1_30default_config_static_selectorELNS0_4arch9wavefront6targetE1EEEvT1_
	.p2align	8
	.type	_ZN7rocprim17ROCPRIM_400000_NS6detail17trampoline_kernelINS0_14default_configENS1_20scan_config_selectorIN3c107complexIfEEEEZZNS1_9scan_implILNS1_25lookback_scan_determinismE0ELb0ELb0ES3_PKS7_PS7_S7_ZZZN2at6native31launch_logcumsumexp_cuda_kernelERKNSE_10TensorBaseESI_lENKUlvE_clEvENKUlvE2_clEvEUlS7_S7_E_S7_EEDaPvRmT3_T4_T5_mT6_P12ihipStream_tbENKUlT_T0_E_clISt17integral_constantIbLb1EESZ_EEDaSU_SV_EUlSU_E0_NS1_11comp_targetILNS1_3genE8ELNS1_11target_archE1030ELNS1_3gpuE2ELNS1_3repE0EEENS1_30default_config_static_selectorELNS0_4arch9wavefront6targetE1EEEvT1_,@function
_ZN7rocprim17ROCPRIM_400000_NS6detail17trampoline_kernelINS0_14default_configENS1_20scan_config_selectorIN3c107complexIfEEEEZZNS1_9scan_implILNS1_25lookback_scan_determinismE0ELb0ELb0ES3_PKS7_PS7_S7_ZZZN2at6native31launch_logcumsumexp_cuda_kernelERKNSE_10TensorBaseESI_lENKUlvE_clEvENKUlvE2_clEvEUlS7_S7_E_S7_EEDaPvRmT3_T4_T5_mT6_P12ihipStream_tbENKUlT_T0_E_clISt17integral_constantIbLb1EESZ_EEDaSU_SV_EUlSU_E0_NS1_11comp_targetILNS1_3genE8ELNS1_11target_archE1030ELNS1_3gpuE2ELNS1_3repE0EEENS1_30default_config_static_selectorELNS0_4arch9wavefront6targetE1EEEvT1_: ; @_ZN7rocprim17ROCPRIM_400000_NS6detail17trampoline_kernelINS0_14default_configENS1_20scan_config_selectorIN3c107complexIfEEEEZZNS1_9scan_implILNS1_25lookback_scan_determinismE0ELb0ELb0ES3_PKS7_PS7_S7_ZZZN2at6native31launch_logcumsumexp_cuda_kernelERKNSE_10TensorBaseESI_lENKUlvE_clEvENKUlvE2_clEvEUlS7_S7_E_S7_EEDaPvRmT3_T4_T5_mT6_P12ihipStream_tbENKUlT_T0_E_clISt17integral_constantIbLb1EESZ_EEDaSU_SV_EUlSU_E0_NS1_11comp_targetILNS1_3genE8ELNS1_11target_archE1030ELNS1_3gpuE2ELNS1_3repE0EEENS1_30default_config_static_selectorELNS0_4arch9wavefront6targetE1EEEvT1_
; %bb.0:
	.section	.rodata,"a",@progbits
	.p2align	6, 0x0
	.amdhsa_kernel _ZN7rocprim17ROCPRIM_400000_NS6detail17trampoline_kernelINS0_14default_configENS1_20scan_config_selectorIN3c107complexIfEEEEZZNS1_9scan_implILNS1_25lookback_scan_determinismE0ELb0ELb0ES3_PKS7_PS7_S7_ZZZN2at6native31launch_logcumsumexp_cuda_kernelERKNSE_10TensorBaseESI_lENKUlvE_clEvENKUlvE2_clEvEUlS7_S7_E_S7_EEDaPvRmT3_T4_T5_mT6_P12ihipStream_tbENKUlT_T0_E_clISt17integral_constantIbLb1EESZ_EEDaSU_SV_EUlSU_E0_NS1_11comp_targetILNS1_3genE8ELNS1_11target_archE1030ELNS1_3gpuE2ELNS1_3repE0EEENS1_30default_config_static_selectorELNS0_4arch9wavefront6targetE1EEEvT1_
		.amdhsa_group_segment_fixed_size 0
		.amdhsa_private_segment_fixed_size 0
		.amdhsa_kernarg_size 40
		.amdhsa_user_sgpr_count 6
		.amdhsa_user_sgpr_private_segment_buffer 1
		.amdhsa_user_sgpr_dispatch_ptr 0
		.amdhsa_user_sgpr_queue_ptr 0
		.amdhsa_user_sgpr_kernarg_segment_ptr 1
		.amdhsa_user_sgpr_dispatch_id 0
		.amdhsa_user_sgpr_flat_scratch_init 0
		.amdhsa_user_sgpr_private_segment_size 0
		.amdhsa_uses_dynamic_stack 0
		.amdhsa_system_sgpr_private_segment_wavefront_offset 0
		.amdhsa_system_sgpr_workgroup_id_x 1
		.amdhsa_system_sgpr_workgroup_id_y 0
		.amdhsa_system_sgpr_workgroup_id_z 0
		.amdhsa_system_sgpr_workgroup_info 0
		.amdhsa_system_vgpr_workitem_id 0
		.amdhsa_next_free_vgpr 1
		.amdhsa_next_free_sgpr 0
		.amdhsa_reserve_vcc 0
		.amdhsa_reserve_flat_scratch 0
		.amdhsa_float_round_mode_32 0
		.amdhsa_float_round_mode_16_64 0
		.amdhsa_float_denorm_mode_32 3
		.amdhsa_float_denorm_mode_16_64 3
		.amdhsa_dx10_clamp 1
		.amdhsa_ieee_mode 1
		.amdhsa_fp16_overflow 0
		.amdhsa_exception_fp_ieee_invalid_op 0
		.amdhsa_exception_fp_denorm_src 0
		.amdhsa_exception_fp_ieee_div_zero 0
		.amdhsa_exception_fp_ieee_overflow 0
		.amdhsa_exception_fp_ieee_underflow 0
		.amdhsa_exception_fp_ieee_inexact 0
		.amdhsa_exception_int_div_zero 0
	.end_amdhsa_kernel
	.section	.text._ZN7rocprim17ROCPRIM_400000_NS6detail17trampoline_kernelINS0_14default_configENS1_20scan_config_selectorIN3c107complexIfEEEEZZNS1_9scan_implILNS1_25lookback_scan_determinismE0ELb0ELb0ES3_PKS7_PS7_S7_ZZZN2at6native31launch_logcumsumexp_cuda_kernelERKNSE_10TensorBaseESI_lENKUlvE_clEvENKUlvE2_clEvEUlS7_S7_E_S7_EEDaPvRmT3_T4_T5_mT6_P12ihipStream_tbENKUlT_T0_E_clISt17integral_constantIbLb1EESZ_EEDaSU_SV_EUlSU_E0_NS1_11comp_targetILNS1_3genE8ELNS1_11target_archE1030ELNS1_3gpuE2ELNS1_3repE0EEENS1_30default_config_static_selectorELNS0_4arch9wavefront6targetE1EEEvT1_,"axG",@progbits,_ZN7rocprim17ROCPRIM_400000_NS6detail17trampoline_kernelINS0_14default_configENS1_20scan_config_selectorIN3c107complexIfEEEEZZNS1_9scan_implILNS1_25lookback_scan_determinismE0ELb0ELb0ES3_PKS7_PS7_S7_ZZZN2at6native31launch_logcumsumexp_cuda_kernelERKNSE_10TensorBaseESI_lENKUlvE_clEvENKUlvE2_clEvEUlS7_S7_E_S7_EEDaPvRmT3_T4_T5_mT6_P12ihipStream_tbENKUlT_T0_E_clISt17integral_constantIbLb1EESZ_EEDaSU_SV_EUlSU_E0_NS1_11comp_targetILNS1_3genE8ELNS1_11target_archE1030ELNS1_3gpuE2ELNS1_3repE0EEENS1_30default_config_static_selectorELNS0_4arch9wavefront6targetE1EEEvT1_,comdat
.Lfunc_end308:
	.size	_ZN7rocprim17ROCPRIM_400000_NS6detail17trampoline_kernelINS0_14default_configENS1_20scan_config_selectorIN3c107complexIfEEEEZZNS1_9scan_implILNS1_25lookback_scan_determinismE0ELb0ELb0ES3_PKS7_PS7_S7_ZZZN2at6native31launch_logcumsumexp_cuda_kernelERKNSE_10TensorBaseESI_lENKUlvE_clEvENKUlvE2_clEvEUlS7_S7_E_S7_EEDaPvRmT3_T4_T5_mT6_P12ihipStream_tbENKUlT_T0_E_clISt17integral_constantIbLb1EESZ_EEDaSU_SV_EUlSU_E0_NS1_11comp_targetILNS1_3genE8ELNS1_11target_archE1030ELNS1_3gpuE2ELNS1_3repE0EEENS1_30default_config_static_selectorELNS0_4arch9wavefront6targetE1EEEvT1_, .Lfunc_end308-_ZN7rocprim17ROCPRIM_400000_NS6detail17trampoline_kernelINS0_14default_configENS1_20scan_config_selectorIN3c107complexIfEEEEZZNS1_9scan_implILNS1_25lookback_scan_determinismE0ELb0ELb0ES3_PKS7_PS7_S7_ZZZN2at6native31launch_logcumsumexp_cuda_kernelERKNSE_10TensorBaseESI_lENKUlvE_clEvENKUlvE2_clEvEUlS7_S7_E_S7_EEDaPvRmT3_T4_T5_mT6_P12ihipStream_tbENKUlT_T0_E_clISt17integral_constantIbLb1EESZ_EEDaSU_SV_EUlSU_E0_NS1_11comp_targetILNS1_3genE8ELNS1_11target_archE1030ELNS1_3gpuE2ELNS1_3repE0EEENS1_30default_config_static_selectorELNS0_4arch9wavefront6targetE1EEEvT1_
                                        ; -- End function
	.set _ZN7rocprim17ROCPRIM_400000_NS6detail17trampoline_kernelINS0_14default_configENS1_20scan_config_selectorIN3c107complexIfEEEEZZNS1_9scan_implILNS1_25lookback_scan_determinismE0ELb0ELb0ES3_PKS7_PS7_S7_ZZZN2at6native31launch_logcumsumexp_cuda_kernelERKNSE_10TensorBaseESI_lENKUlvE_clEvENKUlvE2_clEvEUlS7_S7_E_S7_EEDaPvRmT3_T4_T5_mT6_P12ihipStream_tbENKUlT_T0_E_clISt17integral_constantIbLb1EESZ_EEDaSU_SV_EUlSU_E0_NS1_11comp_targetILNS1_3genE8ELNS1_11target_archE1030ELNS1_3gpuE2ELNS1_3repE0EEENS1_30default_config_static_selectorELNS0_4arch9wavefront6targetE1EEEvT1_.num_vgpr, 0
	.set _ZN7rocprim17ROCPRIM_400000_NS6detail17trampoline_kernelINS0_14default_configENS1_20scan_config_selectorIN3c107complexIfEEEEZZNS1_9scan_implILNS1_25lookback_scan_determinismE0ELb0ELb0ES3_PKS7_PS7_S7_ZZZN2at6native31launch_logcumsumexp_cuda_kernelERKNSE_10TensorBaseESI_lENKUlvE_clEvENKUlvE2_clEvEUlS7_S7_E_S7_EEDaPvRmT3_T4_T5_mT6_P12ihipStream_tbENKUlT_T0_E_clISt17integral_constantIbLb1EESZ_EEDaSU_SV_EUlSU_E0_NS1_11comp_targetILNS1_3genE8ELNS1_11target_archE1030ELNS1_3gpuE2ELNS1_3repE0EEENS1_30default_config_static_selectorELNS0_4arch9wavefront6targetE1EEEvT1_.num_agpr, 0
	.set _ZN7rocprim17ROCPRIM_400000_NS6detail17trampoline_kernelINS0_14default_configENS1_20scan_config_selectorIN3c107complexIfEEEEZZNS1_9scan_implILNS1_25lookback_scan_determinismE0ELb0ELb0ES3_PKS7_PS7_S7_ZZZN2at6native31launch_logcumsumexp_cuda_kernelERKNSE_10TensorBaseESI_lENKUlvE_clEvENKUlvE2_clEvEUlS7_S7_E_S7_EEDaPvRmT3_T4_T5_mT6_P12ihipStream_tbENKUlT_T0_E_clISt17integral_constantIbLb1EESZ_EEDaSU_SV_EUlSU_E0_NS1_11comp_targetILNS1_3genE8ELNS1_11target_archE1030ELNS1_3gpuE2ELNS1_3repE0EEENS1_30default_config_static_selectorELNS0_4arch9wavefront6targetE1EEEvT1_.numbered_sgpr, 0
	.set _ZN7rocprim17ROCPRIM_400000_NS6detail17trampoline_kernelINS0_14default_configENS1_20scan_config_selectorIN3c107complexIfEEEEZZNS1_9scan_implILNS1_25lookback_scan_determinismE0ELb0ELb0ES3_PKS7_PS7_S7_ZZZN2at6native31launch_logcumsumexp_cuda_kernelERKNSE_10TensorBaseESI_lENKUlvE_clEvENKUlvE2_clEvEUlS7_S7_E_S7_EEDaPvRmT3_T4_T5_mT6_P12ihipStream_tbENKUlT_T0_E_clISt17integral_constantIbLb1EESZ_EEDaSU_SV_EUlSU_E0_NS1_11comp_targetILNS1_3genE8ELNS1_11target_archE1030ELNS1_3gpuE2ELNS1_3repE0EEENS1_30default_config_static_selectorELNS0_4arch9wavefront6targetE1EEEvT1_.num_named_barrier, 0
	.set _ZN7rocprim17ROCPRIM_400000_NS6detail17trampoline_kernelINS0_14default_configENS1_20scan_config_selectorIN3c107complexIfEEEEZZNS1_9scan_implILNS1_25lookback_scan_determinismE0ELb0ELb0ES3_PKS7_PS7_S7_ZZZN2at6native31launch_logcumsumexp_cuda_kernelERKNSE_10TensorBaseESI_lENKUlvE_clEvENKUlvE2_clEvEUlS7_S7_E_S7_EEDaPvRmT3_T4_T5_mT6_P12ihipStream_tbENKUlT_T0_E_clISt17integral_constantIbLb1EESZ_EEDaSU_SV_EUlSU_E0_NS1_11comp_targetILNS1_3genE8ELNS1_11target_archE1030ELNS1_3gpuE2ELNS1_3repE0EEENS1_30default_config_static_selectorELNS0_4arch9wavefront6targetE1EEEvT1_.private_seg_size, 0
	.set _ZN7rocprim17ROCPRIM_400000_NS6detail17trampoline_kernelINS0_14default_configENS1_20scan_config_selectorIN3c107complexIfEEEEZZNS1_9scan_implILNS1_25lookback_scan_determinismE0ELb0ELb0ES3_PKS7_PS7_S7_ZZZN2at6native31launch_logcumsumexp_cuda_kernelERKNSE_10TensorBaseESI_lENKUlvE_clEvENKUlvE2_clEvEUlS7_S7_E_S7_EEDaPvRmT3_T4_T5_mT6_P12ihipStream_tbENKUlT_T0_E_clISt17integral_constantIbLb1EESZ_EEDaSU_SV_EUlSU_E0_NS1_11comp_targetILNS1_3genE8ELNS1_11target_archE1030ELNS1_3gpuE2ELNS1_3repE0EEENS1_30default_config_static_selectorELNS0_4arch9wavefront6targetE1EEEvT1_.uses_vcc, 0
	.set _ZN7rocprim17ROCPRIM_400000_NS6detail17trampoline_kernelINS0_14default_configENS1_20scan_config_selectorIN3c107complexIfEEEEZZNS1_9scan_implILNS1_25lookback_scan_determinismE0ELb0ELb0ES3_PKS7_PS7_S7_ZZZN2at6native31launch_logcumsumexp_cuda_kernelERKNSE_10TensorBaseESI_lENKUlvE_clEvENKUlvE2_clEvEUlS7_S7_E_S7_EEDaPvRmT3_T4_T5_mT6_P12ihipStream_tbENKUlT_T0_E_clISt17integral_constantIbLb1EESZ_EEDaSU_SV_EUlSU_E0_NS1_11comp_targetILNS1_3genE8ELNS1_11target_archE1030ELNS1_3gpuE2ELNS1_3repE0EEENS1_30default_config_static_selectorELNS0_4arch9wavefront6targetE1EEEvT1_.uses_flat_scratch, 0
	.set _ZN7rocprim17ROCPRIM_400000_NS6detail17trampoline_kernelINS0_14default_configENS1_20scan_config_selectorIN3c107complexIfEEEEZZNS1_9scan_implILNS1_25lookback_scan_determinismE0ELb0ELb0ES3_PKS7_PS7_S7_ZZZN2at6native31launch_logcumsumexp_cuda_kernelERKNSE_10TensorBaseESI_lENKUlvE_clEvENKUlvE2_clEvEUlS7_S7_E_S7_EEDaPvRmT3_T4_T5_mT6_P12ihipStream_tbENKUlT_T0_E_clISt17integral_constantIbLb1EESZ_EEDaSU_SV_EUlSU_E0_NS1_11comp_targetILNS1_3genE8ELNS1_11target_archE1030ELNS1_3gpuE2ELNS1_3repE0EEENS1_30default_config_static_selectorELNS0_4arch9wavefront6targetE1EEEvT1_.has_dyn_sized_stack, 0
	.set _ZN7rocprim17ROCPRIM_400000_NS6detail17trampoline_kernelINS0_14default_configENS1_20scan_config_selectorIN3c107complexIfEEEEZZNS1_9scan_implILNS1_25lookback_scan_determinismE0ELb0ELb0ES3_PKS7_PS7_S7_ZZZN2at6native31launch_logcumsumexp_cuda_kernelERKNSE_10TensorBaseESI_lENKUlvE_clEvENKUlvE2_clEvEUlS7_S7_E_S7_EEDaPvRmT3_T4_T5_mT6_P12ihipStream_tbENKUlT_T0_E_clISt17integral_constantIbLb1EESZ_EEDaSU_SV_EUlSU_E0_NS1_11comp_targetILNS1_3genE8ELNS1_11target_archE1030ELNS1_3gpuE2ELNS1_3repE0EEENS1_30default_config_static_selectorELNS0_4arch9wavefront6targetE1EEEvT1_.has_recursion, 0
	.set _ZN7rocprim17ROCPRIM_400000_NS6detail17trampoline_kernelINS0_14default_configENS1_20scan_config_selectorIN3c107complexIfEEEEZZNS1_9scan_implILNS1_25lookback_scan_determinismE0ELb0ELb0ES3_PKS7_PS7_S7_ZZZN2at6native31launch_logcumsumexp_cuda_kernelERKNSE_10TensorBaseESI_lENKUlvE_clEvENKUlvE2_clEvEUlS7_S7_E_S7_EEDaPvRmT3_T4_T5_mT6_P12ihipStream_tbENKUlT_T0_E_clISt17integral_constantIbLb1EESZ_EEDaSU_SV_EUlSU_E0_NS1_11comp_targetILNS1_3genE8ELNS1_11target_archE1030ELNS1_3gpuE2ELNS1_3repE0EEENS1_30default_config_static_selectorELNS0_4arch9wavefront6targetE1EEEvT1_.has_indirect_call, 0
	.section	.AMDGPU.csdata,"",@progbits
; Kernel info:
; codeLenInByte = 0
; TotalNumSgprs: 4
; NumVgprs: 0
; ScratchSize: 0
; MemoryBound: 0
; FloatMode: 240
; IeeeMode: 1
; LDSByteSize: 0 bytes/workgroup (compile time only)
; SGPRBlocks: 0
; VGPRBlocks: 0
; NumSGPRsForWavesPerEU: 4
; NumVGPRsForWavesPerEU: 1
; Occupancy: 10
; WaveLimiterHint : 0
; COMPUTE_PGM_RSRC2:SCRATCH_EN: 0
; COMPUTE_PGM_RSRC2:USER_SGPR: 6
; COMPUTE_PGM_RSRC2:TRAP_HANDLER: 0
; COMPUTE_PGM_RSRC2:TGID_X_EN: 1
; COMPUTE_PGM_RSRC2:TGID_Y_EN: 0
; COMPUTE_PGM_RSRC2:TGID_Z_EN: 0
; COMPUTE_PGM_RSRC2:TIDIG_COMP_CNT: 0
	.section	.text._ZN7rocprim17ROCPRIM_400000_NS6detail31init_lookback_scan_state_kernelINS1_19lookback_scan_stateIN3c107complexIfEELb1ELb1EEENS1_16block_id_wrapperIjLb0EEEEEvT_jT0_jPNSA_10value_typeE,"axG",@progbits,_ZN7rocprim17ROCPRIM_400000_NS6detail31init_lookback_scan_state_kernelINS1_19lookback_scan_stateIN3c107complexIfEELb1ELb1EEENS1_16block_id_wrapperIjLb0EEEEEvT_jT0_jPNSA_10value_typeE,comdat
	.protected	_ZN7rocprim17ROCPRIM_400000_NS6detail31init_lookback_scan_state_kernelINS1_19lookback_scan_stateIN3c107complexIfEELb1ELb1EEENS1_16block_id_wrapperIjLb0EEEEEvT_jT0_jPNSA_10value_typeE ; -- Begin function _ZN7rocprim17ROCPRIM_400000_NS6detail31init_lookback_scan_state_kernelINS1_19lookback_scan_stateIN3c107complexIfEELb1ELb1EEENS1_16block_id_wrapperIjLb0EEEEEvT_jT0_jPNSA_10value_typeE
	.globl	_ZN7rocprim17ROCPRIM_400000_NS6detail31init_lookback_scan_state_kernelINS1_19lookback_scan_stateIN3c107complexIfEELb1ELb1EEENS1_16block_id_wrapperIjLb0EEEEEvT_jT0_jPNSA_10value_typeE
	.p2align	8
	.type	_ZN7rocprim17ROCPRIM_400000_NS6detail31init_lookback_scan_state_kernelINS1_19lookback_scan_stateIN3c107complexIfEELb1ELb1EEENS1_16block_id_wrapperIjLb0EEEEEvT_jT0_jPNSA_10value_typeE,@function
_ZN7rocprim17ROCPRIM_400000_NS6detail31init_lookback_scan_state_kernelINS1_19lookback_scan_stateIN3c107complexIfEELb1ELb1EEENS1_16block_id_wrapperIjLb0EEEEEvT_jT0_jPNSA_10value_typeE: ; @_ZN7rocprim17ROCPRIM_400000_NS6detail31init_lookback_scan_state_kernelINS1_19lookback_scan_stateIN3c107complexIfEELb1ELb1EEENS1_16block_id_wrapperIjLb0EEEEEvT_jT0_jPNSA_10value_typeE
; %bb.0:
	s_load_dword s7, s[4:5], 0x2c
	s_load_dwordx2 s[2:3], s[4:5], 0x18
	s_load_dwordx2 s[0:1], s[4:5], 0x0
	s_load_dword s12, s[4:5], 0x8
	s_waitcnt lgkmcnt(0)
	s_and_b32 s7, s7, 0xffff
	s_mul_i32 s6, s6, s7
	s_cmp_eq_u64 s[2:3], 0
	v_add_u32_e32 v0, s6, v0
	s_cbranch_scc1 .LBB309_10
; %bb.1:
	s_load_dword s6, s[4:5], 0x10
	s_mov_b32 s7, 0
	s_waitcnt lgkmcnt(0)
	s_cmp_lt_u32 s6, s12
	s_cselect_b32 s4, s6, 0
	v_cmp_eq_u32_e32 vcc, s4, v0
	s_and_saveexec_b64 s[4:5], vcc
	s_cbranch_execz .LBB309_9
; %bb.2:
	s_add_i32 s6, s6, 64
	s_lshl_b64 s[6:7], s[6:7], 4
	s_add_u32 s10, s0, s6
	s_addc_u32 s11, s1, s7
	v_mov_b32_e32 v1, s10
	v_mov_b32_e32 v2, s11
	;;#ASMSTART
	global_load_dwordx4 v[1:4], v[1:2] off glc	
s_waitcnt vmcnt(0)
	;;#ASMEND
	v_and_b32_e32 v4, 0xff, v3
	v_mov_b32_e32 v5, 0
	v_cmp_eq_u64_e32 vcc, 0, v[4:5]
	s_mov_b64 s[8:9], 0
	s_and_saveexec_b64 s[6:7], vcc
	s_cbranch_execz .LBB309_8
; %bb.3:
	v_mov_b32_e32 v6, s10
	s_mov_b32 s13, 1
	v_mov_b32_e32 v7, s11
.LBB309_4:                              ; =>This Loop Header: Depth=1
                                        ;     Child Loop BB309_5 Depth 2
	s_mov_b32 s10, s13
.LBB309_5:                              ;   Parent Loop BB309_4 Depth=1
                                        ; =>  This Inner Loop Header: Depth=2
	s_add_i32 s10, s10, -1
	s_cmp_eq_u32 s10, 0
	s_sleep 1
	s_cbranch_scc0 .LBB309_5
; %bb.6:                                ;   in Loop: Header=BB309_4 Depth=1
	s_cmp_lt_u32 s13, 32
	;;#ASMSTART
	global_load_dwordx4 v[1:4], v[6:7] off glc	
s_waitcnt vmcnt(0)
	;;#ASMEND
	s_cselect_b64 s[10:11], -1, 0
	v_and_b32_e32 v4, 0xff, v3
	s_cmp_lg_u64 s[10:11], 0
	v_cmp_ne_u64_e32 vcc, 0, v[4:5]
	s_addc_u32 s13, s13, 0
	s_or_b64 s[8:9], vcc, s[8:9]
	s_andn2_b64 exec, exec, s[8:9]
	s_cbranch_execnz .LBB309_4
; %bb.7:
	s_or_b64 exec, exec, s[8:9]
.LBB309_8:
	s_or_b64 exec, exec, s[6:7]
	v_mov_b32_e32 v3, 0
	global_store_dwordx2 v3, v[1:2], s[2:3]
.LBB309_9:
	s_or_b64 exec, exec, s[4:5]
.LBB309_10:
	v_cmp_gt_u32_e32 vcc, s12, v0
	s_and_saveexec_b64 s[2:3], vcc
	s_cbranch_execnz .LBB309_13
; %bb.11:
	s_or_b64 exec, exec, s[2:3]
	v_cmp_gt_u32_e32 vcc, 64, v0
	s_and_saveexec_b64 s[2:3], vcc
	s_cbranch_execnz .LBB309_14
.LBB309_12:
	s_endpgm
.LBB309_13:
	v_add_u32_e32 v1, 64, v0
	v_mov_b32_e32 v2, 0
	v_lshlrev_b64 v[3:4], 4, v[1:2]
	v_mov_b32_e32 v1, s1
	v_add_co_u32_e32 v5, vcc, s0, v3
	v_addc_co_u32_e32 v6, vcc, v1, v4, vcc
	v_mov_b32_e32 v1, v2
	v_mov_b32_e32 v3, v2
	;; [unrolled: 1-line block ×3, first 2 shown]
	global_store_dwordx4 v[5:6], v[1:4], off
	s_or_b64 exec, exec, s[2:3]
	v_cmp_gt_u32_e32 vcc, 64, v0
	s_and_saveexec_b64 s[2:3], vcc
	s_cbranch_execz .LBB309_12
.LBB309_14:
	v_mov_b32_e32 v1, 0
	v_lshlrev_b64 v[2:3], 4, v[0:1]
	v_mov_b32_e32 v0, s1
	v_add_co_u32_e32 v4, vcc, s0, v2
	v_addc_co_u32_e32 v5, vcc, v0, v3, vcc
	v_mov_b32_e32 v2, 0xff
	v_mov_b32_e32 v0, v1
	;; [unrolled: 1-line block ×3, first 2 shown]
	global_store_dwordx4 v[4:5], v[0:3], off
	s_endpgm
	.section	.rodata,"a",@progbits
	.p2align	6, 0x0
	.amdhsa_kernel _ZN7rocprim17ROCPRIM_400000_NS6detail31init_lookback_scan_state_kernelINS1_19lookback_scan_stateIN3c107complexIfEELb1ELb1EEENS1_16block_id_wrapperIjLb0EEEEEvT_jT0_jPNSA_10value_typeE
		.amdhsa_group_segment_fixed_size 0
		.amdhsa_private_segment_fixed_size 0
		.amdhsa_kernarg_size 288
		.amdhsa_user_sgpr_count 6
		.amdhsa_user_sgpr_private_segment_buffer 1
		.amdhsa_user_sgpr_dispatch_ptr 0
		.amdhsa_user_sgpr_queue_ptr 0
		.amdhsa_user_sgpr_kernarg_segment_ptr 1
		.amdhsa_user_sgpr_dispatch_id 0
		.amdhsa_user_sgpr_flat_scratch_init 0
		.amdhsa_user_sgpr_private_segment_size 0
		.amdhsa_uses_dynamic_stack 0
		.amdhsa_system_sgpr_private_segment_wavefront_offset 0
		.amdhsa_system_sgpr_workgroup_id_x 1
		.amdhsa_system_sgpr_workgroup_id_y 0
		.amdhsa_system_sgpr_workgroup_id_z 0
		.amdhsa_system_sgpr_workgroup_info 0
		.amdhsa_system_vgpr_workitem_id 0
		.amdhsa_next_free_vgpr 8
		.amdhsa_next_free_sgpr 14
		.amdhsa_reserve_vcc 1
		.amdhsa_reserve_flat_scratch 0
		.amdhsa_float_round_mode_32 0
		.amdhsa_float_round_mode_16_64 0
		.amdhsa_float_denorm_mode_32 3
		.amdhsa_float_denorm_mode_16_64 3
		.amdhsa_dx10_clamp 1
		.amdhsa_ieee_mode 1
		.amdhsa_fp16_overflow 0
		.amdhsa_exception_fp_ieee_invalid_op 0
		.amdhsa_exception_fp_denorm_src 0
		.amdhsa_exception_fp_ieee_div_zero 0
		.amdhsa_exception_fp_ieee_overflow 0
		.amdhsa_exception_fp_ieee_underflow 0
		.amdhsa_exception_fp_ieee_inexact 0
		.amdhsa_exception_int_div_zero 0
	.end_amdhsa_kernel
	.section	.text._ZN7rocprim17ROCPRIM_400000_NS6detail31init_lookback_scan_state_kernelINS1_19lookback_scan_stateIN3c107complexIfEELb1ELb1EEENS1_16block_id_wrapperIjLb0EEEEEvT_jT0_jPNSA_10value_typeE,"axG",@progbits,_ZN7rocprim17ROCPRIM_400000_NS6detail31init_lookback_scan_state_kernelINS1_19lookback_scan_stateIN3c107complexIfEELb1ELb1EEENS1_16block_id_wrapperIjLb0EEEEEvT_jT0_jPNSA_10value_typeE,comdat
.Lfunc_end309:
	.size	_ZN7rocprim17ROCPRIM_400000_NS6detail31init_lookback_scan_state_kernelINS1_19lookback_scan_stateIN3c107complexIfEELb1ELb1EEENS1_16block_id_wrapperIjLb0EEEEEvT_jT0_jPNSA_10value_typeE, .Lfunc_end309-_ZN7rocprim17ROCPRIM_400000_NS6detail31init_lookback_scan_state_kernelINS1_19lookback_scan_stateIN3c107complexIfEELb1ELb1EEENS1_16block_id_wrapperIjLb0EEEEEvT_jT0_jPNSA_10value_typeE
                                        ; -- End function
	.set _ZN7rocprim17ROCPRIM_400000_NS6detail31init_lookback_scan_state_kernelINS1_19lookback_scan_stateIN3c107complexIfEELb1ELb1EEENS1_16block_id_wrapperIjLb0EEEEEvT_jT0_jPNSA_10value_typeE.num_vgpr, 8
	.set _ZN7rocprim17ROCPRIM_400000_NS6detail31init_lookback_scan_state_kernelINS1_19lookback_scan_stateIN3c107complexIfEELb1ELb1EEENS1_16block_id_wrapperIjLb0EEEEEvT_jT0_jPNSA_10value_typeE.num_agpr, 0
	.set _ZN7rocprim17ROCPRIM_400000_NS6detail31init_lookback_scan_state_kernelINS1_19lookback_scan_stateIN3c107complexIfEELb1ELb1EEENS1_16block_id_wrapperIjLb0EEEEEvT_jT0_jPNSA_10value_typeE.numbered_sgpr, 14
	.set _ZN7rocprim17ROCPRIM_400000_NS6detail31init_lookback_scan_state_kernelINS1_19lookback_scan_stateIN3c107complexIfEELb1ELb1EEENS1_16block_id_wrapperIjLb0EEEEEvT_jT0_jPNSA_10value_typeE.num_named_barrier, 0
	.set _ZN7rocprim17ROCPRIM_400000_NS6detail31init_lookback_scan_state_kernelINS1_19lookback_scan_stateIN3c107complexIfEELb1ELb1EEENS1_16block_id_wrapperIjLb0EEEEEvT_jT0_jPNSA_10value_typeE.private_seg_size, 0
	.set _ZN7rocprim17ROCPRIM_400000_NS6detail31init_lookback_scan_state_kernelINS1_19lookback_scan_stateIN3c107complexIfEELb1ELb1EEENS1_16block_id_wrapperIjLb0EEEEEvT_jT0_jPNSA_10value_typeE.uses_vcc, 1
	.set _ZN7rocprim17ROCPRIM_400000_NS6detail31init_lookback_scan_state_kernelINS1_19lookback_scan_stateIN3c107complexIfEELb1ELb1EEENS1_16block_id_wrapperIjLb0EEEEEvT_jT0_jPNSA_10value_typeE.uses_flat_scratch, 0
	.set _ZN7rocprim17ROCPRIM_400000_NS6detail31init_lookback_scan_state_kernelINS1_19lookback_scan_stateIN3c107complexIfEELb1ELb1EEENS1_16block_id_wrapperIjLb0EEEEEvT_jT0_jPNSA_10value_typeE.has_dyn_sized_stack, 0
	.set _ZN7rocprim17ROCPRIM_400000_NS6detail31init_lookback_scan_state_kernelINS1_19lookback_scan_stateIN3c107complexIfEELb1ELb1EEENS1_16block_id_wrapperIjLb0EEEEEvT_jT0_jPNSA_10value_typeE.has_recursion, 0
	.set _ZN7rocprim17ROCPRIM_400000_NS6detail31init_lookback_scan_state_kernelINS1_19lookback_scan_stateIN3c107complexIfEELb1ELb1EEENS1_16block_id_wrapperIjLb0EEEEEvT_jT0_jPNSA_10value_typeE.has_indirect_call, 0
	.section	.AMDGPU.csdata,"",@progbits
; Kernel info:
; codeLenInByte = 424
; TotalNumSgprs: 18
; NumVgprs: 8
; ScratchSize: 0
; MemoryBound: 0
; FloatMode: 240
; IeeeMode: 1
; LDSByteSize: 0 bytes/workgroup (compile time only)
; SGPRBlocks: 2
; VGPRBlocks: 1
; NumSGPRsForWavesPerEU: 18
; NumVGPRsForWavesPerEU: 8
; Occupancy: 10
; WaveLimiterHint : 0
; COMPUTE_PGM_RSRC2:SCRATCH_EN: 0
; COMPUTE_PGM_RSRC2:USER_SGPR: 6
; COMPUTE_PGM_RSRC2:TRAP_HANDLER: 0
; COMPUTE_PGM_RSRC2:TGID_X_EN: 1
; COMPUTE_PGM_RSRC2:TGID_Y_EN: 0
; COMPUTE_PGM_RSRC2:TGID_Z_EN: 0
; COMPUTE_PGM_RSRC2:TIDIG_COMP_CNT: 0
	.section	.text._ZN7rocprim17ROCPRIM_400000_NS6detail17trampoline_kernelINS0_14default_configENS1_20scan_config_selectorIN3c107complexIfEEEEZZNS1_9scan_implILNS1_25lookback_scan_determinismE0ELb0ELb0ES3_PKS7_PS7_S7_ZZZN2at6native31launch_logcumsumexp_cuda_kernelERKNSE_10TensorBaseESI_lENKUlvE_clEvENKUlvE2_clEvEUlS7_S7_E_S7_EEDaPvRmT3_T4_T5_mT6_P12ihipStream_tbENKUlT_T0_E_clISt17integral_constantIbLb1EESY_IbLb0EEEEDaSU_SV_EUlSU_E_NS1_11comp_targetILNS1_3genE0ELNS1_11target_archE4294967295ELNS1_3gpuE0ELNS1_3repE0EEENS1_30default_config_static_selectorELNS0_4arch9wavefront6targetE1EEEvT1_,"axG",@progbits,_ZN7rocprim17ROCPRIM_400000_NS6detail17trampoline_kernelINS0_14default_configENS1_20scan_config_selectorIN3c107complexIfEEEEZZNS1_9scan_implILNS1_25lookback_scan_determinismE0ELb0ELb0ES3_PKS7_PS7_S7_ZZZN2at6native31launch_logcumsumexp_cuda_kernelERKNSE_10TensorBaseESI_lENKUlvE_clEvENKUlvE2_clEvEUlS7_S7_E_S7_EEDaPvRmT3_T4_T5_mT6_P12ihipStream_tbENKUlT_T0_E_clISt17integral_constantIbLb1EESY_IbLb0EEEEDaSU_SV_EUlSU_E_NS1_11comp_targetILNS1_3genE0ELNS1_11target_archE4294967295ELNS1_3gpuE0ELNS1_3repE0EEENS1_30default_config_static_selectorELNS0_4arch9wavefront6targetE1EEEvT1_,comdat
	.globl	_ZN7rocprim17ROCPRIM_400000_NS6detail17trampoline_kernelINS0_14default_configENS1_20scan_config_selectorIN3c107complexIfEEEEZZNS1_9scan_implILNS1_25lookback_scan_determinismE0ELb0ELb0ES3_PKS7_PS7_S7_ZZZN2at6native31launch_logcumsumexp_cuda_kernelERKNSE_10TensorBaseESI_lENKUlvE_clEvENKUlvE2_clEvEUlS7_S7_E_S7_EEDaPvRmT3_T4_T5_mT6_P12ihipStream_tbENKUlT_T0_E_clISt17integral_constantIbLb1EESY_IbLb0EEEEDaSU_SV_EUlSU_E_NS1_11comp_targetILNS1_3genE0ELNS1_11target_archE4294967295ELNS1_3gpuE0ELNS1_3repE0EEENS1_30default_config_static_selectorELNS0_4arch9wavefront6targetE1EEEvT1_ ; -- Begin function _ZN7rocprim17ROCPRIM_400000_NS6detail17trampoline_kernelINS0_14default_configENS1_20scan_config_selectorIN3c107complexIfEEEEZZNS1_9scan_implILNS1_25lookback_scan_determinismE0ELb0ELb0ES3_PKS7_PS7_S7_ZZZN2at6native31launch_logcumsumexp_cuda_kernelERKNSE_10TensorBaseESI_lENKUlvE_clEvENKUlvE2_clEvEUlS7_S7_E_S7_EEDaPvRmT3_T4_T5_mT6_P12ihipStream_tbENKUlT_T0_E_clISt17integral_constantIbLb1EESY_IbLb0EEEEDaSU_SV_EUlSU_E_NS1_11comp_targetILNS1_3genE0ELNS1_11target_archE4294967295ELNS1_3gpuE0ELNS1_3repE0EEENS1_30default_config_static_selectorELNS0_4arch9wavefront6targetE1EEEvT1_
	.p2align	8
	.type	_ZN7rocprim17ROCPRIM_400000_NS6detail17trampoline_kernelINS0_14default_configENS1_20scan_config_selectorIN3c107complexIfEEEEZZNS1_9scan_implILNS1_25lookback_scan_determinismE0ELb0ELb0ES3_PKS7_PS7_S7_ZZZN2at6native31launch_logcumsumexp_cuda_kernelERKNSE_10TensorBaseESI_lENKUlvE_clEvENKUlvE2_clEvEUlS7_S7_E_S7_EEDaPvRmT3_T4_T5_mT6_P12ihipStream_tbENKUlT_T0_E_clISt17integral_constantIbLb1EESY_IbLb0EEEEDaSU_SV_EUlSU_E_NS1_11comp_targetILNS1_3genE0ELNS1_11target_archE4294967295ELNS1_3gpuE0ELNS1_3repE0EEENS1_30default_config_static_selectorELNS0_4arch9wavefront6targetE1EEEvT1_,@function
_ZN7rocprim17ROCPRIM_400000_NS6detail17trampoline_kernelINS0_14default_configENS1_20scan_config_selectorIN3c107complexIfEEEEZZNS1_9scan_implILNS1_25lookback_scan_determinismE0ELb0ELb0ES3_PKS7_PS7_S7_ZZZN2at6native31launch_logcumsumexp_cuda_kernelERKNSE_10TensorBaseESI_lENKUlvE_clEvENKUlvE2_clEvEUlS7_S7_E_S7_EEDaPvRmT3_T4_T5_mT6_P12ihipStream_tbENKUlT_T0_E_clISt17integral_constantIbLb1EESY_IbLb0EEEEDaSU_SV_EUlSU_E_NS1_11comp_targetILNS1_3genE0ELNS1_11target_archE4294967295ELNS1_3gpuE0ELNS1_3repE0EEENS1_30default_config_static_selectorELNS0_4arch9wavefront6targetE1EEEvT1_: ; @_ZN7rocprim17ROCPRIM_400000_NS6detail17trampoline_kernelINS0_14default_configENS1_20scan_config_selectorIN3c107complexIfEEEEZZNS1_9scan_implILNS1_25lookback_scan_determinismE0ELb0ELb0ES3_PKS7_PS7_S7_ZZZN2at6native31launch_logcumsumexp_cuda_kernelERKNSE_10TensorBaseESI_lENKUlvE_clEvENKUlvE2_clEvEUlS7_S7_E_S7_EEDaPvRmT3_T4_T5_mT6_P12ihipStream_tbENKUlT_T0_E_clISt17integral_constantIbLb1EESY_IbLb0EEEEDaSU_SV_EUlSU_E_NS1_11comp_targetILNS1_3genE0ELNS1_11target_archE4294967295ELNS1_3gpuE0ELNS1_3repE0EEENS1_30default_config_static_selectorELNS0_4arch9wavefront6targetE1EEEvT1_
; %bb.0:
	.section	.rodata,"a",@progbits
	.p2align	6, 0x0
	.amdhsa_kernel _ZN7rocprim17ROCPRIM_400000_NS6detail17trampoline_kernelINS0_14default_configENS1_20scan_config_selectorIN3c107complexIfEEEEZZNS1_9scan_implILNS1_25lookback_scan_determinismE0ELb0ELb0ES3_PKS7_PS7_S7_ZZZN2at6native31launch_logcumsumexp_cuda_kernelERKNSE_10TensorBaseESI_lENKUlvE_clEvENKUlvE2_clEvEUlS7_S7_E_S7_EEDaPvRmT3_T4_T5_mT6_P12ihipStream_tbENKUlT_T0_E_clISt17integral_constantIbLb1EESY_IbLb0EEEEDaSU_SV_EUlSU_E_NS1_11comp_targetILNS1_3genE0ELNS1_11target_archE4294967295ELNS1_3gpuE0ELNS1_3repE0EEENS1_30default_config_static_selectorELNS0_4arch9wavefront6targetE1EEEvT1_
		.amdhsa_group_segment_fixed_size 0
		.amdhsa_private_segment_fixed_size 0
		.amdhsa_kernarg_size 104
		.amdhsa_user_sgpr_count 6
		.amdhsa_user_sgpr_private_segment_buffer 1
		.amdhsa_user_sgpr_dispatch_ptr 0
		.amdhsa_user_sgpr_queue_ptr 0
		.amdhsa_user_sgpr_kernarg_segment_ptr 1
		.amdhsa_user_sgpr_dispatch_id 0
		.amdhsa_user_sgpr_flat_scratch_init 0
		.amdhsa_user_sgpr_private_segment_size 0
		.amdhsa_uses_dynamic_stack 0
		.amdhsa_system_sgpr_private_segment_wavefront_offset 0
		.amdhsa_system_sgpr_workgroup_id_x 1
		.amdhsa_system_sgpr_workgroup_id_y 0
		.amdhsa_system_sgpr_workgroup_id_z 0
		.amdhsa_system_sgpr_workgroup_info 0
		.amdhsa_system_vgpr_workitem_id 0
		.amdhsa_next_free_vgpr 1
		.amdhsa_next_free_sgpr 0
		.amdhsa_reserve_vcc 0
		.amdhsa_reserve_flat_scratch 0
		.amdhsa_float_round_mode_32 0
		.amdhsa_float_round_mode_16_64 0
		.amdhsa_float_denorm_mode_32 3
		.amdhsa_float_denorm_mode_16_64 3
		.amdhsa_dx10_clamp 1
		.amdhsa_ieee_mode 1
		.amdhsa_fp16_overflow 0
		.amdhsa_exception_fp_ieee_invalid_op 0
		.amdhsa_exception_fp_denorm_src 0
		.amdhsa_exception_fp_ieee_div_zero 0
		.amdhsa_exception_fp_ieee_overflow 0
		.amdhsa_exception_fp_ieee_underflow 0
		.amdhsa_exception_fp_ieee_inexact 0
		.amdhsa_exception_int_div_zero 0
	.end_amdhsa_kernel
	.section	.text._ZN7rocprim17ROCPRIM_400000_NS6detail17trampoline_kernelINS0_14default_configENS1_20scan_config_selectorIN3c107complexIfEEEEZZNS1_9scan_implILNS1_25lookback_scan_determinismE0ELb0ELb0ES3_PKS7_PS7_S7_ZZZN2at6native31launch_logcumsumexp_cuda_kernelERKNSE_10TensorBaseESI_lENKUlvE_clEvENKUlvE2_clEvEUlS7_S7_E_S7_EEDaPvRmT3_T4_T5_mT6_P12ihipStream_tbENKUlT_T0_E_clISt17integral_constantIbLb1EESY_IbLb0EEEEDaSU_SV_EUlSU_E_NS1_11comp_targetILNS1_3genE0ELNS1_11target_archE4294967295ELNS1_3gpuE0ELNS1_3repE0EEENS1_30default_config_static_selectorELNS0_4arch9wavefront6targetE1EEEvT1_,"axG",@progbits,_ZN7rocprim17ROCPRIM_400000_NS6detail17trampoline_kernelINS0_14default_configENS1_20scan_config_selectorIN3c107complexIfEEEEZZNS1_9scan_implILNS1_25lookback_scan_determinismE0ELb0ELb0ES3_PKS7_PS7_S7_ZZZN2at6native31launch_logcumsumexp_cuda_kernelERKNSE_10TensorBaseESI_lENKUlvE_clEvENKUlvE2_clEvEUlS7_S7_E_S7_EEDaPvRmT3_T4_T5_mT6_P12ihipStream_tbENKUlT_T0_E_clISt17integral_constantIbLb1EESY_IbLb0EEEEDaSU_SV_EUlSU_E_NS1_11comp_targetILNS1_3genE0ELNS1_11target_archE4294967295ELNS1_3gpuE0ELNS1_3repE0EEENS1_30default_config_static_selectorELNS0_4arch9wavefront6targetE1EEEvT1_,comdat
.Lfunc_end310:
	.size	_ZN7rocprim17ROCPRIM_400000_NS6detail17trampoline_kernelINS0_14default_configENS1_20scan_config_selectorIN3c107complexIfEEEEZZNS1_9scan_implILNS1_25lookback_scan_determinismE0ELb0ELb0ES3_PKS7_PS7_S7_ZZZN2at6native31launch_logcumsumexp_cuda_kernelERKNSE_10TensorBaseESI_lENKUlvE_clEvENKUlvE2_clEvEUlS7_S7_E_S7_EEDaPvRmT3_T4_T5_mT6_P12ihipStream_tbENKUlT_T0_E_clISt17integral_constantIbLb1EESY_IbLb0EEEEDaSU_SV_EUlSU_E_NS1_11comp_targetILNS1_3genE0ELNS1_11target_archE4294967295ELNS1_3gpuE0ELNS1_3repE0EEENS1_30default_config_static_selectorELNS0_4arch9wavefront6targetE1EEEvT1_, .Lfunc_end310-_ZN7rocprim17ROCPRIM_400000_NS6detail17trampoline_kernelINS0_14default_configENS1_20scan_config_selectorIN3c107complexIfEEEEZZNS1_9scan_implILNS1_25lookback_scan_determinismE0ELb0ELb0ES3_PKS7_PS7_S7_ZZZN2at6native31launch_logcumsumexp_cuda_kernelERKNSE_10TensorBaseESI_lENKUlvE_clEvENKUlvE2_clEvEUlS7_S7_E_S7_EEDaPvRmT3_T4_T5_mT6_P12ihipStream_tbENKUlT_T0_E_clISt17integral_constantIbLb1EESY_IbLb0EEEEDaSU_SV_EUlSU_E_NS1_11comp_targetILNS1_3genE0ELNS1_11target_archE4294967295ELNS1_3gpuE0ELNS1_3repE0EEENS1_30default_config_static_selectorELNS0_4arch9wavefront6targetE1EEEvT1_
                                        ; -- End function
	.set _ZN7rocprim17ROCPRIM_400000_NS6detail17trampoline_kernelINS0_14default_configENS1_20scan_config_selectorIN3c107complexIfEEEEZZNS1_9scan_implILNS1_25lookback_scan_determinismE0ELb0ELb0ES3_PKS7_PS7_S7_ZZZN2at6native31launch_logcumsumexp_cuda_kernelERKNSE_10TensorBaseESI_lENKUlvE_clEvENKUlvE2_clEvEUlS7_S7_E_S7_EEDaPvRmT3_T4_T5_mT6_P12ihipStream_tbENKUlT_T0_E_clISt17integral_constantIbLb1EESY_IbLb0EEEEDaSU_SV_EUlSU_E_NS1_11comp_targetILNS1_3genE0ELNS1_11target_archE4294967295ELNS1_3gpuE0ELNS1_3repE0EEENS1_30default_config_static_selectorELNS0_4arch9wavefront6targetE1EEEvT1_.num_vgpr, 0
	.set _ZN7rocprim17ROCPRIM_400000_NS6detail17trampoline_kernelINS0_14default_configENS1_20scan_config_selectorIN3c107complexIfEEEEZZNS1_9scan_implILNS1_25lookback_scan_determinismE0ELb0ELb0ES3_PKS7_PS7_S7_ZZZN2at6native31launch_logcumsumexp_cuda_kernelERKNSE_10TensorBaseESI_lENKUlvE_clEvENKUlvE2_clEvEUlS7_S7_E_S7_EEDaPvRmT3_T4_T5_mT6_P12ihipStream_tbENKUlT_T0_E_clISt17integral_constantIbLb1EESY_IbLb0EEEEDaSU_SV_EUlSU_E_NS1_11comp_targetILNS1_3genE0ELNS1_11target_archE4294967295ELNS1_3gpuE0ELNS1_3repE0EEENS1_30default_config_static_selectorELNS0_4arch9wavefront6targetE1EEEvT1_.num_agpr, 0
	.set _ZN7rocprim17ROCPRIM_400000_NS6detail17trampoline_kernelINS0_14default_configENS1_20scan_config_selectorIN3c107complexIfEEEEZZNS1_9scan_implILNS1_25lookback_scan_determinismE0ELb0ELb0ES3_PKS7_PS7_S7_ZZZN2at6native31launch_logcumsumexp_cuda_kernelERKNSE_10TensorBaseESI_lENKUlvE_clEvENKUlvE2_clEvEUlS7_S7_E_S7_EEDaPvRmT3_T4_T5_mT6_P12ihipStream_tbENKUlT_T0_E_clISt17integral_constantIbLb1EESY_IbLb0EEEEDaSU_SV_EUlSU_E_NS1_11comp_targetILNS1_3genE0ELNS1_11target_archE4294967295ELNS1_3gpuE0ELNS1_3repE0EEENS1_30default_config_static_selectorELNS0_4arch9wavefront6targetE1EEEvT1_.numbered_sgpr, 0
	.set _ZN7rocprim17ROCPRIM_400000_NS6detail17trampoline_kernelINS0_14default_configENS1_20scan_config_selectorIN3c107complexIfEEEEZZNS1_9scan_implILNS1_25lookback_scan_determinismE0ELb0ELb0ES3_PKS7_PS7_S7_ZZZN2at6native31launch_logcumsumexp_cuda_kernelERKNSE_10TensorBaseESI_lENKUlvE_clEvENKUlvE2_clEvEUlS7_S7_E_S7_EEDaPvRmT3_T4_T5_mT6_P12ihipStream_tbENKUlT_T0_E_clISt17integral_constantIbLb1EESY_IbLb0EEEEDaSU_SV_EUlSU_E_NS1_11comp_targetILNS1_3genE0ELNS1_11target_archE4294967295ELNS1_3gpuE0ELNS1_3repE0EEENS1_30default_config_static_selectorELNS0_4arch9wavefront6targetE1EEEvT1_.num_named_barrier, 0
	.set _ZN7rocprim17ROCPRIM_400000_NS6detail17trampoline_kernelINS0_14default_configENS1_20scan_config_selectorIN3c107complexIfEEEEZZNS1_9scan_implILNS1_25lookback_scan_determinismE0ELb0ELb0ES3_PKS7_PS7_S7_ZZZN2at6native31launch_logcumsumexp_cuda_kernelERKNSE_10TensorBaseESI_lENKUlvE_clEvENKUlvE2_clEvEUlS7_S7_E_S7_EEDaPvRmT3_T4_T5_mT6_P12ihipStream_tbENKUlT_T0_E_clISt17integral_constantIbLb1EESY_IbLb0EEEEDaSU_SV_EUlSU_E_NS1_11comp_targetILNS1_3genE0ELNS1_11target_archE4294967295ELNS1_3gpuE0ELNS1_3repE0EEENS1_30default_config_static_selectorELNS0_4arch9wavefront6targetE1EEEvT1_.private_seg_size, 0
	.set _ZN7rocprim17ROCPRIM_400000_NS6detail17trampoline_kernelINS0_14default_configENS1_20scan_config_selectorIN3c107complexIfEEEEZZNS1_9scan_implILNS1_25lookback_scan_determinismE0ELb0ELb0ES3_PKS7_PS7_S7_ZZZN2at6native31launch_logcumsumexp_cuda_kernelERKNSE_10TensorBaseESI_lENKUlvE_clEvENKUlvE2_clEvEUlS7_S7_E_S7_EEDaPvRmT3_T4_T5_mT6_P12ihipStream_tbENKUlT_T0_E_clISt17integral_constantIbLb1EESY_IbLb0EEEEDaSU_SV_EUlSU_E_NS1_11comp_targetILNS1_3genE0ELNS1_11target_archE4294967295ELNS1_3gpuE0ELNS1_3repE0EEENS1_30default_config_static_selectorELNS0_4arch9wavefront6targetE1EEEvT1_.uses_vcc, 0
	.set _ZN7rocprim17ROCPRIM_400000_NS6detail17trampoline_kernelINS0_14default_configENS1_20scan_config_selectorIN3c107complexIfEEEEZZNS1_9scan_implILNS1_25lookback_scan_determinismE0ELb0ELb0ES3_PKS7_PS7_S7_ZZZN2at6native31launch_logcumsumexp_cuda_kernelERKNSE_10TensorBaseESI_lENKUlvE_clEvENKUlvE2_clEvEUlS7_S7_E_S7_EEDaPvRmT3_T4_T5_mT6_P12ihipStream_tbENKUlT_T0_E_clISt17integral_constantIbLb1EESY_IbLb0EEEEDaSU_SV_EUlSU_E_NS1_11comp_targetILNS1_3genE0ELNS1_11target_archE4294967295ELNS1_3gpuE0ELNS1_3repE0EEENS1_30default_config_static_selectorELNS0_4arch9wavefront6targetE1EEEvT1_.uses_flat_scratch, 0
	.set _ZN7rocprim17ROCPRIM_400000_NS6detail17trampoline_kernelINS0_14default_configENS1_20scan_config_selectorIN3c107complexIfEEEEZZNS1_9scan_implILNS1_25lookback_scan_determinismE0ELb0ELb0ES3_PKS7_PS7_S7_ZZZN2at6native31launch_logcumsumexp_cuda_kernelERKNSE_10TensorBaseESI_lENKUlvE_clEvENKUlvE2_clEvEUlS7_S7_E_S7_EEDaPvRmT3_T4_T5_mT6_P12ihipStream_tbENKUlT_T0_E_clISt17integral_constantIbLb1EESY_IbLb0EEEEDaSU_SV_EUlSU_E_NS1_11comp_targetILNS1_3genE0ELNS1_11target_archE4294967295ELNS1_3gpuE0ELNS1_3repE0EEENS1_30default_config_static_selectorELNS0_4arch9wavefront6targetE1EEEvT1_.has_dyn_sized_stack, 0
	.set _ZN7rocprim17ROCPRIM_400000_NS6detail17trampoline_kernelINS0_14default_configENS1_20scan_config_selectorIN3c107complexIfEEEEZZNS1_9scan_implILNS1_25lookback_scan_determinismE0ELb0ELb0ES3_PKS7_PS7_S7_ZZZN2at6native31launch_logcumsumexp_cuda_kernelERKNSE_10TensorBaseESI_lENKUlvE_clEvENKUlvE2_clEvEUlS7_S7_E_S7_EEDaPvRmT3_T4_T5_mT6_P12ihipStream_tbENKUlT_T0_E_clISt17integral_constantIbLb1EESY_IbLb0EEEEDaSU_SV_EUlSU_E_NS1_11comp_targetILNS1_3genE0ELNS1_11target_archE4294967295ELNS1_3gpuE0ELNS1_3repE0EEENS1_30default_config_static_selectorELNS0_4arch9wavefront6targetE1EEEvT1_.has_recursion, 0
	.set _ZN7rocprim17ROCPRIM_400000_NS6detail17trampoline_kernelINS0_14default_configENS1_20scan_config_selectorIN3c107complexIfEEEEZZNS1_9scan_implILNS1_25lookback_scan_determinismE0ELb0ELb0ES3_PKS7_PS7_S7_ZZZN2at6native31launch_logcumsumexp_cuda_kernelERKNSE_10TensorBaseESI_lENKUlvE_clEvENKUlvE2_clEvEUlS7_S7_E_S7_EEDaPvRmT3_T4_T5_mT6_P12ihipStream_tbENKUlT_T0_E_clISt17integral_constantIbLb1EESY_IbLb0EEEEDaSU_SV_EUlSU_E_NS1_11comp_targetILNS1_3genE0ELNS1_11target_archE4294967295ELNS1_3gpuE0ELNS1_3repE0EEENS1_30default_config_static_selectorELNS0_4arch9wavefront6targetE1EEEvT1_.has_indirect_call, 0
	.section	.AMDGPU.csdata,"",@progbits
; Kernel info:
; codeLenInByte = 0
; TotalNumSgprs: 4
; NumVgprs: 0
; ScratchSize: 0
; MemoryBound: 0
; FloatMode: 240
; IeeeMode: 1
; LDSByteSize: 0 bytes/workgroup (compile time only)
; SGPRBlocks: 0
; VGPRBlocks: 0
; NumSGPRsForWavesPerEU: 4
; NumVGPRsForWavesPerEU: 1
; Occupancy: 10
; WaveLimiterHint : 0
; COMPUTE_PGM_RSRC2:SCRATCH_EN: 0
; COMPUTE_PGM_RSRC2:USER_SGPR: 6
; COMPUTE_PGM_RSRC2:TRAP_HANDLER: 0
; COMPUTE_PGM_RSRC2:TGID_X_EN: 1
; COMPUTE_PGM_RSRC2:TGID_Y_EN: 0
; COMPUTE_PGM_RSRC2:TGID_Z_EN: 0
; COMPUTE_PGM_RSRC2:TIDIG_COMP_CNT: 0
	.section	.text._ZN7rocprim17ROCPRIM_400000_NS6detail17trampoline_kernelINS0_14default_configENS1_20scan_config_selectorIN3c107complexIfEEEEZZNS1_9scan_implILNS1_25lookback_scan_determinismE0ELb0ELb0ES3_PKS7_PS7_S7_ZZZN2at6native31launch_logcumsumexp_cuda_kernelERKNSE_10TensorBaseESI_lENKUlvE_clEvENKUlvE2_clEvEUlS7_S7_E_S7_EEDaPvRmT3_T4_T5_mT6_P12ihipStream_tbENKUlT_T0_E_clISt17integral_constantIbLb1EESY_IbLb0EEEEDaSU_SV_EUlSU_E_NS1_11comp_targetILNS1_3genE5ELNS1_11target_archE942ELNS1_3gpuE9ELNS1_3repE0EEENS1_30default_config_static_selectorELNS0_4arch9wavefront6targetE1EEEvT1_,"axG",@progbits,_ZN7rocprim17ROCPRIM_400000_NS6detail17trampoline_kernelINS0_14default_configENS1_20scan_config_selectorIN3c107complexIfEEEEZZNS1_9scan_implILNS1_25lookback_scan_determinismE0ELb0ELb0ES3_PKS7_PS7_S7_ZZZN2at6native31launch_logcumsumexp_cuda_kernelERKNSE_10TensorBaseESI_lENKUlvE_clEvENKUlvE2_clEvEUlS7_S7_E_S7_EEDaPvRmT3_T4_T5_mT6_P12ihipStream_tbENKUlT_T0_E_clISt17integral_constantIbLb1EESY_IbLb0EEEEDaSU_SV_EUlSU_E_NS1_11comp_targetILNS1_3genE5ELNS1_11target_archE942ELNS1_3gpuE9ELNS1_3repE0EEENS1_30default_config_static_selectorELNS0_4arch9wavefront6targetE1EEEvT1_,comdat
	.globl	_ZN7rocprim17ROCPRIM_400000_NS6detail17trampoline_kernelINS0_14default_configENS1_20scan_config_selectorIN3c107complexIfEEEEZZNS1_9scan_implILNS1_25lookback_scan_determinismE0ELb0ELb0ES3_PKS7_PS7_S7_ZZZN2at6native31launch_logcumsumexp_cuda_kernelERKNSE_10TensorBaseESI_lENKUlvE_clEvENKUlvE2_clEvEUlS7_S7_E_S7_EEDaPvRmT3_T4_T5_mT6_P12ihipStream_tbENKUlT_T0_E_clISt17integral_constantIbLb1EESY_IbLb0EEEEDaSU_SV_EUlSU_E_NS1_11comp_targetILNS1_3genE5ELNS1_11target_archE942ELNS1_3gpuE9ELNS1_3repE0EEENS1_30default_config_static_selectorELNS0_4arch9wavefront6targetE1EEEvT1_ ; -- Begin function _ZN7rocprim17ROCPRIM_400000_NS6detail17trampoline_kernelINS0_14default_configENS1_20scan_config_selectorIN3c107complexIfEEEEZZNS1_9scan_implILNS1_25lookback_scan_determinismE0ELb0ELb0ES3_PKS7_PS7_S7_ZZZN2at6native31launch_logcumsumexp_cuda_kernelERKNSE_10TensorBaseESI_lENKUlvE_clEvENKUlvE2_clEvEUlS7_S7_E_S7_EEDaPvRmT3_T4_T5_mT6_P12ihipStream_tbENKUlT_T0_E_clISt17integral_constantIbLb1EESY_IbLb0EEEEDaSU_SV_EUlSU_E_NS1_11comp_targetILNS1_3genE5ELNS1_11target_archE942ELNS1_3gpuE9ELNS1_3repE0EEENS1_30default_config_static_selectorELNS0_4arch9wavefront6targetE1EEEvT1_
	.p2align	8
	.type	_ZN7rocprim17ROCPRIM_400000_NS6detail17trampoline_kernelINS0_14default_configENS1_20scan_config_selectorIN3c107complexIfEEEEZZNS1_9scan_implILNS1_25lookback_scan_determinismE0ELb0ELb0ES3_PKS7_PS7_S7_ZZZN2at6native31launch_logcumsumexp_cuda_kernelERKNSE_10TensorBaseESI_lENKUlvE_clEvENKUlvE2_clEvEUlS7_S7_E_S7_EEDaPvRmT3_T4_T5_mT6_P12ihipStream_tbENKUlT_T0_E_clISt17integral_constantIbLb1EESY_IbLb0EEEEDaSU_SV_EUlSU_E_NS1_11comp_targetILNS1_3genE5ELNS1_11target_archE942ELNS1_3gpuE9ELNS1_3repE0EEENS1_30default_config_static_selectorELNS0_4arch9wavefront6targetE1EEEvT1_,@function
_ZN7rocprim17ROCPRIM_400000_NS6detail17trampoline_kernelINS0_14default_configENS1_20scan_config_selectorIN3c107complexIfEEEEZZNS1_9scan_implILNS1_25lookback_scan_determinismE0ELb0ELb0ES3_PKS7_PS7_S7_ZZZN2at6native31launch_logcumsumexp_cuda_kernelERKNSE_10TensorBaseESI_lENKUlvE_clEvENKUlvE2_clEvEUlS7_S7_E_S7_EEDaPvRmT3_T4_T5_mT6_P12ihipStream_tbENKUlT_T0_E_clISt17integral_constantIbLb1EESY_IbLb0EEEEDaSU_SV_EUlSU_E_NS1_11comp_targetILNS1_3genE5ELNS1_11target_archE942ELNS1_3gpuE9ELNS1_3repE0EEENS1_30default_config_static_selectorELNS0_4arch9wavefront6targetE1EEEvT1_: ; @_ZN7rocprim17ROCPRIM_400000_NS6detail17trampoline_kernelINS0_14default_configENS1_20scan_config_selectorIN3c107complexIfEEEEZZNS1_9scan_implILNS1_25lookback_scan_determinismE0ELb0ELb0ES3_PKS7_PS7_S7_ZZZN2at6native31launch_logcumsumexp_cuda_kernelERKNSE_10TensorBaseESI_lENKUlvE_clEvENKUlvE2_clEvEUlS7_S7_E_S7_EEDaPvRmT3_T4_T5_mT6_P12ihipStream_tbENKUlT_T0_E_clISt17integral_constantIbLb1EESY_IbLb0EEEEDaSU_SV_EUlSU_E_NS1_11comp_targetILNS1_3genE5ELNS1_11target_archE942ELNS1_3gpuE9ELNS1_3repE0EEENS1_30default_config_static_selectorELNS0_4arch9wavefront6targetE1EEEvT1_
; %bb.0:
	.section	.rodata,"a",@progbits
	.p2align	6, 0x0
	.amdhsa_kernel _ZN7rocprim17ROCPRIM_400000_NS6detail17trampoline_kernelINS0_14default_configENS1_20scan_config_selectorIN3c107complexIfEEEEZZNS1_9scan_implILNS1_25lookback_scan_determinismE0ELb0ELb0ES3_PKS7_PS7_S7_ZZZN2at6native31launch_logcumsumexp_cuda_kernelERKNSE_10TensorBaseESI_lENKUlvE_clEvENKUlvE2_clEvEUlS7_S7_E_S7_EEDaPvRmT3_T4_T5_mT6_P12ihipStream_tbENKUlT_T0_E_clISt17integral_constantIbLb1EESY_IbLb0EEEEDaSU_SV_EUlSU_E_NS1_11comp_targetILNS1_3genE5ELNS1_11target_archE942ELNS1_3gpuE9ELNS1_3repE0EEENS1_30default_config_static_selectorELNS0_4arch9wavefront6targetE1EEEvT1_
		.amdhsa_group_segment_fixed_size 0
		.amdhsa_private_segment_fixed_size 0
		.amdhsa_kernarg_size 104
		.amdhsa_user_sgpr_count 6
		.amdhsa_user_sgpr_private_segment_buffer 1
		.amdhsa_user_sgpr_dispatch_ptr 0
		.amdhsa_user_sgpr_queue_ptr 0
		.amdhsa_user_sgpr_kernarg_segment_ptr 1
		.amdhsa_user_sgpr_dispatch_id 0
		.amdhsa_user_sgpr_flat_scratch_init 0
		.amdhsa_user_sgpr_private_segment_size 0
		.amdhsa_uses_dynamic_stack 0
		.amdhsa_system_sgpr_private_segment_wavefront_offset 0
		.amdhsa_system_sgpr_workgroup_id_x 1
		.amdhsa_system_sgpr_workgroup_id_y 0
		.amdhsa_system_sgpr_workgroup_id_z 0
		.amdhsa_system_sgpr_workgroup_info 0
		.amdhsa_system_vgpr_workitem_id 0
		.amdhsa_next_free_vgpr 1
		.amdhsa_next_free_sgpr 0
		.amdhsa_reserve_vcc 0
		.amdhsa_reserve_flat_scratch 0
		.amdhsa_float_round_mode_32 0
		.amdhsa_float_round_mode_16_64 0
		.amdhsa_float_denorm_mode_32 3
		.amdhsa_float_denorm_mode_16_64 3
		.amdhsa_dx10_clamp 1
		.amdhsa_ieee_mode 1
		.amdhsa_fp16_overflow 0
		.amdhsa_exception_fp_ieee_invalid_op 0
		.amdhsa_exception_fp_denorm_src 0
		.amdhsa_exception_fp_ieee_div_zero 0
		.amdhsa_exception_fp_ieee_overflow 0
		.amdhsa_exception_fp_ieee_underflow 0
		.amdhsa_exception_fp_ieee_inexact 0
		.amdhsa_exception_int_div_zero 0
	.end_amdhsa_kernel
	.section	.text._ZN7rocprim17ROCPRIM_400000_NS6detail17trampoline_kernelINS0_14default_configENS1_20scan_config_selectorIN3c107complexIfEEEEZZNS1_9scan_implILNS1_25lookback_scan_determinismE0ELb0ELb0ES3_PKS7_PS7_S7_ZZZN2at6native31launch_logcumsumexp_cuda_kernelERKNSE_10TensorBaseESI_lENKUlvE_clEvENKUlvE2_clEvEUlS7_S7_E_S7_EEDaPvRmT3_T4_T5_mT6_P12ihipStream_tbENKUlT_T0_E_clISt17integral_constantIbLb1EESY_IbLb0EEEEDaSU_SV_EUlSU_E_NS1_11comp_targetILNS1_3genE5ELNS1_11target_archE942ELNS1_3gpuE9ELNS1_3repE0EEENS1_30default_config_static_selectorELNS0_4arch9wavefront6targetE1EEEvT1_,"axG",@progbits,_ZN7rocprim17ROCPRIM_400000_NS6detail17trampoline_kernelINS0_14default_configENS1_20scan_config_selectorIN3c107complexIfEEEEZZNS1_9scan_implILNS1_25lookback_scan_determinismE0ELb0ELb0ES3_PKS7_PS7_S7_ZZZN2at6native31launch_logcumsumexp_cuda_kernelERKNSE_10TensorBaseESI_lENKUlvE_clEvENKUlvE2_clEvEUlS7_S7_E_S7_EEDaPvRmT3_T4_T5_mT6_P12ihipStream_tbENKUlT_T0_E_clISt17integral_constantIbLb1EESY_IbLb0EEEEDaSU_SV_EUlSU_E_NS1_11comp_targetILNS1_3genE5ELNS1_11target_archE942ELNS1_3gpuE9ELNS1_3repE0EEENS1_30default_config_static_selectorELNS0_4arch9wavefront6targetE1EEEvT1_,comdat
.Lfunc_end311:
	.size	_ZN7rocprim17ROCPRIM_400000_NS6detail17trampoline_kernelINS0_14default_configENS1_20scan_config_selectorIN3c107complexIfEEEEZZNS1_9scan_implILNS1_25lookback_scan_determinismE0ELb0ELb0ES3_PKS7_PS7_S7_ZZZN2at6native31launch_logcumsumexp_cuda_kernelERKNSE_10TensorBaseESI_lENKUlvE_clEvENKUlvE2_clEvEUlS7_S7_E_S7_EEDaPvRmT3_T4_T5_mT6_P12ihipStream_tbENKUlT_T0_E_clISt17integral_constantIbLb1EESY_IbLb0EEEEDaSU_SV_EUlSU_E_NS1_11comp_targetILNS1_3genE5ELNS1_11target_archE942ELNS1_3gpuE9ELNS1_3repE0EEENS1_30default_config_static_selectorELNS0_4arch9wavefront6targetE1EEEvT1_, .Lfunc_end311-_ZN7rocprim17ROCPRIM_400000_NS6detail17trampoline_kernelINS0_14default_configENS1_20scan_config_selectorIN3c107complexIfEEEEZZNS1_9scan_implILNS1_25lookback_scan_determinismE0ELb0ELb0ES3_PKS7_PS7_S7_ZZZN2at6native31launch_logcumsumexp_cuda_kernelERKNSE_10TensorBaseESI_lENKUlvE_clEvENKUlvE2_clEvEUlS7_S7_E_S7_EEDaPvRmT3_T4_T5_mT6_P12ihipStream_tbENKUlT_T0_E_clISt17integral_constantIbLb1EESY_IbLb0EEEEDaSU_SV_EUlSU_E_NS1_11comp_targetILNS1_3genE5ELNS1_11target_archE942ELNS1_3gpuE9ELNS1_3repE0EEENS1_30default_config_static_selectorELNS0_4arch9wavefront6targetE1EEEvT1_
                                        ; -- End function
	.set _ZN7rocprim17ROCPRIM_400000_NS6detail17trampoline_kernelINS0_14default_configENS1_20scan_config_selectorIN3c107complexIfEEEEZZNS1_9scan_implILNS1_25lookback_scan_determinismE0ELb0ELb0ES3_PKS7_PS7_S7_ZZZN2at6native31launch_logcumsumexp_cuda_kernelERKNSE_10TensorBaseESI_lENKUlvE_clEvENKUlvE2_clEvEUlS7_S7_E_S7_EEDaPvRmT3_T4_T5_mT6_P12ihipStream_tbENKUlT_T0_E_clISt17integral_constantIbLb1EESY_IbLb0EEEEDaSU_SV_EUlSU_E_NS1_11comp_targetILNS1_3genE5ELNS1_11target_archE942ELNS1_3gpuE9ELNS1_3repE0EEENS1_30default_config_static_selectorELNS0_4arch9wavefront6targetE1EEEvT1_.num_vgpr, 0
	.set _ZN7rocprim17ROCPRIM_400000_NS6detail17trampoline_kernelINS0_14default_configENS1_20scan_config_selectorIN3c107complexIfEEEEZZNS1_9scan_implILNS1_25lookback_scan_determinismE0ELb0ELb0ES3_PKS7_PS7_S7_ZZZN2at6native31launch_logcumsumexp_cuda_kernelERKNSE_10TensorBaseESI_lENKUlvE_clEvENKUlvE2_clEvEUlS7_S7_E_S7_EEDaPvRmT3_T4_T5_mT6_P12ihipStream_tbENKUlT_T0_E_clISt17integral_constantIbLb1EESY_IbLb0EEEEDaSU_SV_EUlSU_E_NS1_11comp_targetILNS1_3genE5ELNS1_11target_archE942ELNS1_3gpuE9ELNS1_3repE0EEENS1_30default_config_static_selectorELNS0_4arch9wavefront6targetE1EEEvT1_.num_agpr, 0
	.set _ZN7rocprim17ROCPRIM_400000_NS6detail17trampoline_kernelINS0_14default_configENS1_20scan_config_selectorIN3c107complexIfEEEEZZNS1_9scan_implILNS1_25lookback_scan_determinismE0ELb0ELb0ES3_PKS7_PS7_S7_ZZZN2at6native31launch_logcumsumexp_cuda_kernelERKNSE_10TensorBaseESI_lENKUlvE_clEvENKUlvE2_clEvEUlS7_S7_E_S7_EEDaPvRmT3_T4_T5_mT6_P12ihipStream_tbENKUlT_T0_E_clISt17integral_constantIbLb1EESY_IbLb0EEEEDaSU_SV_EUlSU_E_NS1_11comp_targetILNS1_3genE5ELNS1_11target_archE942ELNS1_3gpuE9ELNS1_3repE0EEENS1_30default_config_static_selectorELNS0_4arch9wavefront6targetE1EEEvT1_.numbered_sgpr, 0
	.set _ZN7rocprim17ROCPRIM_400000_NS6detail17trampoline_kernelINS0_14default_configENS1_20scan_config_selectorIN3c107complexIfEEEEZZNS1_9scan_implILNS1_25lookback_scan_determinismE0ELb0ELb0ES3_PKS7_PS7_S7_ZZZN2at6native31launch_logcumsumexp_cuda_kernelERKNSE_10TensorBaseESI_lENKUlvE_clEvENKUlvE2_clEvEUlS7_S7_E_S7_EEDaPvRmT3_T4_T5_mT6_P12ihipStream_tbENKUlT_T0_E_clISt17integral_constantIbLb1EESY_IbLb0EEEEDaSU_SV_EUlSU_E_NS1_11comp_targetILNS1_3genE5ELNS1_11target_archE942ELNS1_3gpuE9ELNS1_3repE0EEENS1_30default_config_static_selectorELNS0_4arch9wavefront6targetE1EEEvT1_.num_named_barrier, 0
	.set _ZN7rocprim17ROCPRIM_400000_NS6detail17trampoline_kernelINS0_14default_configENS1_20scan_config_selectorIN3c107complexIfEEEEZZNS1_9scan_implILNS1_25lookback_scan_determinismE0ELb0ELb0ES3_PKS7_PS7_S7_ZZZN2at6native31launch_logcumsumexp_cuda_kernelERKNSE_10TensorBaseESI_lENKUlvE_clEvENKUlvE2_clEvEUlS7_S7_E_S7_EEDaPvRmT3_T4_T5_mT6_P12ihipStream_tbENKUlT_T0_E_clISt17integral_constantIbLb1EESY_IbLb0EEEEDaSU_SV_EUlSU_E_NS1_11comp_targetILNS1_3genE5ELNS1_11target_archE942ELNS1_3gpuE9ELNS1_3repE0EEENS1_30default_config_static_selectorELNS0_4arch9wavefront6targetE1EEEvT1_.private_seg_size, 0
	.set _ZN7rocprim17ROCPRIM_400000_NS6detail17trampoline_kernelINS0_14default_configENS1_20scan_config_selectorIN3c107complexIfEEEEZZNS1_9scan_implILNS1_25lookback_scan_determinismE0ELb0ELb0ES3_PKS7_PS7_S7_ZZZN2at6native31launch_logcumsumexp_cuda_kernelERKNSE_10TensorBaseESI_lENKUlvE_clEvENKUlvE2_clEvEUlS7_S7_E_S7_EEDaPvRmT3_T4_T5_mT6_P12ihipStream_tbENKUlT_T0_E_clISt17integral_constantIbLb1EESY_IbLb0EEEEDaSU_SV_EUlSU_E_NS1_11comp_targetILNS1_3genE5ELNS1_11target_archE942ELNS1_3gpuE9ELNS1_3repE0EEENS1_30default_config_static_selectorELNS0_4arch9wavefront6targetE1EEEvT1_.uses_vcc, 0
	.set _ZN7rocprim17ROCPRIM_400000_NS6detail17trampoline_kernelINS0_14default_configENS1_20scan_config_selectorIN3c107complexIfEEEEZZNS1_9scan_implILNS1_25lookback_scan_determinismE0ELb0ELb0ES3_PKS7_PS7_S7_ZZZN2at6native31launch_logcumsumexp_cuda_kernelERKNSE_10TensorBaseESI_lENKUlvE_clEvENKUlvE2_clEvEUlS7_S7_E_S7_EEDaPvRmT3_T4_T5_mT6_P12ihipStream_tbENKUlT_T0_E_clISt17integral_constantIbLb1EESY_IbLb0EEEEDaSU_SV_EUlSU_E_NS1_11comp_targetILNS1_3genE5ELNS1_11target_archE942ELNS1_3gpuE9ELNS1_3repE0EEENS1_30default_config_static_selectorELNS0_4arch9wavefront6targetE1EEEvT1_.uses_flat_scratch, 0
	.set _ZN7rocprim17ROCPRIM_400000_NS6detail17trampoline_kernelINS0_14default_configENS1_20scan_config_selectorIN3c107complexIfEEEEZZNS1_9scan_implILNS1_25lookback_scan_determinismE0ELb0ELb0ES3_PKS7_PS7_S7_ZZZN2at6native31launch_logcumsumexp_cuda_kernelERKNSE_10TensorBaseESI_lENKUlvE_clEvENKUlvE2_clEvEUlS7_S7_E_S7_EEDaPvRmT3_T4_T5_mT6_P12ihipStream_tbENKUlT_T0_E_clISt17integral_constantIbLb1EESY_IbLb0EEEEDaSU_SV_EUlSU_E_NS1_11comp_targetILNS1_3genE5ELNS1_11target_archE942ELNS1_3gpuE9ELNS1_3repE0EEENS1_30default_config_static_selectorELNS0_4arch9wavefront6targetE1EEEvT1_.has_dyn_sized_stack, 0
	.set _ZN7rocprim17ROCPRIM_400000_NS6detail17trampoline_kernelINS0_14default_configENS1_20scan_config_selectorIN3c107complexIfEEEEZZNS1_9scan_implILNS1_25lookback_scan_determinismE0ELb0ELb0ES3_PKS7_PS7_S7_ZZZN2at6native31launch_logcumsumexp_cuda_kernelERKNSE_10TensorBaseESI_lENKUlvE_clEvENKUlvE2_clEvEUlS7_S7_E_S7_EEDaPvRmT3_T4_T5_mT6_P12ihipStream_tbENKUlT_T0_E_clISt17integral_constantIbLb1EESY_IbLb0EEEEDaSU_SV_EUlSU_E_NS1_11comp_targetILNS1_3genE5ELNS1_11target_archE942ELNS1_3gpuE9ELNS1_3repE0EEENS1_30default_config_static_selectorELNS0_4arch9wavefront6targetE1EEEvT1_.has_recursion, 0
	.set _ZN7rocprim17ROCPRIM_400000_NS6detail17trampoline_kernelINS0_14default_configENS1_20scan_config_selectorIN3c107complexIfEEEEZZNS1_9scan_implILNS1_25lookback_scan_determinismE0ELb0ELb0ES3_PKS7_PS7_S7_ZZZN2at6native31launch_logcumsumexp_cuda_kernelERKNSE_10TensorBaseESI_lENKUlvE_clEvENKUlvE2_clEvEUlS7_S7_E_S7_EEDaPvRmT3_T4_T5_mT6_P12ihipStream_tbENKUlT_T0_E_clISt17integral_constantIbLb1EESY_IbLb0EEEEDaSU_SV_EUlSU_E_NS1_11comp_targetILNS1_3genE5ELNS1_11target_archE942ELNS1_3gpuE9ELNS1_3repE0EEENS1_30default_config_static_selectorELNS0_4arch9wavefront6targetE1EEEvT1_.has_indirect_call, 0
	.section	.AMDGPU.csdata,"",@progbits
; Kernel info:
; codeLenInByte = 0
; TotalNumSgprs: 4
; NumVgprs: 0
; ScratchSize: 0
; MemoryBound: 0
; FloatMode: 240
; IeeeMode: 1
; LDSByteSize: 0 bytes/workgroup (compile time only)
; SGPRBlocks: 0
; VGPRBlocks: 0
; NumSGPRsForWavesPerEU: 4
; NumVGPRsForWavesPerEU: 1
; Occupancy: 10
; WaveLimiterHint : 0
; COMPUTE_PGM_RSRC2:SCRATCH_EN: 0
; COMPUTE_PGM_RSRC2:USER_SGPR: 6
; COMPUTE_PGM_RSRC2:TRAP_HANDLER: 0
; COMPUTE_PGM_RSRC2:TGID_X_EN: 1
; COMPUTE_PGM_RSRC2:TGID_Y_EN: 0
; COMPUTE_PGM_RSRC2:TGID_Z_EN: 0
; COMPUTE_PGM_RSRC2:TIDIG_COMP_CNT: 0
	.section	.text._ZN7rocprim17ROCPRIM_400000_NS6detail17trampoline_kernelINS0_14default_configENS1_20scan_config_selectorIN3c107complexIfEEEEZZNS1_9scan_implILNS1_25lookback_scan_determinismE0ELb0ELb0ES3_PKS7_PS7_S7_ZZZN2at6native31launch_logcumsumexp_cuda_kernelERKNSE_10TensorBaseESI_lENKUlvE_clEvENKUlvE2_clEvEUlS7_S7_E_S7_EEDaPvRmT3_T4_T5_mT6_P12ihipStream_tbENKUlT_T0_E_clISt17integral_constantIbLb1EESY_IbLb0EEEEDaSU_SV_EUlSU_E_NS1_11comp_targetILNS1_3genE4ELNS1_11target_archE910ELNS1_3gpuE8ELNS1_3repE0EEENS1_30default_config_static_selectorELNS0_4arch9wavefront6targetE1EEEvT1_,"axG",@progbits,_ZN7rocprim17ROCPRIM_400000_NS6detail17trampoline_kernelINS0_14default_configENS1_20scan_config_selectorIN3c107complexIfEEEEZZNS1_9scan_implILNS1_25lookback_scan_determinismE0ELb0ELb0ES3_PKS7_PS7_S7_ZZZN2at6native31launch_logcumsumexp_cuda_kernelERKNSE_10TensorBaseESI_lENKUlvE_clEvENKUlvE2_clEvEUlS7_S7_E_S7_EEDaPvRmT3_T4_T5_mT6_P12ihipStream_tbENKUlT_T0_E_clISt17integral_constantIbLb1EESY_IbLb0EEEEDaSU_SV_EUlSU_E_NS1_11comp_targetILNS1_3genE4ELNS1_11target_archE910ELNS1_3gpuE8ELNS1_3repE0EEENS1_30default_config_static_selectorELNS0_4arch9wavefront6targetE1EEEvT1_,comdat
	.globl	_ZN7rocprim17ROCPRIM_400000_NS6detail17trampoline_kernelINS0_14default_configENS1_20scan_config_selectorIN3c107complexIfEEEEZZNS1_9scan_implILNS1_25lookback_scan_determinismE0ELb0ELb0ES3_PKS7_PS7_S7_ZZZN2at6native31launch_logcumsumexp_cuda_kernelERKNSE_10TensorBaseESI_lENKUlvE_clEvENKUlvE2_clEvEUlS7_S7_E_S7_EEDaPvRmT3_T4_T5_mT6_P12ihipStream_tbENKUlT_T0_E_clISt17integral_constantIbLb1EESY_IbLb0EEEEDaSU_SV_EUlSU_E_NS1_11comp_targetILNS1_3genE4ELNS1_11target_archE910ELNS1_3gpuE8ELNS1_3repE0EEENS1_30default_config_static_selectorELNS0_4arch9wavefront6targetE1EEEvT1_ ; -- Begin function _ZN7rocprim17ROCPRIM_400000_NS6detail17trampoline_kernelINS0_14default_configENS1_20scan_config_selectorIN3c107complexIfEEEEZZNS1_9scan_implILNS1_25lookback_scan_determinismE0ELb0ELb0ES3_PKS7_PS7_S7_ZZZN2at6native31launch_logcumsumexp_cuda_kernelERKNSE_10TensorBaseESI_lENKUlvE_clEvENKUlvE2_clEvEUlS7_S7_E_S7_EEDaPvRmT3_T4_T5_mT6_P12ihipStream_tbENKUlT_T0_E_clISt17integral_constantIbLb1EESY_IbLb0EEEEDaSU_SV_EUlSU_E_NS1_11comp_targetILNS1_3genE4ELNS1_11target_archE910ELNS1_3gpuE8ELNS1_3repE0EEENS1_30default_config_static_selectorELNS0_4arch9wavefront6targetE1EEEvT1_
	.p2align	8
	.type	_ZN7rocprim17ROCPRIM_400000_NS6detail17trampoline_kernelINS0_14default_configENS1_20scan_config_selectorIN3c107complexIfEEEEZZNS1_9scan_implILNS1_25lookback_scan_determinismE0ELb0ELb0ES3_PKS7_PS7_S7_ZZZN2at6native31launch_logcumsumexp_cuda_kernelERKNSE_10TensorBaseESI_lENKUlvE_clEvENKUlvE2_clEvEUlS7_S7_E_S7_EEDaPvRmT3_T4_T5_mT6_P12ihipStream_tbENKUlT_T0_E_clISt17integral_constantIbLb1EESY_IbLb0EEEEDaSU_SV_EUlSU_E_NS1_11comp_targetILNS1_3genE4ELNS1_11target_archE910ELNS1_3gpuE8ELNS1_3repE0EEENS1_30default_config_static_selectorELNS0_4arch9wavefront6targetE1EEEvT1_,@function
_ZN7rocprim17ROCPRIM_400000_NS6detail17trampoline_kernelINS0_14default_configENS1_20scan_config_selectorIN3c107complexIfEEEEZZNS1_9scan_implILNS1_25lookback_scan_determinismE0ELb0ELb0ES3_PKS7_PS7_S7_ZZZN2at6native31launch_logcumsumexp_cuda_kernelERKNSE_10TensorBaseESI_lENKUlvE_clEvENKUlvE2_clEvEUlS7_S7_E_S7_EEDaPvRmT3_T4_T5_mT6_P12ihipStream_tbENKUlT_T0_E_clISt17integral_constantIbLb1EESY_IbLb0EEEEDaSU_SV_EUlSU_E_NS1_11comp_targetILNS1_3genE4ELNS1_11target_archE910ELNS1_3gpuE8ELNS1_3repE0EEENS1_30default_config_static_selectorELNS0_4arch9wavefront6targetE1EEEvT1_: ; @_ZN7rocprim17ROCPRIM_400000_NS6detail17trampoline_kernelINS0_14default_configENS1_20scan_config_selectorIN3c107complexIfEEEEZZNS1_9scan_implILNS1_25lookback_scan_determinismE0ELb0ELb0ES3_PKS7_PS7_S7_ZZZN2at6native31launch_logcumsumexp_cuda_kernelERKNSE_10TensorBaseESI_lENKUlvE_clEvENKUlvE2_clEvEUlS7_S7_E_S7_EEDaPvRmT3_T4_T5_mT6_P12ihipStream_tbENKUlT_T0_E_clISt17integral_constantIbLb1EESY_IbLb0EEEEDaSU_SV_EUlSU_E_NS1_11comp_targetILNS1_3genE4ELNS1_11target_archE910ELNS1_3gpuE8ELNS1_3repE0EEENS1_30default_config_static_selectorELNS0_4arch9wavefront6targetE1EEEvT1_
; %bb.0:
	.section	.rodata,"a",@progbits
	.p2align	6, 0x0
	.amdhsa_kernel _ZN7rocprim17ROCPRIM_400000_NS6detail17trampoline_kernelINS0_14default_configENS1_20scan_config_selectorIN3c107complexIfEEEEZZNS1_9scan_implILNS1_25lookback_scan_determinismE0ELb0ELb0ES3_PKS7_PS7_S7_ZZZN2at6native31launch_logcumsumexp_cuda_kernelERKNSE_10TensorBaseESI_lENKUlvE_clEvENKUlvE2_clEvEUlS7_S7_E_S7_EEDaPvRmT3_T4_T5_mT6_P12ihipStream_tbENKUlT_T0_E_clISt17integral_constantIbLb1EESY_IbLb0EEEEDaSU_SV_EUlSU_E_NS1_11comp_targetILNS1_3genE4ELNS1_11target_archE910ELNS1_3gpuE8ELNS1_3repE0EEENS1_30default_config_static_selectorELNS0_4arch9wavefront6targetE1EEEvT1_
		.amdhsa_group_segment_fixed_size 0
		.amdhsa_private_segment_fixed_size 0
		.amdhsa_kernarg_size 104
		.amdhsa_user_sgpr_count 6
		.amdhsa_user_sgpr_private_segment_buffer 1
		.amdhsa_user_sgpr_dispatch_ptr 0
		.amdhsa_user_sgpr_queue_ptr 0
		.amdhsa_user_sgpr_kernarg_segment_ptr 1
		.amdhsa_user_sgpr_dispatch_id 0
		.amdhsa_user_sgpr_flat_scratch_init 0
		.amdhsa_user_sgpr_private_segment_size 0
		.amdhsa_uses_dynamic_stack 0
		.amdhsa_system_sgpr_private_segment_wavefront_offset 0
		.amdhsa_system_sgpr_workgroup_id_x 1
		.amdhsa_system_sgpr_workgroup_id_y 0
		.amdhsa_system_sgpr_workgroup_id_z 0
		.amdhsa_system_sgpr_workgroup_info 0
		.amdhsa_system_vgpr_workitem_id 0
		.amdhsa_next_free_vgpr 1
		.amdhsa_next_free_sgpr 0
		.amdhsa_reserve_vcc 0
		.amdhsa_reserve_flat_scratch 0
		.amdhsa_float_round_mode_32 0
		.amdhsa_float_round_mode_16_64 0
		.amdhsa_float_denorm_mode_32 3
		.amdhsa_float_denorm_mode_16_64 3
		.amdhsa_dx10_clamp 1
		.amdhsa_ieee_mode 1
		.amdhsa_fp16_overflow 0
		.amdhsa_exception_fp_ieee_invalid_op 0
		.amdhsa_exception_fp_denorm_src 0
		.amdhsa_exception_fp_ieee_div_zero 0
		.amdhsa_exception_fp_ieee_overflow 0
		.amdhsa_exception_fp_ieee_underflow 0
		.amdhsa_exception_fp_ieee_inexact 0
		.amdhsa_exception_int_div_zero 0
	.end_amdhsa_kernel
	.section	.text._ZN7rocprim17ROCPRIM_400000_NS6detail17trampoline_kernelINS0_14default_configENS1_20scan_config_selectorIN3c107complexIfEEEEZZNS1_9scan_implILNS1_25lookback_scan_determinismE0ELb0ELb0ES3_PKS7_PS7_S7_ZZZN2at6native31launch_logcumsumexp_cuda_kernelERKNSE_10TensorBaseESI_lENKUlvE_clEvENKUlvE2_clEvEUlS7_S7_E_S7_EEDaPvRmT3_T4_T5_mT6_P12ihipStream_tbENKUlT_T0_E_clISt17integral_constantIbLb1EESY_IbLb0EEEEDaSU_SV_EUlSU_E_NS1_11comp_targetILNS1_3genE4ELNS1_11target_archE910ELNS1_3gpuE8ELNS1_3repE0EEENS1_30default_config_static_selectorELNS0_4arch9wavefront6targetE1EEEvT1_,"axG",@progbits,_ZN7rocprim17ROCPRIM_400000_NS6detail17trampoline_kernelINS0_14default_configENS1_20scan_config_selectorIN3c107complexIfEEEEZZNS1_9scan_implILNS1_25lookback_scan_determinismE0ELb0ELb0ES3_PKS7_PS7_S7_ZZZN2at6native31launch_logcumsumexp_cuda_kernelERKNSE_10TensorBaseESI_lENKUlvE_clEvENKUlvE2_clEvEUlS7_S7_E_S7_EEDaPvRmT3_T4_T5_mT6_P12ihipStream_tbENKUlT_T0_E_clISt17integral_constantIbLb1EESY_IbLb0EEEEDaSU_SV_EUlSU_E_NS1_11comp_targetILNS1_3genE4ELNS1_11target_archE910ELNS1_3gpuE8ELNS1_3repE0EEENS1_30default_config_static_selectorELNS0_4arch9wavefront6targetE1EEEvT1_,comdat
.Lfunc_end312:
	.size	_ZN7rocprim17ROCPRIM_400000_NS6detail17trampoline_kernelINS0_14default_configENS1_20scan_config_selectorIN3c107complexIfEEEEZZNS1_9scan_implILNS1_25lookback_scan_determinismE0ELb0ELb0ES3_PKS7_PS7_S7_ZZZN2at6native31launch_logcumsumexp_cuda_kernelERKNSE_10TensorBaseESI_lENKUlvE_clEvENKUlvE2_clEvEUlS7_S7_E_S7_EEDaPvRmT3_T4_T5_mT6_P12ihipStream_tbENKUlT_T0_E_clISt17integral_constantIbLb1EESY_IbLb0EEEEDaSU_SV_EUlSU_E_NS1_11comp_targetILNS1_3genE4ELNS1_11target_archE910ELNS1_3gpuE8ELNS1_3repE0EEENS1_30default_config_static_selectorELNS0_4arch9wavefront6targetE1EEEvT1_, .Lfunc_end312-_ZN7rocprim17ROCPRIM_400000_NS6detail17trampoline_kernelINS0_14default_configENS1_20scan_config_selectorIN3c107complexIfEEEEZZNS1_9scan_implILNS1_25lookback_scan_determinismE0ELb0ELb0ES3_PKS7_PS7_S7_ZZZN2at6native31launch_logcumsumexp_cuda_kernelERKNSE_10TensorBaseESI_lENKUlvE_clEvENKUlvE2_clEvEUlS7_S7_E_S7_EEDaPvRmT3_T4_T5_mT6_P12ihipStream_tbENKUlT_T0_E_clISt17integral_constantIbLb1EESY_IbLb0EEEEDaSU_SV_EUlSU_E_NS1_11comp_targetILNS1_3genE4ELNS1_11target_archE910ELNS1_3gpuE8ELNS1_3repE0EEENS1_30default_config_static_selectorELNS0_4arch9wavefront6targetE1EEEvT1_
                                        ; -- End function
	.set _ZN7rocprim17ROCPRIM_400000_NS6detail17trampoline_kernelINS0_14default_configENS1_20scan_config_selectorIN3c107complexIfEEEEZZNS1_9scan_implILNS1_25lookback_scan_determinismE0ELb0ELb0ES3_PKS7_PS7_S7_ZZZN2at6native31launch_logcumsumexp_cuda_kernelERKNSE_10TensorBaseESI_lENKUlvE_clEvENKUlvE2_clEvEUlS7_S7_E_S7_EEDaPvRmT3_T4_T5_mT6_P12ihipStream_tbENKUlT_T0_E_clISt17integral_constantIbLb1EESY_IbLb0EEEEDaSU_SV_EUlSU_E_NS1_11comp_targetILNS1_3genE4ELNS1_11target_archE910ELNS1_3gpuE8ELNS1_3repE0EEENS1_30default_config_static_selectorELNS0_4arch9wavefront6targetE1EEEvT1_.num_vgpr, 0
	.set _ZN7rocprim17ROCPRIM_400000_NS6detail17trampoline_kernelINS0_14default_configENS1_20scan_config_selectorIN3c107complexIfEEEEZZNS1_9scan_implILNS1_25lookback_scan_determinismE0ELb0ELb0ES3_PKS7_PS7_S7_ZZZN2at6native31launch_logcumsumexp_cuda_kernelERKNSE_10TensorBaseESI_lENKUlvE_clEvENKUlvE2_clEvEUlS7_S7_E_S7_EEDaPvRmT3_T4_T5_mT6_P12ihipStream_tbENKUlT_T0_E_clISt17integral_constantIbLb1EESY_IbLb0EEEEDaSU_SV_EUlSU_E_NS1_11comp_targetILNS1_3genE4ELNS1_11target_archE910ELNS1_3gpuE8ELNS1_3repE0EEENS1_30default_config_static_selectorELNS0_4arch9wavefront6targetE1EEEvT1_.num_agpr, 0
	.set _ZN7rocprim17ROCPRIM_400000_NS6detail17trampoline_kernelINS0_14default_configENS1_20scan_config_selectorIN3c107complexIfEEEEZZNS1_9scan_implILNS1_25lookback_scan_determinismE0ELb0ELb0ES3_PKS7_PS7_S7_ZZZN2at6native31launch_logcumsumexp_cuda_kernelERKNSE_10TensorBaseESI_lENKUlvE_clEvENKUlvE2_clEvEUlS7_S7_E_S7_EEDaPvRmT3_T4_T5_mT6_P12ihipStream_tbENKUlT_T0_E_clISt17integral_constantIbLb1EESY_IbLb0EEEEDaSU_SV_EUlSU_E_NS1_11comp_targetILNS1_3genE4ELNS1_11target_archE910ELNS1_3gpuE8ELNS1_3repE0EEENS1_30default_config_static_selectorELNS0_4arch9wavefront6targetE1EEEvT1_.numbered_sgpr, 0
	.set _ZN7rocprim17ROCPRIM_400000_NS6detail17trampoline_kernelINS0_14default_configENS1_20scan_config_selectorIN3c107complexIfEEEEZZNS1_9scan_implILNS1_25lookback_scan_determinismE0ELb0ELb0ES3_PKS7_PS7_S7_ZZZN2at6native31launch_logcumsumexp_cuda_kernelERKNSE_10TensorBaseESI_lENKUlvE_clEvENKUlvE2_clEvEUlS7_S7_E_S7_EEDaPvRmT3_T4_T5_mT6_P12ihipStream_tbENKUlT_T0_E_clISt17integral_constantIbLb1EESY_IbLb0EEEEDaSU_SV_EUlSU_E_NS1_11comp_targetILNS1_3genE4ELNS1_11target_archE910ELNS1_3gpuE8ELNS1_3repE0EEENS1_30default_config_static_selectorELNS0_4arch9wavefront6targetE1EEEvT1_.num_named_barrier, 0
	.set _ZN7rocprim17ROCPRIM_400000_NS6detail17trampoline_kernelINS0_14default_configENS1_20scan_config_selectorIN3c107complexIfEEEEZZNS1_9scan_implILNS1_25lookback_scan_determinismE0ELb0ELb0ES3_PKS7_PS7_S7_ZZZN2at6native31launch_logcumsumexp_cuda_kernelERKNSE_10TensorBaseESI_lENKUlvE_clEvENKUlvE2_clEvEUlS7_S7_E_S7_EEDaPvRmT3_T4_T5_mT6_P12ihipStream_tbENKUlT_T0_E_clISt17integral_constantIbLb1EESY_IbLb0EEEEDaSU_SV_EUlSU_E_NS1_11comp_targetILNS1_3genE4ELNS1_11target_archE910ELNS1_3gpuE8ELNS1_3repE0EEENS1_30default_config_static_selectorELNS0_4arch9wavefront6targetE1EEEvT1_.private_seg_size, 0
	.set _ZN7rocprim17ROCPRIM_400000_NS6detail17trampoline_kernelINS0_14default_configENS1_20scan_config_selectorIN3c107complexIfEEEEZZNS1_9scan_implILNS1_25lookback_scan_determinismE0ELb0ELb0ES3_PKS7_PS7_S7_ZZZN2at6native31launch_logcumsumexp_cuda_kernelERKNSE_10TensorBaseESI_lENKUlvE_clEvENKUlvE2_clEvEUlS7_S7_E_S7_EEDaPvRmT3_T4_T5_mT6_P12ihipStream_tbENKUlT_T0_E_clISt17integral_constantIbLb1EESY_IbLb0EEEEDaSU_SV_EUlSU_E_NS1_11comp_targetILNS1_3genE4ELNS1_11target_archE910ELNS1_3gpuE8ELNS1_3repE0EEENS1_30default_config_static_selectorELNS0_4arch9wavefront6targetE1EEEvT1_.uses_vcc, 0
	.set _ZN7rocprim17ROCPRIM_400000_NS6detail17trampoline_kernelINS0_14default_configENS1_20scan_config_selectorIN3c107complexIfEEEEZZNS1_9scan_implILNS1_25lookback_scan_determinismE0ELb0ELb0ES3_PKS7_PS7_S7_ZZZN2at6native31launch_logcumsumexp_cuda_kernelERKNSE_10TensorBaseESI_lENKUlvE_clEvENKUlvE2_clEvEUlS7_S7_E_S7_EEDaPvRmT3_T4_T5_mT6_P12ihipStream_tbENKUlT_T0_E_clISt17integral_constantIbLb1EESY_IbLb0EEEEDaSU_SV_EUlSU_E_NS1_11comp_targetILNS1_3genE4ELNS1_11target_archE910ELNS1_3gpuE8ELNS1_3repE0EEENS1_30default_config_static_selectorELNS0_4arch9wavefront6targetE1EEEvT1_.uses_flat_scratch, 0
	.set _ZN7rocprim17ROCPRIM_400000_NS6detail17trampoline_kernelINS0_14default_configENS1_20scan_config_selectorIN3c107complexIfEEEEZZNS1_9scan_implILNS1_25lookback_scan_determinismE0ELb0ELb0ES3_PKS7_PS7_S7_ZZZN2at6native31launch_logcumsumexp_cuda_kernelERKNSE_10TensorBaseESI_lENKUlvE_clEvENKUlvE2_clEvEUlS7_S7_E_S7_EEDaPvRmT3_T4_T5_mT6_P12ihipStream_tbENKUlT_T0_E_clISt17integral_constantIbLb1EESY_IbLb0EEEEDaSU_SV_EUlSU_E_NS1_11comp_targetILNS1_3genE4ELNS1_11target_archE910ELNS1_3gpuE8ELNS1_3repE0EEENS1_30default_config_static_selectorELNS0_4arch9wavefront6targetE1EEEvT1_.has_dyn_sized_stack, 0
	.set _ZN7rocprim17ROCPRIM_400000_NS6detail17trampoline_kernelINS0_14default_configENS1_20scan_config_selectorIN3c107complexIfEEEEZZNS1_9scan_implILNS1_25lookback_scan_determinismE0ELb0ELb0ES3_PKS7_PS7_S7_ZZZN2at6native31launch_logcumsumexp_cuda_kernelERKNSE_10TensorBaseESI_lENKUlvE_clEvENKUlvE2_clEvEUlS7_S7_E_S7_EEDaPvRmT3_T4_T5_mT6_P12ihipStream_tbENKUlT_T0_E_clISt17integral_constantIbLb1EESY_IbLb0EEEEDaSU_SV_EUlSU_E_NS1_11comp_targetILNS1_3genE4ELNS1_11target_archE910ELNS1_3gpuE8ELNS1_3repE0EEENS1_30default_config_static_selectorELNS0_4arch9wavefront6targetE1EEEvT1_.has_recursion, 0
	.set _ZN7rocprim17ROCPRIM_400000_NS6detail17trampoline_kernelINS0_14default_configENS1_20scan_config_selectorIN3c107complexIfEEEEZZNS1_9scan_implILNS1_25lookback_scan_determinismE0ELb0ELb0ES3_PKS7_PS7_S7_ZZZN2at6native31launch_logcumsumexp_cuda_kernelERKNSE_10TensorBaseESI_lENKUlvE_clEvENKUlvE2_clEvEUlS7_S7_E_S7_EEDaPvRmT3_T4_T5_mT6_P12ihipStream_tbENKUlT_T0_E_clISt17integral_constantIbLb1EESY_IbLb0EEEEDaSU_SV_EUlSU_E_NS1_11comp_targetILNS1_3genE4ELNS1_11target_archE910ELNS1_3gpuE8ELNS1_3repE0EEENS1_30default_config_static_selectorELNS0_4arch9wavefront6targetE1EEEvT1_.has_indirect_call, 0
	.section	.AMDGPU.csdata,"",@progbits
; Kernel info:
; codeLenInByte = 0
; TotalNumSgprs: 4
; NumVgprs: 0
; ScratchSize: 0
; MemoryBound: 0
; FloatMode: 240
; IeeeMode: 1
; LDSByteSize: 0 bytes/workgroup (compile time only)
; SGPRBlocks: 0
; VGPRBlocks: 0
; NumSGPRsForWavesPerEU: 4
; NumVGPRsForWavesPerEU: 1
; Occupancy: 10
; WaveLimiterHint : 0
; COMPUTE_PGM_RSRC2:SCRATCH_EN: 0
; COMPUTE_PGM_RSRC2:USER_SGPR: 6
; COMPUTE_PGM_RSRC2:TRAP_HANDLER: 0
; COMPUTE_PGM_RSRC2:TGID_X_EN: 1
; COMPUTE_PGM_RSRC2:TGID_Y_EN: 0
; COMPUTE_PGM_RSRC2:TGID_Z_EN: 0
; COMPUTE_PGM_RSRC2:TIDIG_COMP_CNT: 0
	.section	.text._ZN7rocprim17ROCPRIM_400000_NS6detail17trampoline_kernelINS0_14default_configENS1_20scan_config_selectorIN3c107complexIfEEEEZZNS1_9scan_implILNS1_25lookback_scan_determinismE0ELb0ELb0ES3_PKS7_PS7_S7_ZZZN2at6native31launch_logcumsumexp_cuda_kernelERKNSE_10TensorBaseESI_lENKUlvE_clEvENKUlvE2_clEvEUlS7_S7_E_S7_EEDaPvRmT3_T4_T5_mT6_P12ihipStream_tbENKUlT_T0_E_clISt17integral_constantIbLb1EESY_IbLb0EEEEDaSU_SV_EUlSU_E_NS1_11comp_targetILNS1_3genE3ELNS1_11target_archE908ELNS1_3gpuE7ELNS1_3repE0EEENS1_30default_config_static_selectorELNS0_4arch9wavefront6targetE1EEEvT1_,"axG",@progbits,_ZN7rocprim17ROCPRIM_400000_NS6detail17trampoline_kernelINS0_14default_configENS1_20scan_config_selectorIN3c107complexIfEEEEZZNS1_9scan_implILNS1_25lookback_scan_determinismE0ELb0ELb0ES3_PKS7_PS7_S7_ZZZN2at6native31launch_logcumsumexp_cuda_kernelERKNSE_10TensorBaseESI_lENKUlvE_clEvENKUlvE2_clEvEUlS7_S7_E_S7_EEDaPvRmT3_T4_T5_mT6_P12ihipStream_tbENKUlT_T0_E_clISt17integral_constantIbLb1EESY_IbLb0EEEEDaSU_SV_EUlSU_E_NS1_11comp_targetILNS1_3genE3ELNS1_11target_archE908ELNS1_3gpuE7ELNS1_3repE0EEENS1_30default_config_static_selectorELNS0_4arch9wavefront6targetE1EEEvT1_,comdat
	.globl	_ZN7rocprim17ROCPRIM_400000_NS6detail17trampoline_kernelINS0_14default_configENS1_20scan_config_selectorIN3c107complexIfEEEEZZNS1_9scan_implILNS1_25lookback_scan_determinismE0ELb0ELb0ES3_PKS7_PS7_S7_ZZZN2at6native31launch_logcumsumexp_cuda_kernelERKNSE_10TensorBaseESI_lENKUlvE_clEvENKUlvE2_clEvEUlS7_S7_E_S7_EEDaPvRmT3_T4_T5_mT6_P12ihipStream_tbENKUlT_T0_E_clISt17integral_constantIbLb1EESY_IbLb0EEEEDaSU_SV_EUlSU_E_NS1_11comp_targetILNS1_3genE3ELNS1_11target_archE908ELNS1_3gpuE7ELNS1_3repE0EEENS1_30default_config_static_selectorELNS0_4arch9wavefront6targetE1EEEvT1_ ; -- Begin function _ZN7rocprim17ROCPRIM_400000_NS6detail17trampoline_kernelINS0_14default_configENS1_20scan_config_selectorIN3c107complexIfEEEEZZNS1_9scan_implILNS1_25lookback_scan_determinismE0ELb0ELb0ES3_PKS7_PS7_S7_ZZZN2at6native31launch_logcumsumexp_cuda_kernelERKNSE_10TensorBaseESI_lENKUlvE_clEvENKUlvE2_clEvEUlS7_S7_E_S7_EEDaPvRmT3_T4_T5_mT6_P12ihipStream_tbENKUlT_T0_E_clISt17integral_constantIbLb1EESY_IbLb0EEEEDaSU_SV_EUlSU_E_NS1_11comp_targetILNS1_3genE3ELNS1_11target_archE908ELNS1_3gpuE7ELNS1_3repE0EEENS1_30default_config_static_selectorELNS0_4arch9wavefront6targetE1EEEvT1_
	.p2align	8
	.type	_ZN7rocprim17ROCPRIM_400000_NS6detail17trampoline_kernelINS0_14default_configENS1_20scan_config_selectorIN3c107complexIfEEEEZZNS1_9scan_implILNS1_25lookback_scan_determinismE0ELb0ELb0ES3_PKS7_PS7_S7_ZZZN2at6native31launch_logcumsumexp_cuda_kernelERKNSE_10TensorBaseESI_lENKUlvE_clEvENKUlvE2_clEvEUlS7_S7_E_S7_EEDaPvRmT3_T4_T5_mT6_P12ihipStream_tbENKUlT_T0_E_clISt17integral_constantIbLb1EESY_IbLb0EEEEDaSU_SV_EUlSU_E_NS1_11comp_targetILNS1_3genE3ELNS1_11target_archE908ELNS1_3gpuE7ELNS1_3repE0EEENS1_30default_config_static_selectorELNS0_4arch9wavefront6targetE1EEEvT1_,@function
_ZN7rocprim17ROCPRIM_400000_NS6detail17trampoline_kernelINS0_14default_configENS1_20scan_config_selectorIN3c107complexIfEEEEZZNS1_9scan_implILNS1_25lookback_scan_determinismE0ELb0ELb0ES3_PKS7_PS7_S7_ZZZN2at6native31launch_logcumsumexp_cuda_kernelERKNSE_10TensorBaseESI_lENKUlvE_clEvENKUlvE2_clEvEUlS7_S7_E_S7_EEDaPvRmT3_T4_T5_mT6_P12ihipStream_tbENKUlT_T0_E_clISt17integral_constantIbLb1EESY_IbLb0EEEEDaSU_SV_EUlSU_E_NS1_11comp_targetILNS1_3genE3ELNS1_11target_archE908ELNS1_3gpuE7ELNS1_3repE0EEENS1_30default_config_static_selectorELNS0_4arch9wavefront6targetE1EEEvT1_: ; @_ZN7rocprim17ROCPRIM_400000_NS6detail17trampoline_kernelINS0_14default_configENS1_20scan_config_selectorIN3c107complexIfEEEEZZNS1_9scan_implILNS1_25lookback_scan_determinismE0ELb0ELb0ES3_PKS7_PS7_S7_ZZZN2at6native31launch_logcumsumexp_cuda_kernelERKNSE_10TensorBaseESI_lENKUlvE_clEvENKUlvE2_clEvEUlS7_S7_E_S7_EEDaPvRmT3_T4_T5_mT6_P12ihipStream_tbENKUlT_T0_E_clISt17integral_constantIbLb1EESY_IbLb0EEEEDaSU_SV_EUlSU_E_NS1_11comp_targetILNS1_3genE3ELNS1_11target_archE908ELNS1_3gpuE7ELNS1_3repE0EEENS1_30default_config_static_selectorELNS0_4arch9wavefront6targetE1EEEvT1_
; %bb.0:
	.section	.rodata,"a",@progbits
	.p2align	6, 0x0
	.amdhsa_kernel _ZN7rocprim17ROCPRIM_400000_NS6detail17trampoline_kernelINS0_14default_configENS1_20scan_config_selectorIN3c107complexIfEEEEZZNS1_9scan_implILNS1_25lookback_scan_determinismE0ELb0ELb0ES3_PKS7_PS7_S7_ZZZN2at6native31launch_logcumsumexp_cuda_kernelERKNSE_10TensorBaseESI_lENKUlvE_clEvENKUlvE2_clEvEUlS7_S7_E_S7_EEDaPvRmT3_T4_T5_mT6_P12ihipStream_tbENKUlT_T0_E_clISt17integral_constantIbLb1EESY_IbLb0EEEEDaSU_SV_EUlSU_E_NS1_11comp_targetILNS1_3genE3ELNS1_11target_archE908ELNS1_3gpuE7ELNS1_3repE0EEENS1_30default_config_static_selectorELNS0_4arch9wavefront6targetE1EEEvT1_
		.amdhsa_group_segment_fixed_size 0
		.amdhsa_private_segment_fixed_size 0
		.amdhsa_kernarg_size 104
		.amdhsa_user_sgpr_count 6
		.amdhsa_user_sgpr_private_segment_buffer 1
		.amdhsa_user_sgpr_dispatch_ptr 0
		.amdhsa_user_sgpr_queue_ptr 0
		.amdhsa_user_sgpr_kernarg_segment_ptr 1
		.amdhsa_user_sgpr_dispatch_id 0
		.amdhsa_user_sgpr_flat_scratch_init 0
		.amdhsa_user_sgpr_private_segment_size 0
		.amdhsa_uses_dynamic_stack 0
		.amdhsa_system_sgpr_private_segment_wavefront_offset 0
		.amdhsa_system_sgpr_workgroup_id_x 1
		.amdhsa_system_sgpr_workgroup_id_y 0
		.amdhsa_system_sgpr_workgroup_id_z 0
		.amdhsa_system_sgpr_workgroup_info 0
		.amdhsa_system_vgpr_workitem_id 0
		.amdhsa_next_free_vgpr 1
		.amdhsa_next_free_sgpr 0
		.amdhsa_reserve_vcc 0
		.amdhsa_reserve_flat_scratch 0
		.amdhsa_float_round_mode_32 0
		.amdhsa_float_round_mode_16_64 0
		.amdhsa_float_denorm_mode_32 3
		.amdhsa_float_denorm_mode_16_64 3
		.amdhsa_dx10_clamp 1
		.amdhsa_ieee_mode 1
		.amdhsa_fp16_overflow 0
		.amdhsa_exception_fp_ieee_invalid_op 0
		.amdhsa_exception_fp_denorm_src 0
		.amdhsa_exception_fp_ieee_div_zero 0
		.amdhsa_exception_fp_ieee_overflow 0
		.amdhsa_exception_fp_ieee_underflow 0
		.amdhsa_exception_fp_ieee_inexact 0
		.amdhsa_exception_int_div_zero 0
	.end_amdhsa_kernel
	.section	.text._ZN7rocprim17ROCPRIM_400000_NS6detail17trampoline_kernelINS0_14default_configENS1_20scan_config_selectorIN3c107complexIfEEEEZZNS1_9scan_implILNS1_25lookback_scan_determinismE0ELb0ELb0ES3_PKS7_PS7_S7_ZZZN2at6native31launch_logcumsumexp_cuda_kernelERKNSE_10TensorBaseESI_lENKUlvE_clEvENKUlvE2_clEvEUlS7_S7_E_S7_EEDaPvRmT3_T4_T5_mT6_P12ihipStream_tbENKUlT_T0_E_clISt17integral_constantIbLb1EESY_IbLb0EEEEDaSU_SV_EUlSU_E_NS1_11comp_targetILNS1_3genE3ELNS1_11target_archE908ELNS1_3gpuE7ELNS1_3repE0EEENS1_30default_config_static_selectorELNS0_4arch9wavefront6targetE1EEEvT1_,"axG",@progbits,_ZN7rocprim17ROCPRIM_400000_NS6detail17trampoline_kernelINS0_14default_configENS1_20scan_config_selectorIN3c107complexIfEEEEZZNS1_9scan_implILNS1_25lookback_scan_determinismE0ELb0ELb0ES3_PKS7_PS7_S7_ZZZN2at6native31launch_logcumsumexp_cuda_kernelERKNSE_10TensorBaseESI_lENKUlvE_clEvENKUlvE2_clEvEUlS7_S7_E_S7_EEDaPvRmT3_T4_T5_mT6_P12ihipStream_tbENKUlT_T0_E_clISt17integral_constantIbLb1EESY_IbLb0EEEEDaSU_SV_EUlSU_E_NS1_11comp_targetILNS1_3genE3ELNS1_11target_archE908ELNS1_3gpuE7ELNS1_3repE0EEENS1_30default_config_static_selectorELNS0_4arch9wavefront6targetE1EEEvT1_,comdat
.Lfunc_end313:
	.size	_ZN7rocprim17ROCPRIM_400000_NS6detail17trampoline_kernelINS0_14default_configENS1_20scan_config_selectorIN3c107complexIfEEEEZZNS1_9scan_implILNS1_25lookback_scan_determinismE0ELb0ELb0ES3_PKS7_PS7_S7_ZZZN2at6native31launch_logcumsumexp_cuda_kernelERKNSE_10TensorBaseESI_lENKUlvE_clEvENKUlvE2_clEvEUlS7_S7_E_S7_EEDaPvRmT3_T4_T5_mT6_P12ihipStream_tbENKUlT_T0_E_clISt17integral_constantIbLb1EESY_IbLb0EEEEDaSU_SV_EUlSU_E_NS1_11comp_targetILNS1_3genE3ELNS1_11target_archE908ELNS1_3gpuE7ELNS1_3repE0EEENS1_30default_config_static_selectorELNS0_4arch9wavefront6targetE1EEEvT1_, .Lfunc_end313-_ZN7rocprim17ROCPRIM_400000_NS6detail17trampoline_kernelINS0_14default_configENS1_20scan_config_selectorIN3c107complexIfEEEEZZNS1_9scan_implILNS1_25lookback_scan_determinismE0ELb0ELb0ES3_PKS7_PS7_S7_ZZZN2at6native31launch_logcumsumexp_cuda_kernelERKNSE_10TensorBaseESI_lENKUlvE_clEvENKUlvE2_clEvEUlS7_S7_E_S7_EEDaPvRmT3_T4_T5_mT6_P12ihipStream_tbENKUlT_T0_E_clISt17integral_constantIbLb1EESY_IbLb0EEEEDaSU_SV_EUlSU_E_NS1_11comp_targetILNS1_3genE3ELNS1_11target_archE908ELNS1_3gpuE7ELNS1_3repE0EEENS1_30default_config_static_selectorELNS0_4arch9wavefront6targetE1EEEvT1_
                                        ; -- End function
	.set _ZN7rocprim17ROCPRIM_400000_NS6detail17trampoline_kernelINS0_14default_configENS1_20scan_config_selectorIN3c107complexIfEEEEZZNS1_9scan_implILNS1_25lookback_scan_determinismE0ELb0ELb0ES3_PKS7_PS7_S7_ZZZN2at6native31launch_logcumsumexp_cuda_kernelERKNSE_10TensorBaseESI_lENKUlvE_clEvENKUlvE2_clEvEUlS7_S7_E_S7_EEDaPvRmT3_T4_T5_mT6_P12ihipStream_tbENKUlT_T0_E_clISt17integral_constantIbLb1EESY_IbLb0EEEEDaSU_SV_EUlSU_E_NS1_11comp_targetILNS1_3genE3ELNS1_11target_archE908ELNS1_3gpuE7ELNS1_3repE0EEENS1_30default_config_static_selectorELNS0_4arch9wavefront6targetE1EEEvT1_.num_vgpr, 0
	.set _ZN7rocprim17ROCPRIM_400000_NS6detail17trampoline_kernelINS0_14default_configENS1_20scan_config_selectorIN3c107complexIfEEEEZZNS1_9scan_implILNS1_25lookback_scan_determinismE0ELb0ELb0ES3_PKS7_PS7_S7_ZZZN2at6native31launch_logcumsumexp_cuda_kernelERKNSE_10TensorBaseESI_lENKUlvE_clEvENKUlvE2_clEvEUlS7_S7_E_S7_EEDaPvRmT3_T4_T5_mT6_P12ihipStream_tbENKUlT_T0_E_clISt17integral_constantIbLb1EESY_IbLb0EEEEDaSU_SV_EUlSU_E_NS1_11comp_targetILNS1_3genE3ELNS1_11target_archE908ELNS1_3gpuE7ELNS1_3repE0EEENS1_30default_config_static_selectorELNS0_4arch9wavefront6targetE1EEEvT1_.num_agpr, 0
	.set _ZN7rocprim17ROCPRIM_400000_NS6detail17trampoline_kernelINS0_14default_configENS1_20scan_config_selectorIN3c107complexIfEEEEZZNS1_9scan_implILNS1_25lookback_scan_determinismE0ELb0ELb0ES3_PKS7_PS7_S7_ZZZN2at6native31launch_logcumsumexp_cuda_kernelERKNSE_10TensorBaseESI_lENKUlvE_clEvENKUlvE2_clEvEUlS7_S7_E_S7_EEDaPvRmT3_T4_T5_mT6_P12ihipStream_tbENKUlT_T0_E_clISt17integral_constantIbLb1EESY_IbLb0EEEEDaSU_SV_EUlSU_E_NS1_11comp_targetILNS1_3genE3ELNS1_11target_archE908ELNS1_3gpuE7ELNS1_3repE0EEENS1_30default_config_static_selectorELNS0_4arch9wavefront6targetE1EEEvT1_.numbered_sgpr, 0
	.set _ZN7rocprim17ROCPRIM_400000_NS6detail17trampoline_kernelINS0_14default_configENS1_20scan_config_selectorIN3c107complexIfEEEEZZNS1_9scan_implILNS1_25lookback_scan_determinismE0ELb0ELb0ES3_PKS7_PS7_S7_ZZZN2at6native31launch_logcumsumexp_cuda_kernelERKNSE_10TensorBaseESI_lENKUlvE_clEvENKUlvE2_clEvEUlS7_S7_E_S7_EEDaPvRmT3_T4_T5_mT6_P12ihipStream_tbENKUlT_T0_E_clISt17integral_constantIbLb1EESY_IbLb0EEEEDaSU_SV_EUlSU_E_NS1_11comp_targetILNS1_3genE3ELNS1_11target_archE908ELNS1_3gpuE7ELNS1_3repE0EEENS1_30default_config_static_selectorELNS0_4arch9wavefront6targetE1EEEvT1_.num_named_barrier, 0
	.set _ZN7rocprim17ROCPRIM_400000_NS6detail17trampoline_kernelINS0_14default_configENS1_20scan_config_selectorIN3c107complexIfEEEEZZNS1_9scan_implILNS1_25lookback_scan_determinismE0ELb0ELb0ES3_PKS7_PS7_S7_ZZZN2at6native31launch_logcumsumexp_cuda_kernelERKNSE_10TensorBaseESI_lENKUlvE_clEvENKUlvE2_clEvEUlS7_S7_E_S7_EEDaPvRmT3_T4_T5_mT6_P12ihipStream_tbENKUlT_T0_E_clISt17integral_constantIbLb1EESY_IbLb0EEEEDaSU_SV_EUlSU_E_NS1_11comp_targetILNS1_3genE3ELNS1_11target_archE908ELNS1_3gpuE7ELNS1_3repE0EEENS1_30default_config_static_selectorELNS0_4arch9wavefront6targetE1EEEvT1_.private_seg_size, 0
	.set _ZN7rocprim17ROCPRIM_400000_NS6detail17trampoline_kernelINS0_14default_configENS1_20scan_config_selectorIN3c107complexIfEEEEZZNS1_9scan_implILNS1_25lookback_scan_determinismE0ELb0ELb0ES3_PKS7_PS7_S7_ZZZN2at6native31launch_logcumsumexp_cuda_kernelERKNSE_10TensorBaseESI_lENKUlvE_clEvENKUlvE2_clEvEUlS7_S7_E_S7_EEDaPvRmT3_T4_T5_mT6_P12ihipStream_tbENKUlT_T0_E_clISt17integral_constantIbLb1EESY_IbLb0EEEEDaSU_SV_EUlSU_E_NS1_11comp_targetILNS1_3genE3ELNS1_11target_archE908ELNS1_3gpuE7ELNS1_3repE0EEENS1_30default_config_static_selectorELNS0_4arch9wavefront6targetE1EEEvT1_.uses_vcc, 0
	.set _ZN7rocprim17ROCPRIM_400000_NS6detail17trampoline_kernelINS0_14default_configENS1_20scan_config_selectorIN3c107complexIfEEEEZZNS1_9scan_implILNS1_25lookback_scan_determinismE0ELb0ELb0ES3_PKS7_PS7_S7_ZZZN2at6native31launch_logcumsumexp_cuda_kernelERKNSE_10TensorBaseESI_lENKUlvE_clEvENKUlvE2_clEvEUlS7_S7_E_S7_EEDaPvRmT3_T4_T5_mT6_P12ihipStream_tbENKUlT_T0_E_clISt17integral_constantIbLb1EESY_IbLb0EEEEDaSU_SV_EUlSU_E_NS1_11comp_targetILNS1_3genE3ELNS1_11target_archE908ELNS1_3gpuE7ELNS1_3repE0EEENS1_30default_config_static_selectorELNS0_4arch9wavefront6targetE1EEEvT1_.uses_flat_scratch, 0
	.set _ZN7rocprim17ROCPRIM_400000_NS6detail17trampoline_kernelINS0_14default_configENS1_20scan_config_selectorIN3c107complexIfEEEEZZNS1_9scan_implILNS1_25lookback_scan_determinismE0ELb0ELb0ES3_PKS7_PS7_S7_ZZZN2at6native31launch_logcumsumexp_cuda_kernelERKNSE_10TensorBaseESI_lENKUlvE_clEvENKUlvE2_clEvEUlS7_S7_E_S7_EEDaPvRmT3_T4_T5_mT6_P12ihipStream_tbENKUlT_T0_E_clISt17integral_constantIbLb1EESY_IbLb0EEEEDaSU_SV_EUlSU_E_NS1_11comp_targetILNS1_3genE3ELNS1_11target_archE908ELNS1_3gpuE7ELNS1_3repE0EEENS1_30default_config_static_selectorELNS0_4arch9wavefront6targetE1EEEvT1_.has_dyn_sized_stack, 0
	.set _ZN7rocprim17ROCPRIM_400000_NS6detail17trampoline_kernelINS0_14default_configENS1_20scan_config_selectorIN3c107complexIfEEEEZZNS1_9scan_implILNS1_25lookback_scan_determinismE0ELb0ELb0ES3_PKS7_PS7_S7_ZZZN2at6native31launch_logcumsumexp_cuda_kernelERKNSE_10TensorBaseESI_lENKUlvE_clEvENKUlvE2_clEvEUlS7_S7_E_S7_EEDaPvRmT3_T4_T5_mT6_P12ihipStream_tbENKUlT_T0_E_clISt17integral_constantIbLb1EESY_IbLb0EEEEDaSU_SV_EUlSU_E_NS1_11comp_targetILNS1_3genE3ELNS1_11target_archE908ELNS1_3gpuE7ELNS1_3repE0EEENS1_30default_config_static_selectorELNS0_4arch9wavefront6targetE1EEEvT1_.has_recursion, 0
	.set _ZN7rocprim17ROCPRIM_400000_NS6detail17trampoline_kernelINS0_14default_configENS1_20scan_config_selectorIN3c107complexIfEEEEZZNS1_9scan_implILNS1_25lookback_scan_determinismE0ELb0ELb0ES3_PKS7_PS7_S7_ZZZN2at6native31launch_logcumsumexp_cuda_kernelERKNSE_10TensorBaseESI_lENKUlvE_clEvENKUlvE2_clEvEUlS7_S7_E_S7_EEDaPvRmT3_T4_T5_mT6_P12ihipStream_tbENKUlT_T0_E_clISt17integral_constantIbLb1EESY_IbLb0EEEEDaSU_SV_EUlSU_E_NS1_11comp_targetILNS1_3genE3ELNS1_11target_archE908ELNS1_3gpuE7ELNS1_3repE0EEENS1_30default_config_static_selectorELNS0_4arch9wavefront6targetE1EEEvT1_.has_indirect_call, 0
	.section	.AMDGPU.csdata,"",@progbits
; Kernel info:
; codeLenInByte = 0
; TotalNumSgprs: 4
; NumVgprs: 0
; ScratchSize: 0
; MemoryBound: 0
; FloatMode: 240
; IeeeMode: 1
; LDSByteSize: 0 bytes/workgroup (compile time only)
; SGPRBlocks: 0
; VGPRBlocks: 0
; NumSGPRsForWavesPerEU: 4
; NumVGPRsForWavesPerEU: 1
; Occupancy: 10
; WaveLimiterHint : 0
; COMPUTE_PGM_RSRC2:SCRATCH_EN: 0
; COMPUTE_PGM_RSRC2:USER_SGPR: 6
; COMPUTE_PGM_RSRC2:TRAP_HANDLER: 0
; COMPUTE_PGM_RSRC2:TGID_X_EN: 1
; COMPUTE_PGM_RSRC2:TGID_Y_EN: 0
; COMPUTE_PGM_RSRC2:TGID_Z_EN: 0
; COMPUTE_PGM_RSRC2:TIDIG_COMP_CNT: 0
	.section	.text._ZN7rocprim17ROCPRIM_400000_NS6detail17trampoline_kernelINS0_14default_configENS1_20scan_config_selectorIN3c107complexIfEEEEZZNS1_9scan_implILNS1_25lookback_scan_determinismE0ELb0ELb0ES3_PKS7_PS7_S7_ZZZN2at6native31launch_logcumsumexp_cuda_kernelERKNSE_10TensorBaseESI_lENKUlvE_clEvENKUlvE2_clEvEUlS7_S7_E_S7_EEDaPvRmT3_T4_T5_mT6_P12ihipStream_tbENKUlT_T0_E_clISt17integral_constantIbLb1EESY_IbLb0EEEEDaSU_SV_EUlSU_E_NS1_11comp_targetILNS1_3genE2ELNS1_11target_archE906ELNS1_3gpuE6ELNS1_3repE0EEENS1_30default_config_static_selectorELNS0_4arch9wavefront6targetE1EEEvT1_,"axG",@progbits,_ZN7rocprim17ROCPRIM_400000_NS6detail17trampoline_kernelINS0_14default_configENS1_20scan_config_selectorIN3c107complexIfEEEEZZNS1_9scan_implILNS1_25lookback_scan_determinismE0ELb0ELb0ES3_PKS7_PS7_S7_ZZZN2at6native31launch_logcumsumexp_cuda_kernelERKNSE_10TensorBaseESI_lENKUlvE_clEvENKUlvE2_clEvEUlS7_S7_E_S7_EEDaPvRmT3_T4_T5_mT6_P12ihipStream_tbENKUlT_T0_E_clISt17integral_constantIbLb1EESY_IbLb0EEEEDaSU_SV_EUlSU_E_NS1_11comp_targetILNS1_3genE2ELNS1_11target_archE906ELNS1_3gpuE6ELNS1_3repE0EEENS1_30default_config_static_selectorELNS0_4arch9wavefront6targetE1EEEvT1_,comdat
	.globl	_ZN7rocprim17ROCPRIM_400000_NS6detail17trampoline_kernelINS0_14default_configENS1_20scan_config_selectorIN3c107complexIfEEEEZZNS1_9scan_implILNS1_25lookback_scan_determinismE0ELb0ELb0ES3_PKS7_PS7_S7_ZZZN2at6native31launch_logcumsumexp_cuda_kernelERKNSE_10TensorBaseESI_lENKUlvE_clEvENKUlvE2_clEvEUlS7_S7_E_S7_EEDaPvRmT3_T4_T5_mT6_P12ihipStream_tbENKUlT_T0_E_clISt17integral_constantIbLb1EESY_IbLb0EEEEDaSU_SV_EUlSU_E_NS1_11comp_targetILNS1_3genE2ELNS1_11target_archE906ELNS1_3gpuE6ELNS1_3repE0EEENS1_30default_config_static_selectorELNS0_4arch9wavefront6targetE1EEEvT1_ ; -- Begin function _ZN7rocprim17ROCPRIM_400000_NS6detail17trampoline_kernelINS0_14default_configENS1_20scan_config_selectorIN3c107complexIfEEEEZZNS1_9scan_implILNS1_25lookback_scan_determinismE0ELb0ELb0ES3_PKS7_PS7_S7_ZZZN2at6native31launch_logcumsumexp_cuda_kernelERKNSE_10TensorBaseESI_lENKUlvE_clEvENKUlvE2_clEvEUlS7_S7_E_S7_EEDaPvRmT3_T4_T5_mT6_P12ihipStream_tbENKUlT_T0_E_clISt17integral_constantIbLb1EESY_IbLb0EEEEDaSU_SV_EUlSU_E_NS1_11comp_targetILNS1_3genE2ELNS1_11target_archE906ELNS1_3gpuE6ELNS1_3repE0EEENS1_30default_config_static_selectorELNS0_4arch9wavefront6targetE1EEEvT1_
	.p2align	8
	.type	_ZN7rocprim17ROCPRIM_400000_NS6detail17trampoline_kernelINS0_14default_configENS1_20scan_config_selectorIN3c107complexIfEEEEZZNS1_9scan_implILNS1_25lookback_scan_determinismE0ELb0ELb0ES3_PKS7_PS7_S7_ZZZN2at6native31launch_logcumsumexp_cuda_kernelERKNSE_10TensorBaseESI_lENKUlvE_clEvENKUlvE2_clEvEUlS7_S7_E_S7_EEDaPvRmT3_T4_T5_mT6_P12ihipStream_tbENKUlT_T0_E_clISt17integral_constantIbLb1EESY_IbLb0EEEEDaSU_SV_EUlSU_E_NS1_11comp_targetILNS1_3genE2ELNS1_11target_archE906ELNS1_3gpuE6ELNS1_3repE0EEENS1_30default_config_static_selectorELNS0_4arch9wavefront6targetE1EEEvT1_,@function
_ZN7rocprim17ROCPRIM_400000_NS6detail17trampoline_kernelINS0_14default_configENS1_20scan_config_selectorIN3c107complexIfEEEEZZNS1_9scan_implILNS1_25lookback_scan_determinismE0ELb0ELb0ES3_PKS7_PS7_S7_ZZZN2at6native31launch_logcumsumexp_cuda_kernelERKNSE_10TensorBaseESI_lENKUlvE_clEvENKUlvE2_clEvEUlS7_S7_E_S7_EEDaPvRmT3_T4_T5_mT6_P12ihipStream_tbENKUlT_T0_E_clISt17integral_constantIbLb1EESY_IbLb0EEEEDaSU_SV_EUlSU_E_NS1_11comp_targetILNS1_3genE2ELNS1_11target_archE906ELNS1_3gpuE6ELNS1_3repE0EEENS1_30default_config_static_selectorELNS0_4arch9wavefront6targetE1EEEvT1_: ; @_ZN7rocprim17ROCPRIM_400000_NS6detail17trampoline_kernelINS0_14default_configENS1_20scan_config_selectorIN3c107complexIfEEEEZZNS1_9scan_implILNS1_25lookback_scan_determinismE0ELb0ELb0ES3_PKS7_PS7_S7_ZZZN2at6native31launch_logcumsumexp_cuda_kernelERKNSE_10TensorBaseESI_lENKUlvE_clEvENKUlvE2_clEvEUlS7_S7_E_S7_EEDaPvRmT3_T4_T5_mT6_P12ihipStream_tbENKUlT_T0_E_clISt17integral_constantIbLb1EESY_IbLb0EEEEDaSU_SV_EUlSU_E_NS1_11comp_targetILNS1_3genE2ELNS1_11target_archE906ELNS1_3gpuE6ELNS1_3repE0EEENS1_30default_config_static_selectorELNS0_4arch9wavefront6targetE1EEEvT1_
; %bb.0:
	s_endpgm
	.section	.rodata,"a",@progbits
	.p2align	6, 0x0
	.amdhsa_kernel _ZN7rocprim17ROCPRIM_400000_NS6detail17trampoline_kernelINS0_14default_configENS1_20scan_config_selectorIN3c107complexIfEEEEZZNS1_9scan_implILNS1_25lookback_scan_determinismE0ELb0ELb0ES3_PKS7_PS7_S7_ZZZN2at6native31launch_logcumsumexp_cuda_kernelERKNSE_10TensorBaseESI_lENKUlvE_clEvENKUlvE2_clEvEUlS7_S7_E_S7_EEDaPvRmT3_T4_T5_mT6_P12ihipStream_tbENKUlT_T0_E_clISt17integral_constantIbLb1EESY_IbLb0EEEEDaSU_SV_EUlSU_E_NS1_11comp_targetILNS1_3genE2ELNS1_11target_archE906ELNS1_3gpuE6ELNS1_3repE0EEENS1_30default_config_static_selectorELNS0_4arch9wavefront6targetE1EEEvT1_
		.amdhsa_group_segment_fixed_size 0
		.amdhsa_private_segment_fixed_size 0
		.amdhsa_kernarg_size 104
		.amdhsa_user_sgpr_count 6
		.amdhsa_user_sgpr_private_segment_buffer 1
		.amdhsa_user_sgpr_dispatch_ptr 0
		.amdhsa_user_sgpr_queue_ptr 0
		.amdhsa_user_sgpr_kernarg_segment_ptr 1
		.amdhsa_user_sgpr_dispatch_id 0
		.amdhsa_user_sgpr_flat_scratch_init 0
		.amdhsa_user_sgpr_private_segment_size 0
		.amdhsa_uses_dynamic_stack 0
		.amdhsa_system_sgpr_private_segment_wavefront_offset 0
		.amdhsa_system_sgpr_workgroup_id_x 1
		.amdhsa_system_sgpr_workgroup_id_y 0
		.amdhsa_system_sgpr_workgroup_id_z 0
		.amdhsa_system_sgpr_workgroup_info 0
		.amdhsa_system_vgpr_workitem_id 0
		.amdhsa_next_free_vgpr 1
		.amdhsa_next_free_sgpr 0
		.amdhsa_reserve_vcc 0
		.amdhsa_reserve_flat_scratch 0
		.amdhsa_float_round_mode_32 0
		.amdhsa_float_round_mode_16_64 0
		.amdhsa_float_denorm_mode_32 3
		.amdhsa_float_denorm_mode_16_64 3
		.amdhsa_dx10_clamp 1
		.amdhsa_ieee_mode 1
		.amdhsa_fp16_overflow 0
		.amdhsa_exception_fp_ieee_invalid_op 0
		.amdhsa_exception_fp_denorm_src 0
		.amdhsa_exception_fp_ieee_div_zero 0
		.amdhsa_exception_fp_ieee_overflow 0
		.amdhsa_exception_fp_ieee_underflow 0
		.amdhsa_exception_fp_ieee_inexact 0
		.amdhsa_exception_int_div_zero 0
	.end_amdhsa_kernel
	.section	.text._ZN7rocprim17ROCPRIM_400000_NS6detail17trampoline_kernelINS0_14default_configENS1_20scan_config_selectorIN3c107complexIfEEEEZZNS1_9scan_implILNS1_25lookback_scan_determinismE0ELb0ELb0ES3_PKS7_PS7_S7_ZZZN2at6native31launch_logcumsumexp_cuda_kernelERKNSE_10TensorBaseESI_lENKUlvE_clEvENKUlvE2_clEvEUlS7_S7_E_S7_EEDaPvRmT3_T4_T5_mT6_P12ihipStream_tbENKUlT_T0_E_clISt17integral_constantIbLb1EESY_IbLb0EEEEDaSU_SV_EUlSU_E_NS1_11comp_targetILNS1_3genE2ELNS1_11target_archE906ELNS1_3gpuE6ELNS1_3repE0EEENS1_30default_config_static_selectorELNS0_4arch9wavefront6targetE1EEEvT1_,"axG",@progbits,_ZN7rocprim17ROCPRIM_400000_NS6detail17trampoline_kernelINS0_14default_configENS1_20scan_config_selectorIN3c107complexIfEEEEZZNS1_9scan_implILNS1_25lookback_scan_determinismE0ELb0ELb0ES3_PKS7_PS7_S7_ZZZN2at6native31launch_logcumsumexp_cuda_kernelERKNSE_10TensorBaseESI_lENKUlvE_clEvENKUlvE2_clEvEUlS7_S7_E_S7_EEDaPvRmT3_T4_T5_mT6_P12ihipStream_tbENKUlT_T0_E_clISt17integral_constantIbLb1EESY_IbLb0EEEEDaSU_SV_EUlSU_E_NS1_11comp_targetILNS1_3genE2ELNS1_11target_archE906ELNS1_3gpuE6ELNS1_3repE0EEENS1_30default_config_static_selectorELNS0_4arch9wavefront6targetE1EEEvT1_,comdat
.Lfunc_end314:
	.size	_ZN7rocprim17ROCPRIM_400000_NS6detail17trampoline_kernelINS0_14default_configENS1_20scan_config_selectorIN3c107complexIfEEEEZZNS1_9scan_implILNS1_25lookback_scan_determinismE0ELb0ELb0ES3_PKS7_PS7_S7_ZZZN2at6native31launch_logcumsumexp_cuda_kernelERKNSE_10TensorBaseESI_lENKUlvE_clEvENKUlvE2_clEvEUlS7_S7_E_S7_EEDaPvRmT3_T4_T5_mT6_P12ihipStream_tbENKUlT_T0_E_clISt17integral_constantIbLb1EESY_IbLb0EEEEDaSU_SV_EUlSU_E_NS1_11comp_targetILNS1_3genE2ELNS1_11target_archE906ELNS1_3gpuE6ELNS1_3repE0EEENS1_30default_config_static_selectorELNS0_4arch9wavefront6targetE1EEEvT1_, .Lfunc_end314-_ZN7rocprim17ROCPRIM_400000_NS6detail17trampoline_kernelINS0_14default_configENS1_20scan_config_selectorIN3c107complexIfEEEEZZNS1_9scan_implILNS1_25lookback_scan_determinismE0ELb0ELb0ES3_PKS7_PS7_S7_ZZZN2at6native31launch_logcumsumexp_cuda_kernelERKNSE_10TensorBaseESI_lENKUlvE_clEvENKUlvE2_clEvEUlS7_S7_E_S7_EEDaPvRmT3_T4_T5_mT6_P12ihipStream_tbENKUlT_T0_E_clISt17integral_constantIbLb1EESY_IbLb0EEEEDaSU_SV_EUlSU_E_NS1_11comp_targetILNS1_3genE2ELNS1_11target_archE906ELNS1_3gpuE6ELNS1_3repE0EEENS1_30default_config_static_selectorELNS0_4arch9wavefront6targetE1EEEvT1_
                                        ; -- End function
	.set _ZN7rocprim17ROCPRIM_400000_NS6detail17trampoline_kernelINS0_14default_configENS1_20scan_config_selectorIN3c107complexIfEEEEZZNS1_9scan_implILNS1_25lookback_scan_determinismE0ELb0ELb0ES3_PKS7_PS7_S7_ZZZN2at6native31launch_logcumsumexp_cuda_kernelERKNSE_10TensorBaseESI_lENKUlvE_clEvENKUlvE2_clEvEUlS7_S7_E_S7_EEDaPvRmT3_T4_T5_mT6_P12ihipStream_tbENKUlT_T0_E_clISt17integral_constantIbLb1EESY_IbLb0EEEEDaSU_SV_EUlSU_E_NS1_11comp_targetILNS1_3genE2ELNS1_11target_archE906ELNS1_3gpuE6ELNS1_3repE0EEENS1_30default_config_static_selectorELNS0_4arch9wavefront6targetE1EEEvT1_.num_vgpr, 0
	.set _ZN7rocprim17ROCPRIM_400000_NS6detail17trampoline_kernelINS0_14default_configENS1_20scan_config_selectorIN3c107complexIfEEEEZZNS1_9scan_implILNS1_25lookback_scan_determinismE0ELb0ELb0ES3_PKS7_PS7_S7_ZZZN2at6native31launch_logcumsumexp_cuda_kernelERKNSE_10TensorBaseESI_lENKUlvE_clEvENKUlvE2_clEvEUlS7_S7_E_S7_EEDaPvRmT3_T4_T5_mT6_P12ihipStream_tbENKUlT_T0_E_clISt17integral_constantIbLb1EESY_IbLb0EEEEDaSU_SV_EUlSU_E_NS1_11comp_targetILNS1_3genE2ELNS1_11target_archE906ELNS1_3gpuE6ELNS1_3repE0EEENS1_30default_config_static_selectorELNS0_4arch9wavefront6targetE1EEEvT1_.num_agpr, 0
	.set _ZN7rocprim17ROCPRIM_400000_NS6detail17trampoline_kernelINS0_14default_configENS1_20scan_config_selectorIN3c107complexIfEEEEZZNS1_9scan_implILNS1_25lookback_scan_determinismE0ELb0ELb0ES3_PKS7_PS7_S7_ZZZN2at6native31launch_logcumsumexp_cuda_kernelERKNSE_10TensorBaseESI_lENKUlvE_clEvENKUlvE2_clEvEUlS7_S7_E_S7_EEDaPvRmT3_T4_T5_mT6_P12ihipStream_tbENKUlT_T0_E_clISt17integral_constantIbLb1EESY_IbLb0EEEEDaSU_SV_EUlSU_E_NS1_11comp_targetILNS1_3genE2ELNS1_11target_archE906ELNS1_3gpuE6ELNS1_3repE0EEENS1_30default_config_static_selectorELNS0_4arch9wavefront6targetE1EEEvT1_.numbered_sgpr, 0
	.set _ZN7rocprim17ROCPRIM_400000_NS6detail17trampoline_kernelINS0_14default_configENS1_20scan_config_selectorIN3c107complexIfEEEEZZNS1_9scan_implILNS1_25lookback_scan_determinismE0ELb0ELb0ES3_PKS7_PS7_S7_ZZZN2at6native31launch_logcumsumexp_cuda_kernelERKNSE_10TensorBaseESI_lENKUlvE_clEvENKUlvE2_clEvEUlS7_S7_E_S7_EEDaPvRmT3_T4_T5_mT6_P12ihipStream_tbENKUlT_T0_E_clISt17integral_constantIbLb1EESY_IbLb0EEEEDaSU_SV_EUlSU_E_NS1_11comp_targetILNS1_3genE2ELNS1_11target_archE906ELNS1_3gpuE6ELNS1_3repE0EEENS1_30default_config_static_selectorELNS0_4arch9wavefront6targetE1EEEvT1_.num_named_barrier, 0
	.set _ZN7rocprim17ROCPRIM_400000_NS6detail17trampoline_kernelINS0_14default_configENS1_20scan_config_selectorIN3c107complexIfEEEEZZNS1_9scan_implILNS1_25lookback_scan_determinismE0ELb0ELb0ES3_PKS7_PS7_S7_ZZZN2at6native31launch_logcumsumexp_cuda_kernelERKNSE_10TensorBaseESI_lENKUlvE_clEvENKUlvE2_clEvEUlS7_S7_E_S7_EEDaPvRmT3_T4_T5_mT6_P12ihipStream_tbENKUlT_T0_E_clISt17integral_constantIbLb1EESY_IbLb0EEEEDaSU_SV_EUlSU_E_NS1_11comp_targetILNS1_3genE2ELNS1_11target_archE906ELNS1_3gpuE6ELNS1_3repE0EEENS1_30default_config_static_selectorELNS0_4arch9wavefront6targetE1EEEvT1_.private_seg_size, 0
	.set _ZN7rocprim17ROCPRIM_400000_NS6detail17trampoline_kernelINS0_14default_configENS1_20scan_config_selectorIN3c107complexIfEEEEZZNS1_9scan_implILNS1_25lookback_scan_determinismE0ELb0ELb0ES3_PKS7_PS7_S7_ZZZN2at6native31launch_logcumsumexp_cuda_kernelERKNSE_10TensorBaseESI_lENKUlvE_clEvENKUlvE2_clEvEUlS7_S7_E_S7_EEDaPvRmT3_T4_T5_mT6_P12ihipStream_tbENKUlT_T0_E_clISt17integral_constantIbLb1EESY_IbLb0EEEEDaSU_SV_EUlSU_E_NS1_11comp_targetILNS1_3genE2ELNS1_11target_archE906ELNS1_3gpuE6ELNS1_3repE0EEENS1_30default_config_static_selectorELNS0_4arch9wavefront6targetE1EEEvT1_.uses_vcc, 0
	.set _ZN7rocprim17ROCPRIM_400000_NS6detail17trampoline_kernelINS0_14default_configENS1_20scan_config_selectorIN3c107complexIfEEEEZZNS1_9scan_implILNS1_25lookback_scan_determinismE0ELb0ELb0ES3_PKS7_PS7_S7_ZZZN2at6native31launch_logcumsumexp_cuda_kernelERKNSE_10TensorBaseESI_lENKUlvE_clEvENKUlvE2_clEvEUlS7_S7_E_S7_EEDaPvRmT3_T4_T5_mT6_P12ihipStream_tbENKUlT_T0_E_clISt17integral_constantIbLb1EESY_IbLb0EEEEDaSU_SV_EUlSU_E_NS1_11comp_targetILNS1_3genE2ELNS1_11target_archE906ELNS1_3gpuE6ELNS1_3repE0EEENS1_30default_config_static_selectorELNS0_4arch9wavefront6targetE1EEEvT1_.uses_flat_scratch, 0
	.set _ZN7rocprim17ROCPRIM_400000_NS6detail17trampoline_kernelINS0_14default_configENS1_20scan_config_selectorIN3c107complexIfEEEEZZNS1_9scan_implILNS1_25lookback_scan_determinismE0ELb0ELb0ES3_PKS7_PS7_S7_ZZZN2at6native31launch_logcumsumexp_cuda_kernelERKNSE_10TensorBaseESI_lENKUlvE_clEvENKUlvE2_clEvEUlS7_S7_E_S7_EEDaPvRmT3_T4_T5_mT6_P12ihipStream_tbENKUlT_T0_E_clISt17integral_constantIbLb1EESY_IbLb0EEEEDaSU_SV_EUlSU_E_NS1_11comp_targetILNS1_3genE2ELNS1_11target_archE906ELNS1_3gpuE6ELNS1_3repE0EEENS1_30default_config_static_selectorELNS0_4arch9wavefront6targetE1EEEvT1_.has_dyn_sized_stack, 0
	.set _ZN7rocprim17ROCPRIM_400000_NS6detail17trampoline_kernelINS0_14default_configENS1_20scan_config_selectorIN3c107complexIfEEEEZZNS1_9scan_implILNS1_25lookback_scan_determinismE0ELb0ELb0ES3_PKS7_PS7_S7_ZZZN2at6native31launch_logcumsumexp_cuda_kernelERKNSE_10TensorBaseESI_lENKUlvE_clEvENKUlvE2_clEvEUlS7_S7_E_S7_EEDaPvRmT3_T4_T5_mT6_P12ihipStream_tbENKUlT_T0_E_clISt17integral_constantIbLb1EESY_IbLb0EEEEDaSU_SV_EUlSU_E_NS1_11comp_targetILNS1_3genE2ELNS1_11target_archE906ELNS1_3gpuE6ELNS1_3repE0EEENS1_30default_config_static_selectorELNS0_4arch9wavefront6targetE1EEEvT1_.has_recursion, 0
	.set _ZN7rocprim17ROCPRIM_400000_NS6detail17trampoline_kernelINS0_14default_configENS1_20scan_config_selectorIN3c107complexIfEEEEZZNS1_9scan_implILNS1_25lookback_scan_determinismE0ELb0ELb0ES3_PKS7_PS7_S7_ZZZN2at6native31launch_logcumsumexp_cuda_kernelERKNSE_10TensorBaseESI_lENKUlvE_clEvENKUlvE2_clEvEUlS7_S7_E_S7_EEDaPvRmT3_T4_T5_mT6_P12ihipStream_tbENKUlT_T0_E_clISt17integral_constantIbLb1EESY_IbLb0EEEEDaSU_SV_EUlSU_E_NS1_11comp_targetILNS1_3genE2ELNS1_11target_archE906ELNS1_3gpuE6ELNS1_3repE0EEENS1_30default_config_static_selectorELNS0_4arch9wavefront6targetE1EEEvT1_.has_indirect_call, 0
	.section	.AMDGPU.csdata,"",@progbits
; Kernel info:
; codeLenInByte = 4
; TotalNumSgprs: 4
; NumVgprs: 0
; ScratchSize: 0
; MemoryBound: 0
; FloatMode: 240
; IeeeMode: 1
; LDSByteSize: 0 bytes/workgroup (compile time only)
; SGPRBlocks: 0
; VGPRBlocks: 0
; NumSGPRsForWavesPerEU: 4
; NumVGPRsForWavesPerEU: 1
; Occupancy: 10
; WaveLimiterHint : 0
; COMPUTE_PGM_RSRC2:SCRATCH_EN: 0
; COMPUTE_PGM_RSRC2:USER_SGPR: 6
; COMPUTE_PGM_RSRC2:TRAP_HANDLER: 0
; COMPUTE_PGM_RSRC2:TGID_X_EN: 1
; COMPUTE_PGM_RSRC2:TGID_Y_EN: 0
; COMPUTE_PGM_RSRC2:TGID_Z_EN: 0
; COMPUTE_PGM_RSRC2:TIDIG_COMP_CNT: 0
	.section	.text._ZN7rocprim17ROCPRIM_400000_NS6detail17trampoline_kernelINS0_14default_configENS1_20scan_config_selectorIN3c107complexIfEEEEZZNS1_9scan_implILNS1_25lookback_scan_determinismE0ELb0ELb0ES3_PKS7_PS7_S7_ZZZN2at6native31launch_logcumsumexp_cuda_kernelERKNSE_10TensorBaseESI_lENKUlvE_clEvENKUlvE2_clEvEUlS7_S7_E_S7_EEDaPvRmT3_T4_T5_mT6_P12ihipStream_tbENKUlT_T0_E_clISt17integral_constantIbLb1EESY_IbLb0EEEEDaSU_SV_EUlSU_E_NS1_11comp_targetILNS1_3genE10ELNS1_11target_archE1201ELNS1_3gpuE5ELNS1_3repE0EEENS1_30default_config_static_selectorELNS0_4arch9wavefront6targetE1EEEvT1_,"axG",@progbits,_ZN7rocprim17ROCPRIM_400000_NS6detail17trampoline_kernelINS0_14default_configENS1_20scan_config_selectorIN3c107complexIfEEEEZZNS1_9scan_implILNS1_25lookback_scan_determinismE0ELb0ELb0ES3_PKS7_PS7_S7_ZZZN2at6native31launch_logcumsumexp_cuda_kernelERKNSE_10TensorBaseESI_lENKUlvE_clEvENKUlvE2_clEvEUlS7_S7_E_S7_EEDaPvRmT3_T4_T5_mT6_P12ihipStream_tbENKUlT_T0_E_clISt17integral_constantIbLb1EESY_IbLb0EEEEDaSU_SV_EUlSU_E_NS1_11comp_targetILNS1_3genE10ELNS1_11target_archE1201ELNS1_3gpuE5ELNS1_3repE0EEENS1_30default_config_static_selectorELNS0_4arch9wavefront6targetE1EEEvT1_,comdat
	.globl	_ZN7rocprim17ROCPRIM_400000_NS6detail17trampoline_kernelINS0_14default_configENS1_20scan_config_selectorIN3c107complexIfEEEEZZNS1_9scan_implILNS1_25lookback_scan_determinismE0ELb0ELb0ES3_PKS7_PS7_S7_ZZZN2at6native31launch_logcumsumexp_cuda_kernelERKNSE_10TensorBaseESI_lENKUlvE_clEvENKUlvE2_clEvEUlS7_S7_E_S7_EEDaPvRmT3_T4_T5_mT6_P12ihipStream_tbENKUlT_T0_E_clISt17integral_constantIbLb1EESY_IbLb0EEEEDaSU_SV_EUlSU_E_NS1_11comp_targetILNS1_3genE10ELNS1_11target_archE1201ELNS1_3gpuE5ELNS1_3repE0EEENS1_30default_config_static_selectorELNS0_4arch9wavefront6targetE1EEEvT1_ ; -- Begin function _ZN7rocprim17ROCPRIM_400000_NS6detail17trampoline_kernelINS0_14default_configENS1_20scan_config_selectorIN3c107complexIfEEEEZZNS1_9scan_implILNS1_25lookback_scan_determinismE0ELb0ELb0ES3_PKS7_PS7_S7_ZZZN2at6native31launch_logcumsumexp_cuda_kernelERKNSE_10TensorBaseESI_lENKUlvE_clEvENKUlvE2_clEvEUlS7_S7_E_S7_EEDaPvRmT3_T4_T5_mT6_P12ihipStream_tbENKUlT_T0_E_clISt17integral_constantIbLb1EESY_IbLb0EEEEDaSU_SV_EUlSU_E_NS1_11comp_targetILNS1_3genE10ELNS1_11target_archE1201ELNS1_3gpuE5ELNS1_3repE0EEENS1_30default_config_static_selectorELNS0_4arch9wavefront6targetE1EEEvT1_
	.p2align	8
	.type	_ZN7rocprim17ROCPRIM_400000_NS6detail17trampoline_kernelINS0_14default_configENS1_20scan_config_selectorIN3c107complexIfEEEEZZNS1_9scan_implILNS1_25lookback_scan_determinismE0ELb0ELb0ES3_PKS7_PS7_S7_ZZZN2at6native31launch_logcumsumexp_cuda_kernelERKNSE_10TensorBaseESI_lENKUlvE_clEvENKUlvE2_clEvEUlS7_S7_E_S7_EEDaPvRmT3_T4_T5_mT6_P12ihipStream_tbENKUlT_T0_E_clISt17integral_constantIbLb1EESY_IbLb0EEEEDaSU_SV_EUlSU_E_NS1_11comp_targetILNS1_3genE10ELNS1_11target_archE1201ELNS1_3gpuE5ELNS1_3repE0EEENS1_30default_config_static_selectorELNS0_4arch9wavefront6targetE1EEEvT1_,@function
_ZN7rocprim17ROCPRIM_400000_NS6detail17trampoline_kernelINS0_14default_configENS1_20scan_config_selectorIN3c107complexIfEEEEZZNS1_9scan_implILNS1_25lookback_scan_determinismE0ELb0ELb0ES3_PKS7_PS7_S7_ZZZN2at6native31launch_logcumsumexp_cuda_kernelERKNSE_10TensorBaseESI_lENKUlvE_clEvENKUlvE2_clEvEUlS7_S7_E_S7_EEDaPvRmT3_T4_T5_mT6_P12ihipStream_tbENKUlT_T0_E_clISt17integral_constantIbLb1EESY_IbLb0EEEEDaSU_SV_EUlSU_E_NS1_11comp_targetILNS1_3genE10ELNS1_11target_archE1201ELNS1_3gpuE5ELNS1_3repE0EEENS1_30default_config_static_selectorELNS0_4arch9wavefront6targetE1EEEvT1_: ; @_ZN7rocprim17ROCPRIM_400000_NS6detail17trampoline_kernelINS0_14default_configENS1_20scan_config_selectorIN3c107complexIfEEEEZZNS1_9scan_implILNS1_25lookback_scan_determinismE0ELb0ELb0ES3_PKS7_PS7_S7_ZZZN2at6native31launch_logcumsumexp_cuda_kernelERKNSE_10TensorBaseESI_lENKUlvE_clEvENKUlvE2_clEvEUlS7_S7_E_S7_EEDaPvRmT3_T4_T5_mT6_P12ihipStream_tbENKUlT_T0_E_clISt17integral_constantIbLb1EESY_IbLb0EEEEDaSU_SV_EUlSU_E_NS1_11comp_targetILNS1_3genE10ELNS1_11target_archE1201ELNS1_3gpuE5ELNS1_3repE0EEENS1_30default_config_static_selectorELNS0_4arch9wavefront6targetE1EEEvT1_
; %bb.0:
	.section	.rodata,"a",@progbits
	.p2align	6, 0x0
	.amdhsa_kernel _ZN7rocprim17ROCPRIM_400000_NS6detail17trampoline_kernelINS0_14default_configENS1_20scan_config_selectorIN3c107complexIfEEEEZZNS1_9scan_implILNS1_25lookback_scan_determinismE0ELb0ELb0ES3_PKS7_PS7_S7_ZZZN2at6native31launch_logcumsumexp_cuda_kernelERKNSE_10TensorBaseESI_lENKUlvE_clEvENKUlvE2_clEvEUlS7_S7_E_S7_EEDaPvRmT3_T4_T5_mT6_P12ihipStream_tbENKUlT_T0_E_clISt17integral_constantIbLb1EESY_IbLb0EEEEDaSU_SV_EUlSU_E_NS1_11comp_targetILNS1_3genE10ELNS1_11target_archE1201ELNS1_3gpuE5ELNS1_3repE0EEENS1_30default_config_static_selectorELNS0_4arch9wavefront6targetE1EEEvT1_
		.amdhsa_group_segment_fixed_size 0
		.amdhsa_private_segment_fixed_size 0
		.amdhsa_kernarg_size 104
		.amdhsa_user_sgpr_count 6
		.amdhsa_user_sgpr_private_segment_buffer 1
		.amdhsa_user_sgpr_dispatch_ptr 0
		.amdhsa_user_sgpr_queue_ptr 0
		.amdhsa_user_sgpr_kernarg_segment_ptr 1
		.amdhsa_user_sgpr_dispatch_id 0
		.amdhsa_user_sgpr_flat_scratch_init 0
		.amdhsa_user_sgpr_private_segment_size 0
		.amdhsa_uses_dynamic_stack 0
		.amdhsa_system_sgpr_private_segment_wavefront_offset 0
		.amdhsa_system_sgpr_workgroup_id_x 1
		.amdhsa_system_sgpr_workgroup_id_y 0
		.amdhsa_system_sgpr_workgroup_id_z 0
		.amdhsa_system_sgpr_workgroup_info 0
		.amdhsa_system_vgpr_workitem_id 0
		.amdhsa_next_free_vgpr 1
		.amdhsa_next_free_sgpr 0
		.amdhsa_reserve_vcc 0
		.amdhsa_reserve_flat_scratch 0
		.amdhsa_float_round_mode_32 0
		.amdhsa_float_round_mode_16_64 0
		.amdhsa_float_denorm_mode_32 3
		.amdhsa_float_denorm_mode_16_64 3
		.amdhsa_dx10_clamp 1
		.amdhsa_ieee_mode 1
		.amdhsa_fp16_overflow 0
		.amdhsa_exception_fp_ieee_invalid_op 0
		.amdhsa_exception_fp_denorm_src 0
		.amdhsa_exception_fp_ieee_div_zero 0
		.amdhsa_exception_fp_ieee_overflow 0
		.amdhsa_exception_fp_ieee_underflow 0
		.amdhsa_exception_fp_ieee_inexact 0
		.amdhsa_exception_int_div_zero 0
	.end_amdhsa_kernel
	.section	.text._ZN7rocprim17ROCPRIM_400000_NS6detail17trampoline_kernelINS0_14default_configENS1_20scan_config_selectorIN3c107complexIfEEEEZZNS1_9scan_implILNS1_25lookback_scan_determinismE0ELb0ELb0ES3_PKS7_PS7_S7_ZZZN2at6native31launch_logcumsumexp_cuda_kernelERKNSE_10TensorBaseESI_lENKUlvE_clEvENKUlvE2_clEvEUlS7_S7_E_S7_EEDaPvRmT3_T4_T5_mT6_P12ihipStream_tbENKUlT_T0_E_clISt17integral_constantIbLb1EESY_IbLb0EEEEDaSU_SV_EUlSU_E_NS1_11comp_targetILNS1_3genE10ELNS1_11target_archE1201ELNS1_3gpuE5ELNS1_3repE0EEENS1_30default_config_static_selectorELNS0_4arch9wavefront6targetE1EEEvT1_,"axG",@progbits,_ZN7rocprim17ROCPRIM_400000_NS6detail17trampoline_kernelINS0_14default_configENS1_20scan_config_selectorIN3c107complexIfEEEEZZNS1_9scan_implILNS1_25lookback_scan_determinismE0ELb0ELb0ES3_PKS7_PS7_S7_ZZZN2at6native31launch_logcumsumexp_cuda_kernelERKNSE_10TensorBaseESI_lENKUlvE_clEvENKUlvE2_clEvEUlS7_S7_E_S7_EEDaPvRmT3_T4_T5_mT6_P12ihipStream_tbENKUlT_T0_E_clISt17integral_constantIbLb1EESY_IbLb0EEEEDaSU_SV_EUlSU_E_NS1_11comp_targetILNS1_3genE10ELNS1_11target_archE1201ELNS1_3gpuE5ELNS1_3repE0EEENS1_30default_config_static_selectorELNS0_4arch9wavefront6targetE1EEEvT1_,comdat
.Lfunc_end315:
	.size	_ZN7rocprim17ROCPRIM_400000_NS6detail17trampoline_kernelINS0_14default_configENS1_20scan_config_selectorIN3c107complexIfEEEEZZNS1_9scan_implILNS1_25lookback_scan_determinismE0ELb0ELb0ES3_PKS7_PS7_S7_ZZZN2at6native31launch_logcumsumexp_cuda_kernelERKNSE_10TensorBaseESI_lENKUlvE_clEvENKUlvE2_clEvEUlS7_S7_E_S7_EEDaPvRmT3_T4_T5_mT6_P12ihipStream_tbENKUlT_T0_E_clISt17integral_constantIbLb1EESY_IbLb0EEEEDaSU_SV_EUlSU_E_NS1_11comp_targetILNS1_3genE10ELNS1_11target_archE1201ELNS1_3gpuE5ELNS1_3repE0EEENS1_30default_config_static_selectorELNS0_4arch9wavefront6targetE1EEEvT1_, .Lfunc_end315-_ZN7rocprim17ROCPRIM_400000_NS6detail17trampoline_kernelINS0_14default_configENS1_20scan_config_selectorIN3c107complexIfEEEEZZNS1_9scan_implILNS1_25lookback_scan_determinismE0ELb0ELb0ES3_PKS7_PS7_S7_ZZZN2at6native31launch_logcumsumexp_cuda_kernelERKNSE_10TensorBaseESI_lENKUlvE_clEvENKUlvE2_clEvEUlS7_S7_E_S7_EEDaPvRmT3_T4_T5_mT6_P12ihipStream_tbENKUlT_T0_E_clISt17integral_constantIbLb1EESY_IbLb0EEEEDaSU_SV_EUlSU_E_NS1_11comp_targetILNS1_3genE10ELNS1_11target_archE1201ELNS1_3gpuE5ELNS1_3repE0EEENS1_30default_config_static_selectorELNS0_4arch9wavefront6targetE1EEEvT1_
                                        ; -- End function
	.set _ZN7rocprim17ROCPRIM_400000_NS6detail17trampoline_kernelINS0_14default_configENS1_20scan_config_selectorIN3c107complexIfEEEEZZNS1_9scan_implILNS1_25lookback_scan_determinismE0ELb0ELb0ES3_PKS7_PS7_S7_ZZZN2at6native31launch_logcumsumexp_cuda_kernelERKNSE_10TensorBaseESI_lENKUlvE_clEvENKUlvE2_clEvEUlS7_S7_E_S7_EEDaPvRmT3_T4_T5_mT6_P12ihipStream_tbENKUlT_T0_E_clISt17integral_constantIbLb1EESY_IbLb0EEEEDaSU_SV_EUlSU_E_NS1_11comp_targetILNS1_3genE10ELNS1_11target_archE1201ELNS1_3gpuE5ELNS1_3repE0EEENS1_30default_config_static_selectorELNS0_4arch9wavefront6targetE1EEEvT1_.num_vgpr, 0
	.set _ZN7rocprim17ROCPRIM_400000_NS6detail17trampoline_kernelINS0_14default_configENS1_20scan_config_selectorIN3c107complexIfEEEEZZNS1_9scan_implILNS1_25lookback_scan_determinismE0ELb0ELb0ES3_PKS7_PS7_S7_ZZZN2at6native31launch_logcumsumexp_cuda_kernelERKNSE_10TensorBaseESI_lENKUlvE_clEvENKUlvE2_clEvEUlS7_S7_E_S7_EEDaPvRmT3_T4_T5_mT6_P12ihipStream_tbENKUlT_T0_E_clISt17integral_constantIbLb1EESY_IbLb0EEEEDaSU_SV_EUlSU_E_NS1_11comp_targetILNS1_3genE10ELNS1_11target_archE1201ELNS1_3gpuE5ELNS1_3repE0EEENS1_30default_config_static_selectorELNS0_4arch9wavefront6targetE1EEEvT1_.num_agpr, 0
	.set _ZN7rocprim17ROCPRIM_400000_NS6detail17trampoline_kernelINS0_14default_configENS1_20scan_config_selectorIN3c107complexIfEEEEZZNS1_9scan_implILNS1_25lookback_scan_determinismE0ELb0ELb0ES3_PKS7_PS7_S7_ZZZN2at6native31launch_logcumsumexp_cuda_kernelERKNSE_10TensorBaseESI_lENKUlvE_clEvENKUlvE2_clEvEUlS7_S7_E_S7_EEDaPvRmT3_T4_T5_mT6_P12ihipStream_tbENKUlT_T0_E_clISt17integral_constantIbLb1EESY_IbLb0EEEEDaSU_SV_EUlSU_E_NS1_11comp_targetILNS1_3genE10ELNS1_11target_archE1201ELNS1_3gpuE5ELNS1_3repE0EEENS1_30default_config_static_selectorELNS0_4arch9wavefront6targetE1EEEvT1_.numbered_sgpr, 0
	.set _ZN7rocprim17ROCPRIM_400000_NS6detail17trampoline_kernelINS0_14default_configENS1_20scan_config_selectorIN3c107complexIfEEEEZZNS1_9scan_implILNS1_25lookback_scan_determinismE0ELb0ELb0ES3_PKS7_PS7_S7_ZZZN2at6native31launch_logcumsumexp_cuda_kernelERKNSE_10TensorBaseESI_lENKUlvE_clEvENKUlvE2_clEvEUlS7_S7_E_S7_EEDaPvRmT3_T4_T5_mT6_P12ihipStream_tbENKUlT_T0_E_clISt17integral_constantIbLb1EESY_IbLb0EEEEDaSU_SV_EUlSU_E_NS1_11comp_targetILNS1_3genE10ELNS1_11target_archE1201ELNS1_3gpuE5ELNS1_3repE0EEENS1_30default_config_static_selectorELNS0_4arch9wavefront6targetE1EEEvT1_.num_named_barrier, 0
	.set _ZN7rocprim17ROCPRIM_400000_NS6detail17trampoline_kernelINS0_14default_configENS1_20scan_config_selectorIN3c107complexIfEEEEZZNS1_9scan_implILNS1_25lookback_scan_determinismE0ELb0ELb0ES3_PKS7_PS7_S7_ZZZN2at6native31launch_logcumsumexp_cuda_kernelERKNSE_10TensorBaseESI_lENKUlvE_clEvENKUlvE2_clEvEUlS7_S7_E_S7_EEDaPvRmT3_T4_T5_mT6_P12ihipStream_tbENKUlT_T0_E_clISt17integral_constantIbLb1EESY_IbLb0EEEEDaSU_SV_EUlSU_E_NS1_11comp_targetILNS1_3genE10ELNS1_11target_archE1201ELNS1_3gpuE5ELNS1_3repE0EEENS1_30default_config_static_selectorELNS0_4arch9wavefront6targetE1EEEvT1_.private_seg_size, 0
	.set _ZN7rocprim17ROCPRIM_400000_NS6detail17trampoline_kernelINS0_14default_configENS1_20scan_config_selectorIN3c107complexIfEEEEZZNS1_9scan_implILNS1_25lookback_scan_determinismE0ELb0ELb0ES3_PKS7_PS7_S7_ZZZN2at6native31launch_logcumsumexp_cuda_kernelERKNSE_10TensorBaseESI_lENKUlvE_clEvENKUlvE2_clEvEUlS7_S7_E_S7_EEDaPvRmT3_T4_T5_mT6_P12ihipStream_tbENKUlT_T0_E_clISt17integral_constantIbLb1EESY_IbLb0EEEEDaSU_SV_EUlSU_E_NS1_11comp_targetILNS1_3genE10ELNS1_11target_archE1201ELNS1_3gpuE5ELNS1_3repE0EEENS1_30default_config_static_selectorELNS0_4arch9wavefront6targetE1EEEvT1_.uses_vcc, 0
	.set _ZN7rocprim17ROCPRIM_400000_NS6detail17trampoline_kernelINS0_14default_configENS1_20scan_config_selectorIN3c107complexIfEEEEZZNS1_9scan_implILNS1_25lookback_scan_determinismE0ELb0ELb0ES3_PKS7_PS7_S7_ZZZN2at6native31launch_logcumsumexp_cuda_kernelERKNSE_10TensorBaseESI_lENKUlvE_clEvENKUlvE2_clEvEUlS7_S7_E_S7_EEDaPvRmT3_T4_T5_mT6_P12ihipStream_tbENKUlT_T0_E_clISt17integral_constantIbLb1EESY_IbLb0EEEEDaSU_SV_EUlSU_E_NS1_11comp_targetILNS1_3genE10ELNS1_11target_archE1201ELNS1_3gpuE5ELNS1_3repE0EEENS1_30default_config_static_selectorELNS0_4arch9wavefront6targetE1EEEvT1_.uses_flat_scratch, 0
	.set _ZN7rocprim17ROCPRIM_400000_NS6detail17trampoline_kernelINS0_14default_configENS1_20scan_config_selectorIN3c107complexIfEEEEZZNS1_9scan_implILNS1_25lookback_scan_determinismE0ELb0ELb0ES3_PKS7_PS7_S7_ZZZN2at6native31launch_logcumsumexp_cuda_kernelERKNSE_10TensorBaseESI_lENKUlvE_clEvENKUlvE2_clEvEUlS7_S7_E_S7_EEDaPvRmT3_T4_T5_mT6_P12ihipStream_tbENKUlT_T0_E_clISt17integral_constantIbLb1EESY_IbLb0EEEEDaSU_SV_EUlSU_E_NS1_11comp_targetILNS1_3genE10ELNS1_11target_archE1201ELNS1_3gpuE5ELNS1_3repE0EEENS1_30default_config_static_selectorELNS0_4arch9wavefront6targetE1EEEvT1_.has_dyn_sized_stack, 0
	.set _ZN7rocprim17ROCPRIM_400000_NS6detail17trampoline_kernelINS0_14default_configENS1_20scan_config_selectorIN3c107complexIfEEEEZZNS1_9scan_implILNS1_25lookback_scan_determinismE0ELb0ELb0ES3_PKS7_PS7_S7_ZZZN2at6native31launch_logcumsumexp_cuda_kernelERKNSE_10TensorBaseESI_lENKUlvE_clEvENKUlvE2_clEvEUlS7_S7_E_S7_EEDaPvRmT3_T4_T5_mT6_P12ihipStream_tbENKUlT_T0_E_clISt17integral_constantIbLb1EESY_IbLb0EEEEDaSU_SV_EUlSU_E_NS1_11comp_targetILNS1_3genE10ELNS1_11target_archE1201ELNS1_3gpuE5ELNS1_3repE0EEENS1_30default_config_static_selectorELNS0_4arch9wavefront6targetE1EEEvT1_.has_recursion, 0
	.set _ZN7rocprim17ROCPRIM_400000_NS6detail17trampoline_kernelINS0_14default_configENS1_20scan_config_selectorIN3c107complexIfEEEEZZNS1_9scan_implILNS1_25lookback_scan_determinismE0ELb0ELb0ES3_PKS7_PS7_S7_ZZZN2at6native31launch_logcumsumexp_cuda_kernelERKNSE_10TensorBaseESI_lENKUlvE_clEvENKUlvE2_clEvEUlS7_S7_E_S7_EEDaPvRmT3_T4_T5_mT6_P12ihipStream_tbENKUlT_T0_E_clISt17integral_constantIbLb1EESY_IbLb0EEEEDaSU_SV_EUlSU_E_NS1_11comp_targetILNS1_3genE10ELNS1_11target_archE1201ELNS1_3gpuE5ELNS1_3repE0EEENS1_30default_config_static_selectorELNS0_4arch9wavefront6targetE1EEEvT1_.has_indirect_call, 0
	.section	.AMDGPU.csdata,"",@progbits
; Kernel info:
; codeLenInByte = 0
; TotalNumSgprs: 4
; NumVgprs: 0
; ScratchSize: 0
; MemoryBound: 0
; FloatMode: 240
; IeeeMode: 1
; LDSByteSize: 0 bytes/workgroup (compile time only)
; SGPRBlocks: 0
; VGPRBlocks: 0
; NumSGPRsForWavesPerEU: 4
; NumVGPRsForWavesPerEU: 1
; Occupancy: 10
; WaveLimiterHint : 0
; COMPUTE_PGM_RSRC2:SCRATCH_EN: 0
; COMPUTE_PGM_RSRC2:USER_SGPR: 6
; COMPUTE_PGM_RSRC2:TRAP_HANDLER: 0
; COMPUTE_PGM_RSRC2:TGID_X_EN: 1
; COMPUTE_PGM_RSRC2:TGID_Y_EN: 0
; COMPUTE_PGM_RSRC2:TGID_Z_EN: 0
; COMPUTE_PGM_RSRC2:TIDIG_COMP_CNT: 0
	.section	.text._ZN7rocprim17ROCPRIM_400000_NS6detail17trampoline_kernelINS0_14default_configENS1_20scan_config_selectorIN3c107complexIfEEEEZZNS1_9scan_implILNS1_25lookback_scan_determinismE0ELb0ELb0ES3_PKS7_PS7_S7_ZZZN2at6native31launch_logcumsumexp_cuda_kernelERKNSE_10TensorBaseESI_lENKUlvE_clEvENKUlvE2_clEvEUlS7_S7_E_S7_EEDaPvRmT3_T4_T5_mT6_P12ihipStream_tbENKUlT_T0_E_clISt17integral_constantIbLb1EESY_IbLb0EEEEDaSU_SV_EUlSU_E_NS1_11comp_targetILNS1_3genE10ELNS1_11target_archE1200ELNS1_3gpuE4ELNS1_3repE0EEENS1_30default_config_static_selectorELNS0_4arch9wavefront6targetE1EEEvT1_,"axG",@progbits,_ZN7rocprim17ROCPRIM_400000_NS6detail17trampoline_kernelINS0_14default_configENS1_20scan_config_selectorIN3c107complexIfEEEEZZNS1_9scan_implILNS1_25lookback_scan_determinismE0ELb0ELb0ES3_PKS7_PS7_S7_ZZZN2at6native31launch_logcumsumexp_cuda_kernelERKNSE_10TensorBaseESI_lENKUlvE_clEvENKUlvE2_clEvEUlS7_S7_E_S7_EEDaPvRmT3_T4_T5_mT6_P12ihipStream_tbENKUlT_T0_E_clISt17integral_constantIbLb1EESY_IbLb0EEEEDaSU_SV_EUlSU_E_NS1_11comp_targetILNS1_3genE10ELNS1_11target_archE1200ELNS1_3gpuE4ELNS1_3repE0EEENS1_30default_config_static_selectorELNS0_4arch9wavefront6targetE1EEEvT1_,comdat
	.globl	_ZN7rocprim17ROCPRIM_400000_NS6detail17trampoline_kernelINS0_14default_configENS1_20scan_config_selectorIN3c107complexIfEEEEZZNS1_9scan_implILNS1_25lookback_scan_determinismE0ELb0ELb0ES3_PKS7_PS7_S7_ZZZN2at6native31launch_logcumsumexp_cuda_kernelERKNSE_10TensorBaseESI_lENKUlvE_clEvENKUlvE2_clEvEUlS7_S7_E_S7_EEDaPvRmT3_T4_T5_mT6_P12ihipStream_tbENKUlT_T0_E_clISt17integral_constantIbLb1EESY_IbLb0EEEEDaSU_SV_EUlSU_E_NS1_11comp_targetILNS1_3genE10ELNS1_11target_archE1200ELNS1_3gpuE4ELNS1_3repE0EEENS1_30default_config_static_selectorELNS0_4arch9wavefront6targetE1EEEvT1_ ; -- Begin function _ZN7rocprim17ROCPRIM_400000_NS6detail17trampoline_kernelINS0_14default_configENS1_20scan_config_selectorIN3c107complexIfEEEEZZNS1_9scan_implILNS1_25lookback_scan_determinismE0ELb0ELb0ES3_PKS7_PS7_S7_ZZZN2at6native31launch_logcumsumexp_cuda_kernelERKNSE_10TensorBaseESI_lENKUlvE_clEvENKUlvE2_clEvEUlS7_S7_E_S7_EEDaPvRmT3_T4_T5_mT6_P12ihipStream_tbENKUlT_T0_E_clISt17integral_constantIbLb1EESY_IbLb0EEEEDaSU_SV_EUlSU_E_NS1_11comp_targetILNS1_3genE10ELNS1_11target_archE1200ELNS1_3gpuE4ELNS1_3repE0EEENS1_30default_config_static_selectorELNS0_4arch9wavefront6targetE1EEEvT1_
	.p2align	8
	.type	_ZN7rocprim17ROCPRIM_400000_NS6detail17trampoline_kernelINS0_14default_configENS1_20scan_config_selectorIN3c107complexIfEEEEZZNS1_9scan_implILNS1_25lookback_scan_determinismE0ELb0ELb0ES3_PKS7_PS7_S7_ZZZN2at6native31launch_logcumsumexp_cuda_kernelERKNSE_10TensorBaseESI_lENKUlvE_clEvENKUlvE2_clEvEUlS7_S7_E_S7_EEDaPvRmT3_T4_T5_mT6_P12ihipStream_tbENKUlT_T0_E_clISt17integral_constantIbLb1EESY_IbLb0EEEEDaSU_SV_EUlSU_E_NS1_11comp_targetILNS1_3genE10ELNS1_11target_archE1200ELNS1_3gpuE4ELNS1_3repE0EEENS1_30default_config_static_selectorELNS0_4arch9wavefront6targetE1EEEvT1_,@function
_ZN7rocprim17ROCPRIM_400000_NS6detail17trampoline_kernelINS0_14default_configENS1_20scan_config_selectorIN3c107complexIfEEEEZZNS1_9scan_implILNS1_25lookback_scan_determinismE0ELb0ELb0ES3_PKS7_PS7_S7_ZZZN2at6native31launch_logcumsumexp_cuda_kernelERKNSE_10TensorBaseESI_lENKUlvE_clEvENKUlvE2_clEvEUlS7_S7_E_S7_EEDaPvRmT3_T4_T5_mT6_P12ihipStream_tbENKUlT_T0_E_clISt17integral_constantIbLb1EESY_IbLb0EEEEDaSU_SV_EUlSU_E_NS1_11comp_targetILNS1_3genE10ELNS1_11target_archE1200ELNS1_3gpuE4ELNS1_3repE0EEENS1_30default_config_static_selectorELNS0_4arch9wavefront6targetE1EEEvT1_: ; @_ZN7rocprim17ROCPRIM_400000_NS6detail17trampoline_kernelINS0_14default_configENS1_20scan_config_selectorIN3c107complexIfEEEEZZNS1_9scan_implILNS1_25lookback_scan_determinismE0ELb0ELb0ES3_PKS7_PS7_S7_ZZZN2at6native31launch_logcumsumexp_cuda_kernelERKNSE_10TensorBaseESI_lENKUlvE_clEvENKUlvE2_clEvEUlS7_S7_E_S7_EEDaPvRmT3_T4_T5_mT6_P12ihipStream_tbENKUlT_T0_E_clISt17integral_constantIbLb1EESY_IbLb0EEEEDaSU_SV_EUlSU_E_NS1_11comp_targetILNS1_3genE10ELNS1_11target_archE1200ELNS1_3gpuE4ELNS1_3repE0EEENS1_30default_config_static_selectorELNS0_4arch9wavefront6targetE1EEEvT1_
; %bb.0:
	.section	.rodata,"a",@progbits
	.p2align	6, 0x0
	.amdhsa_kernel _ZN7rocprim17ROCPRIM_400000_NS6detail17trampoline_kernelINS0_14default_configENS1_20scan_config_selectorIN3c107complexIfEEEEZZNS1_9scan_implILNS1_25lookback_scan_determinismE0ELb0ELb0ES3_PKS7_PS7_S7_ZZZN2at6native31launch_logcumsumexp_cuda_kernelERKNSE_10TensorBaseESI_lENKUlvE_clEvENKUlvE2_clEvEUlS7_S7_E_S7_EEDaPvRmT3_T4_T5_mT6_P12ihipStream_tbENKUlT_T0_E_clISt17integral_constantIbLb1EESY_IbLb0EEEEDaSU_SV_EUlSU_E_NS1_11comp_targetILNS1_3genE10ELNS1_11target_archE1200ELNS1_3gpuE4ELNS1_3repE0EEENS1_30default_config_static_selectorELNS0_4arch9wavefront6targetE1EEEvT1_
		.amdhsa_group_segment_fixed_size 0
		.amdhsa_private_segment_fixed_size 0
		.amdhsa_kernarg_size 104
		.amdhsa_user_sgpr_count 6
		.amdhsa_user_sgpr_private_segment_buffer 1
		.amdhsa_user_sgpr_dispatch_ptr 0
		.amdhsa_user_sgpr_queue_ptr 0
		.amdhsa_user_sgpr_kernarg_segment_ptr 1
		.amdhsa_user_sgpr_dispatch_id 0
		.amdhsa_user_sgpr_flat_scratch_init 0
		.amdhsa_user_sgpr_private_segment_size 0
		.amdhsa_uses_dynamic_stack 0
		.amdhsa_system_sgpr_private_segment_wavefront_offset 0
		.amdhsa_system_sgpr_workgroup_id_x 1
		.amdhsa_system_sgpr_workgroup_id_y 0
		.amdhsa_system_sgpr_workgroup_id_z 0
		.amdhsa_system_sgpr_workgroup_info 0
		.amdhsa_system_vgpr_workitem_id 0
		.amdhsa_next_free_vgpr 1
		.amdhsa_next_free_sgpr 0
		.amdhsa_reserve_vcc 0
		.amdhsa_reserve_flat_scratch 0
		.amdhsa_float_round_mode_32 0
		.amdhsa_float_round_mode_16_64 0
		.amdhsa_float_denorm_mode_32 3
		.amdhsa_float_denorm_mode_16_64 3
		.amdhsa_dx10_clamp 1
		.amdhsa_ieee_mode 1
		.amdhsa_fp16_overflow 0
		.amdhsa_exception_fp_ieee_invalid_op 0
		.amdhsa_exception_fp_denorm_src 0
		.amdhsa_exception_fp_ieee_div_zero 0
		.amdhsa_exception_fp_ieee_overflow 0
		.amdhsa_exception_fp_ieee_underflow 0
		.amdhsa_exception_fp_ieee_inexact 0
		.amdhsa_exception_int_div_zero 0
	.end_amdhsa_kernel
	.section	.text._ZN7rocprim17ROCPRIM_400000_NS6detail17trampoline_kernelINS0_14default_configENS1_20scan_config_selectorIN3c107complexIfEEEEZZNS1_9scan_implILNS1_25lookback_scan_determinismE0ELb0ELb0ES3_PKS7_PS7_S7_ZZZN2at6native31launch_logcumsumexp_cuda_kernelERKNSE_10TensorBaseESI_lENKUlvE_clEvENKUlvE2_clEvEUlS7_S7_E_S7_EEDaPvRmT3_T4_T5_mT6_P12ihipStream_tbENKUlT_T0_E_clISt17integral_constantIbLb1EESY_IbLb0EEEEDaSU_SV_EUlSU_E_NS1_11comp_targetILNS1_3genE10ELNS1_11target_archE1200ELNS1_3gpuE4ELNS1_3repE0EEENS1_30default_config_static_selectorELNS0_4arch9wavefront6targetE1EEEvT1_,"axG",@progbits,_ZN7rocprim17ROCPRIM_400000_NS6detail17trampoline_kernelINS0_14default_configENS1_20scan_config_selectorIN3c107complexIfEEEEZZNS1_9scan_implILNS1_25lookback_scan_determinismE0ELb0ELb0ES3_PKS7_PS7_S7_ZZZN2at6native31launch_logcumsumexp_cuda_kernelERKNSE_10TensorBaseESI_lENKUlvE_clEvENKUlvE2_clEvEUlS7_S7_E_S7_EEDaPvRmT3_T4_T5_mT6_P12ihipStream_tbENKUlT_T0_E_clISt17integral_constantIbLb1EESY_IbLb0EEEEDaSU_SV_EUlSU_E_NS1_11comp_targetILNS1_3genE10ELNS1_11target_archE1200ELNS1_3gpuE4ELNS1_3repE0EEENS1_30default_config_static_selectorELNS0_4arch9wavefront6targetE1EEEvT1_,comdat
.Lfunc_end316:
	.size	_ZN7rocprim17ROCPRIM_400000_NS6detail17trampoline_kernelINS0_14default_configENS1_20scan_config_selectorIN3c107complexIfEEEEZZNS1_9scan_implILNS1_25lookback_scan_determinismE0ELb0ELb0ES3_PKS7_PS7_S7_ZZZN2at6native31launch_logcumsumexp_cuda_kernelERKNSE_10TensorBaseESI_lENKUlvE_clEvENKUlvE2_clEvEUlS7_S7_E_S7_EEDaPvRmT3_T4_T5_mT6_P12ihipStream_tbENKUlT_T0_E_clISt17integral_constantIbLb1EESY_IbLb0EEEEDaSU_SV_EUlSU_E_NS1_11comp_targetILNS1_3genE10ELNS1_11target_archE1200ELNS1_3gpuE4ELNS1_3repE0EEENS1_30default_config_static_selectorELNS0_4arch9wavefront6targetE1EEEvT1_, .Lfunc_end316-_ZN7rocprim17ROCPRIM_400000_NS6detail17trampoline_kernelINS0_14default_configENS1_20scan_config_selectorIN3c107complexIfEEEEZZNS1_9scan_implILNS1_25lookback_scan_determinismE0ELb0ELb0ES3_PKS7_PS7_S7_ZZZN2at6native31launch_logcumsumexp_cuda_kernelERKNSE_10TensorBaseESI_lENKUlvE_clEvENKUlvE2_clEvEUlS7_S7_E_S7_EEDaPvRmT3_T4_T5_mT6_P12ihipStream_tbENKUlT_T0_E_clISt17integral_constantIbLb1EESY_IbLb0EEEEDaSU_SV_EUlSU_E_NS1_11comp_targetILNS1_3genE10ELNS1_11target_archE1200ELNS1_3gpuE4ELNS1_3repE0EEENS1_30default_config_static_selectorELNS0_4arch9wavefront6targetE1EEEvT1_
                                        ; -- End function
	.set _ZN7rocprim17ROCPRIM_400000_NS6detail17trampoline_kernelINS0_14default_configENS1_20scan_config_selectorIN3c107complexIfEEEEZZNS1_9scan_implILNS1_25lookback_scan_determinismE0ELb0ELb0ES3_PKS7_PS7_S7_ZZZN2at6native31launch_logcumsumexp_cuda_kernelERKNSE_10TensorBaseESI_lENKUlvE_clEvENKUlvE2_clEvEUlS7_S7_E_S7_EEDaPvRmT3_T4_T5_mT6_P12ihipStream_tbENKUlT_T0_E_clISt17integral_constantIbLb1EESY_IbLb0EEEEDaSU_SV_EUlSU_E_NS1_11comp_targetILNS1_3genE10ELNS1_11target_archE1200ELNS1_3gpuE4ELNS1_3repE0EEENS1_30default_config_static_selectorELNS0_4arch9wavefront6targetE1EEEvT1_.num_vgpr, 0
	.set _ZN7rocprim17ROCPRIM_400000_NS6detail17trampoline_kernelINS0_14default_configENS1_20scan_config_selectorIN3c107complexIfEEEEZZNS1_9scan_implILNS1_25lookback_scan_determinismE0ELb0ELb0ES3_PKS7_PS7_S7_ZZZN2at6native31launch_logcumsumexp_cuda_kernelERKNSE_10TensorBaseESI_lENKUlvE_clEvENKUlvE2_clEvEUlS7_S7_E_S7_EEDaPvRmT3_T4_T5_mT6_P12ihipStream_tbENKUlT_T0_E_clISt17integral_constantIbLb1EESY_IbLb0EEEEDaSU_SV_EUlSU_E_NS1_11comp_targetILNS1_3genE10ELNS1_11target_archE1200ELNS1_3gpuE4ELNS1_3repE0EEENS1_30default_config_static_selectorELNS0_4arch9wavefront6targetE1EEEvT1_.num_agpr, 0
	.set _ZN7rocprim17ROCPRIM_400000_NS6detail17trampoline_kernelINS0_14default_configENS1_20scan_config_selectorIN3c107complexIfEEEEZZNS1_9scan_implILNS1_25lookback_scan_determinismE0ELb0ELb0ES3_PKS7_PS7_S7_ZZZN2at6native31launch_logcumsumexp_cuda_kernelERKNSE_10TensorBaseESI_lENKUlvE_clEvENKUlvE2_clEvEUlS7_S7_E_S7_EEDaPvRmT3_T4_T5_mT6_P12ihipStream_tbENKUlT_T0_E_clISt17integral_constantIbLb1EESY_IbLb0EEEEDaSU_SV_EUlSU_E_NS1_11comp_targetILNS1_3genE10ELNS1_11target_archE1200ELNS1_3gpuE4ELNS1_3repE0EEENS1_30default_config_static_selectorELNS0_4arch9wavefront6targetE1EEEvT1_.numbered_sgpr, 0
	.set _ZN7rocprim17ROCPRIM_400000_NS6detail17trampoline_kernelINS0_14default_configENS1_20scan_config_selectorIN3c107complexIfEEEEZZNS1_9scan_implILNS1_25lookback_scan_determinismE0ELb0ELb0ES3_PKS7_PS7_S7_ZZZN2at6native31launch_logcumsumexp_cuda_kernelERKNSE_10TensorBaseESI_lENKUlvE_clEvENKUlvE2_clEvEUlS7_S7_E_S7_EEDaPvRmT3_T4_T5_mT6_P12ihipStream_tbENKUlT_T0_E_clISt17integral_constantIbLb1EESY_IbLb0EEEEDaSU_SV_EUlSU_E_NS1_11comp_targetILNS1_3genE10ELNS1_11target_archE1200ELNS1_3gpuE4ELNS1_3repE0EEENS1_30default_config_static_selectorELNS0_4arch9wavefront6targetE1EEEvT1_.num_named_barrier, 0
	.set _ZN7rocprim17ROCPRIM_400000_NS6detail17trampoline_kernelINS0_14default_configENS1_20scan_config_selectorIN3c107complexIfEEEEZZNS1_9scan_implILNS1_25lookback_scan_determinismE0ELb0ELb0ES3_PKS7_PS7_S7_ZZZN2at6native31launch_logcumsumexp_cuda_kernelERKNSE_10TensorBaseESI_lENKUlvE_clEvENKUlvE2_clEvEUlS7_S7_E_S7_EEDaPvRmT3_T4_T5_mT6_P12ihipStream_tbENKUlT_T0_E_clISt17integral_constantIbLb1EESY_IbLb0EEEEDaSU_SV_EUlSU_E_NS1_11comp_targetILNS1_3genE10ELNS1_11target_archE1200ELNS1_3gpuE4ELNS1_3repE0EEENS1_30default_config_static_selectorELNS0_4arch9wavefront6targetE1EEEvT1_.private_seg_size, 0
	.set _ZN7rocprim17ROCPRIM_400000_NS6detail17trampoline_kernelINS0_14default_configENS1_20scan_config_selectorIN3c107complexIfEEEEZZNS1_9scan_implILNS1_25lookback_scan_determinismE0ELb0ELb0ES3_PKS7_PS7_S7_ZZZN2at6native31launch_logcumsumexp_cuda_kernelERKNSE_10TensorBaseESI_lENKUlvE_clEvENKUlvE2_clEvEUlS7_S7_E_S7_EEDaPvRmT3_T4_T5_mT6_P12ihipStream_tbENKUlT_T0_E_clISt17integral_constantIbLb1EESY_IbLb0EEEEDaSU_SV_EUlSU_E_NS1_11comp_targetILNS1_3genE10ELNS1_11target_archE1200ELNS1_3gpuE4ELNS1_3repE0EEENS1_30default_config_static_selectorELNS0_4arch9wavefront6targetE1EEEvT1_.uses_vcc, 0
	.set _ZN7rocprim17ROCPRIM_400000_NS6detail17trampoline_kernelINS0_14default_configENS1_20scan_config_selectorIN3c107complexIfEEEEZZNS1_9scan_implILNS1_25lookback_scan_determinismE0ELb0ELb0ES3_PKS7_PS7_S7_ZZZN2at6native31launch_logcumsumexp_cuda_kernelERKNSE_10TensorBaseESI_lENKUlvE_clEvENKUlvE2_clEvEUlS7_S7_E_S7_EEDaPvRmT3_T4_T5_mT6_P12ihipStream_tbENKUlT_T0_E_clISt17integral_constantIbLb1EESY_IbLb0EEEEDaSU_SV_EUlSU_E_NS1_11comp_targetILNS1_3genE10ELNS1_11target_archE1200ELNS1_3gpuE4ELNS1_3repE0EEENS1_30default_config_static_selectorELNS0_4arch9wavefront6targetE1EEEvT1_.uses_flat_scratch, 0
	.set _ZN7rocprim17ROCPRIM_400000_NS6detail17trampoline_kernelINS0_14default_configENS1_20scan_config_selectorIN3c107complexIfEEEEZZNS1_9scan_implILNS1_25lookback_scan_determinismE0ELb0ELb0ES3_PKS7_PS7_S7_ZZZN2at6native31launch_logcumsumexp_cuda_kernelERKNSE_10TensorBaseESI_lENKUlvE_clEvENKUlvE2_clEvEUlS7_S7_E_S7_EEDaPvRmT3_T4_T5_mT6_P12ihipStream_tbENKUlT_T0_E_clISt17integral_constantIbLb1EESY_IbLb0EEEEDaSU_SV_EUlSU_E_NS1_11comp_targetILNS1_3genE10ELNS1_11target_archE1200ELNS1_3gpuE4ELNS1_3repE0EEENS1_30default_config_static_selectorELNS0_4arch9wavefront6targetE1EEEvT1_.has_dyn_sized_stack, 0
	.set _ZN7rocprim17ROCPRIM_400000_NS6detail17trampoline_kernelINS0_14default_configENS1_20scan_config_selectorIN3c107complexIfEEEEZZNS1_9scan_implILNS1_25lookback_scan_determinismE0ELb0ELb0ES3_PKS7_PS7_S7_ZZZN2at6native31launch_logcumsumexp_cuda_kernelERKNSE_10TensorBaseESI_lENKUlvE_clEvENKUlvE2_clEvEUlS7_S7_E_S7_EEDaPvRmT3_T4_T5_mT6_P12ihipStream_tbENKUlT_T0_E_clISt17integral_constantIbLb1EESY_IbLb0EEEEDaSU_SV_EUlSU_E_NS1_11comp_targetILNS1_3genE10ELNS1_11target_archE1200ELNS1_3gpuE4ELNS1_3repE0EEENS1_30default_config_static_selectorELNS0_4arch9wavefront6targetE1EEEvT1_.has_recursion, 0
	.set _ZN7rocprim17ROCPRIM_400000_NS6detail17trampoline_kernelINS0_14default_configENS1_20scan_config_selectorIN3c107complexIfEEEEZZNS1_9scan_implILNS1_25lookback_scan_determinismE0ELb0ELb0ES3_PKS7_PS7_S7_ZZZN2at6native31launch_logcumsumexp_cuda_kernelERKNSE_10TensorBaseESI_lENKUlvE_clEvENKUlvE2_clEvEUlS7_S7_E_S7_EEDaPvRmT3_T4_T5_mT6_P12ihipStream_tbENKUlT_T0_E_clISt17integral_constantIbLb1EESY_IbLb0EEEEDaSU_SV_EUlSU_E_NS1_11comp_targetILNS1_3genE10ELNS1_11target_archE1200ELNS1_3gpuE4ELNS1_3repE0EEENS1_30default_config_static_selectorELNS0_4arch9wavefront6targetE1EEEvT1_.has_indirect_call, 0
	.section	.AMDGPU.csdata,"",@progbits
; Kernel info:
; codeLenInByte = 0
; TotalNumSgprs: 4
; NumVgprs: 0
; ScratchSize: 0
; MemoryBound: 0
; FloatMode: 240
; IeeeMode: 1
; LDSByteSize: 0 bytes/workgroup (compile time only)
; SGPRBlocks: 0
; VGPRBlocks: 0
; NumSGPRsForWavesPerEU: 4
; NumVGPRsForWavesPerEU: 1
; Occupancy: 10
; WaveLimiterHint : 0
; COMPUTE_PGM_RSRC2:SCRATCH_EN: 0
; COMPUTE_PGM_RSRC2:USER_SGPR: 6
; COMPUTE_PGM_RSRC2:TRAP_HANDLER: 0
; COMPUTE_PGM_RSRC2:TGID_X_EN: 1
; COMPUTE_PGM_RSRC2:TGID_Y_EN: 0
; COMPUTE_PGM_RSRC2:TGID_Z_EN: 0
; COMPUTE_PGM_RSRC2:TIDIG_COMP_CNT: 0
	.section	.text._ZN7rocprim17ROCPRIM_400000_NS6detail17trampoline_kernelINS0_14default_configENS1_20scan_config_selectorIN3c107complexIfEEEEZZNS1_9scan_implILNS1_25lookback_scan_determinismE0ELb0ELb0ES3_PKS7_PS7_S7_ZZZN2at6native31launch_logcumsumexp_cuda_kernelERKNSE_10TensorBaseESI_lENKUlvE_clEvENKUlvE2_clEvEUlS7_S7_E_S7_EEDaPvRmT3_T4_T5_mT6_P12ihipStream_tbENKUlT_T0_E_clISt17integral_constantIbLb1EESY_IbLb0EEEEDaSU_SV_EUlSU_E_NS1_11comp_targetILNS1_3genE9ELNS1_11target_archE1100ELNS1_3gpuE3ELNS1_3repE0EEENS1_30default_config_static_selectorELNS0_4arch9wavefront6targetE1EEEvT1_,"axG",@progbits,_ZN7rocprim17ROCPRIM_400000_NS6detail17trampoline_kernelINS0_14default_configENS1_20scan_config_selectorIN3c107complexIfEEEEZZNS1_9scan_implILNS1_25lookback_scan_determinismE0ELb0ELb0ES3_PKS7_PS7_S7_ZZZN2at6native31launch_logcumsumexp_cuda_kernelERKNSE_10TensorBaseESI_lENKUlvE_clEvENKUlvE2_clEvEUlS7_S7_E_S7_EEDaPvRmT3_T4_T5_mT6_P12ihipStream_tbENKUlT_T0_E_clISt17integral_constantIbLb1EESY_IbLb0EEEEDaSU_SV_EUlSU_E_NS1_11comp_targetILNS1_3genE9ELNS1_11target_archE1100ELNS1_3gpuE3ELNS1_3repE0EEENS1_30default_config_static_selectorELNS0_4arch9wavefront6targetE1EEEvT1_,comdat
	.globl	_ZN7rocprim17ROCPRIM_400000_NS6detail17trampoline_kernelINS0_14default_configENS1_20scan_config_selectorIN3c107complexIfEEEEZZNS1_9scan_implILNS1_25lookback_scan_determinismE0ELb0ELb0ES3_PKS7_PS7_S7_ZZZN2at6native31launch_logcumsumexp_cuda_kernelERKNSE_10TensorBaseESI_lENKUlvE_clEvENKUlvE2_clEvEUlS7_S7_E_S7_EEDaPvRmT3_T4_T5_mT6_P12ihipStream_tbENKUlT_T0_E_clISt17integral_constantIbLb1EESY_IbLb0EEEEDaSU_SV_EUlSU_E_NS1_11comp_targetILNS1_3genE9ELNS1_11target_archE1100ELNS1_3gpuE3ELNS1_3repE0EEENS1_30default_config_static_selectorELNS0_4arch9wavefront6targetE1EEEvT1_ ; -- Begin function _ZN7rocprim17ROCPRIM_400000_NS6detail17trampoline_kernelINS0_14default_configENS1_20scan_config_selectorIN3c107complexIfEEEEZZNS1_9scan_implILNS1_25lookback_scan_determinismE0ELb0ELb0ES3_PKS7_PS7_S7_ZZZN2at6native31launch_logcumsumexp_cuda_kernelERKNSE_10TensorBaseESI_lENKUlvE_clEvENKUlvE2_clEvEUlS7_S7_E_S7_EEDaPvRmT3_T4_T5_mT6_P12ihipStream_tbENKUlT_T0_E_clISt17integral_constantIbLb1EESY_IbLb0EEEEDaSU_SV_EUlSU_E_NS1_11comp_targetILNS1_3genE9ELNS1_11target_archE1100ELNS1_3gpuE3ELNS1_3repE0EEENS1_30default_config_static_selectorELNS0_4arch9wavefront6targetE1EEEvT1_
	.p2align	8
	.type	_ZN7rocprim17ROCPRIM_400000_NS6detail17trampoline_kernelINS0_14default_configENS1_20scan_config_selectorIN3c107complexIfEEEEZZNS1_9scan_implILNS1_25lookback_scan_determinismE0ELb0ELb0ES3_PKS7_PS7_S7_ZZZN2at6native31launch_logcumsumexp_cuda_kernelERKNSE_10TensorBaseESI_lENKUlvE_clEvENKUlvE2_clEvEUlS7_S7_E_S7_EEDaPvRmT3_T4_T5_mT6_P12ihipStream_tbENKUlT_T0_E_clISt17integral_constantIbLb1EESY_IbLb0EEEEDaSU_SV_EUlSU_E_NS1_11comp_targetILNS1_3genE9ELNS1_11target_archE1100ELNS1_3gpuE3ELNS1_3repE0EEENS1_30default_config_static_selectorELNS0_4arch9wavefront6targetE1EEEvT1_,@function
_ZN7rocprim17ROCPRIM_400000_NS6detail17trampoline_kernelINS0_14default_configENS1_20scan_config_selectorIN3c107complexIfEEEEZZNS1_9scan_implILNS1_25lookback_scan_determinismE0ELb0ELb0ES3_PKS7_PS7_S7_ZZZN2at6native31launch_logcumsumexp_cuda_kernelERKNSE_10TensorBaseESI_lENKUlvE_clEvENKUlvE2_clEvEUlS7_S7_E_S7_EEDaPvRmT3_T4_T5_mT6_P12ihipStream_tbENKUlT_T0_E_clISt17integral_constantIbLb1EESY_IbLb0EEEEDaSU_SV_EUlSU_E_NS1_11comp_targetILNS1_3genE9ELNS1_11target_archE1100ELNS1_3gpuE3ELNS1_3repE0EEENS1_30default_config_static_selectorELNS0_4arch9wavefront6targetE1EEEvT1_: ; @_ZN7rocprim17ROCPRIM_400000_NS6detail17trampoline_kernelINS0_14default_configENS1_20scan_config_selectorIN3c107complexIfEEEEZZNS1_9scan_implILNS1_25lookback_scan_determinismE0ELb0ELb0ES3_PKS7_PS7_S7_ZZZN2at6native31launch_logcumsumexp_cuda_kernelERKNSE_10TensorBaseESI_lENKUlvE_clEvENKUlvE2_clEvEUlS7_S7_E_S7_EEDaPvRmT3_T4_T5_mT6_P12ihipStream_tbENKUlT_T0_E_clISt17integral_constantIbLb1EESY_IbLb0EEEEDaSU_SV_EUlSU_E_NS1_11comp_targetILNS1_3genE9ELNS1_11target_archE1100ELNS1_3gpuE3ELNS1_3repE0EEENS1_30default_config_static_selectorELNS0_4arch9wavefront6targetE1EEEvT1_
; %bb.0:
	.section	.rodata,"a",@progbits
	.p2align	6, 0x0
	.amdhsa_kernel _ZN7rocprim17ROCPRIM_400000_NS6detail17trampoline_kernelINS0_14default_configENS1_20scan_config_selectorIN3c107complexIfEEEEZZNS1_9scan_implILNS1_25lookback_scan_determinismE0ELb0ELb0ES3_PKS7_PS7_S7_ZZZN2at6native31launch_logcumsumexp_cuda_kernelERKNSE_10TensorBaseESI_lENKUlvE_clEvENKUlvE2_clEvEUlS7_S7_E_S7_EEDaPvRmT3_T4_T5_mT6_P12ihipStream_tbENKUlT_T0_E_clISt17integral_constantIbLb1EESY_IbLb0EEEEDaSU_SV_EUlSU_E_NS1_11comp_targetILNS1_3genE9ELNS1_11target_archE1100ELNS1_3gpuE3ELNS1_3repE0EEENS1_30default_config_static_selectorELNS0_4arch9wavefront6targetE1EEEvT1_
		.amdhsa_group_segment_fixed_size 0
		.amdhsa_private_segment_fixed_size 0
		.amdhsa_kernarg_size 104
		.amdhsa_user_sgpr_count 6
		.amdhsa_user_sgpr_private_segment_buffer 1
		.amdhsa_user_sgpr_dispatch_ptr 0
		.amdhsa_user_sgpr_queue_ptr 0
		.amdhsa_user_sgpr_kernarg_segment_ptr 1
		.amdhsa_user_sgpr_dispatch_id 0
		.amdhsa_user_sgpr_flat_scratch_init 0
		.amdhsa_user_sgpr_private_segment_size 0
		.amdhsa_uses_dynamic_stack 0
		.amdhsa_system_sgpr_private_segment_wavefront_offset 0
		.amdhsa_system_sgpr_workgroup_id_x 1
		.amdhsa_system_sgpr_workgroup_id_y 0
		.amdhsa_system_sgpr_workgroup_id_z 0
		.amdhsa_system_sgpr_workgroup_info 0
		.amdhsa_system_vgpr_workitem_id 0
		.amdhsa_next_free_vgpr 1
		.amdhsa_next_free_sgpr 0
		.amdhsa_reserve_vcc 0
		.amdhsa_reserve_flat_scratch 0
		.amdhsa_float_round_mode_32 0
		.amdhsa_float_round_mode_16_64 0
		.amdhsa_float_denorm_mode_32 3
		.amdhsa_float_denorm_mode_16_64 3
		.amdhsa_dx10_clamp 1
		.amdhsa_ieee_mode 1
		.amdhsa_fp16_overflow 0
		.amdhsa_exception_fp_ieee_invalid_op 0
		.amdhsa_exception_fp_denorm_src 0
		.amdhsa_exception_fp_ieee_div_zero 0
		.amdhsa_exception_fp_ieee_overflow 0
		.amdhsa_exception_fp_ieee_underflow 0
		.amdhsa_exception_fp_ieee_inexact 0
		.amdhsa_exception_int_div_zero 0
	.end_amdhsa_kernel
	.section	.text._ZN7rocprim17ROCPRIM_400000_NS6detail17trampoline_kernelINS0_14default_configENS1_20scan_config_selectorIN3c107complexIfEEEEZZNS1_9scan_implILNS1_25lookback_scan_determinismE0ELb0ELb0ES3_PKS7_PS7_S7_ZZZN2at6native31launch_logcumsumexp_cuda_kernelERKNSE_10TensorBaseESI_lENKUlvE_clEvENKUlvE2_clEvEUlS7_S7_E_S7_EEDaPvRmT3_T4_T5_mT6_P12ihipStream_tbENKUlT_T0_E_clISt17integral_constantIbLb1EESY_IbLb0EEEEDaSU_SV_EUlSU_E_NS1_11comp_targetILNS1_3genE9ELNS1_11target_archE1100ELNS1_3gpuE3ELNS1_3repE0EEENS1_30default_config_static_selectorELNS0_4arch9wavefront6targetE1EEEvT1_,"axG",@progbits,_ZN7rocprim17ROCPRIM_400000_NS6detail17trampoline_kernelINS0_14default_configENS1_20scan_config_selectorIN3c107complexIfEEEEZZNS1_9scan_implILNS1_25lookback_scan_determinismE0ELb0ELb0ES3_PKS7_PS7_S7_ZZZN2at6native31launch_logcumsumexp_cuda_kernelERKNSE_10TensorBaseESI_lENKUlvE_clEvENKUlvE2_clEvEUlS7_S7_E_S7_EEDaPvRmT3_T4_T5_mT6_P12ihipStream_tbENKUlT_T0_E_clISt17integral_constantIbLb1EESY_IbLb0EEEEDaSU_SV_EUlSU_E_NS1_11comp_targetILNS1_3genE9ELNS1_11target_archE1100ELNS1_3gpuE3ELNS1_3repE0EEENS1_30default_config_static_selectorELNS0_4arch9wavefront6targetE1EEEvT1_,comdat
.Lfunc_end317:
	.size	_ZN7rocprim17ROCPRIM_400000_NS6detail17trampoline_kernelINS0_14default_configENS1_20scan_config_selectorIN3c107complexIfEEEEZZNS1_9scan_implILNS1_25lookback_scan_determinismE0ELb0ELb0ES3_PKS7_PS7_S7_ZZZN2at6native31launch_logcumsumexp_cuda_kernelERKNSE_10TensorBaseESI_lENKUlvE_clEvENKUlvE2_clEvEUlS7_S7_E_S7_EEDaPvRmT3_T4_T5_mT6_P12ihipStream_tbENKUlT_T0_E_clISt17integral_constantIbLb1EESY_IbLb0EEEEDaSU_SV_EUlSU_E_NS1_11comp_targetILNS1_3genE9ELNS1_11target_archE1100ELNS1_3gpuE3ELNS1_3repE0EEENS1_30default_config_static_selectorELNS0_4arch9wavefront6targetE1EEEvT1_, .Lfunc_end317-_ZN7rocprim17ROCPRIM_400000_NS6detail17trampoline_kernelINS0_14default_configENS1_20scan_config_selectorIN3c107complexIfEEEEZZNS1_9scan_implILNS1_25lookback_scan_determinismE0ELb0ELb0ES3_PKS7_PS7_S7_ZZZN2at6native31launch_logcumsumexp_cuda_kernelERKNSE_10TensorBaseESI_lENKUlvE_clEvENKUlvE2_clEvEUlS7_S7_E_S7_EEDaPvRmT3_T4_T5_mT6_P12ihipStream_tbENKUlT_T0_E_clISt17integral_constantIbLb1EESY_IbLb0EEEEDaSU_SV_EUlSU_E_NS1_11comp_targetILNS1_3genE9ELNS1_11target_archE1100ELNS1_3gpuE3ELNS1_3repE0EEENS1_30default_config_static_selectorELNS0_4arch9wavefront6targetE1EEEvT1_
                                        ; -- End function
	.set _ZN7rocprim17ROCPRIM_400000_NS6detail17trampoline_kernelINS0_14default_configENS1_20scan_config_selectorIN3c107complexIfEEEEZZNS1_9scan_implILNS1_25lookback_scan_determinismE0ELb0ELb0ES3_PKS7_PS7_S7_ZZZN2at6native31launch_logcumsumexp_cuda_kernelERKNSE_10TensorBaseESI_lENKUlvE_clEvENKUlvE2_clEvEUlS7_S7_E_S7_EEDaPvRmT3_T4_T5_mT6_P12ihipStream_tbENKUlT_T0_E_clISt17integral_constantIbLb1EESY_IbLb0EEEEDaSU_SV_EUlSU_E_NS1_11comp_targetILNS1_3genE9ELNS1_11target_archE1100ELNS1_3gpuE3ELNS1_3repE0EEENS1_30default_config_static_selectorELNS0_4arch9wavefront6targetE1EEEvT1_.num_vgpr, 0
	.set _ZN7rocprim17ROCPRIM_400000_NS6detail17trampoline_kernelINS0_14default_configENS1_20scan_config_selectorIN3c107complexIfEEEEZZNS1_9scan_implILNS1_25lookback_scan_determinismE0ELb0ELb0ES3_PKS7_PS7_S7_ZZZN2at6native31launch_logcumsumexp_cuda_kernelERKNSE_10TensorBaseESI_lENKUlvE_clEvENKUlvE2_clEvEUlS7_S7_E_S7_EEDaPvRmT3_T4_T5_mT6_P12ihipStream_tbENKUlT_T0_E_clISt17integral_constantIbLb1EESY_IbLb0EEEEDaSU_SV_EUlSU_E_NS1_11comp_targetILNS1_3genE9ELNS1_11target_archE1100ELNS1_3gpuE3ELNS1_3repE0EEENS1_30default_config_static_selectorELNS0_4arch9wavefront6targetE1EEEvT1_.num_agpr, 0
	.set _ZN7rocprim17ROCPRIM_400000_NS6detail17trampoline_kernelINS0_14default_configENS1_20scan_config_selectorIN3c107complexIfEEEEZZNS1_9scan_implILNS1_25lookback_scan_determinismE0ELb0ELb0ES3_PKS7_PS7_S7_ZZZN2at6native31launch_logcumsumexp_cuda_kernelERKNSE_10TensorBaseESI_lENKUlvE_clEvENKUlvE2_clEvEUlS7_S7_E_S7_EEDaPvRmT3_T4_T5_mT6_P12ihipStream_tbENKUlT_T0_E_clISt17integral_constantIbLb1EESY_IbLb0EEEEDaSU_SV_EUlSU_E_NS1_11comp_targetILNS1_3genE9ELNS1_11target_archE1100ELNS1_3gpuE3ELNS1_3repE0EEENS1_30default_config_static_selectorELNS0_4arch9wavefront6targetE1EEEvT1_.numbered_sgpr, 0
	.set _ZN7rocprim17ROCPRIM_400000_NS6detail17trampoline_kernelINS0_14default_configENS1_20scan_config_selectorIN3c107complexIfEEEEZZNS1_9scan_implILNS1_25lookback_scan_determinismE0ELb0ELb0ES3_PKS7_PS7_S7_ZZZN2at6native31launch_logcumsumexp_cuda_kernelERKNSE_10TensorBaseESI_lENKUlvE_clEvENKUlvE2_clEvEUlS7_S7_E_S7_EEDaPvRmT3_T4_T5_mT6_P12ihipStream_tbENKUlT_T0_E_clISt17integral_constantIbLb1EESY_IbLb0EEEEDaSU_SV_EUlSU_E_NS1_11comp_targetILNS1_3genE9ELNS1_11target_archE1100ELNS1_3gpuE3ELNS1_3repE0EEENS1_30default_config_static_selectorELNS0_4arch9wavefront6targetE1EEEvT1_.num_named_barrier, 0
	.set _ZN7rocprim17ROCPRIM_400000_NS6detail17trampoline_kernelINS0_14default_configENS1_20scan_config_selectorIN3c107complexIfEEEEZZNS1_9scan_implILNS1_25lookback_scan_determinismE0ELb0ELb0ES3_PKS7_PS7_S7_ZZZN2at6native31launch_logcumsumexp_cuda_kernelERKNSE_10TensorBaseESI_lENKUlvE_clEvENKUlvE2_clEvEUlS7_S7_E_S7_EEDaPvRmT3_T4_T5_mT6_P12ihipStream_tbENKUlT_T0_E_clISt17integral_constantIbLb1EESY_IbLb0EEEEDaSU_SV_EUlSU_E_NS1_11comp_targetILNS1_3genE9ELNS1_11target_archE1100ELNS1_3gpuE3ELNS1_3repE0EEENS1_30default_config_static_selectorELNS0_4arch9wavefront6targetE1EEEvT1_.private_seg_size, 0
	.set _ZN7rocprim17ROCPRIM_400000_NS6detail17trampoline_kernelINS0_14default_configENS1_20scan_config_selectorIN3c107complexIfEEEEZZNS1_9scan_implILNS1_25lookback_scan_determinismE0ELb0ELb0ES3_PKS7_PS7_S7_ZZZN2at6native31launch_logcumsumexp_cuda_kernelERKNSE_10TensorBaseESI_lENKUlvE_clEvENKUlvE2_clEvEUlS7_S7_E_S7_EEDaPvRmT3_T4_T5_mT6_P12ihipStream_tbENKUlT_T0_E_clISt17integral_constantIbLb1EESY_IbLb0EEEEDaSU_SV_EUlSU_E_NS1_11comp_targetILNS1_3genE9ELNS1_11target_archE1100ELNS1_3gpuE3ELNS1_3repE0EEENS1_30default_config_static_selectorELNS0_4arch9wavefront6targetE1EEEvT1_.uses_vcc, 0
	.set _ZN7rocprim17ROCPRIM_400000_NS6detail17trampoline_kernelINS0_14default_configENS1_20scan_config_selectorIN3c107complexIfEEEEZZNS1_9scan_implILNS1_25lookback_scan_determinismE0ELb0ELb0ES3_PKS7_PS7_S7_ZZZN2at6native31launch_logcumsumexp_cuda_kernelERKNSE_10TensorBaseESI_lENKUlvE_clEvENKUlvE2_clEvEUlS7_S7_E_S7_EEDaPvRmT3_T4_T5_mT6_P12ihipStream_tbENKUlT_T0_E_clISt17integral_constantIbLb1EESY_IbLb0EEEEDaSU_SV_EUlSU_E_NS1_11comp_targetILNS1_3genE9ELNS1_11target_archE1100ELNS1_3gpuE3ELNS1_3repE0EEENS1_30default_config_static_selectorELNS0_4arch9wavefront6targetE1EEEvT1_.uses_flat_scratch, 0
	.set _ZN7rocprim17ROCPRIM_400000_NS6detail17trampoline_kernelINS0_14default_configENS1_20scan_config_selectorIN3c107complexIfEEEEZZNS1_9scan_implILNS1_25lookback_scan_determinismE0ELb0ELb0ES3_PKS7_PS7_S7_ZZZN2at6native31launch_logcumsumexp_cuda_kernelERKNSE_10TensorBaseESI_lENKUlvE_clEvENKUlvE2_clEvEUlS7_S7_E_S7_EEDaPvRmT3_T4_T5_mT6_P12ihipStream_tbENKUlT_T0_E_clISt17integral_constantIbLb1EESY_IbLb0EEEEDaSU_SV_EUlSU_E_NS1_11comp_targetILNS1_3genE9ELNS1_11target_archE1100ELNS1_3gpuE3ELNS1_3repE0EEENS1_30default_config_static_selectorELNS0_4arch9wavefront6targetE1EEEvT1_.has_dyn_sized_stack, 0
	.set _ZN7rocprim17ROCPRIM_400000_NS6detail17trampoline_kernelINS0_14default_configENS1_20scan_config_selectorIN3c107complexIfEEEEZZNS1_9scan_implILNS1_25lookback_scan_determinismE0ELb0ELb0ES3_PKS7_PS7_S7_ZZZN2at6native31launch_logcumsumexp_cuda_kernelERKNSE_10TensorBaseESI_lENKUlvE_clEvENKUlvE2_clEvEUlS7_S7_E_S7_EEDaPvRmT3_T4_T5_mT6_P12ihipStream_tbENKUlT_T0_E_clISt17integral_constantIbLb1EESY_IbLb0EEEEDaSU_SV_EUlSU_E_NS1_11comp_targetILNS1_3genE9ELNS1_11target_archE1100ELNS1_3gpuE3ELNS1_3repE0EEENS1_30default_config_static_selectorELNS0_4arch9wavefront6targetE1EEEvT1_.has_recursion, 0
	.set _ZN7rocprim17ROCPRIM_400000_NS6detail17trampoline_kernelINS0_14default_configENS1_20scan_config_selectorIN3c107complexIfEEEEZZNS1_9scan_implILNS1_25lookback_scan_determinismE0ELb0ELb0ES3_PKS7_PS7_S7_ZZZN2at6native31launch_logcumsumexp_cuda_kernelERKNSE_10TensorBaseESI_lENKUlvE_clEvENKUlvE2_clEvEUlS7_S7_E_S7_EEDaPvRmT3_T4_T5_mT6_P12ihipStream_tbENKUlT_T0_E_clISt17integral_constantIbLb1EESY_IbLb0EEEEDaSU_SV_EUlSU_E_NS1_11comp_targetILNS1_3genE9ELNS1_11target_archE1100ELNS1_3gpuE3ELNS1_3repE0EEENS1_30default_config_static_selectorELNS0_4arch9wavefront6targetE1EEEvT1_.has_indirect_call, 0
	.section	.AMDGPU.csdata,"",@progbits
; Kernel info:
; codeLenInByte = 0
; TotalNumSgprs: 4
; NumVgprs: 0
; ScratchSize: 0
; MemoryBound: 0
; FloatMode: 240
; IeeeMode: 1
; LDSByteSize: 0 bytes/workgroup (compile time only)
; SGPRBlocks: 0
; VGPRBlocks: 0
; NumSGPRsForWavesPerEU: 4
; NumVGPRsForWavesPerEU: 1
; Occupancy: 10
; WaveLimiterHint : 0
; COMPUTE_PGM_RSRC2:SCRATCH_EN: 0
; COMPUTE_PGM_RSRC2:USER_SGPR: 6
; COMPUTE_PGM_RSRC2:TRAP_HANDLER: 0
; COMPUTE_PGM_RSRC2:TGID_X_EN: 1
; COMPUTE_PGM_RSRC2:TGID_Y_EN: 0
; COMPUTE_PGM_RSRC2:TGID_Z_EN: 0
; COMPUTE_PGM_RSRC2:TIDIG_COMP_CNT: 0
	.section	.text._ZN7rocprim17ROCPRIM_400000_NS6detail17trampoline_kernelINS0_14default_configENS1_20scan_config_selectorIN3c107complexIfEEEEZZNS1_9scan_implILNS1_25lookback_scan_determinismE0ELb0ELb0ES3_PKS7_PS7_S7_ZZZN2at6native31launch_logcumsumexp_cuda_kernelERKNSE_10TensorBaseESI_lENKUlvE_clEvENKUlvE2_clEvEUlS7_S7_E_S7_EEDaPvRmT3_T4_T5_mT6_P12ihipStream_tbENKUlT_T0_E_clISt17integral_constantIbLb1EESY_IbLb0EEEEDaSU_SV_EUlSU_E_NS1_11comp_targetILNS1_3genE8ELNS1_11target_archE1030ELNS1_3gpuE2ELNS1_3repE0EEENS1_30default_config_static_selectorELNS0_4arch9wavefront6targetE1EEEvT1_,"axG",@progbits,_ZN7rocprim17ROCPRIM_400000_NS6detail17trampoline_kernelINS0_14default_configENS1_20scan_config_selectorIN3c107complexIfEEEEZZNS1_9scan_implILNS1_25lookback_scan_determinismE0ELb0ELb0ES3_PKS7_PS7_S7_ZZZN2at6native31launch_logcumsumexp_cuda_kernelERKNSE_10TensorBaseESI_lENKUlvE_clEvENKUlvE2_clEvEUlS7_S7_E_S7_EEDaPvRmT3_T4_T5_mT6_P12ihipStream_tbENKUlT_T0_E_clISt17integral_constantIbLb1EESY_IbLb0EEEEDaSU_SV_EUlSU_E_NS1_11comp_targetILNS1_3genE8ELNS1_11target_archE1030ELNS1_3gpuE2ELNS1_3repE0EEENS1_30default_config_static_selectorELNS0_4arch9wavefront6targetE1EEEvT1_,comdat
	.globl	_ZN7rocprim17ROCPRIM_400000_NS6detail17trampoline_kernelINS0_14default_configENS1_20scan_config_selectorIN3c107complexIfEEEEZZNS1_9scan_implILNS1_25lookback_scan_determinismE0ELb0ELb0ES3_PKS7_PS7_S7_ZZZN2at6native31launch_logcumsumexp_cuda_kernelERKNSE_10TensorBaseESI_lENKUlvE_clEvENKUlvE2_clEvEUlS7_S7_E_S7_EEDaPvRmT3_T4_T5_mT6_P12ihipStream_tbENKUlT_T0_E_clISt17integral_constantIbLb1EESY_IbLb0EEEEDaSU_SV_EUlSU_E_NS1_11comp_targetILNS1_3genE8ELNS1_11target_archE1030ELNS1_3gpuE2ELNS1_3repE0EEENS1_30default_config_static_selectorELNS0_4arch9wavefront6targetE1EEEvT1_ ; -- Begin function _ZN7rocprim17ROCPRIM_400000_NS6detail17trampoline_kernelINS0_14default_configENS1_20scan_config_selectorIN3c107complexIfEEEEZZNS1_9scan_implILNS1_25lookback_scan_determinismE0ELb0ELb0ES3_PKS7_PS7_S7_ZZZN2at6native31launch_logcumsumexp_cuda_kernelERKNSE_10TensorBaseESI_lENKUlvE_clEvENKUlvE2_clEvEUlS7_S7_E_S7_EEDaPvRmT3_T4_T5_mT6_P12ihipStream_tbENKUlT_T0_E_clISt17integral_constantIbLb1EESY_IbLb0EEEEDaSU_SV_EUlSU_E_NS1_11comp_targetILNS1_3genE8ELNS1_11target_archE1030ELNS1_3gpuE2ELNS1_3repE0EEENS1_30default_config_static_selectorELNS0_4arch9wavefront6targetE1EEEvT1_
	.p2align	8
	.type	_ZN7rocprim17ROCPRIM_400000_NS6detail17trampoline_kernelINS0_14default_configENS1_20scan_config_selectorIN3c107complexIfEEEEZZNS1_9scan_implILNS1_25lookback_scan_determinismE0ELb0ELb0ES3_PKS7_PS7_S7_ZZZN2at6native31launch_logcumsumexp_cuda_kernelERKNSE_10TensorBaseESI_lENKUlvE_clEvENKUlvE2_clEvEUlS7_S7_E_S7_EEDaPvRmT3_T4_T5_mT6_P12ihipStream_tbENKUlT_T0_E_clISt17integral_constantIbLb1EESY_IbLb0EEEEDaSU_SV_EUlSU_E_NS1_11comp_targetILNS1_3genE8ELNS1_11target_archE1030ELNS1_3gpuE2ELNS1_3repE0EEENS1_30default_config_static_selectorELNS0_4arch9wavefront6targetE1EEEvT1_,@function
_ZN7rocprim17ROCPRIM_400000_NS6detail17trampoline_kernelINS0_14default_configENS1_20scan_config_selectorIN3c107complexIfEEEEZZNS1_9scan_implILNS1_25lookback_scan_determinismE0ELb0ELb0ES3_PKS7_PS7_S7_ZZZN2at6native31launch_logcumsumexp_cuda_kernelERKNSE_10TensorBaseESI_lENKUlvE_clEvENKUlvE2_clEvEUlS7_S7_E_S7_EEDaPvRmT3_T4_T5_mT6_P12ihipStream_tbENKUlT_T0_E_clISt17integral_constantIbLb1EESY_IbLb0EEEEDaSU_SV_EUlSU_E_NS1_11comp_targetILNS1_3genE8ELNS1_11target_archE1030ELNS1_3gpuE2ELNS1_3repE0EEENS1_30default_config_static_selectorELNS0_4arch9wavefront6targetE1EEEvT1_: ; @_ZN7rocprim17ROCPRIM_400000_NS6detail17trampoline_kernelINS0_14default_configENS1_20scan_config_selectorIN3c107complexIfEEEEZZNS1_9scan_implILNS1_25lookback_scan_determinismE0ELb0ELb0ES3_PKS7_PS7_S7_ZZZN2at6native31launch_logcumsumexp_cuda_kernelERKNSE_10TensorBaseESI_lENKUlvE_clEvENKUlvE2_clEvEUlS7_S7_E_S7_EEDaPvRmT3_T4_T5_mT6_P12ihipStream_tbENKUlT_T0_E_clISt17integral_constantIbLb1EESY_IbLb0EEEEDaSU_SV_EUlSU_E_NS1_11comp_targetILNS1_3genE8ELNS1_11target_archE1030ELNS1_3gpuE2ELNS1_3repE0EEENS1_30default_config_static_selectorELNS0_4arch9wavefront6targetE1EEEvT1_
; %bb.0:
	.section	.rodata,"a",@progbits
	.p2align	6, 0x0
	.amdhsa_kernel _ZN7rocprim17ROCPRIM_400000_NS6detail17trampoline_kernelINS0_14default_configENS1_20scan_config_selectorIN3c107complexIfEEEEZZNS1_9scan_implILNS1_25lookback_scan_determinismE0ELb0ELb0ES3_PKS7_PS7_S7_ZZZN2at6native31launch_logcumsumexp_cuda_kernelERKNSE_10TensorBaseESI_lENKUlvE_clEvENKUlvE2_clEvEUlS7_S7_E_S7_EEDaPvRmT3_T4_T5_mT6_P12ihipStream_tbENKUlT_T0_E_clISt17integral_constantIbLb1EESY_IbLb0EEEEDaSU_SV_EUlSU_E_NS1_11comp_targetILNS1_3genE8ELNS1_11target_archE1030ELNS1_3gpuE2ELNS1_3repE0EEENS1_30default_config_static_selectorELNS0_4arch9wavefront6targetE1EEEvT1_
		.amdhsa_group_segment_fixed_size 0
		.amdhsa_private_segment_fixed_size 0
		.amdhsa_kernarg_size 104
		.amdhsa_user_sgpr_count 6
		.amdhsa_user_sgpr_private_segment_buffer 1
		.amdhsa_user_sgpr_dispatch_ptr 0
		.amdhsa_user_sgpr_queue_ptr 0
		.amdhsa_user_sgpr_kernarg_segment_ptr 1
		.amdhsa_user_sgpr_dispatch_id 0
		.amdhsa_user_sgpr_flat_scratch_init 0
		.amdhsa_user_sgpr_private_segment_size 0
		.amdhsa_uses_dynamic_stack 0
		.amdhsa_system_sgpr_private_segment_wavefront_offset 0
		.amdhsa_system_sgpr_workgroup_id_x 1
		.amdhsa_system_sgpr_workgroup_id_y 0
		.amdhsa_system_sgpr_workgroup_id_z 0
		.amdhsa_system_sgpr_workgroup_info 0
		.amdhsa_system_vgpr_workitem_id 0
		.amdhsa_next_free_vgpr 1
		.amdhsa_next_free_sgpr 0
		.amdhsa_reserve_vcc 0
		.amdhsa_reserve_flat_scratch 0
		.amdhsa_float_round_mode_32 0
		.amdhsa_float_round_mode_16_64 0
		.amdhsa_float_denorm_mode_32 3
		.amdhsa_float_denorm_mode_16_64 3
		.amdhsa_dx10_clamp 1
		.amdhsa_ieee_mode 1
		.amdhsa_fp16_overflow 0
		.amdhsa_exception_fp_ieee_invalid_op 0
		.amdhsa_exception_fp_denorm_src 0
		.amdhsa_exception_fp_ieee_div_zero 0
		.amdhsa_exception_fp_ieee_overflow 0
		.amdhsa_exception_fp_ieee_underflow 0
		.amdhsa_exception_fp_ieee_inexact 0
		.amdhsa_exception_int_div_zero 0
	.end_amdhsa_kernel
	.section	.text._ZN7rocprim17ROCPRIM_400000_NS6detail17trampoline_kernelINS0_14default_configENS1_20scan_config_selectorIN3c107complexIfEEEEZZNS1_9scan_implILNS1_25lookback_scan_determinismE0ELb0ELb0ES3_PKS7_PS7_S7_ZZZN2at6native31launch_logcumsumexp_cuda_kernelERKNSE_10TensorBaseESI_lENKUlvE_clEvENKUlvE2_clEvEUlS7_S7_E_S7_EEDaPvRmT3_T4_T5_mT6_P12ihipStream_tbENKUlT_T0_E_clISt17integral_constantIbLb1EESY_IbLb0EEEEDaSU_SV_EUlSU_E_NS1_11comp_targetILNS1_3genE8ELNS1_11target_archE1030ELNS1_3gpuE2ELNS1_3repE0EEENS1_30default_config_static_selectorELNS0_4arch9wavefront6targetE1EEEvT1_,"axG",@progbits,_ZN7rocprim17ROCPRIM_400000_NS6detail17trampoline_kernelINS0_14default_configENS1_20scan_config_selectorIN3c107complexIfEEEEZZNS1_9scan_implILNS1_25lookback_scan_determinismE0ELb0ELb0ES3_PKS7_PS7_S7_ZZZN2at6native31launch_logcumsumexp_cuda_kernelERKNSE_10TensorBaseESI_lENKUlvE_clEvENKUlvE2_clEvEUlS7_S7_E_S7_EEDaPvRmT3_T4_T5_mT6_P12ihipStream_tbENKUlT_T0_E_clISt17integral_constantIbLb1EESY_IbLb0EEEEDaSU_SV_EUlSU_E_NS1_11comp_targetILNS1_3genE8ELNS1_11target_archE1030ELNS1_3gpuE2ELNS1_3repE0EEENS1_30default_config_static_selectorELNS0_4arch9wavefront6targetE1EEEvT1_,comdat
.Lfunc_end318:
	.size	_ZN7rocprim17ROCPRIM_400000_NS6detail17trampoline_kernelINS0_14default_configENS1_20scan_config_selectorIN3c107complexIfEEEEZZNS1_9scan_implILNS1_25lookback_scan_determinismE0ELb0ELb0ES3_PKS7_PS7_S7_ZZZN2at6native31launch_logcumsumexp_cuda_kernelERKNSE_10TensorBaseESI_lENKUlvE_clEvENKUlvE2_clEvEUlS7_S7_E_S7_EEDaPvRmT3_T4_T5_mT6_P12ihipStream_tbENKUlT_T0_E_clISt17integral_constantIbLb1EESY_IbLb0EEEEDaSU_SV_EUlSU_E_NS1_11comp_targetILNS1_3genE8ELNS1_11target_archE1030ELNS1_3gpuE2ELNS1_3repE0EEENS1_30default_config_static_selectorELNS0_4arch9wavefront6targetE1EEEvT1_, .Lfunc_end318-_ZN7rocprim17ROCPRIM_400000_NS6detail17trampoline_kernelINS0_14default_configENS1_20scan_config_selectorIN3c107complexIfEEEEZZNS1_9scan_implILNS1_25lookback_scan_determinismE0ELb0ELb0ES3_PKS7_PS7_S7_ZZZN2at6native31launch_logcumsumexp_cuda_kernelERKNSE_10TensorBaseESI_lENKUlvE_clEvENKUlvE2_clEvEUlS7_S7_E_S7_EEDaPvRmT3_T4_T5_mT6_P12ihipStream_tbENKUlT_T0_E_clISt17integral_constantIbLb1EESY_IbLb0EEEEDaSU_SV_EUlSU_E_NS1_11comp_targetILNS1_3genE8ELNS1_11target_archE1030ELNS1_3gpuE2ELNS1_3repE0EEENS1_30default_config_static_selectorELNS0_4arch9wavefront6targetE1EEEvT1_
                                        ; -- End function
	.set _ZN7rocprim17ROCPRIM_400000_NS6detail17trampoline_kernelINS0_14default_configENS1_20scan_config_selectorIN3c107complexIfEEEEZZNS1_9scan_implILNS1_25lookback_scan_determinismE0ELb0ELb0ES3_PKS7_PS7_S7_ZZZN2at6native31launch_logcumsumexp_cuda_kernelERKNSE_10TensorBaseESI_lENKUlvE_clEvENKUlvE2_clEvEUlS7_S7_E_S7_EEDaPvRmT3_T4_T5_mT6_P12ihipStream_tbENKUlT_T0_E_clISt17integral_constantIbLb1EESY_IbLb0EEEEDaSU_SV_EUlSU_E_NS1_11comp_targetILNS1_3genE8ELNS1_11target_archE1030ELNS1_3gpuE2ELNS1_3repE0EEENS1_30default_config_static_selectorELNS0_4arch9wavefront6targetE1EEEvT1_.num_vgpr, 0
	.set _ZN7rocprim17ROCPRIM_400000_NS6detail17trampoline_kernelINS0_14default_configENS1_20scan_config_selectorIN3c107complexIfEEEEZZNS1_9scan_implILNS1_25lookback_scan_determinismE0ELb0ELb0ES3_PKS7_PS7_S7_ZZZN2at6native31launch_logcumsumexp_cuda_kernelERKNSE_10TensorBaseESI_lENKUlvE_clEvENKUlvE2_clEvEUlS7_S7_E_S7_EEDaPvRmT3_T4_T5_mT6_P12ihipStream_tbENKUlT_T0_E_clISt17integral_constantIbLb1EESY_IbLb0EEEEDaSU_SV_EUlSU_E_NS1_11comp_targetILNS1_3genE8ELNS1_11target_archE1030ELNS1_3gpuE2ELNS1_3repE0EEENS1_30default_config_static_selectorELNS0_4arch9wavefront6targetE1EEEvT1_.num_agpr, 0
	.set _ZN7rocprim17ROCPRIM_400000_NS6detail17trampoline_kernelINS0_14default_configENS1_20scan_config_selectorIN3c107complexIfEEEEZZNS1_9scan_implILNS1_25lookback_scan_determinismE0ELb0ELb0ES3_PKS7_PS7_S7_ZZZN2at6native31launch_logcumsumexp_cuda_kernelERKNSE_10TensorBaseESI_lENKUlvE_clEvENKUlvE2_clEvEUlS7_S7_E_S7_EEDaPvRmT3_T4_T5_mT6_P12ihipStream_tbENKUlT_T0_E_clISt17integral_constantIbLb1EESY_IbLb0EEEEDaSU_SV_EUlSU_E_NS1_11comp_targetILNS1_3genE8ELNS1_11target_archE1030ELNS1_3gpuE2ELNS1_3repE0EEENS1_30default_config_static_selectorELNS0_4arch9wavefront6targetE1EEEvT1_.numbered_sgpr, 0
	.set _ZN7rocprim17ROCPRIM_400000_NS6detail17trampoline_kernelINS0_14default_configENS1_20scan_config_selectorIN3c107complexIfEEEEZZNS1_9scan_implILNS1_25lookback_scan_determinismE0ELb0ELb0ES3_PKS7_PS7_S7_ZZZN2at6native31launch_logcumsumexp_cuda_kernelERKNSE_10TensorBaseESI_lENKUlvE_clEvENKUlvE2_clEvEUlS7_S7_E_S7_EEDaPvRmT3_T4_T5_mT6_P12ihipStream_tbENKUlT_T0_E_clISt17integral_constantIbLb1EESY_IbLb0EEEEDaSU_SV_EUlSU_E_NS1_11comp_targetILNS1_3genE8ELNS1_11target_archE1030ELNS1_3gpuE2ELNS1_3repE0EEENS1_30default_config_static_selectorELNS0_4arch9wavefront6targetE1EEEvT1_.num_named_barrier, 0
	.set _ZN7rocprim17ROCPRIM_400000_NS6detail17trampoline_kernelINS0_14default_configENS1_20scan_config_selectorIN3c107complexIfEEEEZZNS1_9scan_implILNS1_25lookback_scan_determinismE0ELb0ELb0ES3_PKS7_PS7_S7_ZZZN2at6native31launch_logcumsumexp_cuda_kernelERKNSE_10TensorBaseESI_lENKUlvE_clEvENKUlvE2_clEvEUlS7_S7_E_S7_EEDaPvRmT3_T4_T5_mT6_P12ihipStream_tbENKUlT_T0_E_clISt17integral_constantIbLb1EESY_IbLb0EEEEDaSU_SV_EUlSU_E_NS1_11comp_targetILNS1_3genE8ELNS1_11target_archE1030ELNS1_3gpuE2ELNS1_3repE0EEENS1_30default_config_static_selectorELNS0_4arch9wavefront6targetE1EEEvT1_.private_seg_size, 0
	.set _ZN7rocprim17ROCPRIM_400000_NS6detail17trampoline_kernelINS0_14default_configENS1_20scan_config_selectorIN3c107complexIfEEEEZZNS1_9scan_implILNS1_25lookback_scan_determinismE0ELb0ELb0ES3_PKS7_PS7_S7_ZZZN2at6native31launch_logcumsumexp_cuda_kernelERKNSE_10TensorBaseESI_lENKUlvE_clEvENKUlvE2_clEvEUlS7_S7_E_S7_EEDaPvRmT3_T4_T5_mT6_P12ihipStream_tbENKUlT_T0_E_clISt17integral_constantIbLb1EESY_IbLb0EEEEDaSU_SV_EUlSU_E_NS1_11comp_targetILNS1_3genE8ELNS1_11target_archE1030ELNS1_3gpuE2ELNS1_3repE0EEENS1_30default_config_static_selectorELNS0_4arch9wavefront6targetE1EEEvT1_.uses_vcc, 0
	.set _ZN7rocprim17ROCPRIM_400000_NS6detail17trampoline_kernelINS0_14default_configENS1_20scan_config_selectorIN3c107complexIfEEEEZZNS1_9scan_implILNS1_25lookback_scan_determinismE0ELb0ELb0ES3_PKS7_PS7_S7_ZZZN2at6native31launch_logcumsumexp_cuda_kernelERKNSE_10TensorBaseESI_lENKUlvE_clEvENKUlvE2_clEvEUlS7_S7_E_S7_EEDaPvRmT3_T4_T5_mT6_P12ihipStream_tbENKUlT_T0_E_clISt17integral_constantIbLb1EESY_IbLb0EEEEDaSU_SV_EUlSU_E_NS1_11comp_targetILNS1_3genE8ELNS1_11target_archE1030ELNS1_3gpuE2ELNS1_3repE0EEENS1_30default_config_static_selectorELNS0_4arch9wavefront6targetE1EEEvT1_.uses_flat_scratch, 0
	.set _ZN7rocprim17ROCPRIM_400000_NS6detail17trampoline_kernelINS0_14default_configENS1_20scan_config_selectorIN3c107complexIfEEEEZZNS1_9scan_implILNS1_25lookback_scan_determinismE0ELb0ELb0ES3_PKS7_PS7_S7_ZZZN2at6native31launch_logcumsumexp_cuda_kernelERKNSE_10TensorBaseESI_lENKUlvE_clEvENKUlvE2_clEvEUlS7_S7_E_S7_EEDaPvRmT3_T4_T5_mT6_P12ihipStream_tbENKUlT_T0_E_clISt17integral_constantIbLb1EESY_IbLb0EEEEDaSU_SV_EUlSU_E_NS1_11comp_targetILNS1_3genE8ELNS1_11target_archE1030ELNS1_3gpuE2ELNS1_3repE0EEENS1_30default_config_static_selectorELNS0_4arch9wavefront6targetE1EEEvT1_.has_dyn_sized_stack, 0
	.set _ZN7rocprim17ROCPRIM_400000_NS6detail17trampoline_kernelINS0_14default_configENS1_20scan_config_selectorIN3c107complexIfEEEEZZNS1_9scan_implILNS1_25lookback_scan_determinismE0ELb0ELb0ES3_PKS7_PS7_S7_ZZZN2at6native31launch_logcumsumexp_cuda_kernelERKNSE_10TensorBaseESI_lENKUlvE_clEvENKUlvE2_clEvEUlS7_S7_E_S7_EEDaPvRmT3_T4_T5_mT6_P12ihipStream_tbENKUlT_T0_E_clISt17integral_constantIbLb1EESY_IbLb0EEEEDaSU_SV_EUlSU_E_NS1_11comp_targetILNS1_3genE8ELNS1_11target_archE1030ELNS1_3gpuE2ELNS1_3repE0EEENS1_30default_config_static_selectorELNS0_4arch9wavefront6targetE1EEEvT1_.has_recursion, 0
	.set _ZN7rocprim17ROCPRIM_400000_NS6detail17trampoline_kernelINS0_14default_configENS1_20scan_config_selectorIN3c107complexIfEEEEZZNS1_9scan_implILNS1_25lookback_scan_determinismE0ELb0ELb0ES3_PKS7_PS7_S7_ZZZN2at6native31launch_logcumsumexp_cuda_kernelERKNSE_10TensorBaseESI_lENKUlvE_clEvENKUlvE2_clEvEUlS7_S7_E_S7_EEDaPvRmT3_T4_T5_mT6_P12ihipStream_tbENKUlT_T0_E_clISt17integral_constantIbLb1EESY_IbLb0EEEEDaSU_SV_EUlSU_E_NS1_11comp_targetILNS1_3genE8ELNS1_11target_archE1030ELNS1_3gpuE2ELNS1_3repE0EEENS1_30default_config_static_selectorELNS0_4arch9wavefront6targetE1EEEvT1_.has_indirect_call, 0
	.section	.AMDGPU.csdata,"",@progbits
; Kernel info:
; codeLenInByte = 0
; TotalNumSgprs: 4
; NumVgprs: 0
; ScratchSize: 0
; MemoryBound: 0
; FloatMode: 240
; IeeeMode: 1
; LDSByteSize: 0 bytes/workgroup (compile time only)
; SGPRBlocks: 0
; VGPRBlocks: 0
; NumSGPRsForWavesPerEU: 4
; NumVGPRsForWavesPerEU: 1
; Occupancy: 10
; WaveLimiterHint : 0
; COMPUTE_PGM_RSRC2:SCRATCH_EN: 0
; COMPUTE_PGM_RSRC2:USER_SGPR: 6
; COMPUTE_PGM_RSRC2:TRAP_HANDLER: 0
; COMPUTE_PGM_RSRC2:TGID_X_EN: 1
; COMPUTE_PGM_RSRC2:TGID_Y_EN: 0
; COMPUTE_PGM_RSRC2:TGID_Z_EN: 0
; COMPUTE_PGM_RSRC2:TIDIG_COMP_CNT: 0
	.section	.text._ZN7rocprim17ROCPRIM_400000_NS6detail17trampoline_kernelINS0_14default_configENS1_20scan_config_selectorIN3c107complexIfEEEEZZNS1_9scan_implILNS1_25lookback_scan_determinismE0ELb0ELb0ES3_PKS7_PS7_S7_ZZZN2at6native31launch_logcumsumexp_cuda_kernelERKNSE_10TensorBaseESI_lENKUlvE_clEvENKUlvE2_clEvEUlS7_S7_E_S7_EEDaPvRmT3_T4_T5_mT6_P12ihipStream_tbENKUlT_T0_E_clISt17integral_constantIbLb1EESY_IbLb0EEEEDaSU_SV_EUlSU_E0_NS1_11comp_targetILNS1_3genE0ELNS1_11target_archE4294967295ELNS1_3gpuE0ELNS1_3repE0EEENS1_30default_config_static_selectorELNS0_4arch9wavefront6targetE1EEEvT1_,"axG",@progbits,_ZN7rocprim17ROCPRIM_400000_NS6detail17trampoline_kernelINS0_14default_configENS1_20scan_config_selectorIN3c107complexIfEEEEZZNS1_9scan_implILNS1_25lookback_scan_determinismE0ELb0ELb0ES3_PKS7_PS7_S7_ZZZN2at6native31launch_logcumsumexp_cuda_kernelERKNSE_10TensorBaseESI_lENKUlvE_clEvENKUlvE2_clEvEUlS7_S7_E_S7_EEDaPvRmT3_T4_T5_mT6_P12ihipStream_tbENKUlT_T0_E_clISt17integral_constantIbLb1EESY_IbLb0EEEEDaSU_SV_EUlSU_E0_NS1_11comp_targetILNS1_3genE0ELNS1_11target_archE4294967295ELNS1_3gpuE0ELNS1_3repE0EEENS1_30default_config_static_selectorELNS0_4arch9wavefront6targetE1EEEvT1_,comdat
	.globl	_ZN7rocprim17ROCPRIM_400000_NS6detail17trampoline_kernelINS0_14default_configENS1_20scan_config_selectorIN3c107complexIfEEEEZZNS1_9scan_implILNS1_25lookback_scan_determinismE0ELb0ELb0ES3_PKS7_PS7_S7_ZZZN2at6native31launch_logcumsumexp_cuda_kernelERKNSE_10TensorBaseESI_lENKUlvE_clEvENKUlvE2_clEvEUlS7_S7_E_S7_EEDaPvRmT3_T4_T5_mT6_P12ihipStream_tbENKUlT_T0_E_clISt17integral_constantIbLb1EESY_IbLb0EEEEDaSU_SV_EUlSU_E0_NS1_11comp_targetILNS1_3genE0ELNS1_11target_archE4294967295ELNS1_3gpuE0ELNS1_3repE0EEENS1_30default_config_static_selectorELNS0_4arch9wavefront6targetE1EEEvT1_ ; -- Begin function _ZN7rocprim17ROCPRIM_400000_NS6detail17trampoline_kernelINS0_14default_configENS1_20scan_config_selectorIN3c107complexIfEEEEZZNS1_9scan_implILNS1_25lookback_scan_determinismE0ELb0ELb0ES3_PKS7_PS7_S7_ZZZN2at6native31launch_logcumsumexp_cuda_kernelERKNSE_10TensorBaseESI_lENKUlvE_clEvENKUlvE2_clEvEUlS7_S7_E_S7_EEDaPvRmT3_T4_T5_mT6_P12ihipStream_tbENKUlT_T0_E_clISt17integral_constantIbLb1EESY_IbLb0EEEEDaSU_SV_EUlSU_E0_NS1_11comp_targetILNS1_3genE0ELNS1_11target_archE4294967295ELNS1_3gpuE0ELNS1_3repE0EEENS1_30default_config_static_selectorELNS0_4arch9wavefront6targetE1EEEvT1_
	.p2align	8
	.type	_ZN7rocprim17ROCPRIM_400000_NS6detail17trampoline_kernelINS0_14default_configENS1_20scan_config_selectorIN3c107complexIfEEEEZZNS1_9scan_implILNS1_25lookback_scan_determinismE0ELb0ELb0ES3_PKS7_PS7_S7_ZZZN2at6native31launch_logcumsumexp_cuda_kernelERKNSE_10TensorBaseESI_lENKUlvE_clEvENKUlvE2_clEvEUlS7_S7_E_S7_EEDaPvRmT3_T4_T5_mT6_P12ihipStream_tbENKUlT_T0_E_clISt17integral_constantIbLb1EESY_IbLb0EEEEDaSU_SV_EUlSU_E0_NS1_11comp_targetILNS1_3genE0ELNS1_11target_archE4294967295ELNS1_3gpuE0ELNS1_3repE0EEENS1_30default_config_static_selectorELNS0_4arch9wavefront6targetE1EEEvT1_,@function
_ZN7rocprim17ROCPRIM_400000_NS6detail17trampoline_kernelINS0_14default_configENS1_20scan_config_selectorIN3c107complexIfEEEEZZNS1_9scan_implILNS1_25lookback_scan_determinismE0ELb0ELb0ES3_PKS7_PS7_S7_ZZZN2at6native31launch_logcumsumexp_cuda_kernelERKNSE_10TensorBaseESI_lENKUlvE_clEvENKUlvE2_clEvEUlS7_S7_E_S7_EEDaPvRmT3_T4_T5_mT6_P12ihipStream_tbENKUlT_T0_E_clISt17integral_constantIbLb1EESY_IbLb0EEEEDaSU_SV_EUlSU_E0_NS1_11comp_targetILNS1_3genE0ELNS1_11target_archE4294967295ELNS1_3gpuE0ELNS1_3repE0EEENS1_30default_config_static_selectorELNS0_4arch9wavefront6targetE1EEEvT1_: ; @_ZN7rocprim17ROCPRIM_400000_NS6detail17trampoline_kernelINS0_14default_configENS1_20scan_config_selectorIN3c107complexIfEEEEZZNS1_9scan_implILNS1_25lookback_scan_determinismE0ELb0ELb0ES3_PKS7_PS7_S7_ZZZN2at6native31launch_logcumsumexp_cuda_kernelERKNSE_10TensorBaseESI_lENKUlvE_clEvENKUlvE2_clEvEUlS7_S7_E_S7_EEDaPvRmT3_T4_T5_mT6_P12ihipStream_tbENKUlT_T0_E_clISt17integral_constantIbLb1EESY_IbLb0EEEEDaSU_SV_EUlSU_E0_NS1_11comp_targetILNS1_3genE0ELNS1_11target_archE4294967295ELNS1_3gpuE0ELNS1_3repE0EEENS1_30default_config_static_selectorELNS0_4arch9wavefront6targetE1EEEvT1_
; %bb.0:
	.section	.rodata,"a",@progbits
	.p2align	6, 0x0
	.amdhsa_kernel _ZN7rocprim17ROCPRIM_400000_NS6detail17trampoline_kernelINS0_14default_configENS1_20scan_config_selectorIN3c107complexIfEEEEZZNS1_9scan_implILNS1_25lookback_scan_determinismE0ELb0ELb0ES3_PKS7_PS7_S7_ZZZN2at6native31launch_logcumsumexp_cuda_kernelERKNSE_10TensorBaseESI_lENKUlvE_clEvENKUlvE2_clEvEUlS7_S7_E_S7_EEDaPvRmT3_T4_T5_mT6_P12ihipStream_tbENKUlT_T0_E_clISt17integral_constantIbLb1EESY_IbLb0EEEEDaSU_SV_EUlSU_E0_NS1_11comp_targetILNS1_3genE0ELNS1_11target_archE4294967295ELNS1_3gpuE0ELNS1_3repE0EEENS1_30default_config_static_selectorELNS0_4arch9wavefront6targetE1EEEvT1_
		.amdhsa_group_segment_fixed_size 0
		.amdhsa_private_segment_fixed_size 0
		.amdhsa_kernarg_size 40
		.amdhsa_user_sgpr_count 6
		.amdhsa_user_sgpr_private_segment_buffer 1
		.amdhsa_user_sgpr_dispatch_ptr 0
		.amdhsa_user_sgpr_queue_ptr 0
		.amdhsa_user_sgpr_kernarg_segment_ptr 1
		.amdhsa_user_sgpr_dispatch_id 0
		.amdhsa_user_sgpr_flat_scratch_init 0
		.amdhsa_user_sgpr_private_segment_size 0
		.amdhsa_uses_dynamic_stack 0
		.amdhsa_system_sgpr_private_segment_wavefront_offset 0
		.amdhsa_system_sgpr_workgroup_id_x 1
		.amdhsa_system_sgpr_workgroup_id_y 0
		.amdhsa_system_sgpr_workgroup_id_z 0
		.amdhsa_system_sgpr_workgroup_info 0
		.amdhsa_system_vgpr_workitem_id 0
		.amdhsa_next_free_vgpr 1
		.amdhsa_next_free_sgpr 0
		.amdhsa_reserve_vcc 0
		.amdhsa_reserve_flat_scratch 0
		.amdhsa_float_round_mode_32 0
		.amdhsa_float_round_mode_16_64 0
		.amdhsa_float_denorm_mode_32 3
		.amdhsa_float_denorm_mode_16_64 3
		.amdhsa_dx10_clamp 1
		.amdhsa_ieee_mode 1
		.amdhsa_fp16_overflow 0
		.amdhsa_exception_fp_ieee_invalid_op 0
		.amdhsa_exception_fp_denorm_src 0
		.amdhsa_exception_fp_ieee_div_zero 0
		.amdhsa_exception_fp_ieee_overflow 0
		.amdhsa_exception_fp_ieee_underflow 0
		.amdhsa_exception_fp_ieee_inexact 0
		.amdhsa_exception_int_div_zero 0
	.end_amdhsa_kernel
	.section	.text._ZN7rocprim17ROCPRIM_400000_NS6detail17trampoline_kernelINS0_14default_configENS1_20scan_config_selectorIN3c107complexIfEEEEZZNS1_9scan_implILNS1_25lookback_scan_determinismE0ELb0ELb0ES3_PKS7_PS7_S7_ZZZN2at6native31launch_logcumsumexp_cuda_kernelERKNSE_10TensorBaseESI_lENKUlvE_clEvENKUlvE2_clEvEUlS7_S7_E_S7_EEDaPvRmT3_T4_T5_mT6_P12ihipStream_tbENKUlT_T0_E_clISt17integral_constantIbLb1EESY_IbLb0EEEEDaSU_SV_EUlSU_E0_NS1_11comp_targetILNS1_3genE0ELNS1_11target_archE4294967295ELNS1_3gpuE0ELNS1_3repE0EEENS1_30default_config_static_selectorELNS0_4arch9wavefront6targetE1EEEvT1_,"axG",@progbits,_ZN7rocprim17ROCPRIM_400000_NS6detail17trampoline_kernelINS0_14default_configENS1_20scan_config_selectorIN3c107complexIfEEEEZZNS1_9scan_implILNS1_25lookback_scan_determinismE0ELb0ELb0ES3_PKS7_PS7_S7_ZZZN2at6native31launch_logcumsumexp_cuda_kernelERKNSE_10TensorBaseESI_lENKUlvE_clEvENKUlvE2_clEvEUlS7_S7_E_S7_EEDaPvRmT3_T4_T5_mT6_P12ihipStream_tbENKUlT_T0_E_clISt17integral_constantIbLb1EESY_IbLb0EEEEDaSU_SV_EUlSU_E0_NS1_11comp_targetILNS1_3genE0ELNS1_11target_archE4294967295ELNS1_3gpuE0ELNS1_3repE0EEENS1_30default_config_static_selectorELNS0_4arch9wavefront6targetE1EEEvT1_,comdat
.Lfunc_end319:
	.size	_ZN7rocprim17ROCPRIM_400000_NS6detail17trampoline_kernelINS0_14default_configENS1_20scan_config_selectorIN3c107complexIfEEEEZZNS1_9scan_implILNS1_25lookback_scan_determinismE0ELb0ELb0ES3_PKS7_PS7_S7_ZZZN2at6native31launch_logcumsumexp_cuda_kernelERKNSE_10TensorBaseESI_lENKUlvE_clEvENKUlvE2_clEvEUlS7_S7_E_S7_EEDaPvRmT3_T4_T5_mT6_P12ihipStream_tbENKUlT_T0_E_clISt17integral_constantIbLb1EESY_IbLb0EEEEDaSU_SV_EUlSU_E0_NS1_11comp_targetILNS1_3genE0ELNS1_11target_archE4294967295ELNS1_3gpuE0ELNS1_3repE0EEENS1_30default_config_static_selectorELNS0_4arch9wavefront6targetE1EEEvT1_, .Lfunc_end319-_ZN7rocprim17ROCPRIM_400000_NS6detail17trampoline_kernelINS0_14default_configENS1_20scan_config_selectorIN3c107complexIfEEEEZZNS1_9scan_implILNS1_25lookback_scan_determinismE0ELb0ELb0ES3_PKS7_PS7_S7_ZZZN2at6native31launch_logcumsumexp_cuda_kernelERKNSE_10TensorBaseESI_lENKUlvE_clEvENKUlvE2_clEvEUlS7_S7_E_S7_EEDaPvRmT3_T4_T5_mT6_P12ihipStream_tbENKUlT_T0_E_clISt17integral_constantIbLb1EESY_IbLb0EEEEDaSU_SV_EUlSU_E0_NS1_11comp_targetILNS1_3genE0ELNS1_11target_archE4294967295ELNS1_3gpuE0ELNS1_3repE0EEENS1_30default_config_static_selectorELNS0_4arch9wavefront6targetE1EEEvT1_
                                        ; -- End function
	.set _ZN7rocprim17ROCPRIM_400000_NS6detail17trampoline_kernelINS0_14default_configENS1_20scan_config_selectorIN3c107complexIfEEEEZZNS1_9scan_implILNS1_25lookback_scan_determinismE0ELb0ELb0ES3_PKS7_PS7_S7_ZZZN2at6native31launch_logcumsumexp_cuda_kernelERKNSE_10TensorBaseESI_lENKUlvE_clEvENKUlvE2_clEvEUlS7_S7_E_S7_EEDaPvRmT3_T4_T5_mT6_P12ihipStream_tbENKUlT_T0_E_clISt17integral_constantIbLb1EESY_IbLb0EEEEDaSU_SV_EUlSU_E0_NS1_11comp_targetILNS1_3genE0ELNS1_11target_archE4294967295ELNS1_3gpuE0ELNS1_3repE0EEENS1_30default_config_static_selectorELNS0_4arch9wavefront6targetE1EEEvT1_.num_vgpr, 0
	.set _ZN7rocprim17ROCPRIM_400000_NS6detail17trampoline_kernelINS0_14default_configENS1_20scan_config_selectorIN3c107complexIfEEEEZZNS1_9scan_implILNS1_25lookback_scan_determinismE0ELb0ELb0ES3_PKS7_PS7_S7_ZZZN2at6native31launch_logcumsumexp_cuda_kernelERKNSE_10TensorBaseESI_lENKUlvE_clEvENKUlvE2_clEvEUlS7_S7_E_S7_EEDaPvRmT3_T4_T5_mT6_P12ihipStream_tbENKUlT_T0_E_clISt17integral_constantIbLb1EESY_IbLb0EEEEDaSU_SV_EUlSU_E0_NS1_11comp_targetILNS1_3genE0ELNS1_11target_archE4294967295ELNS1_3gpuE0ELNS1_3repE0EEENS1_30default_config_static_selectorELNS0_4arch9wavefront6targetE1EEEvT1_.num_agpr, 0
	.set _ZN7rocprim17ROCPRIM_400000_NS6detail17trampoline_kernelINS0_14default_configENS1_20scan_config_selectorIN3c107complexIfEEEEZZNS1_9scan_implILNS1_25lookback_scan_determinismE0ELb0ELb0ES3_PKS7_PS7_S7_ZZZN2at6native31launch_logcumsumexp_cuda_kernelERKNSE_10TensorBaseESI_lENKUlvE_clEvENKUlvE2_clEvEUlS7_S7_E_S7_EEDaPvRmT3_T4_T5_mT6_P12ihipStream_tbENKUlT_T0_E_clISt17integral_constantIbLb1EESY_IbLb0EEEEDaSU_SV_EUlSU_E0_NS1_11comp_targetILNS1_3genE0ELNS1_11target_archE4294967295ELNS1_3gpuE0ELNS1_3repE0EEENS1_30default_config_static_selectorELNS0_4arch9wavefront6targetE1EEEvT1_.numbered_sgpr, 0
	.set _ZN7rocprim17ROCPRIM_400000_NS6detail17trampoline_kernelINS0_14default_configENS1_20scan_config_selectorIN3c107complexIfEEEEZZNS1_9scan_implILNS1_25lookback_scan_determinismE0ELb0ELb0ES3_PKS7_PS7_S7_ZZZN2at6native31launch_logcumsumexp_cuda_kernelERKNSE_10TensorBaseESI_lENKUlvE_clEvENKUlvE2_clEvEUlS7_S7_E_S7_EEDaPvRmT3_T4_T5_mT6_P12ihipStream_tbENKUlT_T0_E_clISt17integral_constantIbLb1EESY_IbLb0EEEEDaSU_SV_EUlSU_E0_NS1_11comp_targetILNS1_3genE0ELNS1_11target_archE4294967295ELNS1_3gpuE0ELNS1_3repE0EEENS1_30default_config_static_selectorELNS0_4arch9wavefront6targetE1EEEvT1_.num_named_barrier, 0
	.set _ZN7rocprim17ROCPRIM_400000_NS6detail17trampoline_kernelINS0_14default_configENS1_20scan_config_selectorIN3c107complexIfEEEEZZNS1_9scan_implILNS1_25lookback_scan_determinismE0ELb0ELb0ES3_PKS7_PS7_S7_ZZZN2at6native31launch_logcumsumexp_cuda_kernelERKNSE_10TensorBaseESI_lENKUlvE_clEvENKUlvE2_clEvEUlS7_S7_E_S7_EEDaPvRmT3_T4_T5_mT6_P12ihipStream_tbENKUlT_T0_E_clISt17integral_constantIbLb1EESY_IbLb0EEEEDaSU_SV_EUlSU_E0_NS1_11comp_targetILNS1_3genE0ELNS1_11target_archE4294967295ELNS1_3gpuE0ELNS1_3repE0EEENS1_30default_config_static_selectorELNS0_4arch9wavefront6targetE1EEEvT1_.private_seg_size, 0
	.set _ZN7rocprim17ROCPRIM_400000_NS6detail17trampoline_kernelINS0_14default_configENS1_20scan_config_selectorIN3c107complexIfEEEEZZNS1_9scan_implILNS1_25lookback_scan_determinismE0ELb0ELb0ES3_PKS7_PS7_S7_ZZZN2at6native31launch_logcumsumexp_cuda_kernelERKNSE_10TensorBaseESI_lENKUlvE_clEvENKUlvE2_clEvEUlS7_S7_E_S7_EEDaPvRmT3_T4_T5_mT6_P12ihipStream_tbENKUlT_T0_E_clISt17integral_constantIbLb1EESY_IbLb0EEEEDaSU_SV_EUlSU_E0_NS1_11comp_targetILNS1_3genE0ELNS1_11target_archE4294967295ELNS1_3gpuE0ELNS1_3repE0EEENS1_30default_config_static_selectorELNS0_4arch9wavefront6targetE1EEEvT1_.uses_vcc, 0
	.set _ZN7rocprim17ROCPRIM_400000_NS6detail17trampoline_kernelINS0_14default_configENS1_20scan_config_selectorIN3c107complexIfEEEEZZNS1_9scan_implILNS1_25lookback_scan_determinismE0ELb0ELb0ES3_PKS7_PS7_S7_ZZZN2at6native31launch_logcumsumexp_cuda_kernelERKNSE_10TensorBaseESI_lENKUlvE_clEvENKUlvE2_clEvEUlS7_S7_E_S7_EEDaPvRmT3_T4_T5_mT6_P12ihipStream_tbENKUlT_T0_E_clISt17integral_constantIbLb1EESY_IbLb0EEEEDaSU_SV_EUlSU_E0_NS1_11comp_targetILNS1_3genE0ELNS1_11target_archE4294967295ELNS1_3gpuE0ELNS1_3repE0EEENS1_30default_config_static_selectorELNS0_4arch9wavefront6targetE1EEEvT1_.uses_flat_scratch, 0
	.set _ZN7rocprim17ROCPRIM_400000_NS6detail17trampoline_kernelINS0_14default_configENS1_20scan_config_selectorIN3c107complexIfEEEEZZNS1_9scan_implILNS1_25lookback_scan_determinismE0ELb0ELb0ES3_PKS7_PS7_S7_ZZZN2at6native31launch_logcumsumexp_cuda_kernelERKNSE_10TensorBaseESI_lENKUlvE_clEvENKUlvE2_clEvEUlS7_S7_E_S7_EEDaPvRmT3_T4_T5_mT6_P12ihipStream_tbENKUlT_T0_E_clISt17integral_constantIbLb1EESY_IbLb0EEEEDaSU_SV_EUlSU_E0_NS1_11comp_targetILNS1_3genE0ELNS1_11target_archE4294967295ELNS1_3gpuE0ELNS1_3repE0EEENS1_30default_config_static_selectorELNS0_4arch9wavefront6targetE1EEEvT1_.has_dyn_sized_stack, 0
	.set _ZN7rocprim17ROCPRIM_400000_NS6detail17trampoline_kernelINS0_14default_configENS1_20scan_config_selectorIN3c107complexIfEEEEZZNS1_9scan_implILNS1_25lookback_scan_determinismE0ELb0ELb0ES3_PKS7_PS7_S7_ZZZN2at6native31launch_logcumsumexp_cuda_kernelERKNSE_10TensorBaseESI_lENKUlvE_clEvENKUlvE2_clEvEUlS7_S7_E_S7_EEDaPvRmT3_T4_T5_mT6_P12ihipStream_tbENKUlT_T0_E_clISt17integral_constantIbLb1EESY_IbLb0EEEEDaSU_SV_EUlSU_E0_NS1_11comp_targetILNS1_3genE0ELNS1_11target_archE4294967295ELNS1_3gpuE0ELNS1_3repE0EEENS1_30default_config_static_selectorELNS0_4arch9wavefront6targetE1EEEvT1_.has_recursion, 0
	.set _ZN7rocprim17ROCPRIM_400000_NS6detail17trampoline_kernelINS0_14default_configENS1_20scan_config_selectorIN3c107complexIfEEEEZZNS1_9scan_implILNS1_25lookback_scan_determinismE0ELb0ELb0ES3_PKS7_PS7_S7_ZZZN2at6native31launch_logcumsumexp_cuda_kernelERKNSE_10TensorBaseESI_lENKUlvE_clEvENKUlvE2_clEvEUlS7_S7_E_S7_EEDaPvRmT3_T4_T5_mT6_P12ihipStream_tbENKUlT_T0_E_clISt17integral_constantIbLb1EESY_IbLb0EEEEDaSU_SV_EUlSU_E0_NS1_11comp_targetILNS1_3genE0ELNS1_11target_archE4294967295ELNS1_3gpuE0ELNS1_3repE0EEENS1_30default_config_static_selectorELNS0_4arch9wavefront6targetE1EEEvT1_.has_indirect_call, 0
	.section	.AMDGPU.csdata,"",@progbits
; Kernel info:
; codeLenInByte = 0
; TotalNumSgprs: 4
; NumVgprs: 0
; ScratchSize: 0
; MemoryBound: 0
; FloatMode: 240
; IeeeMode: 1
; LDSByteSize: 0 bytes/workgroup (compile time only)
; SGPRBlocks: 0
; VGPRBlocks: 0
; NumSGPRsForWavesPerEU: 4
; NumVGPRsForWavesPerEU: 1
; Occupancy: 10
; WaveLimiterHint : 0
; COMPUTE_PGM_RSRC2:SCRATCH_EN: 0
; COMPUTE_PGM_RSRC2:USER_SGPR: 6
; COMPUTE_PGM_RSRC2:TRAP_HANDLER: 0
; COMPUTE_PGM_RSRC2:TGID_X_EN: 1
; COMPUTE_PGM_RSRC2:TGID_Y_EN: 0
; COMPUTE_PGM_RSRC2:TGID_Z_EN: 0
; COMPUTE_PGM_RSRC2:TIDIG_COMP_CNT: 0
	.section	.text._ZN7rocprim17ROCPRIM_400000_NS6detail17trampoline_kernelINS0_14default_configENS1_20scan_config_selectorIN3c107complexIfEEEEZZNS1_9scan_implILNS1_25lookback_scan_determinismE0ELb0ELb0ES3_PKS7_PS7_S7_ZZZN2at6native31launch_logcumsumexp_cuda_kernelERKNSE_10TensorBaseESI_lENKUlvE_clEvENKUlvE2_clEvEUlS7_S7_E_S7_EEDaPvRmT3_T4_T5_mT6_P12ihipStream_tbENKUlT_T0_E_clISt17integral_constantIbLb1EESY_IbLb0EEEEDaSU_SV_EUlSU_E0_NS1_11comp_targetILNS1_3genE5ELNS1_11target_archE942ELNS1_3gpuE9ELNS1_3repE0EEENS1_30default_config_static_selectorELNS0_4arch9wavefront6targetE1EEEvT1_,"axG",@progbits,_ZN7rocprim17ROCPRIM_400000_NS6detail17trampoline_kernelINS0_14default_configENS1_20scan_config_selectorIN3c107complexIfEEEEZZNS1_9scan_implILNS1_25lookback_scan_determinismE0ELb0ELb0ES3_PKS7_PS7_S7_ZZZN2at6native31launch_logcumsumexp_cuda_kernelERKNSE_10TensorBaseESI_lENKUlvE_clEvENKUlvE2_clEvEUlS7_S7_E_S7_EEDaPvRmT3_T4_T5_mT6_P12ihipStream_tbENKUlT_T0_E_clISt17integral_constantIbLb1EESY_IbLb0EEEEDaSU_SV_EUlSU_E0_NS1_11comp_targetILNS1_3genE5ELNS1_11target_archE942ELNS1_3gpuE9ELNS1_3repE0EEENS1_30default_config_static_selectorELNS0_4arch9wavefront6targetE1EEEvT1_,comdat
	.globl	_ZN7rocprim17ROCPRIM_400000_NS6detail17trampoline_kernelINS0_14default_configENS1_20scan_config_selectorIN3c107complexIfEEEEZZNS1_9scan_implILNS1_25lookback_scan_determinismE0ELb0ELb0ES3_PKS7_PS7_S7_ZZZN2at6native31launch_logcumsumexp_cuda_kernelERKNSE_10TensorBaseESI_lENKUlvE_clEvENKUlvE2_clEvEUlS7_S7_E_S7_EEDaPvRmT3_T4_T5_mT6_P12ihipStream_tbENKUlT_T0_E_clISt17integral_constantIbLb1EESY_IbLb0EEEEDaSU_SV_EUlSU_E0_NS1_11comp_targetILNS1_3genE5ELNS1_11target_archE942ELNS1_3gpuE9ELNS1_3repE0EEENS1_30default_config_static_selectorELNS0_4arch9wavefront6targetE1EEEvT1_ ; -- Begin function _ZN7rocprim17ROCPRIM_400000_NS6detail17trampoline_kernelINS0_14default_configENS1_20scan_config_selectorIN3c107complexIfEEEEZZNS1_9scan_implILNS1_25lookback_scan_determinismE0ELb0ELb0ES3_PKS7_PS7_S7_ZZZN2at6native31launch_logcumsumexp_cuda_kernelERKNSE_10TensorBaseESI_lENKUlvE_clEvENKUlvE2_clEvEUlS7_S7_E_S7_EEDaPvRmT3_T4_T5_mT6_P12ihipStream_tbENKUlT_T0_E_clISt17integral_constantIbLb1EESY_IbLb0EEEEDaSU_SV_EUlSU_E0_NS1_11comp_targetILNS1_3genE5ELNS1_11target_archE942ELNS1_3gpuE9ELNS1_3repE0EEENS1_30default_config_static_selectorELNS0_4arch9wavefront6targetE1EEEvT1_
	.p2align	8
	.type	_ZN7rocprim17ROCPRIM_400000_NS6detail17trampoline_kernelINS0_14default_configENS1_20scan_config_selectorIN3c107complexIfEEEEZZNS1_9scan_implILNS1_25lookback_scan_determinismE0ELb0ELb0ES3_PKS7_PS7_S7_ZZZN2at6native31launch_logcumsumexp_cuda_kernelERKNSE_10TensorBaseESI_lENKUlvE_clEvENKUlvE2_clEvEUlS7_S7_E_S7_EEDaPvRmT3_T4_T5_mT6_P12ihipStream_tbENKUlT_T0_E_clISt17integral_constantIbLb1EESY_IbLb0EEEEDaSU_SV_EUlSU_E0_NS1_11comp_targetILNS1_3genE5ELNS1_11target_archE942ELNS1_3gpuE9ELNS1_3repE0EEENS1_30default_config_static_selectorELNS0_4arch9wavefront6targetE1EEEvT1_,@function
_ZN7rocprim17ROCPRIM_400000_NS6detail17trampoline_kernelINS0_14default_configENS1_20scan_config_selectorIN3c107complexIfEEEEZZNS1_9scan_implILNS1_25lookback_scan_determinismE0ELb0ELb0ES3_PKS7_PS7_S7_ZZZN2at6native31launch_logcumsumexp_cuda_kernelERKNSE_10TensorBaseESI_lENKUlvE_clEvENKUlvE2_clEvEUlS7_S7_E_S7_EEDaPvRmT3_T4_T5_mT6_P12ihipStream_tbENKUlT_T0_E_clISt17integral_constantIbLb1EESY_IbLb0EEEEDaSU_SV_EUlSU_E0_NS1_11comp_targetILNS1_3genE5ELNS1_11target_archE942ELNS1_3gpuE9ELNS1_3repE0EEENS1_30default_config_static_selectorELNS0_4arch9wavefront6targetE1EEEvT1_: ; @_ZN7rocprim17ROCPRIM_400000_NS6detail17trampoline_kernelINS0_14default_configENS1_20scan_config_selectorIN3c107complexIfEEEEZZNS1_9scan_implILNS1_25lookback_scan_determinismE0ELb0ELb0ES3_PKS7_PS7_S7_ZZZN2at6native31launch_logcumsumexp_cuda_kernelERKNSE_10TensorBaseESI_lENKUlvE_clEvENKUlvE2_clEvEUlS7_S7_E_S7_EEDaPvRmT3_T4_T5_mT6_P12ihipStream_tbENKUlT_T0_E_clISt17integral_constantIbLb1EESY_IbLb0EEEEDaSU_SV_EUlSU_E0_NS1_11comp_targetILNS1_3genE5ELNS1_11target_archE942ELNS1_3gpuE9ELNS1_3repE0EEENS1_30default_config_static_selectorELNS0_4arch9wavefront6targetE1EEEvT1_
; %bb.0:
	.section	.rodata,"a",@progbits
	.p2align	6, 0x0
	.amdhsa_kernel _ZN7rocprim17ROCPRIM_400000_NS6detail17trampoline_kernelINS0_14default_configENS1_20scan_config_selectorIN3c107complexIfEEEEZZNS1_9scan_implILNS1_25lookback_scan_determinismE0ELb0ELb0ES3_PKS7_PS7_S7_ZZZN2at6native31launch_logcumsumexp_cuda_kernelERKNSE_10TensorBaseESI_lENKUlvE_clEvENKUlvE2_clEvEUlS7_S7_E_S7_EEDaPvRmT3_T4_T5_mT6_P12ihipStream_tbENKUlT_T0_E_clISt17integral_constantIbLb1EESY_IbLb0EEEEDaSU_SV_EUlSU_E0_NS1_11comp_targetILNS1_3genE5ELNS1_11target_archE942ELNS1_3gpuE9ELNS1_3repE0EEENS1_30default_config_static_selectorELNS0_4arch9wavefront6targetE1EEEvT1_
		.amdhsa_group_segment_fixed_size 0
		.amdhsa_private_segment_fixed_size 0
		.amdhsa_kernarg_size 40
		.amdhsa_user_sgpr_count 6
		.amdhsa_user_sgpr_private_segment_buffer 1
		.amdhsa_user_sgpr_dispatch_ptr 0
		.amdhsa_user_sgpr_queue_ptr 0
		.amdhsa_user_sgpr_kernarg_segment_ptr 1
		.amdhsa_user_sgpr_dispatch_id 0
		.amdhsa_user_sgpr_flat_scratch_init 0
		.amdhsa_user_sgpr_private_segment_size 0
		.amdhsa_uses_dynamic_stack 0
		.amdhsa_system_sgpr_private_segment_wavefront_offset 0
		.amdhsa_system_sgpr_workgroup_id_x 1
		.amdhsa_system_sgpr_workgroup_id_y 0
		.amdhsa_system_sgpr_workgroup_id_z 0
		.amdhsa_system_sgpr_workgroup_info 0
		.amdhsa_system_vgpr_workitem_id 0
		.amdhsa_next_free_vgpr 1
		.amdhsa_next_free_sgpr 0
		.amdhsa_reserve_vcc 0
		.amdhsa_reserve_flat_scratch 0
		.amdhsa_float_round_mode_32 0
		.amdhsa_float_round_mode_16_64 0
		.amdhsa_float_denorm_mode_32 3
		.amdhsa_float_denorm_mode_16_64 3
		.amdhsa_dx10_clamp 1
		.amdhsa_ieee_mode 1
		.amdhsa_fp16_overflow 0
		.amdhsa_exception_fp_ieee_invalid_op 0
		.amdhsa_exception_fp_denorm_src 0
		.amdhsa_exception_fp_ieee_div_zero 0
		.amdhsa_exception_fp_ieee_overflow 0
		.amdhsa_exception_fp_ieee_underflow 0
		.amdhsa_exception_fp_ieee_inexact 0
		.amdhsa_exception_int_div_zero 0
	.end_amdhsa_kernel
	.section	.text._ZN7rocprim17ROCPRIM_400000_NS6detail17trampoline_kernelINS0_14default_configENS1_20scan_config_selectorIN3c107complexIfEEEEZZNS1_9scan_implILNS1_25lookback_scan_determinismE0ELb0ELb0ES3_PKS7_PS7_S7_ZZZN2at6native31launch_logcumsumexp_cuda_kernelERKNSE_10TensorBaseESI_lENKUlvE_clEvENKUlvE2_clEvEUlS7_S7_E_S7_EEDaPvRmT3_T4_T5_mT6_P12ihipStream_tbENKUlT_T0_E_clISt17integral_constantIbLb1EESY_IbLb0EEEEDaSU_SV_EUlSU_E0_NS1_11comp_targetILNS1_3genE5ELNS1_11target_archE942ELNS1_3gpuE9ELNS1_3repE0EEENS1_30default_config_static_selectorELNS0_4arch9wavefront6targetE1EEEvT1_,"axG",@progbits,_ZN7rocprim17ROCPRIM_400000_NS6detail17trampoline_kernelINS0_14default_configENS1_20scan_config_selectorIN3c107complexIfEEEEZZNS1_9scan_implILNS1_25lookback_scan_determinismE0ELb0ELb0ES3_PKS7_PS7_S7_ZZZN2at6native31launch_logcumsumexp_cuda_kernelERKNSE_10TensorBaseESI_lENKUlvE_clEvENKUlvE2_clEvEUlS7_S7_E_S7_EEDaPvRmT3_T4_T5_mT6_P12ihipStream_tbENKUlT_T0_E_clISt17integral_constantIbLb1EESY_IbLb0EEEEDaSU_SV_EUlSU_E0_NS1_11comp_targetILNS1_3genE5ELNS1_11target_archE942ELNS1_3gpuE9ELNS1_3repE0EEENS1_30default_config_static_selectorELNS0_4arch9wavefront6targetE1EEEvT1_,comdat
.Lfunc_end320:
	.size	_ZN7rocprim17ROCPRIM_400000_NS6detail17trampoline_kernelINS0_14default_configENS1_20scan_config_selectorIN3c107complexIfEEEEZZNS1_9scan_implILNS1_25lookback_scan_determinismE0ELb0ELb0ES3_PKS7_PS7_S7_ZZZN2at6native31launch_logcumsumexp_cuda_kernelERKNSE_10TensorBaseESI_lENKUlvE_clEvENKUlvE2_clEvEUlS7_S7_E_S7_EEDaPvRmT3_T4_T5_mT6_P12ihipStream_tbENKUlT_T0_E_clISt17integral_constantIbLb1EESY_IbLb0EEEEDaSU_SV_EUlSU_E0_NS1_11comp_targetILNS1_3genE5ELNS1_11target_archE942ELNS1_3gpuE9ELNS1_3repE0EEENS1_30default_config_static_selectorELNS0_4arch9wavefront6targetE1EEEvT1_, .Lfunc_end320-_ZN7rocprim17ROCPRIM_400000_NS6detail17trampoline_kernelINS0_14default_configENS1_20scan_config_selectorIN3c107complexIfEEEEZZNS1_9scan_implILNS1_25lookback_scan_determinismE0ELb0ELb0ES3_PKS7_PS7_S7_ZZZN2at6native31launch_logcumsumexp_cuda_kernelERKNSE_10TensorBaseESI_lENKUlvE_clEvENKUlvE2_clEvEUlS7_S7_E_S7_EEDaPvRmT3_T4_T5_mT6_P12ihipStream_tbENKUlT_T0_E_clISt17integral_constantIbLb1EESY_IbLb0EEEEDaSU_SV_EUlSU_E0_NS1_11comp_targetILNS1_3genE5ELNS1_11target_archE942ELNS1_3gpuE9ELNS1_3repE0EEENS1_30default_config_static_selectorELNS0_4arch9wavefront6targetE1EEEvT1_
                                        ; -- End function
	.set _ZN7rocprim17ROCPRIM_400000_NS6detail17trampoline_kernelINS0_14default_configENS1_20scan_config_selectorIN3c107complexIfEEEEZZNS1_9scan_implILNS1_25lookback_scan_determinismE0ELb0ELb0ES3_PKS7_PS7_S7_ZZZN2at6native31launch_logcumsumexp_cuda_kernelERKNSE_10TensorBaseESI_lENKUlvE_clEvENKUlvE2_clEvEUlS7_S7_E_S7_EEDaPvRmT3_T4_T5_mT6_P12ihipStream_tbENKUlT_T0_E_clISt17integral_constantIbLb1EESY_IbLb0EEEEDaSU_SV_EUlSU_E0_NS1_11comp_targetILNS1_3genE5ELNS1_11target_archE942ELNS1_3gpuE9ELNS1_3repE0EEENS1_30default_config_static_selectorELNS0_4arch9wavefront6targetE1EEEvT1_.num_vgpr, 0
	.set _ZN7rocprim17ROCPRIM_400000_NS6detail17trampoline_kernelINS0_14default_configENS1_20scan_config_selectorIN3c107complexIfEEEEZZNS1_9scan_implILNS1_25lookback_scan_determinismE0ELb0ELb0ES3_PKS7_PS7_S7_ZZZN2at6native31launch_logcumsumexp_cuda_kernelERKNSE_10TensorBaseESI_lENKUlvE_clEvENKUlvE2_clEvEUlS7_S7_E_S7_EEDaPvRmT3_T4_T5_mT6_P12ihipStream_tbENKUlT_T0_E_clISt17integral_constantIbLb1EESY_IbLb0EEEEDaSU_SV_EUlSU_E0_NS1_11comp_targetILNS1_3genE5ELNS1_11target_archE942ELNS1_3gpuE9ELNS1_3repE0EEENS1_30default_config_static_selectorELNS0_4arch9wavefront6targetE1EEEvT1_.num_agpr, 0
	.set _ZN7rocprim17ROCPRIM_400000_NS6detail17trampoline_kernelINS0_14default_configENS1_20scan_config_selectorIN3c107complexIfEEEEZZNS1_9scan_implILNS1_25lookback_scan_determinismE0ELb0ELb0ES3_PKS7_PS7_S7_ZZZN2at6native31launch_logcumsumexp_cuda_kernelERKNSE_10TensorBaseESI_lENKUlvE_clEvENKUlvE2_clEvEUlS7_S7_E_S7_EEDaPvRmT3_T4_T5_mT6_P12ihipStream_tbENKUlT_T0_E_clISt17integral_constantIbLb1EESY_IbLb0EEEEDaSU_SV_EUlSU_E0_NS1_11comp_targetILNS1_3genE5ELNS1_11target_archE942ELNS1_3gpuE9ELNS1_3repE0EEENS1_30default_config_static_selectorELNS0_4arch9wavefront6targetE1EEEvT1_.numbered_sgpr, 0
	.set _ZN7rocprim17ROCPRIM_400000_NS6detail17trampoline_kernelINS0_14default_configENS1_20scan_config_selectorIN3c107complexIfEEEEZZNS1_9scan_implILNS1_25lookback_scan_determinismE0ELb0ELb0ES3_PKS7_PS7_S7_ZZZN2at6native31launch_logcumsumexp_cuda_kernelERKNSE_10TensorBaseESI_lENKUlvE_clEvENKUlvE2_clEvEUlS7_S7_E_S7_EEDaPvRmT3_T4_T5_mT6_P12ihipStream_tbENKUlT_T0_E_clISt17integral_constantIbLb1EESY_IbLb0EEEEDaSU_SV_EUlSU_E0_NS1_11comp_targetILNS1_3genE5ELNS1_11target_archE942ELNS1_3gpuE9ELNS1_3repE0EEENS1_30default_config_static_selectorELNS0_4arch9wavefront6targetE1EEEvT1_.num_named_barrier, 0
	.set _ZN7rocprim17ROCPRIM_400000_NS6detail17trampoline_kernelINS0_14default_configENS1_20scan_config_selectorIN3c107complexIfEEEEZZNS1_9scan_implILNS1_25lookback_scan_determinismE0ELb0ELb0ES3_PKS7_PS7_S7_ZZZN2at6native31launch_logcumsumexp_cuda_kernelERKNSE_10TensorBaseESI_lENKUlvE_clEvENKUlvE2_clEvEUlS7_S7_E_S7_EEDaPvRmT3_T4_T5_mT6_P12ihipStream_tbENKUlT_T0_E_clISt17integral_constantIbLb1EESY_IbLb0EEEEDaSU_SV_EUlSU_E0_NS1_11comp_targetILNS1_3genE5ELNS1_11target_archE942ELNS1_3gpuE9ELNS1_3repE0EEENS1_30default_config_static_selectorELNS0_4arch9wavefront6targetE1EEEvT1_.private_seg_size, 0
	.set _ZN7rocprim17ROCPRIM_400000_NS6detail17trampoline_kernelINS0_14default_configENS1_20scan_config_selectorIN3c107complexIfEEEEZZNS1_9scan_implILNS1_25lookback_scan_determinismE0ELb0ELb0ES3_PKS7_PS7_S7_ZZZN2at6native31launch_logcumsumexp_cuda_kernelERKNSE_10TensorBaseESI_lENKUlvE_clEvENKUlvE2_clEvEUlS7_S7_E_S7_EEDaPvRmT3_T4_T5_mT6_P12ihipStream_tbENKUlT_T0_E_clISt17integral_constantIbLb1EESY_IbLb0EEEEDaSU_SV_EUlSU_E0_NS1_11comp_targetILNS1_3genE5ELNS1_11target_archE942ELNS1_3gpuE9ELNS1_3repE0EEENS1_30default_config_static_selectorELNS0_4arch9wavefront6targetE1EEEvT1_.uses_vcc, 0
	.set _ZN7rocprim17ROCPRIM_400000_NS6detail17trampoline_kernelINS0_14default_configENS1_20scan_config_selectorIN3c107complexIfEEEEZZNS1_9scan_implILNS1_25lookback_scan_determinismE0ELb0ELb0ES3_PKS7_PS7_S7_ZZZN2at6native31launch_logcumsumexp_cuda_kernelERKNSE_10TensorBaseESI_lENKUlvE_clEvENKUlvE2_clEvEUlS7_S7_E_S7_EEDaPvRmT3_T4_T5_mT6_P12ihipStream_tbENKUlT_T0_E_clISt17integral_constantIbLb1EESY_IbLb0EEEEDaSU_SV_EUlSU_E0_NS1_11comp_targetILNS1_3genE5ELNS1_11target_archE942ELNS1_3gpuE9ELNS1_3repE0EEENS1_30default_config_static_selectorELNS0_4arch9wavefront6targetE1EEEvT1_.uses_flat_scratch, 0
	.set _ZN7rocprim17ROCPRIM_400000_NS6detail17trampoline_kernelINS0_14default_configENS1_20scan_config_selectorIN3c107complexIfEEEEZZNS1_9scan_implILNS1_25lookback_scan_determinismE0ELb0ELb0ES3_PKS7_PS7_S7_ZZZN2at6native31launch_logcumsumexp_cuda_kernelERKNSE_10TensorBaseESI_lENKUlvE_clEvENKUlvE2_clEvEUlS7_S7_E_S7_EEDaPvRmT3_T4_T5_mT6_P12ihipStream_tbENKUlT_T0_E_clISt17integral_constantIbLb1EESY_IbLb0EEEEDaSU_SV_EUlSU_E0_NS1_11comp_targetILNS1_3genE5ELNS1_11target_archE942ELNS1_3gpuE9ELNS1_3repE0EEENS1_30default_config_static_selectorELNS0_4arch9wavefront6targetE1EEEvT1_.has_dyn_sized_stack, 0
	.set _ZN7rocprim17ROCPRIM_400000_NS6detail17trampoline_kernelINS0_14default_configENS1_20scan_config_selectorIN3c107complexIfEEEEZZNS1_9scan_implILNS1_25lookback_scan_determinismE0ELb0ELb0ES3_PKS7_PS7_S7_ZZZN2at6native31launch_logcumsumexp_cuda_kernelERKNSE_10TensorBaseESI_lENKUlvE_clEvENKUlvE2_clEvEUlS7_S7_E_S7_EEDaPvRmT3_T4_T5_mT6_P12ihipStream_tbENKUlT_T0_E_clISt17integral_constantIbLb1EESY_IbLb0EEEEDaSU_SV_EUlSU_E0_NS1_11comp_targetILNS1_3genE5ELNS1_11target_archE942ELNS1_3gpuE9ELNS1_3repE0EEENS1_30default_config_static_selectorELNS0_4arch9wavefront6targetE1EEEvT1_.has_recursion, 0
	.set _ZN7rocprim17ROCPRIM_400000_NS6detail17trampoline_kernelINS0_14default_configENS1_20scan_config_selectorIN3c107complexIfEEEEZZNS1_9scan_implILNS1_25lookback_scan_determinismE0ELb0ELb0ES3_PKS7_PS7_S7_ZZZN2at6native31launch_logcumsumexp_cuda_kernelERKNSE_10TensorBaseESI_lENKUlvE_clEvENKUlvE2_clEvEUlS7_S7_E_S7_EEDaPvRmT3_T4_T5_mT6_P12ihipStream_tbENKUlT_T0_E_clISt17integral_constantIbLb1EESY_IbLb0EEEEDaSU_SV_EUlSU_E0_NS1_11comp_targetILNS1_3genE5ELNS1_11target_archE942ELNS1_3gpuE9ELNS1_3repE0EEENS1_30default_config_static_selectorELNS0_4arch9wavefront6targetE1EEEvT1_.has_indirect_call, 0
	.section	.AMDGPU.csdata,"",@progbits
; Kernel info:
; codeLenInByte = 0
; TotalNumSgprs: 4
; NumVgprs: 0
; ScratchSize: 0
; MemoryBound: 0
; FloatMode: 240
; IeeeMode: 1
; LDSByteSize: 0 bytes/workgroup (compile time only)
; SGPRBlocks: 0
; VGPRBlocks: 0
; NumSGPRsForWavesPerEU: 4
; NumVGPRsForWavesPerEU: 1
; Occupancy: 10
; WaveLimiterHint : 0
; COMPUTE_PGM_RSRC2:SCRATCH_EN: 0
; COMPUTE_PGM_RSRC2:USER_SGPR: 6
; COMPUTE_PGM_RSRC2:TRAP_HANDLER: 0
; COMPUTE_PGM_RSRC2:TGID_X_EN: 1
; COMPUTE_PGM_RSRC2:TGID_Y_EN: 0
; COMPUTE_PGM_RSRC2:TGID_Z_EN: 0
; COMPUTE_PGM_RSRC2:TIDIG_COMP_CNT: 0
	.section	.text._ZN7rocprim17ROCPRIM_400000_NS6detail17trampoline_kernelINS0_14default_configENS1_20scan_config_selectorIN3c107complexIfEEEEZZNS1_9scan_implILNS1_25lookback_scan_determinismE0ELb0ELb0ES3_PKS7_PS7_S7_ZZZN2at6native31launch_logcumsumexp_cuda_kernelERKNSE_10TensorBaseESI_lENKUlvE_clEvENKUlvE2_clEvEUlS7_S7_E_S7_EEDaPvRmT3_T4_T5_mT6_P12ihipStream_tbENKUlT_T0_E_clISt17integral_constantIbLb1EESY_IbLb0EEEEDaSU_SV_EUlSU_E0_NS1_11comp_targetILNS1_3genE4ELNS1_11target_archE910ELNS1_3gpuE8ELNS1_3repE0EEENS1_30default_config_static_selectorELNS0_4arch9wavefront6targetE1EEEvT1_,"axG",@progbits,_ZN7rocprim17ROCPRIM_400000_NS6detail17trampoline_kernelINS0_14default_configENS1_20scan_config_selectorIN3c107complexIfEEEEZZNS1_9scan_implILNS1_25lookback_scan_determinismE0ELb0ELb0ES3_PKS7_PS7_S7_ZZZN2at6native31launch_logcumsumexp_cuda_kernelERKNSE_10TensorBaseESI_lENKUlvE_clEvENKUlvE2_clEvEUlS7_S7_E_S7_EEDaPvRmT3_T4_T5_mT6_P12ihipStream_tbENKUlT_T0_E_clISt17integral_constantIbLb1EESY_IbLb0EEEEDaSU_SV_EUlSU_E0_NS1_11comp_targetILNS1_3genE4ELNS1_11target_archE910ELNS1_3gpuE8ELNS1_3repE0EEENS1_30default_config_static_selectorELNS0_4arch9wavefront6targetE1EEEvT1_,comdat
	.globl	_ZN7rocprim17ROCPRIM_400000_NS6detail17trampoline_kernelINS0_14default_configENS1_20scan_config_selectorIN3c107complexIfEEEEZZNS1_9scan_implILNS1_25lookback_scan_determinismE0ELb0ELb0ES3_PKS7_PS7_S7_ZZZN2at6native31launch_logcumsumexp_cuda_kernelERKNSE_10TensorBaseESI_lENKUlvE_clEvENKUlvE2_clEvEUlS7_S7_E_S7_EEDaPvRmT3_T4_T5_mT6_P12ihipStream_tbENKUlT_T0_E_clISt17integral_constantIbLb1EESY_IbLb0EEEEDaSU_SV_EUlSU_E0_NS1_11comp_targetILNS1_3genE4ELNS1_11target_archE910ELNS1_3gpuE8ELNS1_3repE0EEENS1_30default_config_static_selectorELNS0_4arch9wavefront6targetE1EEEvT1_ ; -- Begin function _ZN7rocprim17ROCPRIM_400000_NS6detail17trampoline_kernelINS0_14default_configENS1_20scan_config_selectorIN3c107complexIfEEEEZZNS1_9scan_implILNS1_25lookback_scan_determinismE0ELb0ELb0ES3_PKS7_PS7_S7_ZZZN2at6native31launch_logcumsumexp_cuda_kernelERKNSE_10TensorBaseESI_lENKUlvE_clEvENKUlvE2_clEvEUlS7_S7_E_S7_EEDaPvRmT3_T4_T5_mT6_P12ihipStream_tbENKUlT_T0_E_clISt17integral_constantIbLb1EESY_IbLb0EEEEDaSU_SV_EUlSU_E0_NS1_11comp_targetILNS1_3genE4ELNS1_11target_archE910ELNS1_3gpuE8ELNS1_3repE0EEENS1_30default_config_static_selectorELNS0_4arch9wavefront6targetE1EEEvT1_
	.p2align	8
	.type	_ZN7rocprim17ROCPRIM_400000_NS6detail17trampoline_kernelINS0_14default_configENS1_20scan_config_selectorIN3c107complexIfEEEEZZNS1_9scan_implILNS1_25lookback_scan_determinismE0ELb0ELb0ES3_PKS7_PS7_S7_ZZZN2at6native31launch_logcumsumexp_cuda_kernelERKNSE_10TensorBaseESI_lENKUlvE_clEvENKUlvE2_clEvEUlS7_S7_E_S7_EEDaPvRmT3_T4_T5_mT6_P12ihipStream_tbENKUlT_T0_E_clISt17integral_constantIbLb1EESY_IbLb0EEEEDaSU_SV_EUlSU_E0_NS1_11comp_targetILNS1_3genE4ELNS1_11target_archE910ELNS1_3gpuE8ELNS1_3repE0EEENS1_30default_config_static_selectorELNS0_4arch9wavefront6targetE1EEEvT1_,@function
_ZN7rocprim17ROCPRIM_400000_NS6detail17trampoline_kernelINS0_14default_configENS1_20scan_config_selectorIN3c107complexIfEEEEZZNS1_9scan_implILNS1_25lookback_scan_determinismE0ELb0ELb0ES3_PKS7_PS7_S7_ZZZN2at6native31launch_logcumsumexp_cuda_kernelERKNSE_10TensorBaseESI_lENKUlvE_clEvENKUlvE2_clEvEUlS7_S7_E_S7_EEDaPvRmT3_T4_T5_mT6_P12ihipStream_tbENKUlT_T0_E_clISt17integral_constantIbLb1EESY_IbLb0EEEEDaSU_SV_EUlSU_E0_NS1_11comp_targetILNS1_3genE4ELNS1_11target_archE910ELNS1_3gpuE8ELNS1_3repE0EEENS1_30default_config_static_selectorELNS0_4arch9wavefront6targetE1EEEvT1_: ; @_ZN7rocprim17ROCPRIM_400000_NS6detail17trampoline_kernelINS0_14default_configENS1_20scan_config_selectorIN3c107complexIfEEEEZZNS1_9scan_implILNS1_25lookback_scan_determinismE0ELb0ELb0ES3_PKS7_PS7_S7_ZZZN2at6native31launch_logcumsumexp_cuda_kernelERKNSE_10TensorBaseESI_lENKUlvE_clEvENKUlvE2_clEvEUlS7_S7_E_S7_EEDaPvRmT3_T4_T5_mT6_P12ihipStream_tbENKUlT_T0_E_clISt17integral_constantIbLb1EESY_IbLb0EEEEDaSU_SV_EUlSU_E0_NS1_11comp_targetILNS1_3genE4ELNS1_11target_archE910ELNS1_3gpuE8ELNS1_3repE0EEENS1_30default_config_static_selectorELNS0_4arch9wavefront6targetE1EEEvT1_
; %bb.0:
	.section	.rodata,"a",@progbits
	.p2align	6, 0x0
	.amdhsa_kernel _ZN7rocprim17ROCPRIM_400000_NS6detail17trampoline_kernelINS0_14default_configENS1_20scan_config_selectorIN3c107complexIfEEEEZZNS1_9scan_implILNS1_25lookback_scan_determinismE0ELb0ELb0ES3_PKS7_PS7_S7_ZZZN2at6native31launch_logcumsumexp_cuda_kernelERKNSE_10TensorBaseESI_lENKUlvE_clEvENKUlvE2_clEvEUlS7_S7_E_S7_EEDaPvRmT3_T4_T5_mT6_P12ihipStream_tbENKUlT_T0_E_clISt17integral_constantIbLb1EESY_IbLb0EEEEDaSU_SV_EUlSU_E0_NS1_11comp_targetILNS1_3genE4ELNS1_11target_archE910ELNS1_3gpuE8ELNS1_3repE0EEENS1_30default_config_static_selectorELNS0_4arch9wavefront6targetE1EEEvT1_
		.amdhsa_group_segment_fixed_size 0
		.amdhsa_private_segment_fixed_size 0
		.amdhsa_kernarg_size 40
		.amdhsa_user_sgpr_count 6
		.amdhsa_user_sgpr_private_segment_buffer 1
		.amdhsa_user_sgpr_dispatch_ptr 0
		.amdhsa_user_sgpr_queue_ptr 0
		.amdhsa_user_sgpr_kernarg_segment_ptr 1
		.amdhsa_user_sgpr_dispatch_id 0
		.amdhsa_user_sgpr_flat_scratch_init 0
		.amdhsa_user_sgpr_private_segment_size 0
		.amdhsa_uses_dynamic_stack 0
		.amdhsa_system_sgpr_private_segment_wavefront_offset 0
		.amdhsa_system_sgpr_workgroup_id_x 1
		.amdhsa_system_sgpr_workgroup_id_y 0
		.amdhsa_system_sgpr_workgroup_id_z 0
		.amdhsa_system_sgpr_workgroup_info 0
		.amdhsa_system_vgpr_workitem_id 0
		.amdhsa_next_free_vgpr 1
		.amdhsa_next_free_sgpr 0
		.amdhsa_reserve_vcc 0
		.amdhsa_reserve_flat_scratch 0
		.amdhsa_float_round_mode_32 0
		.amdhsa_float_round_mode_16_64 0
		.amdhsa_float_denorm_mode_32 3
		.amdhsa_float_denorm_mode_16_64 3
		.amdhsa_dx10_clamp 1
		.amdhsa_ieee_mode 1
		.amdhsa_fp16_overflow 0
		.amdhsa_exception_fp_ieee_invalid_op 0
		.amdhsa_exception_fp_denorm_src 0
		.amdhsa_exception_fp_ieee_div_zero 0
		.amdhsa_exception_fp_ieee_overflow 0
		.amdhsa_exception_fp_ieee_underflow 0
		.amdhsa_exception_fp_ieee_inexact 0
		.amdhsa_exception_int_div_zero 0
	.end_amdhsa_kernel
	.section	.text._ZN7rocprim17ROCPRIM_400000_NS6detail17trampoline_kernelINS0_14default_configENS1_20scan_config_selectorIN3c107complexIfEEEEZZNS1_9scan_implILNS1_25lookback_scan_determinismE0ELb0ELb0ES3_PKS7_PS7_S7_ZZZN2at6native31launch_logcumsumexp_cuda_kernelERKNSE_10TensorBaseESI_lENKUlvE_clEvENKUlvE2_clEvEUlS7_S7_E_S7_EEDaPvRmT3_T4_T5_mT6_P12ihipStream_tbENKUlT_T0_E_clISt17integral_constantIbLb1EESY_IbLb0EEEEDaSU_SV_EUlSU_E0_NS1_11comp_targetILNS1_3genE4ELNS1_11target_archE910ELNS1_3gpuE8ELNS1_3repE0EEENS1_30default_config_static_selectorELNS0_4arch9wavefront6targetE1EEEvT1_,"axG",@progbits,_ZN7rocprim17ROCPRIM_400000_NS6detail17trampoline_kernelINS0_14default_configENS1_20scan_config_selectorIN3c107complexIfEEEEZZNS1_9scan_implILNS1_25lookback_scan_determinismE0ELb0ELb0ES3_PKS7_PS7_S7_ZZZN2at6native31launch_logcumsumexp_cuda_kernelERKNSE_10TensorBaseESI_lENKUlvE_clEvENKUlvE2_clEvEUlS7_S7_E_S7_EEDaPvRmT3_T4_T5_mT6_P12ihipStream_tbENKUlT_T0_E_clISt17integral_constantIbLb1EESY_IbLb0EEEEDaSU_SV_EUlSU_E0_NS1_11comp_targetILNS1_3genE4ELNS1_11target_archE910ELNS1_3gpuE8ELNS1_3repE0EEENS1_30default_config_static_selectorELNS0_4arch9wavefront6targetE1EEEvT1_,comdat
.Lfunc_end321:
	.size	_ZN7rocprim17ROCPRIM_400000_NS6detail17trampoline_kernelINS0_14default_configENS1_20scan_config_selectorIN3c107complexIfEEEEZZNS1_9scan_implILNS1_25lookback_scan_determinismE0ELb0ELb0ES3_PKS7_PS7_S7_ZZZN2at6native31launch_logcumsumexp_cuda_kernelERKNSE_10TensorBaseESI_lENKUlvE_clEvENKUlvE2_clEvEUlS7_S7_E_S7_EEDaPvRmT3_T4_T5_mT6_P12ihipStream_tbENKUlT_T0_E_clISt17integral_constantIbLb1EESY_IbLb0EEEEDaSU_SV_EUlSU_E0_NS1_11comp_targetILNS1_3genE4ELNS1_11target_archE910ELNS1_3gpuE8ELNS1_3repE0EEENS1_30default_config_static_selectorELNS0_4arch9wavefront6targetE1EEEvT1_, .Lfunc_end321-_ZN7rocprim17ROCPRIM_400000_NS6detail17trampoline_kernelINS0_14default_configENS1_20scan_config_selectorIN3c107complexIfEEEEZZNS1_9scan_implILNS1_25lookback_scan_determinismE0ELb0ELb0ES3_PKS7_PS7_S7_ZZZN2at6native31launch_logcumsumexp_cuda_kernelERKNSE_10TensorBaseESI_lENKUlvE_clEvENKUlvE2_clEvEUlS7_S7_E_S7_EEDaPvRmT3_T4_T5_mT6_P12ihipStream_tbENKUlT_T0_E_clISt17integral_constantIbLb1EESY_IbLb0EEEEDaSU_SV_EUlSU_E0_NS1_11comp_targetILNS1_3genE4ELNS1_11target_archE910ELNS1_3gpuE8ELNS1_3repE0EEENS1_30default_config_static_selectorELNS0_4arch9wavefront6targetE1EEEvT1_
                                        ; -- End function
	.set _ZN7rocprim17ROCPRIM_400000_NS6detail17trampoline_kernelINS0_14default_configENS1_20scan_config_selectorIN3c107complexIfEEEEZZNS1_9scan_implILNS1_25lookback_scan_determinismE0ELb0ELb0ES3_PKS7_PS7_S7_ZZZN2at6native31launch_logcumsumexp_cuda_kernelERKNSE_10TensorBaseESI_lENKUlvE_clEvENKUlvE2_clEvEUlS7_S7_E_S7_EEDaPvRmT3_T4_T5_mT6_P12ihipStream_tbENKUlT_T0_E_clISt17integral_constantIbLb1EESY_IbLb0EEEEDaSU_SV_EUlSU_E0_NS1_11comp_targetILNS1_3genE4ELNS1_11target_archE910ELNS1_3gpuE8ELNS1_3repE0EEENS1_30default_config_static_selectorELNS0_4arch9wavefront6targetE1EEEvT1_.num_vgpr, 0
	.set _ZN7rocprim17ROCPRIM_400000_NS6detail17trampoline_kernelINS0_14default_configENS1_20scan_config_selectorIN3c107complexIfEEEEZZNS1_9scan_implILNS1_25lookback_scan_determinismE0ELb0ELb0ES3_PKS7_PS7_S7_ZZZN2at6native31launch_logcumsumexp_cuda_kernelERKNSE_10TensorBaseESI_lENKUlvE_clEvENKUlvE2_clEvEUlS7_S7_E_S7_EEDaPvRmT3_T4_T5_mT6_P12ihipStream_tbENKUlT_T0_E_clISt17integral_constantIbLb1EESY_IbLb0EEEEDaSU_SV_EUlSU_E0_NS1_11comp_targetILNS1_3genE4ELNS1_11target_archE910ELNS1_3gpuE8ELNS1_3repE0EEENS1_30default_config_static_selectorELNS0_4arch9wavefront6targetE1EEEvT1_.num_agpr, 0
	.set _ZN7rocprim17ROCPRIM_400000_NS6detail17trampoline_kernelINS0_14default_configENS1_20scan_config_selectorIN3c107complexIfEEEEZZNS1_9scan_implILNS1_25lookback_scan_determinismE0ELb0ELb0ES3_PKS7_PS7_S7_ZZZN2at6native31launch_logcumsumexp_cuda_kernelERKNSE_10TensorBaseESI_lENKUlvE_clEvENKUlvE2_clEvEUlS7_S7_E_S7_EEDaPvRmT3_T4_T5_mT6_P12ihipStream_tbENKUlT_T0_E_clISt17integral_constantIbLb1EESY_IbLb0EEEEDaSU_SV_EUlSU_E0_NS1_11comp_targetILNS1_3genE4ELNS1_11target_archE910ELNS1_3gpuE8ELNS1_3repE0EEENS1_30default_config_static_selectorELNS0_4arch9wavefront6targetE1EEEvT1_.numbered_sgpr, 0
	.set _ZN7rocprim17ROCPRIM_400000_NS6detail17trampoline_kernelINS0_14default_configENS1_20scan_config_selectorIN3c107complexIfEEEEZZNS1_9scan_implILNS1_25lookback_scan_determinismE0ELb0ELb0ES3_PKS7_PS7_S7_ZZZN2at6native31launch_logcumsumexp_cuda_kernelERKNSE_10TensorBaseESI_lENKUlvE_clEvENKUlvE2_clEvEUlS7_S7_E_S7_EEDaPvRmT3_T4_T5_mT6_P12ihipStream_tbENKUlT_T0_E_clISt17integral_constantIbLb1EESY_IbLb0EEEEDaSU_SV_EUlSU_E0_NS1_11comp_targetILNS1_3genE4ELNS1_11target_archE910ELNS1_3gpuE8ELNS1_3repE0EEENS1_30default_config_static_selectorELNS0_4arch9wavefront6targetE1EEEvT1_.num_named_barrier, 0
	.set _ZN7rocprim17ROCPRIM_400000_NS6detail17trampoline_kernelINS0_14default_configENS1_20scan_config_selectorIN3c107complexIfEEEEZZNS1_9scan_implILNS1_25lookback_scan_determinismE0ELb0ELb0ES3_PKS7_PS7_S7_ZZZN2at6native31launch_logcumsumexp_cuda_kernelERKNSE_10TensorBaseESI_lENKUlvE_clEvENKUlvE2_clEvEUlS7_S7_E_S7_EEDaPvRmT3_T4_T5_mT6_P12ihipStream_tbENKUlT_T0_E_clISt17integral_constantIbLb1EESY_IbLb0EEEEDaSU_SV_EUlSU_E0_NS1_11comp_targetILNS1_3genE4ELNS1_11target_archE910ELNS1_3gpuE8ELNS1_3repE0EEENS1_30default_config_static_selectorELNS0_4arch9wavefront6targetE1EEEvT1_.private_seg_size, 0
	.set _ZN7rocprim17ROCPRIM_400000_NS6detail17trampoline_kernelINS0_14default_configENS1_20scan_config_selectorIN3c107complexIfEEEEZZNS1_9scan_implILNS1_25lookback_scan_determinismE0ELb0ELb0ES3_PKS7_PS7_S7_ZZZN2at6native31launch_logcumsumexp_cuda_kernelERKNSE_10TensorBaseESI_lENKUlvE_clEvENKUlvE2_clEvEUlS7_S7_E_S7_EEDaPvRmT3_T4_T5_mT6_P12ihipStream_tbENKUlT_T0_E_clISt17integral_constantIbLb1EESY_IbLb0EEEEDaSU_SV_EUlSU_E0_NS1_11comp_targetILNS1_3genE4ELNS1_11target_archE910ELNS1_3gpuE8ELNS1_3repE0EEENS1_30default_config_static_selectorELNS0_4arch9wavefront6targetE1EEEvT1_.uses_vcc, 0
	.set _ZN7rocprim17ROCPRIM_400000_NS6detail17trampoline_kernelINS0_14default_configENS1_20scan_config_selectorIN3c107complexIfEEEEZZNS1_9scan_implILNS1_25lookback_scan_determinismE0ELb0ELb0ES3_PKS7_PS7_S7_ZZZN2at6native31launch_logcumsumexp_cuda_kernelERKNSE_10TensorBaseESI_lENKUlvE_clEvENKUlvE2_clEvEUlS7_S7_E_S7_EEDaPvRmT3_T4_T5_mT6_P12ihipStream_tbENKUlT_T0_E_clISt17integral_constantIbLb1EESY_IbLb0EEEEDaSU_SV_EUlSU_E0_NS1_11comp_targetILNS1_3genE4ELNS1_11target_archE910ELNS1_3gpuE8ELNS1_3repE0EEENS1_30default_config_static_selectorELNS0_4arch9wavefront6targetE1EEEvT1_.uses_flat_scratch, 0
	.set _ZN7rocprim17ROCPRIM_400000_NS6detail17trampoline_kernelINS0_14default_configENS1_20scan_config_selectorIN3c107complexIfEEEEZZNS1_9scan_implILNS1_25lookback_scan_determinismE0ELb0ELb0ES3_PKS7_PS7_S7_ZZZN2at6native31launch_logcumsumexp_cuda_kernelERKNSE_10TensorBaseESI_lENKUlvE_clEvENKUlvE2_clEvEUlS7_S7_E_S7_EEDaPvRmT3_T4_T5_mT6_P12ihipStream_tbENKUlT_T0_E_clISt17integral_constantIbLb1EESY_IbLb0EEEEDaSU_SV_EUlSU_E0_NS1_11comp_targetILNS1_3genE4ELNS1_11target_archE910ELNS1_3gpuE8ELNS1_3repE0EEENS1_30default_config_static_selectorELNS0_4arch9wavefront6targetE1EEEvT1_.has_dyn_sized_stack, 0
	.set _ZN7rocprim17ROCPRIM_400000_NS6detail17trampoline_kernelINS0_14default_configENS1_20scan_config_selectorIN3c107complexIfEEEEZZNS1_9scan_implILNS1_25lookback_scan_determinismE0ELb0ELb0ES3_PKS7_PS7_S7_ZZZN2at6native31launch_logcumsumexp_cuda_kernelERKNSE_10TensorBaseESI_lENKUlvE_clEvENKUlvE2_clEvEUlS7_S7_E_S7_EEDaPvRmT3_T4_T5_mT6_P12ihipStream_tbENKUlT_T0_E_clISt17integral_constantIbLb1EESY_IbLb0EEEEDaSU_SV_EUlSU_E0_NS1_11comp_targetILNS1_3genE4ELNS1_11target_archE910ELNS1_3gpuE8ELNS1_3repE0EEENS1_30default_config_static_selectorELNS0_4arch9wavefront6targetE1EEEvT1_.has_recursion, 0
	.set _ZN7rocprim17ROCPRIM_400000_NS6detail17trampoline_kernelINS0_14default_configENS1_20scan_config_selectorIN3c107complexIfEEEEZZNS1_9scan_implILNS1_25lookback_scan_determinismE0ELb0ELb0ES3_PKS7_PS7_S7_ZZZN2at6native31launch_logcumsumexp_cuda_kernelERKNSE_10TensorBaseESI_lENKUlvE_clEvENKUlvE2_clEvEUlS7_S7_E_S7_EEDaPvRmT3_T4_T5_mT6_P12ihipStream_tbENKUlT_T0_E_clISt17integral_constantIbLb1EESY_IbLb0EEEEDaSU_SV_EUlSU_E0_NS1_11comp_targetILNS1_3genE4ELNS1_11target_archE910ELNS1_3gpuE8ELNS1_3repE0EEENS1_30default_config_static_selectorELNS0_4arch9wavefront6targetE1EEEvT1_.has_indirect_call, 0
	.section	.AMDGPU.csdata,"",@progbits
; Kernel info:
; codeLenInByte = 0
; TotalNumSgprs: 4
; NumVgprs: 0
; ScratchSize: 0
; MemoryBound: 0
; FloatMode: 240
; IeeeMode: 1
; LDSByteSize: 0 bytes/workgroup (compile time only)
; SGPRBlocks: 0
; VGPRBlocks: 0
; NumSGPRsForWavesPerEU: 4
; NumVGPRsForWavesPerEU: 1
; Occupancy: 10
; WaveLimiterHint : 0
; COMPUTE_PGM_RSRC2:SCRATCH_EN: 0
; COMPUTE_PGM_RSRC2:USER_SGPR: 6
; COMPUTE_PGM_RSRC2:TRAP_HANDLER: 0
; COMPUTE_PGM_RSRC2:TGID_X_EN: 1
; COMPUTE_PGM_RSRC2:TGID_Y_EN: 0
; COMPUTE_PGM_RSRC2:TGID_Z_EN: 0
; COMPUTE_PGM_RSRC2:TIDIG_COMP_CNT: 0
	.section	.text._ZN7rocprim17ROCPRIM_400000_NS6detail17trampoline_kernelINS0_14default_configENS1_20scan_config_selectorIN3c107complexIfEEEEZZNS1_9scan_implILNS1_25lookback_scan_determinismE0ELb0ELb0ES3_PKS7_PS7_S7_ZZZN2at6native31launch_logcumsumexp_cuda_kernelERKNSE_10TensorBaseESI_lENKUlvE_clEvENKUlvE2_clEvEUlS7_S7_E_S7_EEDaPvRmT3_T4_T5_mT6_P12ihipStream_tbENKUlT_T0_E_clISt17integral_constantIbLb1EESY_IbLb0EEEEDaSU_SV_EUlSU_E0_NS1_11comp_targetILNS1_3genE3ELNS1_11target_archE908ELNS1_3gpuE7ELNS1_3repE0EEENS1_30default_config_static_selectorELNS0_4arch9wavefront6targetE1EEEvT1_,"axG",@progbits,_ZN7rocprim17ROCPRIM_400000_NS6detail17trampoline_kernelINS0_14default_configENS1_20scan_config_selectorIN3c107complexIfEEEEZZNS1_9scan_implILNS1_25lookback_scan_determinismE0ELb0ELb0ES3_PKS7_PS7_S7_ZZZN2at6native31launch_logcumsumexp_cuda_kernelERKNSE_10TensorBaseESI_lENKUlvE_clEvENKUlvE2_clEvEUlS7_S7_E_S7_EEDaPvRmT3_T4_T5_mT6_P12ihipStream_tbENKUlT_T0_E_clISt17integral_constantIbLb1EESY_IbLb0EEEEDaSU_SV_EUlSU_E0_NS1_11comp_targetILNS1_3genE3ELNS1_11target_archE908ELNS1_3gpuE7ELNS1_3repE0EEENS1_30default_config_static_selectorELNS0_4arch9wavefront6targetE1EEEvT1_,comdat
	.globl	_ZN7rocprim17ROCPRIM_400000_NS6detail17trampoline_kernelINS0_14default_configENS1_20scan_config_selectorIN3c107complexIfEEEEZZNS1_9scan_implILNS1_25lookback_scan_determinismE0ELb0ELb0ES3_PKS7_PS7_S7_ZZZN2at6native31launch_logcumsumexp_cuda_kernelERKNSE_10TensorBaseESI_lENKUlvE_clEvENKUlvE2_clEvEUlS7_S7_E_S7_EEDaPvRmT3_T4_T5_mT6_P12ihipStream_tbENKUlT_T0_E_clISt17integral_constantIbLb1EESY_IbLb0EEEEDaSU_SV_EUlSU_E0_NS1_11comp_targetILNS1_3genE3ELNS1_11target_archE908ELNS1_3gpuE7ELNS1_3repE0EEENS1_30default_config_static_selectorELNS0_4arch9wavefront6targetE1EEEvT1_ ; -- Begin function _ZN7rocprim17ROCPRIM_400000_NS6detail17trampoline_kernelINS0_14default_configENS1_20scan_config_selectorIN3c107complexIfEEEEZZNS1_9scan_implILNS1_25lookback_scan_determinismE0ELb0ELb0ES3_PKS7_PS7_S7_ZZZN2at6native31launch_logcumsumexp_cuda_kernelERKNSE_10TensorBaseESI_lENKUlvE_clEvENKUlvE2_clEvEUlS7_S7_E_S7_EEDaPvRmT3_T4_T5_mT6_P12ihipStream_tbENKUlT_T0_E_clISt17integral_constantIbLb1EESY_IbLb0EEEEDaSU_SV_EUlSU_E0_NS1_11comp_targetILNS1_3genE3ELNS1_11target_archE908ELNS1_3gpuE7ELNS1_3repE0EEENS1_30default_config_static_selectorELNS0_4arch9wavefront6targetE1EEEvT1_
	.p2align	8
	.type	_ZN7rocprim17ROCPRIM_400000_NS6detail17trampoline_kernelINS0_14default_configENS1_20scan_config_selectorIN3c107complexIfEEEEZZNS1_9scan_implILNS1_25lookback_scan_determinismE0ELb0ELb0ES3_PKS7_PS7_S7_ZZZN2at6native31launch_logcumsumexp_cuda_kernelERKNSE_10TensorBaseESI_lENKUlvE_clEvENKUlvE2_clEvEUlS7_S7_E_S7_EEDaPvRmT3_T4_T5_mT6_P12ihipStream_tbENKUlT_T0_E_clISt17integral_constantIbLb1EESY_IbLb0EEEEDaSU_SV_EUlSU_E0_NS1_11comp_targetILNS1_3genE3ELNS1_11target_archE908ELNS1_3gpuE7ELNS1_3repE0EEENS1_30default_config_static_selectorELNS0_4arch9wavefront6targetE1EEEvT1_,@function
_ZN7rocprim17ROCPRIM_400000_NS6detail17trampoline_kernelINS0_14default_configENS1_20scan_config_selectorIN3c107complexIfEEEEZZNS1_9scan_implILNS1_25lookback_scan_determinismE0ELb0ELb0ES3_PKS7_PS7_S7_ZZZN2at6native31launch_logcumsumexp_cuda_kernelERKNSE_10TensorBaseESI_lENKUlvE_clEvENKUlvE2_clEvEUlS7_S7_E_S7_EEDaPvRmT3_T4_T5_mT6_P12ihipStream_tbENKUlT_T0_E_clISt17integral_constantIbLb1EESY_IbLb0EEEEDaSU_SV_EUlSU_E0_NS1_11comp_targetILNS1_3genE3ELNS1_11target_archE908ELNS1_3gpuE7ELNS1_3repE0EEENS1_30default_config_static_selectorELNS0_4arch9wavefront6targetE1EEEvT1_: ; @_ZN7rocprim17ROCPRIM_400000_NS6detail17trampoline_kernelINS0_14default_configENS1_20scan_config_selectorIN3c107complexIfEEEEZZNS1_9scan_implILNS1_25lookback_scan_determinismE0ELb0ELb0ES3_PKS7_PS7_S7_ZZZN2at6native31launch_logcumsumexp_cuda_kernelERKNSE_10TensorBaseESI_lENKUlvE_clEvENKUlvE2_clEvEUlS7_S7_E_S7_EEDaPvRmT3_T4_T5_mT6_P12ihipStream_tbENKUlT_T0_E_clISt17integral_constantIbLb1EESY_IbLb0EEEEDaSU_SV_EUlSU_E0_NS1_11comp_targetILNS1_3genE3ELNS1_11target_archE908ELNS1_3gpuE7ELNS1_3repE0EEENS1_30default_config_static_selectorELNS0_4arch9wavefront6targetE1EEEvT1_
; %bb.0:
	.section	.rodata,"a",@progbits
	.p2align	6, 0x0
	.amdhsa_kernel _ZN7rocprim17ROCPRIM_400000_NS6detail17trampoline_kernelINS0_14default_configENS1_20scan_config_selectorIN3c107complexIfEEEEZZNS1_9scan_implILNS1_25lookback_scan_determinismE0ELb0ELb0ES3_PKS7_PS7_S7_ZZZN2at6native31launch_logcumsumexp_cuda_kernelERKNSE_10TensorBaseESI_lENKUlvE_clEvENKUlvE2_clEvEUlS7_S7_E_S7_EEDaPvRmT3_T4_T5_mT6_P12ihipStream_tbENKUlT_T0_E_clISt17integral_constantIbLb1EESY_IbLb0EEEEDaSU_SV_EUlSU_E0_NS1_11comp_targetILNS1_3genE3ELNS1_11target_archE908ELNS1_3gpuE7ELNS1_3repE0EEENS1_30default_config_static_selectorELNS0_4arch9wavefront6targetE1EEEvT1_
		.amdhsa_group_segment_fixed_size 0
		.amdhsa_private_segment_fixed_size 0
		.amdhsa_kernarg_size 40
		.amdhsa_user_sgpr_count 6
		.amdhsa_user_sgpr_private_segment_buffer 1
		.amdhsa_user_sgpr_dispatch_ptr 0
		.amdhsa_user_sgpr_queue_ptr 0
		.amdhsa_user_sgpr_kernarg_segment_ptr 1
		.amdhsa_user_sgpr_dispatch_id 0
		.amdhsa_user_sgpr_flat_scratch_init 0
		.amdhsa_user_sgpr_private_segment_size 0
		.amdhsa_uses_dynamic_stack 0
		.amdhsa_system_sgpr_private_segment_wavefront_offset 0
		.amdhsa_system_sgpr_workgroup_id_x 1
		.amdhsa_system_sgpr_workgroup_id_y 0
		.amdhsa_system_sgpr_workgroup_id_z 0
		.amdhsa_system_sgpr_workgroup_info 0
		.amdhsa_system_vgpr_workitem_id 0
		.amdhsa_next_free_vgpr 1
		.amdhsa_next_free_sgpr 0
		.amdhsa_reserve_vcc 0
		.amdhsa_reserve_flat_scratch 0
		.amdhsa_float_round_mode_32 0
		.amdhsa_float_round_mode_16_64 0
		.amdhsa_float_denorm_mode_32 3
		.amdhsa_float_denorm_mode_16_64 3
		.amdhsa_dx10_clamp 1
		.amdhsa_ieee_mode 1
		.amdhsa_fp16_overflow 0
		.amdhsa_exception_fp_ieee_invalid_op 0
		.amdhsa_exception_fp_denorm_src 0
		.amdhsa_exception_fp_ieee_div_zero 0
		.amdhsa_exception_fp_ieee_overflow 0
		.amdhsa_exception_fp_ieee_underflow 0
		.amdhsa_exception_fp_ieee_inexact 0
		.amdhsa_exception_int_div_zero 0
	.end_amdhsa_kernel
	.section	.text._ZN7rocprim17ROCPRIM_400000_NS6detail17trampoline_kernelINS0_14default_configENS1_20scan_config_selectorIN3c107complexIfEEEEZZNS1_9scan_implILNS1_25lookback_scan_determinismE0ELb0ELb0ES3_PKS7_PS7_S7_ZZZN2at6native31launch_logcumsumexp_cuda_kernelERKNSE_10TensorBaseESI_lENKUlvE_clEvENKUlvE2_clEvEUlS7_S7_E_S7_EEDaPvRmT3_T4_T5_mT6_P12ihipStream_tbENKUlT_T0_E_clISt17integral_constantIbLb1EESY_IbLb0EEEEDaSU_SV_EUlSU_E0_NS1_11comp_targetILNS1_3genE3ELNS1_11target_archE908ELNS1_3gpuE7ELNS1_3repE0EEENS1_30default_config_static_selectorELNS0_4arch9wavefront6targetE1EEEvT1_,"axG",@progbits,_ZN7rocprim17ROCPRIM_400000_NS6detail17trampoline_kernelINS0_14default_configENS1_20scan_config_selectorIN3c107complexIfEEEEZZNS1_9scan_implILNS1_25lookback_scan_determinismE0ELb0ELb0ES3_PKS7_PS7_S7_ZZZN2at6native31launch_logcumsumexp_cuda_kernelERKNSE_10TensorBaseESI_lENKUlvE_clEvENKUlvE2_clEvEUlS7_S7_E_S7_EEDaPvRmT3_T4_T5_mT6_P12ihipStream_tbENKUlT_T0_E_clISt17integral_constantIbLb1EESY_IbLb0EEEEDaSU_SV_EUlSU_E0_NS1_11comp_targetILNS1_3genE3ELNS1_11target_archE908ELNS1_3gpuE7ELNS1_3repE0EEENS1_30default_config_static_selectorELNS0_4arch9wavefront6targetE1EEEvT1_,comdat
.Lfunc_end322:
	.size	_ZN7rocprim17ROCPRIM_400000_NS6detail17trampoline_kernelINS0_14default_configENS1_20scan_config_selectorIN3c107complexIfEEEEZZNS1_9scan_implILNS1_25lookback_scan_determinismE0ELb0ELb0ES3_PKS7_PS7_S7_ZZZN2at6native31launch_logcumsumexp_cuda_kernelERKNSE_10TensorBaseESI_lENKUlvE_clEvENKUlvE2_clEvEUlS7_S7_E_S7_EEDaPvRmT3_T4_T5_mT6_P12ihipStream_tbENKUlT_T0_E_clISt17integral_constantIbLb1EESY_IbLb0EEEEDaSU_SV_EUlSU_E0_NS1_11comp_targetILNS1_3genE3ELNS1_11target_archE908ELNS1_3gpuE7ELNS1_3repE0EEENS1_30default_config_static_selectorELNS0_4arch9wavefront6targetE1EEEvT1_, .Lfunc_end322-_ZN7rocprim17ROCPRIM_400000_NS6detail17trampoline_kernelINS0_14default_configENS1_20scan_config_selectorIN3c107complexIfEEEEZZNS1_9scan_implILNS1_25lookback_scan_determinismE0ELb0ELb0ES3_PKS7_PS7_S7_ZZZN2at6native31launch_logcumsumexp_cuda_kernelERKNSE_10TensorBaseESI_lENKUlvE_clEvENKUlvE2_clEvEUlS7_S7_E_S7_EEDaPvRmT3_T4_T5_mT6_P12ihipStream_tbENKUlT_T0_E_clISt17integral_constantIbLb1EESY_IbLb0EEEEDaSU_SV_EUlSU_E0_NS1_11comp_targetILNS1_3genE3ELNS1_11target_archE908ELNS1_3gpuE7ELNS1_3repE0EEENS1_30default_config_static_selectorELNS0_4arch9wavefront6targetE1EEEvT1_
                                        ; -- End function
	.set _ZN7rocprim17ROCPRIM_400000_NS6detail17trampoline_kernelINS0_14default_configENS1_20scan_config_selectorIN3c107complexIfEEEEZZNS1_9scan_implILNS1_25lookback_scan_determinismE0ELb0ELb0ES3_PKS7_PS7_S7_ZZZN2at6native31launch_logcumsumexp_cuda_kernelERKNSE_10TensorBaseESI_lENKUlvE_clEvENKUlvE2_clEvEUlS7_S7_E_S7_EEDaPvRmT3_T4_T5_mT6_P12ihipStream_tbENKUlT_T0_E_clISt17integral_constantIbLb1EESY_IbLb0EEEEDaSU_SV_EUlSU_E0_NS1_11comp_targetILNS1_3genE3ELNS1_11target_archE908ELNS1_3gpuE7ELNS1_3repE0EEENS1_30default_config_static_selectorELNS0_4arch9wavefront6targetE1EEEvT1_.num_vgpr, 0
	.set _ZN7rocprim17ROCPRIM_400000_NS6detail17trampoline_kernelINS0_14default_configENS1_20scan_config_selectorIN3c107complexIfEEEEZZNS1_9scan_implILNS1_25lookback_scan_determinismE0ELb0ELb0ES3_PKS7_PS7_S7_ZZZN2at6native31launch_logcumsumexp_cuda_kernelERKNSE_10TensorBaseESI_lENKUlvE_clEvENKUlvE2_clEvEUlS7_S7_E_S7_EEDaPvRmT3_T4_T5_mT6_P12ihipStream_tbENKUlT_T0_E_clISt17integral_constantIbLb1EESY_IbLb0EEEEDaSU_SV_EUlSU_E0_NS1_11comp_targetILNS1_3genE3ELNS1_11target_archE908ELNS1_3gpuE7ELNS1_3repE0EEENS1_30default_config_static_selectorELNS0_4arch9wavefront6targetE1EEEvT1_.num_agpr, 0
	.set _ZN7rocprim17ROCPRIM_400000_NS6detail17trampoline_kernelINS0_14default_configENS1_20scan_config_selectorIN3c107complexIfEEEEZZNS1_9scan_implILNS1_25lookback_scan_determinismE0ELb0ELb0ES3_PKS7_PS7_S7_ZZZN2at6native31launch_logcumsumexp_cuda_kernelERKNSE_10TensorBaseESI_lENKUlvE_clEvENKUlvE2_clEvEUlS7_S7_E_S7_EEDaPvRmT3_T4_T5_mT6_P12ihipStream_tbENKUlT_T0_E_clISt17integral_constantIbLb1EESY_IbLb0EEEEDaSU_SV_EUlSU_E0_NS1_11comp_targetILNS1_3genE3ELNS1_11target_archE908ELNS1_3gpuE7ELNS1_3repE0EEENS1_30default_config_static_selectorELNS0_4arch9wavefront6targetE1EEEvT1_.numbered_sgpr, 0
	.set _ZN7rocprim17ROCPRIM_400000_NS6detail17trampoline_kernelINS0_14default_configENS1_20scan_config_selectorIN3c107complexIfEEEEZZNS1_9scan_implILNS1_25lookback_scan_determinismE0ELb0ELb0ES3_PKS7_PS7_S7_ZZZN2at6native31launch_logcumsumexp_cuda_kernelERKNSE_10TensorBaseESI_lENKUlvE_clEvENKUlvE2_clEvEUlS7_S7_E_S7_EEDaPvRmT3_T4_T5_mT6_P12ihipStream_tbENKUlT_T0_E_clISt17integral_constantIbLb1EESY_IbLb0EEEEDaSU_SV_EUlSU_E0_NS1_11comp_targetILNS1_3genE3ELNS1_11target_archE908ELNS1_3gpuE7ELNS1_3repE0EEENS1_30default_config_static_selectorELNS0_4arch9wavefront6targetE1EEEvT1_.num_named_barrier, 0
	.set _ZN7rocprim17ROCPRIM_400000_NS6detail17trampoline_kernelINS0_14default_configENS1_20scan_config_selectorIN3c107complexIfEEEEZZNS1_9scan_implILNS1_25lookback_scan_determinismE0ELb0ELb0ES3_PKS7_PS7_S7_ZZZN2at6native31launch_logcumsumexp_cuda_kernelERKNSE_10TensorBaseESI_lENKUlvE_clEvENKUlvE2_clEvEUlS7_S7_E_S7_EEDaPvRmT3_T4_T5_mT6_P12ihipStream_tbENKUlT_T0_E_clISt17integral_constantIbLb1EESY_IbLb0EEEEDaSU_SV_EUlSU_E0_NS1_11comp_targetILNS1_3genE3ELNS1_11target_archE908ELNS1_3gpuE7ELNS1_3repE0EEENS1_30default_config_static_selectorELNS0_4arch9wavefront6targetE1EEEvT1_.private_seg_size, 0
	.set _ZN7rocprim17ROCPRIM_400000_NS6detail17trampoline_kernelINS0_14default_configENS1_20scan_config_selectorIN3c107complexIfEEEEZZNS1_9scan_implILNS1_25lookback_scan_determinismE0ELb0ELb0ES3_PKS7_PS7_S7_ZZZN2at6native31launch_logcumsumexp_cuda_kernelERKNSE_10TensorBaseESI_lENKUlvE_clEvENKUlvE2_clEvEUlS7_S7_E_S7_EEDaPvRmT3_T4_T5_mT6_P12ihipStream_tbENKUlT_T0_E_clISt17integral_constantIbLb1EESY_IbLb0EEEEDaSU_SV_EUlSU_E0_NS1_11comp_targetILNS1_3genE3ELNS1_11target_archE908ELNS1_3gpuE7ELNS1_3repE0EEENS1_30default_config_static_selectorELNS0_4arch9wavefront6targetE1EEEvT1_.uses_vcc, 0
	.set _ZN7rocprim17ROCPRIM_400000_NS6detail17trampoline_kernelINS0_14default_configENS1_20scan_config_selectorIN3c107complexIfEEEEZZNS1_9scan_implILNS1_25lookback_scan_determinismE0ELb0ELb0ES3_PKS7_PS7_S7_ZZZN2at6native31launch_logcumsumexp_cuda_kernelERKNSE_10TensorBaseESI_lENKUlvE_clEvENKUlvE2_clEvEUlS7_S7_E_S7_EEDaPvRmT3_T4_T5_mT6_P12ihipStream_tbENKUlT_T0_E_clISt17integral_constantIbLb1EESY_IbLb0EEEEDaSU_SV_EUlSU_E0_NS1_11comp_targetILNS1_3genE3ELNS1_11target_archE908ELNS1_3gpuE7ELNS1_3repE0EEENS1_30default_config_static_selectorELNS0_4arch9wavefront6targetE1EEEvT1_.uses_flat_scratch, 0
	.set _ZN7rocprim17ROCPRIM_400000_NS6detail17trampoline_kernelINS0_14default_configENS1_20scan_config_selectorIN3c107complexIfEEEEZZNS1_9scan_implILNS1_25lookback_scan_determinismE0ELb0ELb0ES3_PKS7_PS7_S7_ZZZN2at6native31launch_logcumsumexp_cuda_kernelERKNSE_10TensorBaseESI_lENKUlvE_clEvENKUlvE2_clEvEUlS7_S7_E_S7_EEDaPvRmT3_T4_T5_mT6_P12ihipStream_tbENKUlT_T0_E_clISt17integral_constantIbLb1EESY_IbLb0EEEEDaSU_SV_EUlSU_E0_NS1_11comp_targetILNS1_3genE3ELNS1_11target_archE908ELNS1_3gpuE7ELNS1_3repE0EEENS1_30default_config_static_selectorELNS0_4arch9wavefront6targetE1EEEvT1_.has_dyn_sized_stack, 0
	.set _ZN7rocprim17ROCPRIM_400000_NS6detail17trampoline_kernelINS0_14default_configENS1_20scan_config_selectorIN3c107complexIfEEEEZZNS1_9scan_implILNS1_25lookback_scan_determinismE0ELb0ELb0ES3_PKS7_PS7_S7_ZZZN2at6native31launch_logcumsumexp_cuda_kernelERKNSE_10TensorBaseESI_lENKUlvE_clEvENKUlvE2_clEvEUlS7_S7_E_S7_EEDaPvRmT3_T4_T5_mT6_P12ihipStream_tbENKUlT_T0_E_clISt17integral_constantIbLb1EESY_IbLb0EEEEDaSU_SV_EUlSU_E0_NS1_11comp_targetILNS1_3genE3ELNS1_11target_archE908ELNS1_3gpuE7ELNS1_3repE0EEENS1_30default_config_static_selectorELNS0_4arch9wavefront6targetE1EEEvT1_.has_recursion, 0
	.set _ZN7rocprim17ROCPRIM_400000_NS6detail17trampoline_kernelINS0_14default_configENS1_20scan_config_selectorIN3c107complexIfEEEEZZNS1_9scan_implILNS1_25lookback_scan_determinismE0ELb0ELb0ES3_PKS7_PS7_S7_ZZZN2at6native31launch_logcumsumexp_cuda_kernelERKNSE_10TensorBaseESI_lENKUlvE_clEvENKUlvE2_clEvEUlS7_S7_E_S7_EEDaPvRmT3_T4_T5_mT6_P12ihipStream_tbENKUlT_T0_E_clISt17integral_constantIbLb1EESY_IbLb0EEEEDaSU_SV_EUlSU_E0_NS1_11comp_targetILNS1_3genE3ELNS1_11target_archE908ELNS1_3gpuE7ELNS1_3repE0EEENS1_30default_config_static_selectorELNS0_4arch9wavefront6targetE1EEEvT1_.has_indirect_call, 0
	.section	.AMDGPU.csdata,"",@progbits
; Kernel info:
; codeLenInByte = 0
; TotalNumSgprs: 4
; NumVgprs: 0
; ScratchSize: 0
; MemoryBound: 0
; FloatMode: 240
; IeeeMode: 1
; LDSByteSize: 0 bytes/workgroup (compile time only)
; SGPRBlocks: 0
; VGPRBlocks: 0
; NumSGPRsForWavesPerEU: 4
; NumVGPRsForWavesPerEU: 1
; Occupancy: 10
; WaveLimiterHint : 0
; COMPUTE_PGM_RSRC2:SCRATCH_EN: 0
; COMPUTE_PGM_RSRC2:USER_SGPR: 6
; COMPUTE_PGM_RSRC2:TRAP_HANDLER: 0
; COMPUTE_PGM_RSRC2:TGID_X_EN: 1
; COMPUTE_PGM_RSRC2:TGID_Y_EN: 0
; COMPUTE_PGM_RSRC2:TGID_Z_EN: 0
; COMPUTE_PGM_RSRC2:TIDIG_COMP_CNT: 0
	.section	.text._ZN7rocprim17ROCPRIM_400000_NS6detail17trampoline_kernelINS0_14default_configENS1_20scan_config_selectorIN3c107complexIfEEEEZZNS1_9scan_implILNS1_25lookback_scan_determinismE0ELb0ELb0ES3_PKS7_PS7_S7_ZZZN2at6native31launch_logcumsumexp_cuda_kernelERKNSE_10TensorBaseESI_lENKUlvE_clEvENKUlvE2_clEvEUlS7_S7_E_S7_EEDaPvRmT3_T4_T5_mT6_P12ihipStream_tbENKUlT_T0_E_clISt17integral_constantIbLb1EESY_IbLb0EEEEDaSU_SV_EUlSU_E0_NS1_11comp_targetILNS1_3genE2ELNS1_11target_archE906ELNS1_3gpuE6ELNS1_3repE0EEENS1_30default_config_static_selectorELNS0_4arch9wavefront6targetE1EEEvT1_,"axG",@progbits,_ZN7rocprim17ROCPRIM_400000_NS6detail17trampoline_kernelINS0_14default_configENS1_20scan_config_selectorIN3c107complexIfEEEEZZNS1_9scan_implILNS1_25lookback_scan_determinismE0ELb0ELb0ES3_PKS7_PS7_S7_ZZZN2at6native31launch_logcumsumexp_cuda_kernelERKNSE_10TensorBaseESI_lENKUlvE_clEvENKUlvE2_clEvEUlS7_S7_E_S7_EEDaPvRmT3_T4_T5_mT6_P12ihipStream_tbENKUlT_T0_E_clISt17integral_constantIbLb1EESY_IbLb0EEEEDaSU_SV_EUlSU_E0_NS1_11comp_targetILNS1_3genE2ELNS1_11target_archE906ELNS1_3gpuE6ELNS1_3repE0EEENS1_30default_config_static_selectorELNS0_4arch9wavefront6targetE1EEEvT1_,comdat
	.globl	_ZN7rocprim17ROCPRIM_400000_NS6detail17trampoline_kernelINS0_14default_configENS1_20scan_config_selectorIN3c107complexIfEEEEZZNS1_9scan_implILNS1_25lookback_scan_determinismE0ELb0ELb0ES3_PKS7_PS7_S7_ZZZN2at6native31launch_logcumsumexp_cuda_kernelERKNSE_10TensorBaseESI_lENKUlvE_clEvENKUlvE2_clEvEUlS7_S7_E_S7_EEDaPvRmT3_T4_T5_mT6_P12ihipStream_tbENKUlT_T0_E_clISt17integral_constantIbLb1EESY_IbLb0EEEEDaSU_SV_EUlSU_E0_NS1_11comp_targetILNS1_3genE2ELNS1_11target_archE906ELNS1_3gpuE6ELNS1_3repE0EEENS1_30default_config_static_selectorELNS0_4arch9wavefront6targetE1EEEvT1_ ; -- Begin function _ZN7rocprim17ROCPRIM_400000_NS6detail17trampoline_kernelINS0_14default_configENS1_20scan_config_selectorIN3c107complexIfEEEEZZNS1_9scan_implILNS1_25lookback_scan_determinismE0ELb0ELb0ES3_PKS7_PS7_S7_ZZZN2at6native31launch_logcumsumexp_cuda_kernelERKNSE_10TensorBaseESI_lENKUlvE_clEvENKUlvE2_clEvEUlS7_S7_E_S7_EEDaPvRmT3_T4_T5_mT6_P12ihipStream_tbENKUlT_T0_E_clISt17integral_constantIbLb1EESY_IbLb0EEEEDaSU_SV_EUlSU_E0_NS1_11comp_targetILNS1_3genE2ELNS1_11target_archE906ELNS1_3gpuE6ELNS1_3repE0EEENS1_30default_config_static_selectorELNS0_4arch9wavefront6targetE1EEEvT1_
	.p2align	8
	.type	_ZN7rocprim17ROCPRIM_400000_NS6detail17trampoline_kernelINS0_14default_configENS1_20scan_config_selectorIN3c107complexIfEEEEZZNS1_9scan_implILNS1_25lookback_scan_determinismE0ELb0ELb0ES3_PKS7_PS7_S7_ZZZN2at6native31launch_logcumsumexp_cuda_kernelERKNSE_10TensorBaseESI_lENKUlvE_clEvENKUlvE2_clEvEUlS7_S7_E_S7_EEDaPvRmT3_T4_T5_mT6_P12ihipStream_tbENKUlT_T0_E_clISt17integral_constantIbLb1EESY_IbLb0EEEEDaSU_SV_EUlSU_E0_NS1_11comp_targetILNS1_3genE2ELNS1_11target_archE906ELNS1_3gpuE6ELNS1_3repE0EEENS1_30default_config_static_selectorELNS0_4arch9wavefront6targetE1EEEvT1_,@function
_ZN7rocprim17ROCPRIM_400000_NS6detail17trampoline_kernelINS0_14default_configENS1_20scan_config_selectorIN3c107complexIfEEEEZZNS1_9scan_implILNS1_25lookback_scan_determinismE0ELb0ELb0ES3_PKS7_PS7_S7_ZZZN2at6native31launch_logcumsumexp_cuda_kernelERKNSE_10TensorBaseESI_lENKUlvE_clEvENKUlvE2_clEvEUlS7_S7_E_S7_EEDaPvRmT3_T4_T5_mT6_P12ihipStream_tbENKUlT_T0_E_clISt17integral_constantIbLb1EESY_IbLb0EEEEDaSU_SV_EUlSU_E0_NS1_11comp_targetILNS1_3genE2ELNS1_11target_archE906ELNS1_3gpuE6ELNS1_3repE0EEENS1_30default_config_static_selectorELNS0_4arch9wavefront6targetE1EEEvT1_: ; @_ZN7rocprim17ROCPRIM_400000_NS6detail17trampoline_kernelINS0_14default_configENS1_20scan_config_selectorIN3c107complexIfEEEEZZNS1_9scan_implILNS1_25lookback_scan_determinismE0ELb0ELb0ES3_PKS7_PS7_S7_ZZZN2at6native31launch_logcumsumexp_cuda_kernelERKNSE_10TensorBaseESI_lENKUlvE_clEvENKUlvE2_clEvEUlS7_S7_E_S7_EEDaPvRmT3_T4_T5_mT6_P12ihipStream_tbENKUlT_T0_E_clISt17integral_constantIbLb1EESY_IbLb0EEEEDaSU_SV_EUlSU_E0_NS1_11comp_targetILNS1_3genE2ELNS1_11target_archE906ELNS1_3gpuE6ELNS1_3repE0EEENS1_30default_config_static_selectorELNS0_4arch9wavefront6targetE1EEEvT1_
; %bb.0:
	s_mov_b64 s[52:53], s[4:5]
	s_add_u32 s0, s0, s7
	s_load_dwordx4 s[4:7], s[52:53], 0x0
	v_mov_b32_e32 v74, v0
	s_addc_u32 s1, s1, 0
	v_lshlrev_b32_e32 v77, 3, v74
	s_mov_b32 s32, 0
	s_waitcnt lgkmcnt(0)
	s_load_dwordx2 s[8:9], s[4:5], 0x0
	v_cmp_gt_u32_e64 s[20:21], s6, v74
	s_waitcnt lgkmcnt(0)
	v_mov_b32_e32 v1, s9
	v_mov_b32_e32 v0, s8
	s_and_saveexec_b64 s[10:11], s[20:21]
	s_cbranch_execz .LBB323_2
; %bb.1:
	global_load_dwordx2 v[0:1], v77, s[4:5]
.LBB323_2:
	s_or_b64 exec, exec, s[10:11]
	v_or_b32_e32 v2, 64, v74
	v_cmp_gt_u32_e64 s[22:23], s6, v2
	v_mov_b32_e32 v3, s9
	v_mov_b32_e32 v2, s8
	s_and_saveexec_b64 s[10:11], s[22:23]
	s_cbranch_execz .LBB323_4
; %bb.3:
	global_load_dwordx2 v[2:3], v77, s[4:5] offset:512
.LBB323_4:
	s_or_b64 exec, exec, s[10:11]
	v_or_b32_e32 v4, 0x80, v74
	v_cmp_gt_u32_e64 s[24:25], s6, v4
	v_mov_b32_e32 v5, s9
	v_mov_b32_e32 v4, s8
	s_and_saveexec_b64 s[10:11], s[24:25]
	s_cbranch_execz .LBB323_6
; %bb.5:
	global_load_dwordx2 v[4:5], v77, s[4:5] offset:1024
.LBB323_6:
	;; [unrolled: 10-line block ×7, first 2 shown]
	s_or_b64 exec, exec, s[10:11]
	v_or_b32_e32 v18, 0x200, v74
	v_cmp_gt_u32_e64 s[40:41], s6, v18
	v_mov_b32_e32 v17, s9
	v_mov_b32_e32 v16, s8
	s_and_saveexec_b64 s[10:11], s[40:41]
	s_cbranch_execz .LBB323_18
; %bb.17:
	v_lshlrev_b32_e32 v16, 3, v18
	global_load_dwordx2 v[16:17], v16, s[4:5]
.LBB323_18:
	s_or_b64 exec, exec, s[10:11]
	v_or_b32_e32 v20, 0x240, v74
	v_cmp_gt_u32_e64 s[42:43], s6, v20
	v_mov_b32_e32 v19, s9
	v_mov_b32_e32 v18, s8
	s_and_saveexec_b64 s[10:11], s[42:43]
	s_cbranch_execz .LBB323_20
; %bb.19:
	v_lshlrev_b32_e32 v18, 3, v20
	global_load_dwordx2 v[18:19], v18, s[4:5]
.LBB323_20:
	;; [unrolled: 11-line block ×6, first 2 shown]
	s_or_b64 exec, exec, s[6:7]
	s_movk_i32 s4, 0x68
	s_waitcnt vmcnt(0)
	ds_write2st64_b64 v77, v[0:1], v[2:3] offset1:1
	ds_write2st64_b64 v77, v[4:5], v[6:7] offset0:2 offset1:3
	ds_write2st64_b64 v77, v[8:9], v[10:11] offset0:4 offset1:5
	;; [unrolled: 1-line block ×6, first 2 shown]
	v_mad_u32_u24 v0, v74, s4, v77
	s_waitcnt lgkmcnt(0)
	; wave barrier
	ds_read_b128 v[22:25], v0
	ds_read_b128 v[58:61], v0 offset:16
	ds_read_b128 v[54:57], v0 offset:32
	;; [unrolled: 1-line block ×6, first 2 shown]
	s_getpc_b64 s[54:55]
	s_add_u32 s54, s54, _ZZZZN2at6native31launch_logcumsumexp_cuda_kernelERKNS_10TensorBaseES3_lENKUlvE_clEvENKUlvE2_clEvENKUlN3c107complexIfEES8_E_clES8_S8_@rel32@lo+4
	s_addc_u32 s55, s55, _ZZZZN2at6native31launch_logcumsumexp_cuda_kernelERKNS_10TensorBaseES3_lENKUlvE_clEvENKUlvE2_clEvENKUlN3c107complexIfEES8_E_clES8_S8_@rel32@hi+12
	s_waitcnt lgkmcnt(6)
	v_mov_b32_e32 v0, v22
	v_mov_b32_e32 v1, v23
	;; [unrolled: 1-line block ×4, first 2 shown]
	s_waitcnt lgkmcnt(0)
	; wave barrier
	s_swappc_b64 s[30:31], s[54:55]
	v_mov_b32_e32 v2, v58
	v_mov_b32_e32 v3, v59
	v_mov_b32_e32 v75, v0
	v_mov_b32_e32 v76, v1
	s_swappc_b64 s[30:31], s[54:55]
	v_mov_b32_e32 v2, v60
	v_mov_b32_e32 v3, v61
	v_mov_b32_e32 v26, v0
	v_mov_b32_e32 v27, v1
	;; [unrolled: 5-line block ×12, first 2 shown]
	s_swappc_b64 s[30:31], s[54:55]
	v_mov_b32_e32 v72, v0
	v_mbcnt_lo_u32_b32 v0, -1, 0
	v_mbcnt_hi_u32_b32 v78, -1, v0
	v_mov_b32_e32 v73, v1
	v_and_b32_e32 v79, 15, v78
	v_mov_b32_dpp v0, v72 row_shr:1 row_mask:0xf bank_mask:0xf
	v_mov_b32_dpp v1, v73 row_shr:1 row_mask:0xf bank_mask:0xf
	v_cmp_ne_u32_e32 vcc, 0, v79
	v_mov_b32_e32 v5, v73
	v_mov_b32_e32 v4, v72
	;; [unrolled: 1-line block ×4, first 2 shown]
	s_and_saveexec_b64 s[56:57], vcc
	s_cbranch_execz .LBB323_30
; %bb.29:
	v_mov_b32_e32 v2, v72
	v_mov_b32_e32 v3, v73
	s_swappc_b64 s[30:31], s[54:55]
	v_mov_b32_e32 v4, v0
	v_mov_b32_e32 v5, v1
	;; [unrolled: 1-line block ×4, first 2 shown]
.LBB323_30:
	s_or_b64 exec, exec, s[56:57]
	v_mov_b32_dpp v0, v4 row_shr:2 row_mask:0xf bank_mask:0xf
	v_mov_b32_dpp v1, v5 row_shr:2 row_mask:0xf bank_mask:0xf
	v_cmp_lt_u32_e32 vcc, 1, v79
	s_and_saveexec_b64 s[54:55], vcc
	s_cbranch_execz .LBB323_32
; %bb.31:
	s_getpc_b64 s[4:5]
	s_add_u32 s4, s4, _ZZZZN2at6native31launch_logcumsumexp_cuda_kernelERKNS_10TensorBaseES3_lENKUlvE_clEvENKUlvE2_clEvENKUlN3c107complexIfEES8_E_clES8_S8_@rel32@lo+4
	s_addc_u32 s5, s5, _ZZZZN2at6native31launch_logcumsumexp_cuda_kernelERKNS_10TensorBaseES3_lENKUlvE_clEvENKUlvE2_clEvENKUlN3c107complexIfEES8_E_clES8_S8_@rel32@hi+12
	s_swappc_b64 s[30:31], s[4:5]
	v_mov_b32_e32 v4, v0
	v_mov_b32_e32 v5, v1
.LBB323_32:
	s_or_b64 exec, exec, s[54:55]
	v_mov_b32_dpp v0, v4 row_shr:4 row_mask:0xf bank_mask:0xf
	v_mov_b32_dpp v1, v5 row_shr:4 row_mask:0xf bank_mask:0xf
	v_cmp_lt_u32_e32 vcc, 3, v79
	s_and_saveexec_b64 s[54:55], vcc
	s_cbranch_execz .LBB323_34
; %bb.33:
	s_getpc_b64 s[4:5]
	s_add_u32 s4, s4, _ZZZZN2at6native31launch_logcumsumexp_cuda_kernelERKNS_10TensorBaseES3_lENKUlvE_clEvENKUlvE2_clEvENKUlN3c107complexIfEES8_E_clES8_S8_@rel32@lo+4
	s_addc_u32 s5, s5, _ZZZZN2at6native31launch_logcumsumexp_cuda_kernelERKNS_10TensorBaseES3_lENKUlvE_clEvENKUlvE2_clEvENKUlN3c107complexIfEES8_E_clES8_S8_@rel32@hi+12
	v_mov_b32_e32 v2, v4
	v_mov_b32_e32 v3, v5
	s_swappc_b64 s[30:31], s[4:5]
	v_mov_b32_e32 v4, v0
	v_mov_b32_e32 v5, v1
.LBB323_34:
	s_or_b64 exec, exec, s[54:55]
	v_mov_b32_dpp v0, v4 row_shr:8 row_mask:0xf bank_mask:0xf
	v_mov_b32_dpp v1, v5 row_shr:8 row_mask:0xf bank_mask:0xf
	v_cmp_lt_u32_e32 vcc, 7, v79
	s_and_saveexec_b64 s[54:55], vcc
	s_cbranch_execz .LBB323_36
; %bb.35:
	s_getpc_b64 s[4:5]
	s_add_u32 s4, s4, _ZZZZN2at6native31launch_logcumsumexp_cuda_kernelERKNS_10TensorBaseES3_lENKUlvE_clEvENKUlvE2_clEvENKUlN3c107complexIfEES8_E_clES8_S8_@rel32@lo+4
	s_addc_u32 s5, s5, _ZZZZN2at6native31launch_logcumsumexp_cuda_kernelERKNS_10TensorBaseES3_lENKUlvE_clEvENKUlvE2_clEvENKUlN3c107complexIfEES8_E_clES8_S8_@rel32@hi+12
	v_mov_b32_e32 v2, v4
	v_mov_b32_e32 v3, v5
	s_swappc_b64 s[30:31], s[4:5]
	v_mov_b32_e32 v4, v0
	v_mov_b32_e32 v5, v1
.LBB323_36:
	s_or_b64 exec, exec, s[54:55]
	v_and_b32_e32 v2, 16, v78
	v_mov_b32_dpp v0, v4 row_bcast:15 row_mask:0xf bank_mask:0xf
	v_mov_b32_dpp v1, v5 row_bcast:15 row_mask:0xf bank_mask:0xf
	v_cmp_ne_u32_e32 vcc, 0, v2
	s_and_saveexec_b64 s[54:55], vcc
	s_cbranch_execz .LBB323_38
; %bb.37:
	s_getpc_b64 s[4:5]
	s_add_u32 s4, s4, _ZZZZN2at6native31launch_logcumsumexp_cuda_kernelERKNS_10TensorBaseES3_lENKUlvE_clEvENKUlvE2_clEvENKUlN3c107complexIfEES8_E_clES8_S8_@rel32@lo+4
	s_addc_u32 s5, s5, _ZZZZN2at6native31launch_logcumsumexp_cuda_kernelERKNS_10TensorBaseES3_lENKUlvE_clEvENKUlvE2_clEvENKUlN3c107complexIfEES8_E_clES8_S8_@rel32@hi+12
	v_mov_b32_e32 v2, v4
	v_mov_b32_e32 v3, v5
	s_swappc_b64 s[30:31], s[4:5]
	v_mov_b32_e32 v4, v0
	v_mov_b32_e32 v5, v1
.LBB323_38:
	s_or_b64 exec, exec, s[54:55]
	v_mov_b32_dpp v0, v4 row_bcast:31 row_mask:0xf bank_mask:0xf
	v_mov_b32_dpp v1, v5 row_bcast:31 row_mask:0xf bank_mask:0xf
	v_cmp_lt_u32_e32 vcc, 31, v78
	s_and_saveexec_b64 s[54:55], vcc
	s_cbranch_execz .LBB323_40
; %bb.39:
	s_getpc_b64 s[4:5]
	s_add_u32 s4, s4, _ZZZZN2at6native31launch_logcumsumexp_cuda_kernelERKNS_10TensorBaseES3_lENKUlvE_clEvENKUlvE2_clEvENKUlN3c107complexIfEES8_E_clES8_S8_@rel32@lo+4
	s_addc_u32 s5, s5, _ZZZZN2at6native31launch_logcumsumexp_cuda_kernelERKNS_10TensorBaseES3_lENKUlvE_clEvENKUlvE2_clEvENKUlN3c107complexIfEES8_E_clES8_S8_@rel32@hi+12
	v_mov_b32_e32 v2, v4
	v_mov_b32_e32 v3, v5
	s_swappc_b64 s[30:31], s[4:5]
	v_mov_b32_e32 v4, v0
	v_mov_b32_e32 v5, v1
.LBB323_40:
	s_or_b64 exec, exec, s[54:55]
	s_load_dwordx2 s[52:53], s[52:53], 0x20
	v_cmp_eq_u32_e32 vcc, 63, v74
	s_and_saveexec_b64 s[4:5], vcc
; %bb.41:
	v_mov_b32_e32 v0, 0
	ds_write_b64 v0, v[4:5]
; %bb.42:
	s_or_b64 exec, exec, s[4:5]
	v_add_u32_e32 v0, -1, v78
	v_and_b32_e32 v1, 64, v78
	v_cmp_lt_i32_e32 vcc, v0, v1
	v_cndmask_b32_e32 v0, v0, v78, vcc
	v_lshlrev_b32_e32 v1, 2, v0
	ds_bpermute_b32 v0, v1, v4
	ds_bpermute_b32 v1, v1, v5
	v_mul_u32_u24_e32 v78, 0x68, v74
	v_cmp_ne_u32_e32 vcc, 0, v74
	s_waitcnt lgkmcnt(0)
	; wave barrier
	s_and_saveexec_b64 s[54:55], vcc
	s_cbranch_execz .LBB323_44
; %bb.43:
	s_getpc_b64 s[56:57]
	s_add_u32 s56, s56, _ZZZZN2at6native31launch_logcumsumexp_cuda_kernelERKNS_10TensorBaseES3_lENKUlvE_clEvENKUlvE2_clEvENKUlN3c107complexIfEES8_E_clES8_S8_@rel32@lo+4
	s_addc_u32 s57, s57, _ZZZZN2at6native31launch_logcumsumexp_cuda_kernelERKNS_10TensorBaseES3_lENKUlvE_clEvENKUlvE2_clEvENKUlN3c107complexIfEES8_E_clES8_S8_@rel32@hi+12
	v_mov_b32_e32 v2, v22
	v_mov_b32_e32 v3, v23
	s_swappc_b64 s[30:31], s[56:57]
	v_mov_b32_e32 v2, v24
	v_mov_b32_e32 v3, v25
	;; [unrolled: 1-line block ×4, first 2 shown]
	;;#ASMSTART
	;;#ASMEND
	s_swappc_b64 s[30:31], s[56:57]
	v_mov_b32_e32 v2, v58
	v_mov_b32_e32 v3, v59
	v_mov_b32_e32 v75, v0
	v_mov_b32_e32 v76, v1
	s_swappc_b64 s[30:31], s[56:57]
	v_mov_b32_e32 v2, v60
	v_mov_b32_e32 v3, v61
	v_mov_b32_e32 v26, v0
	v_mov_b32_e32 v27, v1
	;; [unrolled: 5-line block ×12, first 2 shown]
	s_swappc_b64 s[30:31], s[56:57]
	v_mov_b32_e32 v72, v0
	v_mov_b32_e32 v73, v1
.LBB323_44:
	s_or_b64 exec, exec, s[54:55]
	v_add_u32_e32 v0, v77, v78
	v_mov_b32_e32 v24, v75
	v_mov_b32_e32 v25, v76
	; wave barrier
	ds_write_b128 v0, v[22:25]
	ds_write_b128 v0, v[26:29] offset:16
	ds_write_b128 v0, v[38:41] offset:32
	;; [unrolled: 1-line block ×6, first 2 shown]
	s_waitcnt lgkmcnt(0)
	; wave barrier
	ds_read2st64_b64 v[20:23], v77 offset0:1 offset1:2
	ds_read2st64_b64 v[16:19], v77 offset0:3 offset1:4
	ds_read2st64_b64 v[12:15], v77 offset0:5 offset1:6
	ds_read2st64_b64 v[8:11], v77 offset0:7 offset1:8
	ds_read2st64_b64 v[4:7], v77 offset0:9 offset1:10
	ds_read2st64_b64 v[0:3], v77 offset0:11 offset1:12
	ds_read_b64 v[24:25], v77 offset:6656
	v_mov_b32_e32 v27, s53
	v_add_co_u32_e32 v26, vcc, s52, v77
	v_addc_co_u32_e32 v27, vcc, 0, v27, vcc
	s_and_saveexec_b64 s[4:5], s[20:21]
	s_cbranch_execnz .LBB323_59
; %bb.45:
	s_or_b64 exec, exec, s[4:5]
	s_and_saveexec_b64 s[4:5], s[22:23]
	s_cbranch_execnz .LBB323_60
.LBB323_46:
	s_or_b64 exec, exec, s[4:5]
	s_and_saveexec_b64 s[4:5], s[24:25]
	s_cbranch_execnz .LBB323_61
.LBB323_47:
	s_or_b64 exec, exec, s[4:5]
	s_and_saveexec_b64 s[4:5], s[26:27]
	s_cbranch_execnz .LBB323_62
.LBB323_48:
	s_or_b64 exec, exec, s[4:5]
	s_and_saveexec_b64 s[4:5], s[28:29]
	s_cbranch_execnz .LBB323_63
.LBB323_49:
	s_or_b64 exec, exec, s[4:5]
	s_and_saveexec_b64 s[4:5], s[34:35]
	s_cbranch_execnz .LBB323_64
.LBB323_50:
	s_or_b64 exec, exec, s[4:5]
	s_and_saveexec_b64 s[4:5], s[36:37]
	s_cbranch_execnz .LBB323_65
.LBB323_51:
	s_or_b64 exec, exec, s[4:5]
	s_and_saveexec_b64 s[4:5], s[38:39]
	s_cbranch_execnz .LBB323_66
.LBB323_52:
	s_or_b64 exec, exec, s[4:5]
	s_and_saveexec_b64 s[4:5], s[40:41]
	s_cbranch_execnz .LBB323_67
.LBB323_53:
	s_or_b64 exec, exec, s[4:5]
	s_and_saveexec_b64 s[4:5], s[42:43]
	s_cbranch_execnz .LBB323_68
.LBB323_54:
	s_or_b64 exec, exec, s[4:5]
	s_and_saveexec_b64 s[4:5], s[44:45]
	s_cbranch_execnz .LBB323_69
.LBB323_55:
	s_or_b64 exec, exec, s[4:5]
	s_and_saveexec_b64 s[4:5], s[46:47]
	s_cbranch_execnz .LBB323_70
.LBB323_56:
	s_or_b64 exec, exec, s[4:5]
	s_and_saveexec_b64 s[4:5], s[48:49]
	s_cbranch_execnz .LBB323_71
.LBB323_57:
	s_or_b64 exec, exec, s[4:5]
	s_and_saveexec_b64 s[4:5], s[50:51]
	s_cbranch_execnz .LBB323_72
.LBB323_58:
	s_endpgm
.LBB323_59:
	ds_read_b64 v[28:29], v77
	s_waitcnt lgkmcnt(0)
	global_store_dwordx2 v[26:27], v[28:29], off
	s_or_b64 exec, exec, s[4:5]
	s_and_saveexec_b64 s[4:5], s[22:23]
	s_cbranch_execz .LBB323_46
.LBB323_60:
	s_waitcnt lgkmcnt(6)
	global_store_dwordx2 v[26:27], v[20:21], off offset:512
	s_or_b64 exec, exec, s[4:5]
	s_and_saveexec_b64 s[4:5], s[24:25]
	s_cbranch_execz .LBB323_47
.LBB323_61:
	s_waitcnt lgkmcnt(6)
	global_store_dwordx2 v[26:27], v[22:23], off offset:1024
	s_or_b64 exec, exec, s[4:5]
	s_and_saveexec_b64 s[4:5], s[26:27]
	s_cbranch_execz .LBB323_48
.LBB323_62:
	s_waitcnt lgkmcnt(5)
	global_store_dwordx2 v[26:27], v[16:17], off offset:1536
	s_or_b64 exec, exec, s[4:5]
	s_and_saveexec_b64 s[4:5], s[28:29]
	s_cbranch_execz .LBB323_49
.LBB323_63:
	s_waitcnt lgkmcnt(5)
	global_store_dwordx2 v[26:27], v[18:19], off offset:2048
	s_or_b64 exec, exec, s[4:5]
	s_and_saveexec_b64 s[4:5], s[34:35]
	s_cbranch_execz .LBB323_50
.LBB323_64:
	s_waitcnt lgkmcnt(4)
	global_store_dwordx2 v[26:27], v[12:13], off offset:2560
	s_or_b64 exec, exec, s[4:5]
	s_and_saveexec_b64 s[4:5], s[36:37]
	s_cbranch_execz .LBB323_51
.LBB323_65:
	s_waitcnt lgkmcnt(4)
	global_store_dwordx2 v[26:27], v[14:15], off offset:3072
	s_or_b64 exec, exec, s[4:5]
	s_and_saveexec_b64 s[4:5], s[38:39]
	s_cbranch_execz .LBB323_52
.LBB323_66:
	s_waitcnt lgkmcnt(3)
	global_store_dwordx2 v[26:27], v[8:9], off offset:3584
	s_or_b64 exec, exec, s[4:5]
	s_and_saveexec_b64 s[4:5], s[40:41]
	s_cbranch_execz .LBB323_53
.LBB323_67:
	s_waitcnt lgkmcnt(3)
	v_add_co_u32_e32 v8, vcc, 0x1000, v26
	v_addc_co_u32_e32 v9, vcc, 0, v27, vcc
	global_store_dwordx2 v[8:9], v[10:11], off
	s_or_b64 exec, exec, s[4:5]
	s_and_saveexec_b64 s[4:5], s[42:43]
	s_cbranch_execz .LBB323_54
.LBB323_68:
	s_waitcnt lgkmcnt(3)
	v_add_co_u32_e32 v8, vcc, 0x1000, v26
	v_addc_co_u32_e32 v9, vcc, 0, v27, vcc
	s_waitcnt lgkmcnt(2)
	global_store_dwordx2 v[8:9], v[4:5], off offset:512
	s_or_b64 exec, exec, s[4:5]
	s_and_saveexec_b64 s[4:5], s[44:45]
	s_cbranch_execz .LBB323_55
.LBB323_69:
	s_waitcnt lgkmcnt(2)
	v_add_co_u32_e32 v4, vcc, 0x1000, v26
	v_addc_co_u32_e32 v5, vcc, 0, v27, vcc
	global_store_dwordx2 v[4:5], v[6:7], off offset:1024
	s_or_b64 exec, exec, s[4:5]
	s_and_saveexec_b64 s[4:5], s[46:47]
	s_cbranch_execz .LBB323_56
.LBB323_70:
	s_waitcnt lgkmcnt(2)
	v_add_co_u32_e32 v4, vcc, 0x1000, v26
	v_addc_co_u32_e32 v5, vcc, 0, v27, vcc
	s_waitcnt lgkmcnt(1)
	global_store_dwordx2 v[4:5], v[0:1], off offset:1536
	s_or_b64 exec, exec, s[4:5]
	s_and_saveexec_b64 s[4:5], s[48:49]
	s_cbranch_execz .LBB323_57
.LBB323_71:
	s_waitcnt lgkmcnt(1)
	v_add_co_u32_e32 v0, vcc, 0x1000, v26
	v_addc_co_u32_e32 v1, vcc, 0, v27, vcc
	global_store_dwordx2 v[0:1], v[2:3], off offset:2048
	s_or_b64 exec, exec, s[4:5]
	s_and_saveexec_b64 s[4:5], s[50:51]
	s_cbranch_execz .LBB323_58
.LBB323_72:
	s_waitcnt lgkmcnt(1)
	v_add_co_u32_e32 v0, vcc, 0x1000, v26
	v_addc_co_u32_e32 v1, vcc, 0, v27, vcc
	s_waitcnt lgkmcnt(0)
	global_store_dwordx2 v[0:1], v[24:25], off offset:2560
	s_endpgm
	.section	.rodata,"a",@progbits
	.p2align	6, 0x0
	.amdhsa_kernel _ZN7rocprim17ROCPRIM_400000_NS6detail17trampoline_kernelINS0_14default_configENS1_20scan_config_selectorIN3c107complexIfEEEEZZNS1_9scan_implILNS1_25lookback_scan_determinismE0ELb0ELb0ES3_PKS7_PS7_S7_ZZZN2at6native31launch_logcumsumexp_cuda_kernelERKNSE_10TensorBaseESI_lENKUlvE_clEvENKUlvE2_clEvEUlS7_S7_E_S7_EEDaPvRmT3_T4_T5_mT6_P12ihipStream_tbENKUlT_T0_E_clISt17integral_constantIbLb1EESY_IbLb0EEEEDaSU_SV_EUlSU_E0_NS1_11comp_targetILNS1_3genE2ELNS1_11target_archE906ELNS1_3gpuE6ELNS1_3repE0EEENS1_30default_config_static_selectorELNS0_4arch9wavefront6targetE1EEEvT1_
		.amdhsa_group_segment_fixed_size 7168
		.amdhsa_private_segment_fixed_size 0
		.amdhsa_kernarg_size 40
		.amdhsa_user_sgpr_count 6
		.amdhsa_user_sgpr_private_segment_buffer 1
		.amdhsa_user_sgpr_dispatch_ptr 0
		.amdhsa_user_sgpr_queue_ptr 0
		.amdhsa_user_sgpr_kernarg_segment_ptr 1
		.amdhsa_user_sgpr_dispatch_id 0
		.amdhsa_user_sgpr_flat_scratch_init 0
		.amdhsa_user_sgpr_private_segment_size 0
		.amdhsa_uses_dynamic_stack 0
		.amdhsa_system_sgpr_private_segment_wavefront_offset 0
		.amdhsa_system_sgpr_workgroup_id_x 1
		.amdhsa_system_sgpr_workgroup_id_y 0
		.amdhsa_system_sgpr_workgroup_id_z 0
		.amdhsa_system_sgpr_workgroup_info 0
		.amdhsa_system_vgpr_workitem_id 0
		.amdhsa_next_free_vgpr 80
		.amdhsa_next_free_sgpr 98
		.amdhsa_reserve_vcc 1
		.amdhsa_reserve_flat_scratch 0
		.amdhsa_float_round_mode_32 0
		.amdhsa_float_round_mode_16_64 0
		.amdhsa_float_denorm_mode_32 3
		.amdhsa_float_denorm_mode_16_64 3
		.amdhsa_dx10_clamp 1
		.amdhsa_ieee_mode 1
		.amdhsa_fp16_overflow 0
		.amdhsa_exception_fp_ieee_invalid_op 0
		.amdhsa_exception_fp_denorm_src 0
		.amdhsa_exception_fp_ieee_div_zero 0
		.amdhsa_exception_fp_ieee_overflow 0
		.amdhsa_exception_fp_ieee_underflow 0
		.amdhsa_exception_fp_ieee_inexact 0
		.amdhsa_exception_int_div_zero 0
	.end_amdhsa_kernel
	.section	.text._ZN7rocprim17ROCPRIM_400000_NS6detail17trampoline_kernelINS0_14default_configENS1_20scan_config_selectorIN3c107complexIfEEEEZZNS1_9scan_implILNS1_25lookback_scan_determinismE0ELb0ELb0ES3_PKS7_PS7_S7_ZZZN2at6native31launch_logcumsumexp_cuda_kernelERKNSE_10TensorBaseESI_lENKUlvE_clEvENKUlvE2_clEvEUlS7_S7_E_S7_EEDaPvRmT3_T4_T5_mT6_P12ihipStream_tbENKUlT_T0_E_clISt17integral_constantIbLb1EESY_IbLb0EEEEDaSU_SV_EUlSU_E0_NS1_11comp_targetILNS1_3genE2ELNS1_11target_archE906ELNS1_3gpuE6ELNS1_3repE0EEENS1_30default_config_static_selectorELNS0_4arch9wavefront6targetE1EEEvT1_,"axG",@progbits,_ZN7rocprim17ROCPRIM_400000_NS6detail17trampoline_kernelINS0_14default_configENS1_20scan_config_selectorIN3c107complexIfEEEEZZNS1_9scan_implILNS1_25lookback_scan_determinismE0ELb0ELb0ES3_PKS7_PS7_S7_ZZZN2at6native31launch_logcumsumexp_cuda_kernelERKNSE_10TensorBaseESI_lENKUlvE_clEvENKUlvE2_clEvEUlS7_S7_E_S7_EEDaPvRmT3_T4_T5_mT6_P12ihipStream_tbENKUlT_T0_E_clISt17integral_constantIbLb1EESY_IbLb0EEEEDaSU_SV_EUlSU_E0_NS1_11comp_targetILNS1_3genE2ELNS1_11target_archE906ELNS1_3gpuE6ELNS1_3repE0EEENS1_30default_config_static_selectorELNS0_4arch9wavefront6targetE1EEEvT1_,comdat
.Lfunc_end323:
	.size	_ZN7rocprim17ROCPRIM_400000_NS6detail17trampoline_kernelINS0_14default_configENS1_20scan_config_selectorIN3c107complexIfEEEEZZNS1_9scan_implILNS1_25lookback_scan_determinismE0ELb0ELb0ES3_PKS7_PS7_S7_ZZZN2at6native31launch_logcumsumexp_cuda_kernelERKNSE_10TensorBaseESI_lENKUlvE_clEvENKUlvE2_clEvEUlS7_S7_E_S7_EEDaPvRmT3_T4_T5_mT6_P12ihipStream_tbENKUlT_T0_E_clISt17integral_constantIbLb1EESY_IbLb0EEEEDaSU_SV_EUlSU_E0_NS1_11comp_targetILNS1_3genE2ELNS1_11target_archE906ELNS1_3gpuE6ELNS1_3repE0EEENS1_30default_config_static_selectorELNS0_4arch9wavefront6targetE1EEEvT1_, .Lfunc_end323-_ZN7rocprim17ROCPRIM_400000_NS6detail17trampoline_kernelINS0_14default_configENS1_20scan_config_selectorIN3c107complexIfEEEEZZNS1_9scan_implILNS1_25lookback_scan_determinismE0ELb0ELb0ES3_PKS7_PS7_S7_ZZZN2at6native31launch_logcumsumexp_cuda_kernelERKNSE_10TensorBaseESI_lENKUlvE_clEvENKUlvE2_clEvEUlS7_S7_E_S7_EEDaPvRmT3_T4_T5_mT6_P12ihipStream_tbENKUlT_T0_E_clISt17integral_constantIbLb1EESY_IbLb0EEEEDaSU_SV_EUlSU_E0_NS1_11comp_targetILNS1_3genE2ELNS1_11target_archE906ELNS1_3gpuE6ELNS1_3repE0EEENS1_30default_config_static_selectorELNS0_4arch9wavefront6targetE1EEEvT1_
                                        ; -- End function
	.set _ZN7rocprim17ROCPRIM_400000_NS6detail17trampoline_kernelINS0_14default_configENS1_20scan_config_selectorIN3c107complexIfEEEEZZNS1_9scan_implILNS1_25lookback_scan_determinismE0ELb0ELb0ES3_PKS7_PS7_S7_ZZZN2at6native31launch_logcumsumexp_cuda_kernelERKNSE_10TensorBaseESI_lENKUlvE_clEvENKUlvE2_clEvEUlS7_S7_E_S7_EEDaPvRmT3_T4_T5_mT6_P12ihipStream_tbENKUlT_T0_E_clISt17integral_constantIbLb1EESY_IbLb0EEEEDaSU_SV_EUlSU_E0_NS1_11comp_targetILNS1_3genE2ELNS1_11target_archE906ELNS1_3gpuE6ELNS1_3repE0EEENS1_30default_config_static_selectorELNS0_4arch9wavefront6targetE1EEEvT1_.num_vgpr, max(80, .L_ZZZZN2at6native31launch_logcumsumexp_cuda_kernelERKNS_10TensorBaseES3_lENKUlvE_clEvENKUlvE2_clEvENKUlN3c107complexIfEES8_E_clES8_S8_.num_vgpr)
	.set _ZN7rocprim17ROCPRIM_400000_NS6detail17trampoline_kernelINS0_14default_configENS1_20scan_config_selectorIN3c107complexIfEEEEZZNS1_9scan_implILNS1_25lookback_scan_determinismE0ELb0ELb0ES3_PKS7_PS7_S7_ZZZN2at6native31launch_logcumsumexp_cuda_kernelERKNSE_10TensorBaseESI_lENKUlvE_clEvENKUlvE2_clEvEUlS7_S7_E_S7_EEDaPvRmT3_T4_T5_mT6_P12ihipStream_tbENKUlT_T0_E_clISt17integral_constantIbLb1EESY_IbLb0EEEEDaSU_SV_EUlSU_E0_NS1_11comp_targetILNS1_3genE2ELNS1_11target_archE906ELNS1_3gpuE6ELNS1_3repE0EEENS1_30default_config_static_selectorELNS0_4arch9wavefront6targetE1EEEvT1_.num_agpr, max(0, .L_ZZZZN2at6native31launch_logcumsumexp_cuda_kernelERKNS_10TensorBaseES3_lENKUlvE_clEvENKUlvE2_clEvENKUlN3c107complexIfEES8_E_clES8_S8_.num_agpr)
	.set _ZN7rocprim17ROCPRIM_400000_NS6detail17trampoline_kernelINS0_14default_configENS1_20scan_config_selectorIN3c107complexIfEEEEZZNS1_9scan_implILNS1_25lookback_scan_determinismE0ELb0ELb0ES3_PKS7_PS7_S7_ZZZN2at6native31launch_logcumsumexp_cuda_kernelERKNSE_10TensorBaseESI_lENKUlvE_clEvENKUlvE2_clEvEUlS7_S7_E_S7_EEDaPvRmT3_T4_T5_mT6_P12ihipStream_tbENKUlT_T0_E_clISt17integral_constantIbLb1EESY_IbLb0EEEEDaSU_SV_EUlSU_E0_NS1_11comp_targetILNS1_3genE2ELNS1_11target_archE906ELNS1_3gpuE6ELNS1_3repE0EEENS1_30default_config_static_selectorELNS0_4arch9wavefront6targetE1EEEvT1_.numbered_sgpr, max(58, .L_ZZZZN2at6native31launch_logcumsumexp_cuda_kernelERKNS_10TensorBaseES3_lENKUlvE_clEvENKUlvE2_clEvENKUlN3c107complexIfEES8_E_clES8_S8_.numbered_sgpr)
	.set _ZN7rocprim17ROCPRIM_400000_NS6detail17trampoline_kernelINS0_14default_configENS1_20scan_config_selectorIN3c107complexIfEEEEZZNS1_9scan_implILNS1_25lookback_scan_determinismE0ELb0ELb0ES3_PKS7_PS7_S7_ZZZN2at6native31launch_logcumsumexp_cuda_kernelERKNSE_10TensorBaseESI_lENKUlvE_clEvENKUlvE2_clEvEUlS7_S7_E_S7_EEDaPvRmT3_T4_T5_mT6_P12ihipStream_tbENKUlT_T0_E_clISt17integral_constantIbLb1EESY_IbLb0EEEEDaSU_SV_EUlSU_E0_NS1_11comp_targetILNS1_3genE2ELNS1_11target_archE906ELNS1_3gpuE6ELNS1_3repE0EEENS1_30default_config_static_selectorELNS0_4arch9wavefront6targetE1EEEvT1_.num_named_barrier, max(0, .L_ZZZZN2at6native31launch_logcumsumexp_cuda_kernelERKNS_10TensorBaseES3_lENKUlvE_clEvENKUlvE2_clEvENKUlN3c107complexIfEES8_E_clES8_S8_.num_named_barrier)
	.set _ZN7rocprim17ROCPRIM_400000_NS6detail17trampoline_kernelINS0_14default_configENS1_20scan_config_selectorIN3c107complexIfEEEEZZNS1_9scan_implILNS1_25lookback_scan_determinismE0ELb0ELb0ES3_PKS7_PS7_S7_ZZZN2at6native31launch_logcumsumexp_cuda_kernelERKNSE_10TensorBaseESI_lENKUlvE_clEvENKUlvE2_clEvEUlS7_S7_E_S7_EEDaPvRmT3_T4_T5_mT6_P12ihipStream_tbENKUlT_T0_E_clISt17integral_constantIbLb1EESY_IbLb0EEEEDaSU_SV_EUlSU_E0_NS1_11comp_targetILNS1_3genE2ELNS1_11target_archE906ELNS1_3gpuE6ELNS1_3repE0EEENS1_30default_config_static_selectorELNS0_4arch9wavefront6targetE1EEEvT1_.private_seg_size, 0+max(.L_ZZZZN2at6native31launch_logcumsumexp_cuda_kernelERKNS_10TensorBaseES3_lENKUlvE_clEvENKUlvE2_clEvENKUlN3c107complexIfEES8_E_clES8_S8_.private_seg_size)
	.set _ZN7rocprim17ROCPRIM_400000_NS6detail17trampoline_kernelINS0_14default_configENS1_20scan_config_selectorIN3c107complexIfEEEEZZNS1_9scan_implILNS1_25lookback_scan_determinismE0ELb0ELb0ES3_PKS7_PS7_S7_ZZZN2at6native31launch_logcumsumexp_cuda_kernelERKNSE_10TensorBaseESI_lENKUlvE_clEvENKUlvE2_clEvEUlS7_S7_E_S7_EEDaPvRmT3_T4_T5_mT6_P12ihipStream_tbENKUlT_T0_E_clISt17integral_constantIbLb1EESY_IbLb0EEEEDaSU_SV_EUlSU_E0_NS1_11comp_targetILNS1_3genE2ELNS1_11target_archE906ELNS1_3gpuE6ELNS1_3repE0EEENS1_30default_config_static_selectorELNS0_4arch9wavefront6targetE1EEEvT1_.uses_vcc, or(1, .L_ZZZZN2at6native31launch_logcumsumexp_cuda_kernelERKNS_10TensorBaseES3_lENKUlvE_clEvENKUlvE2_clEvENKUlN3c107complexIfEES8_E_clES8_S8_.uses_vcc)
	.set _ZN7rocprim17ROCPRIM_400000_NS6detail17trampoline_kernelINS0_14default_configENS1_20scan_config_selectorIN3c107complexIfEEEEZZNS1_9scan_implILNS1_25lookback_scan_determinismE0ELb0ELb0ES3_PKS7_PS7_S7_ZZZN2at6native31launch_logcumsumexp_cuda_kernelERKNSE_10TensorBaseESI_lENKUlvE_clEvENKUlvE2_clEvEUlS7_S7_E_S7_EEDaPvRmT3_T4_T5_mT6_P12ihipStream_tbENKUlT_T0_E_clISt17integral_constantIbLb1EESY_IbLb0EEEEDaSU_SV_EUlSU_E0_NS1_11comp_targetILNS1_3genE2ELNS1_11target_archE906ELNS1_3gpuE6ELNS1_3repE0EEENS1_30default_config_static_selectorELNS0_4arch9wavefront6targetE1EEEvT1_.uses_flat_scratch, or(0, .L_ZZZZN2at6native31launch_logcumsumexp_cuda_kernelERKNS_10TensorBaseES3_lENKUlvE_clEvENKUlvE2_clEvENKUlN3c107complexIfEES8_E_clES8_S8_.uses_flat_scratch)
	.set _ZN7rocprim17ROCPRIM_400000_NS6detail17trampoline_kernelINS0_14default_configENS1_20scan_config_selectorIN3c107complexIfEEEEZZNS1_9scan_implILNS1_25lookback_scan_determinismE0ELb0ELb0ES3_PKS7_PS7_S7_ZZZN2at6native31launch_logcumsumexp_cuda_kernelERKNSE_10TensorBaseESI_lENKUlvE_clEvENKUlvE2_clEvEUlS7_S7_E_S7_EEDaPvRmT3_T4_T5_mT6_P12ihipStream_tbENKUlT_T0_E_clISt17integral_constantIbLb1EESY_IbLb0EEEEDaSU_SV_EUlSU_E0_NS1_11comp_targetILNS1_3genE2ELNS1_11target_archE906ELNS1_3gpuE6ELNS1_3repE0EEENS1_30default_config_static_selectorELNS0_4arch9wavefront6targetE1EEEvT1_.has_dyn_sized_stack, or(0, .L_ZZZZN2at6native31launch_logcumsumexp_cuda_kernelERKNS_10TensorBaseES3_lENKUlvE_clEvENKUlvE2_clEvENKUlN3c107complexIfEES8_E_clES8_S8_.has_dyn_sized_stack)
	.set _ZN7rocprim17ROCPRIM_400000_NS6detail17trampoline_kernelINS0_14default_configENS1_20scan_config_selectorIN3c107complexIfEEEEZZNS1_9scan_implILNS1_25lookback_scan_determinismE0ELb0ELb0ES3_PKS7_PS7_S7_ZZZN2at6native31launch_logcumsumexp_cuda_kernelERKNSE_10TensorBaseESI_lENKUlvE_clEvENKUlvE2_clEvEUlS7_S7_E_S7_EEDaPvRmT3_T4_T5_mT6_P12ihipStream_tbENKUlT_T0_E_clISt17integral_constantIbLb1EESY_IbLb0EEEEDaSU_SV_EUlSU_E0_NS1_11comp_targetILNS1_3genE2ELNS1_11target_archE906ELNS1_3gpuE6ELNS1_3repE0EEENS1_30default_config_static_selectorELNS0_4arch9wavefront6targetE1EEEvT1_.has_recursion, or(0, .L_ZZZZN2at6native31launch_logcumsumexp_cuda_kernelERKNS_10TensorBaseES3_lENKUlvE_clEvENKUlvE2_clEvENKUlN3c107complexIfEES8_E_clES8_S8_.has_recursion)
	.set _ZN7rocprim17ROCPRIM_400000_NS6detail17trampoline_kernelINS0_14default_configENS1_20scan_config_selectorIN3c107complexIfEEEEZZNS1_9scan_implILNS1_25lookback_scan_determinismE0ELb0ELb0ES3_PKS7_PS7_S7_ZZZN2at6native31launch_logcumsumexp_cuda_kernelERKNSE_10TensorBaseESI_lENKUlvE_clEvENKUlvE2_clEvEUlS7_S7_E_S7_EEDaPvRmT3_T4_T5_mT6_P12ihipStream_tbENKUlT_T0_E_clISt17integral_constantIbLb1EESY_IbLb0EEEEDaSU_SV_EUlSU_E0_NS1_11comp_targetILNS1_3genE2ELNS1_11target_archE906ELNS1_3gpuE6ELNS1_3repE0EEENS1_30default_config_static_selectorELNS0_4arch9wavefront6targetE1EEEvT1_.has_indirect_call, or(0, .L_ZZZZN2at6native31launch_logcumsumexp_cuda_kernelERKNS_10TensorBaseES3_lENKUlvE_clEvENKUlvE2_clEvENKUlN3c107complexIfEES8_E_clES8_S8_.has_indirect_call)
	.section	.AMDGPU.csdata,"",@progbits
; Kernel info:
; codeLenInByte = 2680
; TotalNumSgprs: 62
; NumVgprs: 80
; ScratchSize: 0
; MemoryBound: 0
; FloatMode: 240
; IeeeMode: 1
; LDSByteSize: 7168 bytes/workgroup (compile time only)
; SGPRBlocks: 12
; VGPRBlocks: 19
; NumSGPRsForWavesPerEU: 102
; NumVGPRsForWavesPerEU: 80
; Occupancy: 3
; WaveLimiterHint : 0
; COMPUTE_PGM_RSRC2:SCRATCH_EN: 0
; COMPUTE_PGM_RSRC2:USER_SGPR: 6
; COMPUTE_PGM_RSRC2:TRAP_HANDLER: 0
; COMPUTE_PGM_RSRC2:TGID_X_EN: 1
; COMPUTE_PGM_RSRC2:TGID_Y_EN: 0
; COMPUTE_PGM_RSRC2:TGID_Z_EN: 0
; COMPUTE_PGM_RSRC2:TIDIG_COMP_CNT: 0
	.section	.text._ZN7rocprim17ROCPRIM_400000_NS6detail17trampoline_kernelINS0_14default_configENS1_20scan_config_selectorIN3c107complexIfEEEEZZNS1_9scan_implILNS1_25lookback_scan_determinismE0ELb0ELb0ES3_PKS7_PS7_S7_ZZZN2at6native31launch_logcumsumexp_cuda_kernelERKNSE_10TensorBaseESI_lENKUlvE_clEvENKUlvE2_clEvEUlS7_S7_E_S7_EEDaPvRmT3_T4_T5_mT6_P12ihipStream_tbENKUlT_T0_E_clISt17integral_constantIbLb1EESY_IbLb0EEEEDaSU_SV_EUlSU_E0_NS1_11comp_targetILNS1_3genE10ELNS1_11target_archE1201ELNS1_3gpuE5ELNS1_3repE0EEENS1_30default_config_static_selectorELNS0_4arch9wavefront6targetE1EEEvT1_,"axG",@progbits,_ZN7rocprim17ROCPRIM_400000_NS6detail17trampoline_kernelINS0_14default_configENS1_20scan_config_selectorIN3c107complexIfEEEEZZNS1_9scan_implILNS1_25lookback_scan_determinismE0ELb0ELb0ES3_PKS7_PS7_S7_ZZZN2at6native31launch_logcumsumexp_cuda_kernelERKNSE_10TensorBaseESI_lENKUlvE_clEvENKUlvE2_clEvEUlS7_S7_E_S7_EEDaPvRmT3_T4_T5_mT6_P12ihipStream_tbENKUlT_T0_E_clISt17integral_constantIbLb1EESY_IbLb0EEEEDaSU_SV_EUlSU_E0_NS1_11comp_targetILNS1_3genE10ELNS1_11target_archE1201ELNS1_3gpuE5ELNS1_3repE0EEENS1_30default_config_static_selectorELNS0_4arch9wavefront6targetE1EEEvT1_,comdat
	.globl	_ZN7rocprim17ROCPRIM_400000_NS6detail17trampoline_kernelINS0_14default_configENS1_20scan_config_selectorIN3c107complexIfEEEEZZNS1_9scan_implILNS1_25lookback_scan_determinismE0ELb0ELb0ES3_PKS7_PS7_S7_ZZZN2at6native31launch_logcumsumexp_cuda_kernelERKNSE_10TensorBaseESI_lENKUlvE_clEvENKUlvE2_clEvEUlS7_S7_E_S7_EEDaPvRmT3_T4_T5_mT6_P12ihipStream_tbENKUlT_T0_E_clISt17integral_constantIbLb1EESY_IbLb0EEEEDaSU_SV_EUlSU_E0_NS1_11comp_targetILNS1_3genE10ELNS1_11target_archE1201ELNS1_3gpuE5ELNS1_3repE0EEENS1_30default_config_static_selectorELNS0_4arch9wavefront6targetE1EEEvT1_ ; -- Begin function _ZN7rocprim17ROCPRIM_400000_NS6detail17trampoline_kernelINS0_14default_configENS1_20scan_config_selectorIN3c107complexIfEEEEZZNS1_9scan_implILNS1_25lookback_scan_determinismE0ELb0ELb0ES3_PKS7_PS7_S7_ZZZN2at6native31launch_logcumsumexp_cuda_kernelERKNSE_10TensorBaseESI_lENKUlvE_clEvENKUlvE2_clEvEUlS7_S7_E_S7_EEDaPvRmT3_T4_T5_mT6_P12ihipStream_tbENKUlT_T0_E_clISt17integral_constantIbLb1EESY_IbLb0EEEEDaSU_SV_EUlSU_E0_NS1_11comp_targetILNS1_3genE10ELNS1_11target_archE1201ELNS1_3gpuE5ELNS1_3repE0EEENS1_30default_config_static_selectorELNS0_4arch9wavefront6targetE1EEEvT1_
	.p2align	8
	.type	_ZN7rocprim17ROCPRIM_400000_NS6detail17trampoline_kernelINS0_14default_configENS1_20scan_config_selectorIN3c107complexIfEEEEZZNS1_9scan_implILNS1_25lookback_scan_determinismE0ELb0ELb0ES3_PKS7_PS7_S7_ZZZN2at6native31launch_logcumsumexp_cuda_kernelERKNSE_10TensorBaseESI_lENKUlvE_clEvENKUlvE2_clEvEUlS7_S7_E_S7_EEDaPvRmT3_T4_T5_mT6_P12ihipStream_tbENKUlT_T0_E_clISt17integral_constantIbLb1EESY_IbLb0EEEEDaSU_SV_EUlSU_E0_NS1_11comp_targetILNS1_3genE10ELNS1_11target_archE1201ELNS1_3gpuE5ELNS1_3repE0EEENS1_30default_config_static_selectorELNS0_4arch9wavefront6targetE1EEEvT1_,@function
_ZN7rocprim17ROCPRIM_400000_NS6detail17trampoline_kernelINS0_14default_configENS1_20scan_config_selectorIN3c107complexIfEEEEZZNS1_9scan_implILNS1_25lookback_scan_determinismE0ELb0ELb0ES3_PKS7_PS7_S7_ZZZN2at6native31launch_logcumsumexp_cuda_kernelERKNSE_10TensorBaseESI_lENKUlvE_clEvENKUlvE2_clEvEUlS7_S7_E_S7_EEDaPvRmT3_T4_T5_mT6_P12ihipStream_tbENKUlT_T0_E_clISt17integral_constantIbLb1EESY_IbLb0EEEEDaSU_SV_EUlSU_E0_NS1_11comp_targetILNS1_3genE10ELNS1_11target_archE1201ELNS1_3gpuE5ELNS1_3repE0EEENS1_30default_config_static_selectorELNS0_4arch9wavefront6targetE1EEEvT1_: ; @_ZN7rocprim17ROCPRIM_400000_NS6detail17trampoline_kernelINS0_14default_configENS1_20scan_config_selectorIN3c107complexIfEEEEZZNS1_9scan_implILNS1_25lookback_scan_determinismE0ELb0ELb0ES3_PKS7_PS7_S7_ZZZN2at6native31launch_logcumsumexp_cuda_kernelERKNSE_10TensorBaseESI_lENKUlvE_clEvENKUlvE2_clEvEUlS7_S7_E_S7_EEDaPvRmT3_T4_T5_mT6_P12ihipStream_tbENKUlT_T0_E_clISt17integral_constantIbLb1EESY_IbLb0EEEEDaSU_SV_EUlSU_E0_NS1_11comp_targetILNS1_3genE10ELNS1_11target_archE1201ELNS1_3gpuE5ELNS1_3repE0EEENS1_30default_config_static_selectorELNS0_4arch9wavefront6targetE1EEEvT1_
; %bb.0:
	.section	.rodata,"a",@progbits
	.p2align	6, 0x0
	.amdhsa_kernel _ZN7rocprim17ROCPRIM_400000_NS6detail17trampoline_kernelINS0_14default_configENS1_20scan_config_selectorIN3c107complexIfEEEEZZNS1_9scan_implILNS1_25lookback_scan_determinismE0ELb0ELb0ES3_PKS7_PS7_S7_ZZZN2at6native31launch_logcumsumexp_cuda_kernelERKNSE_10TensorBaseESI_lENKUlvE_clEvENKUlvE2_clEvEUlS7_S7_E_S7_EEDaPvRmT3_T4_T5_mT6_P12ihipStream_tbENKUlT_T0_E_clISt17integral_constantIbLb1EESY_IbLb0EEEEDaSU_SV_EUlSU_E0_NS1_11comp_targetILNS1_3genE10ELNS1_11target_archE1201ELNS1_3gpuE5ELNS1_3repE0EEENS1_30default_config_static_selectorELNS0_4arch9wavefront6targetE1EEEvT1_
		.amdhsa_group_segment_fixed_size 0
		.amdhsa_private_segment_fixed_size 0
		.amdhsa_kernarg_size 40
		.amdhsa_user_sgpr_count 6
		.amdhsa_user_sgpr_private_segment_buffer 1
		.amdhsa_user_sgpr_dispatch_ptr 0
		.amdhsa_user_sgpr_queue_ptr 0
		.amdhsa_user_sgpr_kernarg_segment_ptr 1
		.amdhsa_user_sgpr_dispatch_id 0
		.amdhsa_user_sgpr_flat_scratch_init 0
		.amdhsa_user_sgpr_private_segment_size 0
		.amdhsa_uses_dynamic_stack 0
		.amdhsa_system_sgpr_private_segment_wavefront_offset 0
		.amdhsa_system_sgpr_workgroup_id_x 1
		.amdhsa_system_sgpr_workgroup_id_y 0
		.amdhsa_system_sgpr_workgroup_id_z 0
		.amdhsa_system_sgpr_workgroup_info 0
		.amdhsa_system_vgpr_workitem_id 0
		.amdhsa_next_free_vgpr 1
		.amdhsa_next_free_sgpr 0
		.amdhsa_reserve_vcc 0
		.amdhsa_reserve_flat_scratch 0
		.amdhsa_float_round_mode_32 0
		.amdhsa_float_round_mode_16_64 0
		.amdhsa_float_denorm_mode_32 3
		.amdhsa_float_denorm_mode_16_64 3
		.amdhsa_dx10_clamp 1
		.amdhsa_ieee_mode 1
		.amdhsa_fp16_overflow 0
		.amdhsa_exception_fp_ieee_invalid_op 0
		.amdhsa_exception_fp_denorm_src 0
		.amdhsa_exception_fp_ieee_div_zero 0
		.amdhsa_exception_fp_ieee_overflow 0
		.amdhsa_exception_fp_ieee_underflow 0
		.amdhsa_exception_fp_ieee_inexact 0
		.amdhsa_exception_int_div_zero 0
	.end_amdhsa_kernel
	.section	.text._ZN7rocprim17ROCPRIM_400000_NS6detail17trampoline_kernelINS0_14default_configENS1_20scan_config_selectorIN3c107complexIfEEEEZZNS1_9scan_implILNS1_25lookback_scan_determinismE0ELb0ELb0ES3_PKS7_PS7_S7_ZZZN2at6native31launch_logcumsumexp_cuda_kernelERKNSE_10TensorBaseESI_lENKUlvE_clEvENKUlvE2_clEvEUlS7_S7_E_S7_EEDaPvRmT3_T4_T5_mT6_P12ihipStream_tbENKUlT_T0_E_clISt17integral_constantIbLb1EESY_IbLb0EEEEDaSU_SV_EUlSU_E0_NS1_11comp_targetILNS1_3genE10ELNS1_11target_archE1201ELNS1_3gpuE5ELNS1_3repE0EEENS1_30default_config_static_selectorELNS0_4arch9wavefront6targetE1EEEvT1_,"axG",@progbits,_ZN7rocprim17ROCPRIM_400000_NS6detail17trampoline_kernelINS0_14default_configENS1_20scan_config_selectorIN3c107complexIfEEEEZZNS1_9scan_implILNS1_25lookback_scan_determinismE0ELb0ELb0ES3_PKS7_PS7_S7_ZZZN2at6native31launch_logcumsumexp_cuda_kernelERKNSE_10TensorBaseESI_lENKUlvE_clEvENKUlvE2_clEvEUlS7_S7_E_S7_EEDaPvRmT3_T4_T5_mT6_P12ihipStream_tbENKUlT_T0_E_clISt17integral_constantIbLb1EESY_IbLb0EEEEDaSU_SV_EUlSU_E0_NS1_11comp_targetILNS1_3genE10ELNS1_11target_archE1201ELNS1_3gpuE5ELNS1_3repE0EEENS1_30default_config_static_selectorELNS0_4arch9wavefront6targetE1EEEvT1_,comdat
.Lfunc_end324:
	.size	_ZN7rocprim17ROCPRIM_400000_NS6detail17trampoline_kernelINS0_14default_configENS1_20scan_config_selectorIN3c107complexIfEEEEZZNS1_9scan_implILNS1_25lookback_scan_determinismE0ELb0ELb0ES3_PKS7_PS7_S7_ZZZN2at6native31launch_logcumsumexp_cuda_kernelERKNSE_10TensorBaseESI_lENKUlvE_clEvENKUlvE2_clEvEUlS7_S7_E_S7_EEDaPvRmT3_T4_T5_mT6_P12ihipStream_tbENKUlT_T0_E_clISt17integral_constantIbLb1EESY_IbLb0EEEEDaSU_SV_EUlSU_E0_NS1_11comp_targetILNS1_3genE10ELNS1_11target_archE1201ELNS1_3gpuE5ELNS1_3repE0EEENS1_30default_config_static_selectorELNS0_4arch9wavefront6targetE1EEEvT1_, .Lfunc_end324-_ZN7rocprim17ROCPRIM_400000_NS6detail17trampoline_kernelINS0_14default_configENS1_20scan_config_selectorIN3c107complexIfEEEEZZNS1_9scan_implILNS1_25lookback_scan_determinismE0ELb0ELb0ES3_PKS7_PS7_S7_ZZZN2at6native31launch_logcumsumexp_cuda_kernelERKNSE_10TensorBaseESI_lENKUlvE_clEvENKUlvE2_clEvEUlS7_S7_E_S7_EEDaPvRmT3_T4_T5_mT6_P12ihipStream_tbENKUlT_T0_E_clISt17integral_constantIbLb1EESY_IbLb0EEEEDaSU_SV_EUlSU_E0_NS1_11comp_targetILNS1_3genE10ELNS1_11target_archE1201ELNS1_3gpuE5ELNS1_3repE0EEENS1_30default_config_static_selectorELNS0_4arch9wavefront6targetE1EEEvT1_
                                        ; -- End function
	.set _ZN7rocprim17ROCPRIM_400000_NS6detail17trampoline_kernelINS0_14default_configENS1_20scan_config_selectorIN3c107complexIfEEEEZZNS1_9scan_implILNS1_25lookback_scan_determinismE0ELb0ELb0ES3_PKS7_PS7_S7_ZZZN2at6native31launch_logcumsumexp_cuda_kernelERKNSE_10TensorBaseESI_lENKUlvE_clEvENKUlvE2_clEvEUlS7_S7_E_S7_EEDaPvRmT3_T4_T5_mT6_P12ihipStream_tbENKUlT_T0_E_clISt17integral_constantIbLb1EESY_IbLb0EEEEDaSU_SV_EUlSU_E0_NS1_11comp_targetILNS1_3genE10ELNS1_11target_archE1201ELNS1_3gpuE5ELNS1_3repE0EEENS1_30default_config_static_selectorELNS0_4arch9wavefront6targetE1EEEvT1_.num_vgpr, 0
	.set _ZN7rocprim17ROCPRIM_400000_NS6detail17trampoline_kernelINS0_14default_configENS1_20scan_config_selectorIN3c107complexIfEEEEZZNS1_9scan_implILNS1_25lookback_scan_determinismE0ELb0ELb0ES3_PKS7_PS7_S7_ZZZN2at6native31launch_logcumsumexp_cuda_kernelERKNSE_10TensorBaseESI_lENKUlvE_clEvENKUlvE2_clEvEUlS7_S7_E_S7_EEDaPvRmT3_T4_T5_mT6_P12ihipStream_tbENKUlT_T0_E_clISt17integral_constantIbLb1EESY_IbLb0EEEEDaSU_SV_EUlSU_E0_NS1_11comp_targetILNS1_3genE10ELNS1_11target_archE1201ELNS1_3gpuE5ELNS1_3repE0EEENS1_30default_config_static_selectorELNS0_4arch9wavefront6targetE1EEEvT1_.num_agpr, 0
	.set _ZN7rocprim17ROCPRIM_400000_NS6detail17trampoline_kernelINS0_14default_configENS1_20scan_config_selectorIN3c107complexIfEEEEZZNS1_9scan_implILNS1_25lookback_scan_determinismE0ELb0ELb0ES3_PKS7_PS7_S7_ZZZN2at6native31launch_logcumsumexp_cuda_kernelERKNSE_10TensorBaseESI_lENKUlvE_clEvENKUlvE2_clEvEUlS7_S7_E_S7_EEDaPvRmT3_T4_T5_mT6_P12ihipStream_tbENKUlT_T0_E_clISt17integral_constantIbLb1EESY_IbLb0EEEEDaSU_SV_EUlSU_E0_NS1_11comp_targetILNS1_3genE10ELNS1_11target_archE1201ELNS1_3gpuE5ELNS1_3repE0EEENS1_30default_config_static_selectorELNS0_4arch9wavefront6targetE1EEEvT1_.numbered_sgpr, 0
	.set _ZN7rocprim17ROCPRIM_400000_NS6detail17trampoline_kernelINS0_14default_configENS1_20scan_config_selectorIN3c107complexIfEEEEZZNS1_9scan_implILNS1_25lookback_scan_determinismE0ELb0ELb0ES3_PKS7_PS7_S7_ZZZN2at6native31launch_logcumsumexp_cuda_kernelERKNSE_10TensorBaseESI_lENKUlvE_clEvENKUlvE2_clEvEUlS7_S7_E_S7_EEDaPvRmT3_T4_T5_mT6_P12ihipStream_tbENKUlT_T0_E_clISt17integral_constantIbLb1EESY_IbLb0EEEEDaSU_SV_EUlSU_E0_NS1_11comp_targetILNS1_3genE10ELNS1_11target_archE1201ELNS1_3gpuE5ELNS1_3repE0EEENS1_30default_config_static_selectorELNS0_4arch9wavefront6targetE1EEEvT1_.num_named_barrier, 0
	.set _ZN7rocprim17ROCPRIM_400000_NS6detail17trampoline_kernelINS0_14default_configENS1_20scan_config_selectorIN3c107complexIfEEEEZZNS1_9scan_implILNS1_25lookback_scan_determinismE0ELb0ELb0ES3_PKS7_PS7_S7_ZZZN2at6native31launch_logcumsumexp_cuda_kernelERKNSE_10TensorBaseESI_lENKUlvE_clEvENKUlvE2_clEvEUlS7_S7_E_S7_EEDaPvRmT3_T4_T5_mT6_P12ihipStream_tbENKUlT_T0_E_clISt17integral_constantIbLb1EESY_IbLb0EEEEDaSU_SV_EUlSU_E0_NS1_11comp_targetILNS1_3genE10ELNS1_11target_archE1201ELNS1_3gpuE5ELNS1_3repE0EEENS1_30default_config_static_selectorELNS0_4arch9wavefront6targetE1EEEvT1_.private_seg_size, 0
	.set _ZN7rocprim17ROCPRIM_400000_NS6detail17trampoline_kernelINS0_14default_configENS1_20scan_config_selectorIN3c107complexIfEEEEZZNS1_9scan_implILNS1_25lookback_scan_determinismE0ELb0ELb0ES3_PKS7_PS7_S7_ZZZN2at6native31launch_logcumsumexp_cuda_kernelERKNSE_10TensorBaseESI_lENKUlvE_clEvENKUlvE2_clEvEUlS7_S7_E_S7_EEDaPvRmT3_T4_T5_mT6_P12ihipStream_tbENKUlT_T0_E_clISt17integral_constantIbLb1EESY_IbLb0EEEEDaSU_SV_EUlSU_E0_NS1_11comp_targetILNS1_3genE10ELNS1_11target_archE1201ELNS1_3gpuE5ELNS1_3repE0EEENS1_30default_config_static_selectorELNS0_4arch9wavefront6targetE1EEEvT1_.uses_vcc, 0
	.set _ZN7rocprim17ROCPRIM_400000_NS6detail17trampoline_kernelINS0_14default_configENS1_20scan_config_selectorIN3c107complexIfEEEEZZNS1_9scan_implILNS1_25lookback_scan_determinismE0ELb0ELb0ES3_PKS7_PS7_S7_ZZZN2at6native31launch_logcumsumexp_cuda_kernelERKNSE_10TensorBaseESI_lENKUlvE_clEvENKUlvE2_clEvEUlS7_S7_E_S7_EEDaPvRmT3_T4_T5_mT6_P12ihipStream_tbENKUlT_T0_E_clISt17integral_constantIbLb1EESY_IbLb0EEEEDaSU_SV_EUlSU_E0_NS1_11comp_targetILNS1_3genE10ELNS1_11target_archE1201ELNS1_3gpuE5ELNS1_3repE0EEENS1_30default_config_static_selectorELNS0_4arch9wavefront6targetE1EEEvT1_.uses_flat_scratch, 0
	.set _ZN7rocprim17ROCPRIM_400000_NS6detail17trampoline_kernelINS0_14default_configENS1_20scan_config_selectorIN3c107complexIfEEEEZZNS1_9scan_implILNS1_25lookback_scan_determinismE0ELb0ELb0ES3_PKS7_PS7_S7_ZZZN2at6native31launch_logcumsumexp_cuda_kernelERKNSE_10TensorBaseESI_lENKUlvE_clEvENKUlvE2_clEvEUlS7_S7_E_S7_EEDaPvRmT3_T4_T5_mT6_P12ihipStream_tbENKUlT_T0_E_clISt17integral_constantIbLb1EESY_IbLb0EEEEDaSU_SV_EUlSU_E0_NS1_11comp_targetILNS1_3genE10ELNS1_11target_archE1201ELNS1_3gpuE5ELNS1_3repE0EEENS1_30default_config_static_selectorELNS0_4arch9wavefront6targetE1EEEvT1_.has_dyn_sized_stack, 0
	.set _ZN7rocprim17ROCPRIM_400000_NS6detail17trampoline_kernelINS0_14default_configENS1_20scan_config_selectorIN3c107complexIfEEEEZZNS1_9scan_implILNS1_25lookback_scan_determinismE0ELb0ELb0ES3_PKS7_PS7_S7_ZZZN2at6native31launch_logcumsumexp_cuda_kernelERKNSE_10TensorBaseESI_lENKUlvE_clEvENKUlvE2_clEvEUlS7_S7_E_S7_EEDaPvRmT3_T4_T5_mT6_P12ihipStream_tbENKUlT_T0_E_clISt17integral_constantIbLb1EESY_IbLb0EEEEDaSU_SV_EUlSU_E0_NS1_11comp_targetILNS1_3genE10ELNS1_11target_archE1201ELNS1_3gpuE5ELNS1_3repE0EEENS1_30default_config_static_selectorELNS0_4arch9wavefront6targetE1EEEvT1_.has_recursion, 0
	.set _ZN7rocprim17ROCPRIM_400000_NS6detail17trampoline_kernelINS0_14default_configENS1_20scan_config_selectorIN3c107complexIfEEEEZZNS1_9scan_implILNS1_25lookback_scan_determinismE0ELb0ELb0ES3_PKS7_PS7_S7_ZZZN2at6native31launch_logcumsumexp_cuda_kernelERKNSE_10TensorBaseESI_lENKUlvE_clEvENKUlvE2_clEvEUlS7_S7_E_S7_EEDaPvRmT3_T4_T5_mT6_P12ihipStream_tbENKUlT_T0_E_clISt17integral_constantIbLb1EESY_IbLb0EEEEDaSU_SV_EUlSU_E0_NS1_11comp_targetILNS1_3genE10ELNS1_11target_archE1201ELNS1_3gpuE5ELNS1_3repE0EEENS1_30default_config_static_selectorELNS0_4arch9wavefront6targetE1EEEvT1_.has_indirect_call, 0
	.section	.AMDGPU.csdata,"",@progbits
; Kernel info:
; codeLenInByte = 0
; TotalNumSgprs: 4
; NumVgprs: 0
; ScratchSize: 0
; MemoryBound: 0
; FloatMode: 240
; IeeeMode: 1
; LDSByteSize: 0 bytes/workgroup (compile time only)
; SGPRBlocks: 0
; VGPRBlocks: 0
; NumSGPRsForWavesPerEU: 4
; NumVGPRsForWavesPerEU: 1
; Occupancy: 10
; WaveLimiterHint : 0
; COMPUTE_PGM_RSRC2:SCRATCH_EN: 0
; COMPUTE_PGM_RSRC2:USER_SGPR: 6
; COMPUTE_PGM_RSRC2:TRAP_HANDLER: 0
; COMPUTE_PGM_RSRC2:TGID_X_EN: 1
; COMPUTE_PGM_RSRC2:TGID_Y_EN: 0
; COMPUTE_PGM_RSRC2:TGID_Z_EN: 0
; COMPUTE_PGM_RSRC2:TIDIG_COMP_CNT: 0
	.section	.text._ZN7rocprim17ROCPRIM_400000_NS6detail17trampoline_kernelINS0_14default_configENS1_20scan_config_selectorIN3c107complexIfEEEEZZNS1_9scan_implILNS1_25lookback_scan_determinismE0ELb0ELb0ES3_PKS7_PS7_S7_ZZZN2at6native31launch_logcumsumexp_cuda_kernelERKNSE_10TensorBaseESI_lENKUlvE_clEvENKUlvE2_clEvEUlS7_S7_E_S7_EEDaPvRmT3_T4_T5_mT6_P12ihipStream_tbENKUlT_T0_E_clISt17integral_constantIbLb1EESY_IbLb0EEEEDaSU_SV_EUlSU_E0_NS1_11comp_targetILNS1_3genE10ELNS1_11target_archE1200ELNS1_3gpuE4ELNS1_3repE0EEENS1_30default_config_static_selectorELNS0_4arch9wavefront6targetE1EEEvT1_,"axG",@progbits,_ZN7rocprim17ROCPRIM_400000_NS6detail17trampoline_kernelINS0_14default_configENS1_20scan_config_selectorIN3c107complexIfEEEEZZNS1_9scan_implILNS1_25lookback_scan_determinismE0ELb0ELb0ES3_PKS7_PS7_S7_ZZZN2at6native31launch_logcumsumexp_cuda_kernelERKNSE_10TensorBaseESI_lENKUlvE_clEvENKUlvE2_clEvEUlS7_S7_E_S7_EEDaPvRmT3_T4_T5_mT6_P12ihipStream_tbENKUlT_T0_E_clISt17integral_constantIbLb1EESY_IbLb0EEEEDaSU_SV_EUlSU_E0_NS1_11comp_targetILNS1_3genE10ELNS1_11target_archE1200ELNS1_3gpuE4ELNS1_3repE0EEENS1_30default_config_static_selectorELNS0_4arch9wavefront6targetE1EEEvT1_,comdat
	.globl	_ZN7rocprim17ROCPRIM_400000_NS6detail17trampoline_kernelINS0_14default_configENS1_20scan_config_selectorIN3c107complexIfEEEEZZNS1_9scan_implILNS1_25lookback_scan_determinismE0ELb0ELb0ES3_PKS7_PS7_S7_ZZZN2at6native31launch_logcumsumexp_cuda_kernelERKNSE_10TensorBaseESI_lENKUlvE_clEvENKUlvE2_clEvEUlS7_S7_E_S7_EEDaPvRmT3_T4_T5_mT6_P12ihipStream_tbENKUlT_T0_E_clISt17integral_constantIbLb1EESY_IbLb0EEEEDaSU_SV_EUlSU_E0_NS1_11comp_targetILNS1_3genE10ELNS1_11target_archE1200ELNS1_3gpuE4ELNS1_3repE0EEENS1_30default_config_static_selectorELNS0_4arch9wavefront6targetE1EEEvT1_ ; -- Begin function _ZN7rocprim17ROCPRIM_400000_NS6detail17trampoline_kernelINS0_14default_configENS1_20scan_config_selectorIN3c107complexIfEEEEZZNS1_9scan_implILNS1_25lookback_scan_determinismE0ELb0ELb0ES3_PKS7_PS7_S7_ZZZN2at6native31launch_logcumsumexp_cuda_kernelERKNSE_10TensorBaseESI_lENKUlvE_clEvENKUlvE2_clEvEUlS7_S7_E_S7_EEDaPvRmT3_T4_T5_mT6_P12ihipStream_tbENKUlT_T0_E_clISt17integral_constantIbLb1EESY_IbLb0EEEEDaSU_SV_EUlSU_E0_NS1_11comp_targetILNS1_3genE10ELNS1_11target_archE1200ELNS1_3gpuE4ELNS1_3repE0EEENS1_30default_config_static_selectorELNS0_4arch9wavefront6targetE1EEEvT1_
	.p2align	8
	.type	_ZN7rocprim17ROCPRIM_400000_NS6detail17trampoline_kernelINS0_14default_configENS1_20scan_config_selectorIN3c107complexIfEEEEZZNS1_9scan_implILNS1_25lookback_scan_determinismE0ELb0ELb0ES3_PKS7_PS7_S7_ZZZN2at6native31launch_logcumsumexp_cuda_kernelERKNSE_10TensorBaseESI_lENKUlvE_clEvENKUlvE2_clEvEUlS7_S7_E_S7_EEDaPvRmT3_T4_T5_mT6_P12ihipStream_tbENKUlT_T0_E_clISt17integral_constantIbLb1EESY_IbLb0EEEEDaSU_SV_EUlSU_E0_NS1_11comp_targetILNS1_3genE10ELNS1_11target_archE1200ELNS1_3gpuE4ELNS1_3repE0EEENS1_30default_config_static_selectorELNS0_4arch9wavefront6targetE1EEEvT1_,@function
_ZN7rocprim17ROCPRIM_400000_NS6detail17trampoline_kernelINS0_14default_configENS1_20scan_config_selectorIN3c107complexIfEEEEZZNS1_9scan_implILNS1_25lookback_scan_determinismE0ELb0ELb0ES3_PKS7_PS7_S7_ZZZN2at6native31launch_logcumsumexp_cuda_kernelERKNSE_10TensorBaseESI_lENKUlvE_clEvENKUlvE2_clEvEUlS7_S7_E_S7_EEDaPvRmT3_T4_T5_mT6_P12ihipStream_tbENKUlT_T0_E_clISt17integral_constantIbLb1EESY_IbLb0EEEEDaSU_SV_EUlSU_E0_NS1_11comp_targetILNS1_3genE10ELNS1_11target_archE1200ELNS1_3gpuE4ELNS1_3repE0EEENS1_30default_config_static_selectorELNS0_4arch9wavefront6targetE1EEEvT1_: ; @_ZN7rocprim17ROCPRIM_400000_NS6detail17trampoline_kernelINS0_14default_configENS1_20scan_config_selectorIN3c107complexIfEEEEZZNS1_9scan_implILNS1_25lookback_scan_determinismE0ELb0ELb0ES3_PKS7_PS7_S7_ZZZN2at6native31launch_logcumsumexp_cuda_kernelERKNSE_10TensorBaseESI_lENKUlvE_clEvENKUlvE2_clEvEUlS7_S7_E_S7_EEDaPvRmT3_T4_T5_mT6_P12ihipStream_tbENKUlT_T0_E_clISt17integral_constantIbLb1EESY_IbLb0EEEEDaSU_SV_EUlSU_E0_NS1_11comp_targetILNS1_3genE10ELNS1_11target_archE1200ELNS1_3gpuE4ELNS1_3repE0EEENS1_30default_config_static_selectorELNS0_4arch9wavefront6targetE1EEEvT1_
; %bb.0:
	.section	.rodata,"a",@progbits
	.p2align	6, 0x0
	.amdhsa_kernel _ZN7rocprim17ROCPRIM_400000_NS6detail17trampoline_kernelINS0_14default_configENS1_20scan_config_selectorIN3c107complexIfEEEEZZNS1_9scan_implILNS1_25lookback_scan_determinismE0ELb0ELb0ES3_PKS7_PS7_S7_ZZZN2at6native31launch_logcumsumexp_cuda_kernelERKNSE_10TensorBaseESI_lENKUlvE_clEvENKUlvE2_clEvEUlS7_S7_E_S7_EEDaPvRmT3_T4_T5_mT6_P12ihipStream_tbENKUlT_T0_E_clISt17integral_constantIbLb1EESY_IbLb0EEEEDaSU_SV_EUlSU_E0_NS1_11comp_targetILNS1_3genE10ELNS1_11target_archE1200ELNS1_3gpuE4ELNS1_3repE0EEENS1_30default_config_static_selectorELNS0_4arch9wavefront6targetE1EEEvT1_
		.amdhsa_group_segment_fixed_size 0
		.amdhsa_private_segment_fixed_size 0
		.amdhsa_kernarg_size 40
		.amdhsa_user_sgpr_count 6
		.amdhsa_user_sgpr_private_segment_buffer 1
		.amdhsa_user_sgpr_dispatch_ptr 0
		.amdhsa_user_sgpr_queue_ptr 0
		.amdhsa_user_sgpr_kernarg_segment_ptr 1
		.amdhsa_user_sgpr_dispatch_id 0
		.amdhsa_user_sgpr_flat_scratch_init 0
		.amdhsa_user_sgpr_private_segment_size 0
		.amdhsa_uses_dynamic_stack 0
		.amdhsa_system_sgpr_private_segment_wavefront_offset 0
		.amdhsa_system_sgpr_workgroup_id_x 1
		.amdhsa_system_sgpr_workgroup_id_y 0
		.amdhsa_system_sgpr_workgroup_id_z 0
		.amdhsa_system_sgpr_workgroup_info 0
		.amdhsa_system_vgpr_workitem_id 0
		.amdhsa_next_free_vgpr 1
		.amdhsa_next_free_sgpr 0
		.amdhsa_reserve_vcc 0
		.amdhsa_reserve_flat_scratch 0
		.amdhsa_float_round_mode_32 0
		.amdhsa_float_round_mode_16_64 0
		.amdhsa_float_denorm_mode_32 3
		.amdhsa_float_denorm_mode_16_64 3
		.amdhsa_dx10_clamp 1
		.amdhsa_ieee_mode 1
		.amdhsa_fp16_overflow 0
		.amdhsa_exception_fp_ieee_invalid_op 0
		.amdhsa_exception_fp_denorm_src 0
		.amdhsa_exception_fp_ieee_div_zero 0
		.amdhsa_exception_fp_ieee_overflow 0
		.amdhsa_exception_fp_ieee_underflow 0
		.amdhsa_exception_fp_ieee_inexact 0
		.amdhsa_exception_int_div_zero 0
	.end_amdhsa_kernel
	.section	.text._ZN7rocprim17ROCPRIM_400000_NS6detail17trampoline_kernelINS0_14default_configENS1_20scan_config_selectorIN3c107complexIfEEEEZZNS1_9scan_implILNS1_25lookback_scan_determinismE0ELb0ELb0ES3_PKS7_PS7_S7_ZZZN2at6native31launch_logcumsumexp_cuda_kernelERKNSE_10TensorBaseESI_lENKUlvE_clEvENKUlvE2_clEvEUlS7_S7_E_S7_EEDaPvRmT3_T4_T5_mT6_P12ihipStream_tbENKUlT_T0_E_clISt17integral_constantIbLb1EESY_IbLb0EEEEDaSU_SV_EUlSU_E0_NS1_11comp_targetILNS1_3genE10ELNS1_11target_archE1200ELNS1_3gpuE4ELNS1_3repE0EEENS1_30default_config_static_selectorELNS0_4arch9wavefront6targetE1EEEvT1_,"axG",@progbits,_ZN7rocprim17ROCPRIM_400000_NS6detail17trampoline_kernelINS0_14default_configENS1_20scan_config_selectorIN3c107complexIfEEEEZZNS1_9scan_implILNS1_25lookback_scan_determinismE0ELb0ELb0ES3_PKS7_PS7_S7_ZZZN2at6native31launch_logcumsumexp_cuda_kernelERKNSE_10TensorBaseESI_lENKUlvE_clEvENKUlvE2_clEvEUlS7_S7_E_S7_EEDaPvRmT3_T4_T5_mT6_P12ihipStream_tbENKUlT_T0_E_clISt17integral_constantIbLb1EESY_IbLb0EEEEDaSU_SV_EUlSU_E0_NS1_11comp_targetILNS1_3genE10ELNS1_11target_archE1200ELNS1_3gpuE4ELNS1_3repE0EEENS1_30default_config_static_selectorELNS0_4arch9wavefront6targetE1EEEvT1_,comdat
.Lfunc_end325:
	.size	_ZN7rocprim17ROCPRIM_400000_NS6detail17trampoline_kernelINS0_14default_configENS1_20scan_config_selectorIN3c107complexIfEEEEZZNS1_9scan_implILNS1_25lookback_scan_determinismE0ELb0ELb0ES3_PKS7_PS7_S7_ZZZN2at6native31launch_logcumsumexp_cuda_kernelERKNSE_10TensorBaseESI_lENKUlvE_clEvENKUlvE2_clEvEUlS7_S7_E_S7_EEDaPvRmT3_T4_T5_mT6_P12ihipStream_tbENKUlT_T0_E_clISt17integral_constantIbLb1EESY_IbLb0EEEEDaSU_SV_EUlSU_E0_NS1_11comp_targetILNS1_3genE10ELNS1_11target_archE1200ELNS1_3gpuE4ELNS1_3repE0EEENS1_30default_config_static_selectorELNS0_4arch9wavefront6targetE1EEEvT1_, .Lfunc_end325-_ZN7rocprim17ROCPRIM_400000_NS6detail17trampoline_kernelINS0_14default_configENS1_20scan_config_selectorIN3c107complexIfEEEEZZNS1_9scan_implILNS1_25lookback_scan_determinismE0ELb0ELb0ES3_PKS7_PS7_S7_ZZZN2at6native31launch_logcumsumexp_cuda_kernelERKNSE_10TensorBaseESI_lENKUlvE_clEvENKUlvE2_clEvEUlS7_S7_E_S7_EEDaPvRmT3_T4_T5_mT6_P12ihipStream_tbENKUlT_T0_E_clISt17integral_constantIbLb1EESY_IbLb0EEEEDaSU_SV_EUlSU_E0_NS1_11comp_targetILNS1_3genE10ELNS1_11target_archE1200ELNS1_3gpuE4ELNS1_3repE0EEENS1_30default_config_static_selectorELNS0_4arch9wavefront6targetE1EEEvT1_
                                        ; -- End function
	.set _ZN7rocprim17ROCPRIM_400000_NS6detail17trampoline_kernelINS0_14default_configENS1_20scan_config_selectorIN3c107complexIfEEEEZZNS1_9scan_implILNS1_25lookback_scan_determinismE0ELb0ELb0ES3_PKS7_PS7_S7_ZZZN2at6native31launch_logcumsumexp_cuda_kernelERKNSE_10TensorBaseESI_lENKUlvE_clEvENKUlvE2_clEvEUlS7_S7_E_S7_EEDaPvRmT3_T4_T5_mT6_P12ihipStream_tbENKUlT_T0_E_clISt17integral_constantIbLb1EESY_IbLb0EEEEDaSU_SV_EUlSU_E0_NS1_11comp_targetILNS1_3genE10ELNS1_11target_archE1200ELNS1_3gpuE4ELNS1_3repE0EEENS1_30default_config_static_selectorELNS0_4arch9wavefront6targetE1EEEvT1_.num_vgpr, 0
	.set _ZN7rocprim17ROCPRIM_400000_NS6detail17trampoline_kernelINS0_14default_configENS1_20scan_config_selectorIN3c107complexIfEEEEZZNS1_9scan_implILNS1_25lookback_scan_determinismE0ELb0ELb0ES3_PKS7_PS7_S7_ZZZN2at6native31launch_logcumsumexp_cuda_kernelERKNSE_10TensorBaseESI_lENKUlvE_clEvENKUlvE2_clEvEUlS7_S7_E_S7_EEDaPvRmT3_T4_T5_mT6_P12ihipStream_tbENKUlT_T0_E_clISt17integral_constantIbLb1EESY_IbLb0EEEEDaSU_SV_EUlSU_E0_NS1_11comp_targetILNS1_3genE10ELNS1_11target_archE1200ELNS1_3gpuE4ELNS1_3repE0EEENS1_30default_config_static_selectorELNS0_4arch9wavefront6targetE1EEEvT1_.num_agpr, 0
	.set _ZN7rocprim17ROCPRIM_400000_NS6detail17trampoline_kernelINS0_14default_configENS1_20scan_config_selectorIN3c107complexIfEEEEZZNS1_9scan_implILNS1_25lookback_scan_determinismE0ELb0ELb0ES3_PKS7_PS7_S7_ZZZN2at6native31launch_logcumsumexp_cuda_kernelERKNSE_10TensorBaseESI_lENKUlvE_clEvENKUlvE2_clEvEUlS7_S7_E_S7_EEDaPvRmT3_T4_T5_mT6_P12ihipStream_tbENKUlT_T0_E_clISt17integral_constantIbLb1EESY_IbLb0EEEEDaSU_SV_EUlSU_E0_NS1_11comp_targetILNS1_3genE10ELNS1_11target_archE1200ELNS1_3gpuE4ELNS1_3repE0EEENS1_30default_config_static_selectorELNS0_4arch9wavefront6targetE1EEEvT1_.numbered_sgpr, 0
	.set _ZN7rocprim17ROCPRIM_400000_NS6detail17trampoline_kernelINS0_14default_configENS1_20scan_config_selectorIN3c107complexIfEEEEZZNS1_9scan_implILNS1_25lookback_scan_determinismE0ELb0ELb0ES3_PKS7_PS7_S7_ZZZN2at6native31launch_logcumsumexp_cuda_kernelERKNSE_10TensorBaseESI_lENKUlvE_clEvENKUlvE2_clEvEUlS7_S7_E_S7_EEDaPvRmT3_T4_T5_mT6_P12ihipStream_tbENKUlT_T0_E_clISt17integral_constantIbLb1EESY_IbLb0EEEEDaSU_SV_EUlSU_E0_NS1_11comp_targetILNS1_3genE10ELNS1_11target_archE1200ELNS1_3gpuE4ELNS1_3repE0EEENS1_30default_config_static_selectorELNS0_4arch9wavefront6targetE1EEEvT1_.num_named_barrier, 0
	.set _ZN7rocprim17ROCPRIM_400000_NS6detail17trampoline_kernelINS0_14default_configENS1_20scan_config_selectorIN3c107complexIfEEEEZZNS1_9scan_implILNS1_25lookback_scan_determinismE0ELb0ELb0ES3_PKS7_PS7_S7_ZZZN2at6native31launch_logcumsumexp_cuda_kernelERKNSE_10TensorBaseESI_lENKUlvE_clEvENKUlvE2_clEvEUlS7_S7_E_S7_EEDaPvRmT3_T4_T5_mT6_P12ihipStream_tbENKUlT_T0_E_clISt17integral_constantIbLb1EESY_IbLb0EEEEDaSU_SV_EUlSU_E0_NS1_11comp_targetILNS1_3genE10ELNS1_11target_archE1200ELNS1_3gpuE4ELNS1_3repE0EEENS1_30default_config_static_selectorELNS0_4arch9wavefront6targetE1EEEvT1_.private_seg_size, 0
	.set _ZN7rocprim17ROCPRIM_400000_NS6detail17trampoline_kernelINS0_14default_configENS1_20scan_config_selectorIN3c107complexIfEEEEZZNS1_9scan_implILNS1_25lookback_scan_determinismE0ELb0ELb0ES3_PKS7_PS7_S7_ZZZN2at6native31launch_logcumsumexp_cuda_kernelERKNSE_10TensorBaseESI_lENKUlvE_clEvENKUlvE2_clEvEUlS7_S7_E_S7_EEDaPvRmT3_T4_T5_mT6_P12ihipStream_tbENKUlT_T0_E_clISt17integral_constantIbLb1EESY_IbLb0EEEEDaSU_SV_EUlSU_E0_NS1_11comp_targetILNS1_3genE10ELNS1_11target_archE1200ELNS1_3gpuE4ELNS1_3repE0EEENS1_30default_config_static_selectorELNS0_4arch9wavefront6targetE1EEEvT1_.uses_vcc, 0
	.set _ZN7rocprim17ROCPRIM_400000_NS6detail17trampoline_kernelINS0_14default_configENS1_20scan_config_selectorIN3c107complexIfEEEEZZNS1_9scan_implILNS1_25lookback_scan_determinismE0ELb0ELb0ES3_PKS7_PS7_S7_ZZZN2at6native31launch_logcumsumexp_cuda_kernelERKNSE_10TensorBaseESI_lENKUlvE_clEvENKUlvE2_clEvEUlS7_S7_E_S7_EEDaPvRmT3_T4_T5_mT6_P12ihipStream_tbENKUlT_T0_E_clISt17integral_constantIbLb1EESY_IbLb0EEEEDaSU_SV_EUlSU_E0_NS1_11comp_targetILNS1_3genE10ELNS1_11target_archE1200ELNS1_3gpuE4ELNS1_3repE0EEENS1_30default_config_static_selectorELNS0_4arch9wavefront6targetE1EEEvT1_.uses_flat_scratch, 0
	.set _ZN7rocprim17ROCPRIM_400000_NS6detail17trampoline_kernelINS0_14default_configENS1_20scan_config_selectorIN3c107complexIfEEEEZZNS1_9scan_implILNS1_25lookback_scan_determinismE0ELb0ELb0ES3_PKS7_PS7_S7_ZZZN2at6native31launch_logcumsumexp_cuda_kernelERKNSE_10TensorBaseESI_lENKUlvE_clEvENKUlvE2_clEvEUlS7_S7_E_S7_EEDaPvRmT3_T4_T5_mT6_P12ihipStream_tbENKUlT_T0_E_clISt17integral_constantIbLb1EESY_IbLb0EEEEDaSU_SV_EUlSU_E0_NS1_11comp_targetILNS1_3genE10ELNS1_11target_archE1200ELNS1_3gpuE4ELNS1_3repE0EEENS1_30default_config_static_selectorELNS0_4arch9wavefront6targetE1EEEvT1_.has_dyn_sized_stack, 0
	.set _ZN7rocprim17ROCPRIM_400000_NS6detail17trampoline_kernelINS0_14default_configENS1_20scan_config_selectorIN3c107complexIfEEEEZZNS1_9scan_implILNS1_25lookback_scan_determinismE0ELb0ELb0ES3_PKS7_PS7_S7_ZZZN2at6native31launch_logcumsumexp_cuda_kernelERKNSE_10TensorBaseESI_lENKUlvE_clEvENKUlvE2_clEvEUlS7_S7_E_S7_EEDaPvRmT3_T4_T5_mT6_P12ihipStream_tbENKUlT_T0_E_clISt17integral_constantIbLb1EESY_IbLb0EEEEDaSU_SV_EUlSU_E0_NS1_11comp_targetILNS1_3genE10ELNS1_11target_archE1200ELNS1_3gpuE4ELNS1_3repE0EEENS1_30default_config_static_selectorELNS0_4arch9wavefront6targetE1EEEvT1_.has_recursion, 0
	.set _ZN7rocprim17ROCPRIM_400000_NS6detail17trampoline_kernelINS0_14default_configENS1_20scan_config_selectorIN3c107complexIfEEEEZZNS1_9scan_implILNS1_25lookback_scan_determinismE0ELb0ELb0ES3_PKS7_PS7_S7_ZZZN2at6native31launch_logcumsumexp_cuda_kernelERKNSE_10TensorBaseESI_lENKUlvE_clEvENKUlvE2_clEvEUlS7_S7_E_S7_EEDaPvRmT3_T4_T5_mT6_P12ihipStream_tbENKUlT_T0_E_clISt17integral_constantIbLb1EESY_IbLb0EEEEDaSU_SV_EUlSU_E0_NS1_11comp_targetILNS1_3genE10ELNS1_11target_archE1200ELNS1_3gpuE4ELNS1_3repE0EEENS1_30default_config_static_selectorELNS0_4arch9wavefront6targetE1EEEvT1_.has_indirect_call, 0
	.section	.AMDGPU.csdata,"",@progbits
; Kernel info:
; codeLenInByte = 0
; TotalNumSgprs: 4
; NumVgprs: 0
; ScratchSize: 0
; MemoryBound: 0
; FloatMode: 240
; IeeeMode: 1
; LDSByteSize: 0 bytes/workgroup (compile time only)
; SGPRBlocks: 0
; VGPRBlocks: 0
; NumSGPRsForWavesPerEU: 4
; NumVGPRsForWavesPerEU: 1
; Occupancy: 10
; WaveLimiterHint : 0
; COMPUTE_PGM_RSRC2:SCRATCH_EN: 0
; COMPUTE_PGM_RSRC2:USER_SGPR: 6
; COMPUTE_PGM_RSRC2:TRAP_HANDLER: 0
; COMPUTE_PGM_RSRC2:TGID_X_EN: 1
; COMPUTE_PGM_RSRC2:TGID_Y_EN: 0
; COMPUTE_PGM_RSRC2:TGID_Z_EN: 0
; COMPUTE_PGM_RSRC2:TIDIG_COMP_CNT: 0
	.section	.text._ZN7rocprim17ROCPRIM_400000_NS6detail17trampoline_kernelINS0_14default_configENS1_20scan_config_selectorIN3c107complexIfEEEEZZNS1_9scan_implILNS1_25lookback_scan_determinismE0ELb0ELb0ES3_PKS7_PS7_S7_ZZZN2at6native31launch_logcumsumexp_cuda_kernelERKNSE_10TensorBaseESI_lENKUlvE_clEvENKUlvE2_clEvEUlS7_S7_E_S7_EEDaPvRmT3_T4_T5_mT6_P12ihipStream_tbENKUlT_T0_E_clISt17integral_constantIbLb1EESY_IbLb0EEEEDaSU_SV_EUlSU_E0_NS1_11comp_targetILNS1_3genE9ELNS1_11target_archE1100ELNS1_3gpuE3ELNS1_3repE0EEENS1_30default_config_static_selectorELNS0_4arch9wavefront6targetE1EEEvT1_,"axG",@progbits,_ZN7rocprim17ROCPRIM_400000_NS6detail17trampoline_kernelINS0_14default_configENS1_20scan_config_selectorIN3c107complexIfEEEEZZNS1_9scan_implILNS1_25lookback_scan_determinismE0ELb0ELb0ES3_PKS7_PS7_S7_ZZZN2at6native31launch_logcumsumexp_cuda_kernelERKNSE_10TensorBaseESI_lENKUlvE_clEvENKUlvE2_clEvEUlS7_S7_E_S7_EEDaPvRmT3_T4_T5_mT6_P12ihipStream_tbENKUlT_T0_E_clISt17integral_constantIbLb1EESY_IbLb0EEEEDaSU_SV_EUlSU_E0_NS1_11comp_targetILNS1_3genE9ELNS1_11target_archE1100ELNS1_3gpuE3ELNS1_3repE0EEENS1_30default_config_static_selectorELNS0_4arch9wavefront6targetE1EEEvT1_,comdat
	.globl	_ZN7rocprim17ROCPRIM_400000_NS6detail17trampoline_kernelINS0_14default_configENS1_20scan_config_selectorIN3c107complexIfEEEEZZNS1_9scan_implILNS1_25lookback_scan_determinismE0ELb0ELb0ES3_PKS7_PS7_S7_ZZZN2at6native31launch_logcumsumexp_cuda_kernelERKNSE_10TensorBaseESI_lENKUlvE_clEvENKUlvE2_clEvEUlS7_S7_E_S7_EEDaPvRmT3_T4_T5_mT6_P12ihipStream_tbENKUlT_T0_E_clISt17integral_constantIbLb1EESY_IbLb0EEEEDaSU_SV_EUlSU_E0_NS1_11comp_targetILNS1_3genE9ELNS1_11target_archE1100ELNS1_3gpuE3ELNS1_3repE0EEENS1_30default_config_static_selectorELNS0_4arch9wavefront6targetE1EEEvT1_ ; -- Begin function _ZN7rocprim17ROCPRIM_400000_NS6detail17trampoline_kernelINS0_14default_configENS1_20scan_config_selectorIN3c107complexIfEEEEZZNS1_9scan_implILNS1_25lookback_scan_determinismE0ELb0ELb0ES3_PKS7_PS7_S7_ZZZN2at6native31launch_logcumsumexp_cuda_kernelERKNSE_10TensorBaseESI_lENKUlvE_clEvENKUlvE2_clEvEUlS7_S7_E_S7_EEDaPvRmT3_T4_T5_mT6_P12ihipStream_tbENKUlT_T0_E_clISt17integral_constantIbLb1EESY_IbLb0EEEEDaSU_SV_EUlSU_E0_NS1_11comp_targetILNS1_3genE9ELNS1_11target_archE1100ELNS1_3gpuE3ELNS1_3repE0EEENS1_30default_config_static_selectorELNS0_4arch9wavefront6targetE1EEEvT1_
	.p2align	8
	.type	_ZN7rocprim17ROCPRIM_400000_NS6detail17trampoline_kernelINS0_14default_configENS1_20scan_config_selectorIN3c107complexIfEEEEZZNS1_9scan_implILNS1_25lookback_scan_determinismE0ELb0ELb0ES3_PKS7_PS7_S7_ZZZN2at6native31launch_logcumsumexp_cuda_kernelERKNSE_10TensorBaseESI_lENKUlvE_clEvENKUlvE2_clEvEUlS7_S7_E_S7_EEDaPvRmT3_T4_T5_mT6_P12ihipStream_tbENKUlT_T0_E_clISt17integral_constantIbLb1EESY_IbLb0EEEEDaSU_SV_EUlSU_E0_NS1_11comp_targetILNS1_3genE9ELNS1_11target_archE1100ELNS1_3gpuE3ELNS1_3repE0EEENS1_30default_config_static_selectorELNS0_4arch9wavefront6targetE1EEEvT1_,@function
_ZN7rocprim17ROCPRIM_400000_NS6detail17trampoline_kernelINS0_14default_configENS1_20scan_config_selectorIN3c107complexIfEEEEZZNS1_9scan_implILNS1_25lookback_scan_determinismE0ELb0ELb0ES3_PKS7_PS7_S7_ZZZN2at6native31launch_logcumsumexp_cuda_kernelERKNSE_10TensorBaseESI_lENKUlvE_clEvENKUlvE2_clEvEUlS7_S7_E_S7_EEDaPvRmT3_T4_T5_mT6_P12ihipStream_tbENKUlT_T0_E_clISt17integral_constantIbLb1EESY_IbLb0EEEEDaSU_SV_EUlSU_E0_NS1_11comp_targetILNS1_3genE9ELNS1_11target_archE1100ELNS1_3gpuE3ELNS1_3repE0EEENS1_30default_config_static_selectorELNS0_4arch9wavefront6targetE1EEEvT1_: ; @_ZN7rocprim17ROCPRIM_400000_NS6detail17trampoline_kernelINS0_14default_configENS1_20scan_config_selectorIN3c107complexIfEEEEZZNS1_9scan_implILNS1_25lookback_scan_determinismE0ELb0ELb0ES3_PKS7_PS7_S7_ZZZN2at6native31launch_logcumsumexp_cuda_kernelERKNSE_10TensorBaseESI_lENKUlvE_clEvENKUlvE2_clEvEUlS7_S7_E_S7_EEDaPvRmT3_T4_T5_mT6_P12ihipStream_tbENKUlT_T0_E_clISt17integral_constantIbLb1EESY_IbLb0EEEEDaSU_SV_EUlSU_E0_NS1_11comp_targetILNS1_3genE9ELNS1_11target_archE1100ELNS1_3gpuE3ELNS1_3repE0EEENS1_30default_config_static_selectorELNS0_4arch9wavefront6targetE1EEEvT1_
; %bb.0:
	.section	.rodata,"a",@progbits
	.p2align	6, 0x0
	.amdhsa_kernel _ZN7rocprim17ROCPRIM_400000_NS6detail17trampoline_kernelINS0_14default_configENS1_20scan_config_selectorIN3c107complexIfEEEEZZNS1_9scan_implILNS1_25lookback_scan_determinismE0ELb0ELb0ES3_PKS7_PS7_S7_ZZZN2at6native31launch_logcumsumexp_cuda_kernelERKNSE_10TensorBaseESI_lENKUlvE_clEvENKUlvE2_clEvEUlS7_S7_E_S7_EEDaPvRmT3_T4_T5_mT6_P12ihipStream_tbENKUlT_T0_E_clISt17integral_constantIbLb1EESY_IbLb0EEEEDaSU_SV_EUlSU_E0_NS1_11comp_targetILNS1_3genE9ELNS1_11target_archE1100ELNS1_3gpuE3ELNS1_3repE0EEENS1_30default_config_static_selectorELNS0_4arch9wavefront6targetE1EEEvT1_
		.amdhsa_group_segment_fixed_size 0
		.amdhsa_private_segment_fixed_size 0
		.amdhsa_kernarg_size 40
		.amdhsa_user_sgpr_count 6
		.amdhsa_user_sgpr_private_segment_buffer 1
		.amdhsa_user_sgpr_dispatch_ptr 0
		.amdhsa_user_sgpr_queue_ptr 0
		.amdhsa_user_sgpr_kernarg_segment_ptr 1
		.amdhsa_user_sgpr_dispatch_id 0
		.amdhsa_user_sgpr_flat_scratch_init 0
		.amdhsa_user_sgpr_private_segment_size 0
		.amdhsa_uses_dynamic_stack 0
		.amdhsa_system_sgpr_private_segment_wavefront_offset 0
		.amdhsa_system_sgpr_workgroup_id_x 1
		.amdhsa_system_sgpr_workgroup_id_y 0
		.amdhsa_system_sgpr_workgroup_id_z 0
		.amdhsa_system_sgpr_workgroup_info 0
		.amdhsa_system_vgpr_workitem_id 0
		.amdhsa_next_free_vgpr 1
		.amdhsa_next_free_sgpr 0
		.amdhsa_reserve_vcc 0
		.amdhsa_reserve_flat_scratch 0
		.amdhsa_float_round_mode_32 0
		.amdhsa_float_round_mode_16_64 0
		.amdhsa_float_denorm_mode_32 3
		.amdhsa_float_denorm_mode_16_64 3
		.amdhsa_dx10_clamp 1
		.amdhsa_ieee_mode 1
		.amdhsa_fp16_overflow 0
		.amdhsa_exception_fp_ieee_invalid_op 0
		.amdhsa_exception_fp_denorm_src 0
		.amdhsa_exception_fp_ieee_div_zero 0
		.amdhsa_exception_fp_ieee_overflow 0
		.amdhsa_exception_fp_ieee_underflow 0
		.amdhsa_exception_fp_ieee_inexact 0
		.amdhsa_exception_int_div_zero 0
	.end_amdhsa_kernel
	.section	.text._ZN7rocprim17ROCPRIM_400000_NS6detail17trampoline_kernelINS0_14default_configENS1_20scan_config_selectorIN3c107complexIfEEEEZZNS1_9scan_implILNS1_25lookback_scan_determinismE0ELb0ELb0ES3_PKS7_PS7_S7_ZZZN2at6native31launch_logcumsumexp_cuda_kernelERKNSE_10TensorBaseESI_lENKUlvE_clEvENKUlvE2_clEvEUlS7_S7_E_S7_EEDaPvRmT3_T4_T5_mT6_P12ihipStream_tbENKUlT_T0_E_clISt17integral_constantIbLb1EESY_IbLb0EEEEDaSU_SV_EUlSU_E0_NS1_11comp_targetILNS1_3genE9ELNS1_11target_archE1100ELNS1_3gpuE3ELNS1_3repE0EEENS1_30default_config_static_selectorELNS0_4arch9wavefront6targetE1EEEvT1_,"axG",@progbits,_ZN7rocprim17ROCPRIM_400000_NS6detail17trampoline_kernelINS0_14default_configENS1_20scan_config_selectorIN3c107complexIfEEEEZZNS1_9scan_implILNS1_25lookback_scan_determinismE0ELb0ELb0ES3_PKS7_PS7_S7_ZZZN2at6native31launch_logcumsumexp_cuda_kernelERKNSE_10TensorBaseESI_lENKUlvE_clEvENKUlvE2_clEvEUlS7_S7_E_S7_EEDaPvRmT3_T4_T5_mT6_P12ihipStream_tbENKUlT_T0_E_clISt17integral_constantIbLb1EESY_IbLb0EEEEDaSU_SV_EUlSU_E0_NS1_11comp_targetILNS1_3genE9ELNS1_11target_archE1100ELNS1_3gpuE3ELNS1_3repE0EEENS1_30default_config_static_selectorELNS0_4arch9wavefront6targetE1EEEvT1_,comdat
.Lfunc_end326:
	.size	_ZN7rocprim17ROCPRIM_400000_NS6detail17trampoline_kernelINS0_14default_configENS1_20scan_config_selectorIN3c107complexIfEEEEZZNS1_9scan_implILNS1_25lookback_scan_determinismE0ELb0ELb0ES3_PKS7_PS7_S7_ZZZN2at6native31launch_logcumsumexp_cuda_kernelERKNSE_10TensorBaseESI_lENKUlvE_clEvENKUlvE2_clEvEUlS7_S7_E_S7_EEDaPvRmT3_T4_T5_mT6_P12ihipStream_tbENKUlT_T0_E_clISt17integral_constantIbLb1EESY_IbLb0EEEEDaSU_SV_EUlSU_E0_NS1_11comp_targetILNS1_3genE9ELNS1_11target_archE1100ELNS1_3gpuE3ELNS1_3repE0EEENS1_30default_config_static_selectorELNS0_4arch9wavefront6targetE1EEEvT1_, .Lfunc_end326-_ZN7rocprim17ROCPRIM_400000_NS6detail17trampoline_kernelINS0_14default_configENS1_20scan_config_selectorIN3c107complexIfEEEEZZNS1_9scan_implILNS1_25lookback_scan_determinismE0ELb0ELb0ES3_PKS7_PS7_S7_ZZZN2at6native31launch_logcumsumexp_cuda_kernelERKNSE_10TensorBaseESI_lENKUlvE_clEvENKUlvE2_clEvEUlS7_S7_E_S7_EEDaPvRmT3_T4_T5_mT6_P12ihipStream_tbENKUlT_T0_E_clISt17integral_constantIbLb1EESY_IbLb0EEEEDaSU_SV_EUlSU_E0_NS1_11comp_targetILNS1_3genE9ELNS1_11target_archE1100ELNS1_3gpuE3ELNS1_3repE0EEENS1_30default_config_static_selectorELNS0_4arch9wavefront6targetE1EEEvT1_
                                        ; -- End function
	.set _ZN7rocprim17ROCPRIM_400000_NS6detail17trampoline_kernelINS0_14default_configENS1_20scan_config_selectorIN3c107complexIfEEEEZZNS1_9scan_implILNS1_25lookback_scan_determinismE0ELb0ELb0ES3_PKS7_PS7_S7_ZZZN2at6native31launch_logcumsumexp_cuda_kernelERKNSE_10TensorBaseESI_lENKUlvE_clEvENKUlvE2_clEvEUlS7_S7_E_S7_EEDaPvRmT3_T4_T5_mT6_P12ihipStream_tbENKUlT_T0_E_clISt17integral_constantIbLb1EESY_IbLb0EEEEDaSU_SV_EUlSU_E0_NS1_11comp_targetILNS1_3genE9ELNS1_11target_archE1100ELNS1_3gpuE3ELNS1_3repE0EEENS1_30default_config_static_selectorELNS0_4arch9wavefront6targetE1EEEvT1_.num_vgpr, 0
	.set _ZN7rocprim17ROCPRIM_400000_NS6detail17trampoline_kernelINS0_14default_configENS1_20scan_config_selectorIN3c107complexIfEEEEZZNS1_9scan_implILNS1_25lookback_scan_determinismE0ELb0ELb0ES3_PKS7_PS7_S7_ZZZN2at6native31launch_logcumsumexp_cuda_kernelERKNSE_10TensorBaseESI_lENKUlvE_clEvENKUlvE2_clEvEUlS7_S7_E_S7_EEDaPvRmT3_T4_T5_mT6_P12ihipStream_tbENKUlT_T0_E_clISt17integral_constantIbLb1EESY_IbLb0EEEEDaSU_SV_EUlSU_E0_NS1_11comp_targetILNS1_3genE9ELNS1_11target_archE1100ELNS1_3gpuE3ELNS1_3repE0EEENS1_30default_config_static_selectorELNS0_4arch9wavefront6targetE1EEEvT1_.num_agpr, 0
	.set _ZN7rocprim17ROCPRIM_400000_NS6detail17trampoline_kernelINS0_14default_configENS1_20scan_config_selectorIN3c107complexIfEEEEZZNS1_9scan_implILNS1_25lookback_scan_determinismE0ELb0ELb0ES3_PKS7_PS7_S7_ZZZN2at6native31launch_logcumsumexp_cuda_kernelERKNSE_10TensorBaseESI_lENKUlvE_clEvENKUlvE2_clEvEUlS7_S7_E_S7_EEDaPvRmT3_T4_T5_mT6_P12ihipStream_tbENKUlT_T0_E_clISt17integral_constantIbLb1EESY_IbLb0EEEEDaSU_SV_EUlSU_E0_NS1_11comp_targetILNS1_3genE9ELNS1_11target_archE1100ELNS1_3gpuE3ELNS1_3repE0EEENS1_30default_config_static_selectorELNS0_4arch9wavefront6targetE1EEEvT1_.numbered_sgpr, 0
	.set _ZN7rocprim17ROCPRIM_400000_NS6detail17trampoline_kernelINS0_14default_configENS1_20scan_config_selectorIN3c107complexIfEEEEZZNS1_9scan_implILNS1_25lookback_scan_determinismE0ELb0ELb0ES3_PKS7_PS7_S7_ZZZN2at6native31launch_logcumsumexp_cuda_kernelERKNSE_10TensorBaseESI_lENKUlvE_clEvENKUlvE2_clEvEUlS7_S7_E_S7_EEDaPvRmT3_T4_T5_mT6_P12ihipStream_tbENKUlT_T0_E_clISt17integral_constantIbLb1EESY_IbLb0EEEEDaSU_SV_EUlSU_E0_NS1_11comp_targetILNS1_3genE9ELNS1_11target_archE1100ELNS1_3gpuE3ELNS1_3repE0EEENS1_30default_config_static_selectorELNS0_4arch9wavefront6targetE1EEEvT1_.num_named_barrier, 0
	.set _ZN7rocprim17ROCPRIM_400000_NS6detail17trampoline_kernelINS0_14default_configENS1_20scan_config_selectorIN3c107complexIfEEEEZZNS1_9scan_implILNS1_25lookback_scan_determinismE0ELb0ELb0ES3_PKS7_PS7_S7_ZZZN2at6native31launch_logcumsumexp_cuda_kernelERKNSE_10TensorBaseESI_lENKUlvE_clEvENKUlvE2_clEvEUlS7_S7_E_S7_EEDaPvRmT3_T4_T5_mT6_P12ihipStream_tbENKUlT_T0_E_clISt17integral_constantIbLb1EESY_IbLb0EEEEDaSU_SV_EUlSU_E0_NS1_11comp_targetILNS1_3genE9ELNS1_11target_archE1100ELNS1_3gpuE3ELNS1_3repE0EEENS1_30default_config_static_selectorELNS0_4arch9wavefront6targetE1EEEvT1_.private_seg_size, 0
	.set _ZN7rocprim17ROCPRIM_400000_NS6detail17trampoline_kernelINS0_14default_configENS1_20scan_config_selectorIN3c107complexIfEEEEZZNS1_9scan_implILNS1_25lookback_scan_determinismE0ELb0ELb0ES3_PKS7_PS7_S7_ZZZN2at6native31launch_logcumsumexp_cuda_kernelERKNSE_10TensorBaseESI_lENKUlvE_clEvENKUlvE2_clEvEUlS7_S7_E_S7_EEDaPvRmT3_T4_T5_mT6_P12ihipStream_tbENKUlT_T0_E_clISt17integral_constantIbLb1EESY_IbLb0EEEEDaSU_SV_EUlSU_E0_NS1_11comp_targetILNS1_3genE9ELNS1_11target_archE1100ELNS1_3gpuE3ELNS1_3repE0EEENS1_30default_config_static_selectorELNS0_4arch9wavefront6targetE1EEEvT1_.uses_vcc, 0
	.set _ZN7rocprim17ROCPRIM_400000_NS6detail17trampoline_kernelINS0_14default_configENS1_20scan_config_selectorIN3c107complexIfEEEEZZNS1_9scan_implILNS1_25lookback_scan_determinismE0ELb0ELb0ES3_PKS7_PS7_S7_ZZZN2at6native31launch_logcumsumexp_cuda_kernelERKNSE_10TensorBaseESI_lENKUlvE_clEvENKUlvE2_clEvEUlS7_S7_E_S7_EEDaPvRmT3_T4_T5_mT6_P12ihipStream_tbENKUlT_T0_E_clISt17integral_constantIbLb1EESY_IbLb0EEEEDaSU_SV_EUlSU_E0_NS1_11comp_targetILNS1_3genE9ELNS1_11target_archE1100ELNS1_3gpuE3ELNS1_3repE0EEENS1_30default_config_static_selectorELNS0_4arch9wavefront6targetE1EEEvT1_.uses_flat_scratch, 0
	.set _ZN7rocprim17ROCPRIM_400000_NS6detail17trampoline_kernelINS0_14default_configENS1_20scan_config_selectorIN3c107complexIfEEEEZZNS1_9scan_implILNS1_25lookback_scan_determinismE0ELb0ELb0ES3_PKS7_PS7_S7_ZZZN2at6native31launch_logcumsumexp_cuda_kernelERKNSE_10TensorBaseESI_lENKUlvE_clEvENKUlvE2_clEvEUlS7_S7_E_S7_EEDaPvRmT3_T4_T5_mT6_P12ihipStream_tbENKUlT_T0_E_clISt17integral_constantIbLb1EESY_IbLb0EEEEDaSU_SV_EUlSU_E0_NS1_11comp_targetILNS1_3genE9ELNS1_11target_archE1100ELNS1_3gpuE3ELNS1_3repE0EEENS1_30default_config_static_selectorELNS0_4arch9wavefront6targetE1EEEvT1_.has_dyn_sized_stack, 0
	.set _ZN7rocprim17ROCPRIM_400000_NS6detail17trampoline_kernelINS0_14default_configENS1_20scan_config_selectorIN3c107complexIfEEEEZZNS1_9scan_implILNS1_25lookback_scan_determinismE0ELb0ELb0ES3_PKS7_PS7_S7_ZZZN2at6native31launch_logcumsumexp_cuda_kernelERKNSE_10TensorBaseESI_lENKUlvE_clEvENKUlvE2_clEvEUlS7_S7_E_S7_EEDaPvRmT3_T4_T5_mT6_P12ihipStream_tbENKUlT_T0_E_clISt17integral_constantIbLb1EESY_IbLb0EEEEDaSU_SV_EUlSU_E0_NS1_11comp_targetILNS1_3genE9ELNS1_11target_archE1100ELNS1_3gpuE3ELNS1_3repE0EEENS1_30default_config_static_selectorELNS0_4arch9wavefront6targetE1EEEvT1_.has_recursion, 0
	.set _ZN7rocprim17ROCPRIM_400000_NS6detail17trampoline_kernelINS0_14default_configENS1_20scan_config_selectorIN3c107complexIfEEEEZZNS1_9scan_implILNS1_25lookback_scan_determinismE0ELb0ELb0ES3_PKS7_PS7_S7_ZZZN2at6native31launch_logcumsumexp_cuda_kernelERKNSE_10TensorBaseESI_lENKUlvE_clEvENKUlvE2_clEvEUlS7_S7_E_S7_EEDaPvRmT3_T4_T5_mT6_P12ihipStream_tbENKUlT_T0_E_clISt17integral_constantIbLb1EESY_IbLb0EEEEDaSU_SV_EUlSU_E0_NS1_11comp_targetILNS1_3genE9ELNS1_11target_archE1100ELNS1_3gpuE3ELNS1_3repE0EEENS1_30default_config_static_selectorELNS0_4arch9wavefront6targetE1EEEvT1_.has_indirect_call, 0
	.section	.AMDGPU.csdata,"",@progbits
; Kernel info:
; codeLenInByte = 0
; TotalNumSgprs: 4
; NumVgprs: 0
; ScratchSize: 0
; MemoryBound: 0
; FloatMode: 240
; IeeeMode: 1
; LDSByteSize: 0 bytes/workgroup (compile time only)
; SGPRBlocks: 0
; VGPRBlocks: 0
; NumSGPRsForWavesPerEU: 4
; NumVGPRsForWavesPerEU: 1
; Occupancy: 10
; WaveLimiterHint : 0
; COMPUTE_PGM_RSRC2:SCRATCH_EN: 0
; COMPUTE_PGM_RSRC2:USER_SGPR: 6
; COMPUTE_PGM_RSRC2:TRAP_HANDLER: 0
; COMPUTE_PGM_RSRC2:TGID_X_EN: 1
; COMPUTE_PGM_RSRC2:TGID_Y_EN: 0
; COMPUTE_PGM_RSRC2:TGID_Z_EN: 0
; COMPUTE_PGM_RSRC2:TIDIG_COMP_CNT: 0
	.section	.text._ZN7rocprim17ROCPRIM_400000_NS6detail17trampoline_kernelINS0_14default_configENS1_20scan_config_selectorIN3c107complexIfEEEEZZNS1_9scan_implILNS1_25lookback_scan_determinismE0ELb0ELb0ES3_PKS7_PS7_S7_ZZZN2at6native31launch_logcumsumexp_cuda_kernelERKNSE_10TensorBaseESI_lENKUlvE_clEvENKUlvE2_clEvEUlS7_S7_E_S7_EEDaPvRmT3_T4_T5_mT6_P12ihipStream_tbENKUlT_T0_E_clISt17integral_constantIbLb1EESY_IbLb0EEEEDaSU_SV_EUlSU_E0_NS1_11comp_targetILNS1_3genE8ELNS1_11target_archE1030ELNS1_3gpuE2ELNS1_3repE0EEENS1_30default_config_static_selectorELNS0_4arch9wavefront6targetE1EEEvT1_,"axG",@progbits,_ZN7rocprim17ROCPRIM_400000_NS6detail17trampoline_kernelINS0_14default_configENS1_20scan_config_selectorIN3c107complexIfEEEEZZNS1_9scan_implILNS1_25lookback_scan_determinismE0ELb0ELb0ES3_PKS7_PS7_S7_ZZZN2at6native31launch_logcumsumexp_cuda_kernelERKNSE_10TensorBaseESI_lENKUlvE_clEvENKUlvE2_clEvEUlS7_S7_E_S7_EEDaPvRmT3_T4_T5_mT6_P12ihipStream_tbENKUlT_T0_E_clISt17integral_constantIbLb1EESY_IbLb0EEEEDaSU_SV_EUlSU_E0_NS1_11comp_targetILNS1_3genE8ELNS1_11target_archE1030ELNS1_3gpuE2ELNS1_3repE0EEENS1_30default_config_static_selectorELNS0_4arch9wavefront6targetE1EEEvT1_,comdat
	.globl	_ZN7rocprim17ROCPRIM_400000_NS6detail17trampoline_kernelINS0_14default_configENS1_20scan_config_selectorIN3c107complexIfEEEEZZNS1_9scan_implILNS1_25lookback_scan_determinismE0ELb0ELb0ES3_PKS7_PS7_S7_ZZZN2at6native31launch_logcumsumexp_cuda_kernelERKNSE_10TensorBaseESI_lENKUlvE_clEvENKUlvE2_clEvEUlS7_S7_E_S7_EEDaPvRmT3_T4_T5_mT6_P12ihipStream_tbENKUlT_T0_E_clISt17integral_constantIbLb1EESY_IbLb0EEEEDaSU_SV_EUlSU_E0_NS1_11comp_targetILNS1_3genE8ELNS1_11target_archE1030ELNS1_3gpuE2ELNS1_3repE0EEENS1_30default_config_static_selectorELNS0_4arch9wavefront6targetE1EEEvT1_ ; -- Begin function _ZN7rocprim17ROCPRIM_400000_NS6detail17trampoline_kernelINS0_14default_configENS1_20scan_config_selectorIN3c107complexIfEEEEZZNS1_9scan_implILNS1_25lookback_scan_determinismE0ELb0ELb0ES3_PKS7_PS7_S7_ZZZN2at6native31launch_logcumsumexp_cuda_kernelERKNSE_10TensorBaseESI_lENKUlvE_clEvENKUlvE2_clEvEUlS7_S7_E_S7_EEDaPvRmT3_T4_T5_mT6_P12ihipStream_tbENKUlT_T0_E_clISt17integral_constantIbLb1EESY_IbLb0EEEEDaSU_SV_EUlSU_E0_NS1_11comp_targetILNS1_3genE8ELNS1_11target_archE1030ELNS1_3gpuE2ELNS1_3repE0EEENS1_30default_config_static_selectorELNS0_4arch9wavefront6targetE1EEEvT1_
	.p2align	8
	.type	_ZN7rocprim17ROCPRIM_400000_NS6detail17trampoline_kernelINS0_14default_configENS1_20scan_config_selectorIN3c107complexIfEEEEZZNS1_9scan_implILNS1_25lookback_scan_determinismE0ELb0ELb0ES3_PKS7_PS7_S7_ZZZN2at6native31launch_logcumsumexp_cuda_kernelERKNSE_10TensorBaseESI_lENKUlvE_clEvENKUlvE2_clEvEUlS7_S7_E_S7_EEDaPvRmT3_T4_T5_mT6_P12ihipStream_tbENKUlT_T0_E_clISt17integral_constantIbLb1EESY_IbLb0EEEEDaSU_SV_EUlSU_E0_NS1_11comp_targetILNS1_3genE8ELNS1_11target_archE1030ELNS1_3gpuE2ELNS1_3repE0EEENS1_30default_config_static_selectorELNS0_4arch9wavefront6targetE1EEEvT1_,@function
_ZN7rocprim17ROCPRIM_400000_NS6detail17trampoline_kernelINS0_14default_configENS1_20scan_config_selectorIN3c107complexIfEEEEZZNS1_9scan_implILNS1_25lookback_scan_determinismE0ELb0ELb0ES3_PKS7_PS7_S7_ZZZN2at6native31launch_logcumsumexp_cuda_kernelERKNSE_10TensorBaseESI_lENKUlvE_clEvENKUlvE2_clEvEUlS7_S7_E_S7_EEDaPvRmT3_T4_T5_mT6_P12ihipStream_tbENKUlT_T0_E_clISt17integral_constantIbLb1EESY_IbLb0EEEEDaSU_SV_EUlSU_E0_NS1_11comp_targetILNS1_3genE8ELNS1_11target_archE1030ELNS1_3gpuE2ELNS1_3repE0EEENS1_30default_config_static_selectorELNS0_4arch9wavefront6targetE1EEEvT1_: ; @_ZN7rocprim17ROCPRIM_400000_NS6detail17trampoline_kernelINS0_14default_configENS1_20scan_config_selectorIN3c107complexIfEEEEZZNS1_9scan_implILNS1_25lookback_scan_determinismE0ELb0ELb0ES3_PKS7_PS7_S7_ZZZN2at6native31launch_logcumsumexp_cuda_kernelERKNSE_10TensorBaseESI_lENKUlvE_clEvENKUlvE2_clEvEUlS7_S7_E_S7_EEDaPvRmT3_T4_T5_mT6_P12ihipStream_tbENKUlT_T0_E_clISt17integral_constantIbLb1EESY_IbLb0EEEEDaSU_SV_EUlSU_E0_NS1_11comp_targetILNS1_3genE8ELNS1_11target_archE1030ELNS1_3gpuE2ELNS1_3repE0EEENS1_30default_config_static_selectorELNS0_4arch9wavefront6targetE1EEEvT1_
; %bb.0:
	.section	.rodata,"a",@progbits
	.p2align	6, 0x0
	.amdhsa_kernel _ZN7rocprim17ROCPRIM_400000_NS6detail17trampoline_kernelINS0_14default_configENS1_20scan_config_selectorIN3c107complexIfEEEEZZNS1_9scan_implILNS1_25lookback_scan_determinismE0ELb0ELb0ES3_PKS7_PS7_S7_ZZZN2at6native31launch_logcumsumexp_cuda_kernelERKNSE_10TensorBaseESI_lENKUlvE_clEvENKUlvE2_clEvEUlS7_S7_E_S7_EEDaPvRmT3_T4_T5_mT6_P12ihipStream_tbENKUlT_T0_E_clISt17integral_constantIbLb1EESY_IbLb0EEEEDaSU_SV_EUlSU_E0_NS1_11comp_targetILNS1_3genE8ELNS1_11target_archE1030ELNS1_3gpuE2ELNS1_3repE0EEENS1_30default_config_static_selectorELNS0_4arch9wavefront6targetE1EEEvT1_
		.amdhsa_group_segment_fixed_size 0
		.amdhsa_private_segment_fixed_size 0
		.amdhsa_kernarg_size 40
		.amdhsa_user_sgpr_count 6
		.amdhsa_user_sgpr_private_segment_buffer 1
		.amdhsa_user_sgpr_dispatch_ptr 0
		.amdhsa_user_sgpr_queue_ptr 0
		.amdhsa_user_sgpr_kernarg_segment_ptr 1
		.amdhsa_user_sgpr_dispatch_id 0
		.amdhsa_user_sgpr_flat_scratch_init 0
		.amdhsa_user_sgpr_private_segment_size 0
		.amdhsa_uses_dynamic_stack 0
		.amdhsa_system_sgpr_private_segment_wavefront_offset 0
		.amdhsa_system_sgpr_workgroup_id_x 1
		.amdhsa_system_sgpr_workgroup_id_y 0
		.amdhsa_system_sgpr_workgroup_id_z 0
		.amdhsa_system_sgpr_workgroup_info 0
		.amdhsa_system_vgpr_workitem_id 0
		.amdhsa_next_free_vgpr 1
		.amdhsa_next_free_sgpr 0
		.amdhsa_reserve_vcc 0
		.amdhsa_reserve_flat_scratch 0
		.amdhsa_float_round_mode_32 0
		.amdhsa_float_round_mode_16_64 0
		.amdhsa_float_denorm_mode_32 3
		.amdhsa_float_denorm_mode_16_64 3
		.amdhsa_dx10_clamp 1
		.amdhsa_ieee_mode 1
		.amdhsa_fp16_overflow 0
		.amdhsa_exception_fp_ieee_invalid_op 0
		.amdhsa_exception_fp_denorm_src 0
		.amdhsa_exception_fp_ieee_div_zero 0
		.amdhsa_exception_fp_ieee_overflow 0
		.amdhsa_exception_fp_ieee_underflow 0
		.amdhsa_exception_fp_ieee_inexact 0
		.amdhsa_exception_int_div_zero 0
	.end_amdhsa_kernel
	.section	.text._ZN7rocprim17ROCPRIM_400000_NS6detail17trampoline_kernelINS0_14default_configENS1_20scan_config_selectorIN3c107complexIfEEEEZZNS1_9scan_implILNS1_25lookback_scan_determinismE0ELb0ELb0ES3_PKS7_PS7_S7_ZZZN2at6native31launch_logcumsumexp_cuda_kernelERKNSE_10TensorBaseESI_lENKUlvE_clEvENKUlvE2_clEvEUlS7_S7_E_S7_EEDaPvRmT3_T4_T5_mT6_P12ihipStream_tbENKUlT_T0_E_clISt17integral_constantIbLb1EESY_IbLb0EEEEDaSU_SV_EUlSU_E0_NS1_11comp_targetILNS1_3genE8ELNS1_11target_archE1030ELNS1_3gpuE2ELNS1_3repE0EEENS1_30default_config_static_selectorELNS0_4arch9wavefront6targetE1EEEvT1_,"axG",@progbits,_ZN7rocprim17ROCPRIM_400000_NS6detail17trampoline_kernelINS0_14default_configENS1_20scan_config_selectorIN3c107complexIfEEEEZZNS1_9scan_implILNS1_25lookback_scan_determinismE0ELb0ELb0ES3_PKS7_PS7_S7_ZZZN2at6native31launch_logcumsumexp_cuda_kernelERKNSE_10TensorBaseESI_lENKUlvE_clEvENKUlvE2_clEvEUlS7_S7_E_S7_EEDaPvRmT3_T4_T5_mT6_P12ihipStream_tbENKUlT_T0_E_clISt17integral_constantIbLb1EESY_IbLb0EEEEDaSU_SV_EUlSU_E0_NS1_11comp_targetILNS1_3genE8ELNS1_11target_archE1030ELNS1_3gpuE2ELNS1_3repE0EEENS1_30default_config_static_selectorELNS0_4arch9wavefront6targetE1EEEvT1_,comdat
.Lfunc_end327:
	.size	_ZN7rocprim17ROCPRIM_400000_NS6detail17trampoline_kernelINS0_14default_configENS1_20scan_config_selectorIN3c107complexIfEEEEZZNS1_9scan_implILNS1_25lookback_scan_determinismE0ELb0ELb0ES3_PKS7_PS7_S7_ZZZN2at6native31launch_logcumsumexp_cuda_kernelERKNSE_10TensorBaseESI_lENKUlvE_clEvENKUlvE2_clEvEUlS7_S7_E_S7_EEDaPvRmT3_T4_T5_mT6_P12ihipStream_tbENKUlT_T0_E_clISt17integral_constantIbLb1EESY_IbLb0EEEEDaSU_SV_EUlSU_E0_NS1_11comp_targetILNS1_3genE8ELNS1_11target_archE1030ELNS1_3gpuE2ELNS1_3repE0EEENS1_30default_config_static_selectorELNS0_4arch9wavefront6targetE1EEEvT1_, .Lfunc_end327-_ZN7rocprim17ROCPRIM_400000_NS6detail17trampoline_kernelINS0_14default_configENS1_20scan_config_selectorIN3c107complexIfEEEEZZNS1_9scan_implILNS1_25lookback_scan_determinismE0ELb0ELb0ES3_PKS7_PS7_S7_ZZZN2at6native31launch_logcumsumexp_cuda_kernelERKNSE_10TensorBaseESI_lENKUlvE_clEvENKUlvE2_clEvEUlS7_S7_E_S7_EEDaPvRmT3_T4_T5_mT6_P12ihipStream_tbENKUlT_T0_E_clISt17integral_constantIbLb1EESY_IbLb0EEEEDaSU_SV_EUlSU_E0_NS1_11comp_targetILNS1_3genE8ELNS1_11target_archE1030ELNS1_3gpuE2ELNS1_3repE0EEENS1_30default_config_static_selectorELNS0_4arch9wavefront6targetE1EEEvT1_
                                        ; -- End function
	.set _ZN7rocprim17ROCPRIM_400000_NS6detail17trampoline_kernelINS0_14default_configENS1_20scan_config_selectorIN3c107complexIfEEEEZZNS1_9scan_implILNS1_25lookback_scan_determinismE0ELb0ELb0ES3_PKS7_PS7_S7_ZZZN2at6native31launch_logcumsumexp_cuda_kernelERKNSE_10TensorBaseESI_lENKUlvE_clEvENKUlvE2_clEvEUlS7_S7_E_S7_EEDaPvRmT3_T4_T5_mT6_P12ihipStream_tbENKUlT_T0_E_clISt17integral_constantIbLb1EESY_IbLb0EEEEDaSU_SV_EUlSU_E0_NS1_11comp_targetILNS1_3genE8ELNS1_11target_archE1030ELNS1_3gpuE2ELNS1_3repE0EEENS1_30default_config_static_selectorELNS0_4arch9wavefront6targetE1EEEvT1_.num_vgpr, 0
	.set _ZN7rocprim17ROCPRIM_400000_NS6detail17trampoline_kernelINS0_14default_configENS1_20scan_config_selectorIN3c107complexIfEEEEZZNS1_9scan_implILNS1_25lookback_scan_determinismE0ELb0ELb0ES3_PKS7_PS7_S7_ZZZN2at6native31launch_logcumsumexp_cuda_kernelERKNSE_10TensorBaseESI_lENKUlvE_clEvENKUlvE2_clEvEUlS7_S7_E_S7_EEDaPvRmT3_T4_T5_mT6_P12ihipStream_tbENKUlT_T0_E_clISt17integral_constantIbLb1EESY_IbLb0EEEEDaSU_SV_EUlSU_E0_NS1_11comp_targetILNS1_3genE8ELNS1_11target_archE1030ELNS1_3gpuE2ELNS1_3repE0EEENS1_30default_config_static_selectorELNS0_4arch9wavefront6targetE1EEEvT1_.num_agpr, 0
	.set _ZN7rocprim17ROCPRIM_400000_NS6detail17trampoline_kernelINS0_14default_configENS1_20scan_config_selectorIN3c107complexIfEEEEZZNS1_9scan_implILNS1_25lookback_scan_determinismE0ELb0ELb0ES3_PKS7_PS7_S7_ZZZN2at6native31launch_logcumsumexp_cuda_kernelERKNSE_10TensorBaseESI_lENKUlvE_clEvENKUlvE2_clEvEUlS7_S7_E_S7_EEDaPvRmT3_T4_T5_mT6_P12ihipStream_tbENKUlT_T0_E_clISt17integral_constantIbLb1EESY_IbLb0EEEEDaSU_SV_EUlSU_E0_NS1_11comp_targetILNS1_3genE8ELNS1_11target_archE1030ELNS1_3gpuE2ELNS1_3repE0EEENS1_30default_config_static_selectorELNS0_4arch9wavefront6targetE1EEEvT1_.numbered_sgpr, 0
	.set _ZN7rocprim17ROCPRIM_400000_NS6detail17trampoline_kernelINS0_14default_configENS1_20scan_config_selectorIN3c107complexIfEEEEZZNS1_9scan_implILNS1_25lookback_scan_determinismE0ELb0ELb0ES3_PKS7_PS7_S7_ZZZN2at6native31launch_logcumsumexp_cuda_kernelERKNSE_10TensorBaseESI_lENKUlvE_clEvENKUlvE2_clEvEUlS7_S7_E_S7_EEDaPvRmT3_T4_T5_mT6_P12ihipStream_tbENKUlT_T0_E_clISt17integral_constantIbLb1EESY_IbLb0EEEEDaSU_SV_EUlSU_E0_NS1_11comp_targetILNS1_3genE8ELNS1_11target_archE1030ELNS1_3gpuE2ELNS1_3repE0EEENS1_30default_config_static_selectorELNS0_4arch9wavefront6targetE1EEEvT1_.num_named_barrier, 0
	.set _ZN7rocprim17ROCPRIM_400000_NS6detail17trampoline_kernelINS0_14default_configENS1_20scan_config_selectorIN3c107complexIfEEEEZZNS1_9scan_implILNS1_25lookback_scan_determinismE0ELb0ELb0ES3_PKS7_PS7_S7_ZZZN2at6native31launch_logcumsumexp_cuda_kernelERKNSE_10TensorBaseESI_lENKUlvE_clEvENKUlvE2_clEvEUlS7_S7_E_S7_EEDaPvRmT3_T4_T5_mT6_P12ihipStream_tbENKUlT_T0_E_clISt17integral_constantIbLb1EESY_IbLb0EEEEDaSU_SV_EUlSU_E0_NS1_11comp_targetILNS1_3genE8ELNS1_11target_archE1030ELNS1_3gpuE2ELNS1_3repE0EEENS1_30default_config_static_selectorELNS0_4arch9wavefront6targetE1EEEvT1_.private_seg_size, 0
	.set _ZN7rocprim17ROCPRIM_400000_NS6detail17trampoline_kernelINS0_14default_configENS1_20scan_config_selectorIN3c107complexIfEEEEZZNS1_9scan_implILNS1_25lookback_scan_determinismE0ELb0ELb0ES3_PKS7_PS7_S7_ZZZN2at6native31launch_logcumsumexp_cuda_kernelERKNSE_10TensorBaseESI_lENKUlvE_clEvENKUlvE2_clEvEUlS7_S7_E_S7_EEDaPvRmT3_T4_T5_mT6_P12ihipStream_tbENKUlT_T0_E_clISt17integral_constantIbLb1EESY_IbLb0EEEEDaSU_SV_EUlSU_E0_NS1_11comp_targetILNS1_3genE8ELNS1_11target_archE1030ELNS1_3gpuE2ELNS1_3repE0EEENS1_30default_config_static_selectorELNS0_4arch9wavefront6targetE1EEEvT1_.uses_vcc, 0
	.set _ZN7rocprim17ROCPRIM_400000_NS6detail17trampoline_kernelINS0_14default_configENS1_20scan_config_selectorIN3c107complexIfEEEEZZNS1_9scan_implILNS1_25lookback_scan_determinismE0ELb0ELb0ES3_PKS7_PS7_S7_ZZZN2at6native31launch_logcumsumexp_cuda_kernelERKNSE_10TensorBaseESI_lENKUlvE_clEvENKUlvE2_clEvEUlS7_S7_E_S7_EEDaPvRmT3_T4_T5_mT6_P12ihipStream_tbENKUlT_T0_E_clISt17integral_constantIbLb1EESY_IbLb0EEEEDaSU_SV_EUlSU_E0_NS1_11comp_targetILNS1_3genE8ELNS1_11target_archE1030ELNS1_3gpuE2ELNS1_3repE0EEENS1_30default_config_static_selectorELNS0_4arch9wavefront6targetE1EEEvT1_.uses_flat_scratch, 0
	.set _ZN7rocprim17ROCPRIM_400000_NS6detail17trampoline_kernelINS0_14default_configENS1_20scan_config_selectorIN3c107complexIfEEEEZZNS1_9scan_implILNS1_25lookback_scan_determinismE0ELb0ELb0ES3_PKS7_PS7_S7_ZZZN2at6native31launch_logcumsumexp_cuda_kernelERKNSE_10TensorBaseESI_lENKUlvE_clEvENKUlvE2_clEvEUlS7_S7_E_S7_EEDaPvRmT3_T4_T5_mT6_P12ihipStream_tbENKUlT_T0_E_clISt17integral_constantIbLb1EESY_IbLb0EEEEDaSU_SV_EUlSU_E0_NS1_11comp_targetILNS1_3genE8ELNS1_11target_archE1030ELNS1_3gpuE2ELNS1_3repE0EEENS1_30default_config_static_selectorELNS0_4arch9wavefront6targetE1EEEvT1_.has_dyn_sized_stack, 0
	.set _ZN7rocprim17ROCPRIM_400000_NS6detail17trampoline_kernelINS0_14default_configENS1_20scan_config_selectorIN3c107complexIfEEEEZZNS1_9scan_implILNS1_25lookback_scan_determinismE0ELb0ELb0ES3_PKS7_PS7_S7_ZZZN2at6native31launch_logcumsumexp_cuda_kernelERKNSE_10TensorBaseESI_lENKUlvE_clEvENKUlvE2_clEvEUlS7_S7_E_S7_EEDaPvRmT3_T4_T5_mT6_P12ihipStream_tbENKUlT_T0_E_clISt17integral_constantIbLb1EESY_IbLb0EEEEDaSU_SV_EUlSU_E0_NS1_11comp_targetILNS1_3genE8ELNS1_11target_archE1030ELNS1_3gpuE2ELNS1_3repE0EEENS1_30default_config_static_selectorELNS0_4arch9wavefront6targetE1EEEvT1_.has_recursion, 0
	.set _ZN7rocprim17ROCPRIM_400000_NS6detail17trampoline_kernelINS0_14default_configENS1_20scan_config_selectorIN3c107complexIfEEEEZZNS1_9scan_implILNS1_25lookback_scan_determinismE0ELb0ELb0ES3_PKS7_PS7_S7_ZZZN2at6native31launch_logcumsumexp_cuda_kernelERKNSE_10TensorBaseESI_lENKUlvE_clEvENKUlvE2_clEvEUlS7_S7_E_S7_EEDaPvRmT3_T4_T5_mT6_P12ihipStream_tbENKUlT_T0_E_clISt17integral_constantIbLb1EESY_IbLb0EEEEDaSU_SV_EUlSU_E0_NS1_11comp_targetILNS1_3genE8ELNS1_11target_archE1030ELNS1_3gpuE2ELNS1_3repE0EEENS1_30default_config_static_selectorELNS0_4arch9wavefront6targetE1EEEvT1_.has_indirect_call, 0
	.section	.AMDGPU.csdata,"",@progbits
; Kernel info:
; codeLenInByte = 0
; TotalNumSgprs: 4
; NumVgprs: 0
; ScratchSize: 0
; MemoryBound: 0
; FloatMode: 240
; IeeeMode: 1
; LDSByteSize: 0 bytes/workgroup (compile time only)
; SGPRBlocks: 0
; VGPRBlocks: 0
; NumSGPRsForWavesPerEU: 4
; NumVGPRsForWavesPerEU: 1
; Occupancy: 10
; WaveLimiterHint : 0
; COMPUTE_PGM_RSRC2:SCRATCH_EN: 0
; COMPUTE_PGM_RSRC2:USER_SGPR: 6
; COMPUTE_PGM_RSRC2:TRAP_HANDLER: 0
; COMPUTE_PGM_RSRC2:TGID_X_EN: 1
; COMPUTE_PGM_RSRC2:TGID_Y_EN: 0
; COMPUTE_PGM_RSRC2:TGID_Z_EN: 0
; COMPUTE_PGM_RSRC2:TIDIG_COMP_CNT: 0
	.section	.text._ZN7rocprim17ROCPRIM_400000_NS6detail31init_lookback_scan_state_kernelINS1_19lookback_scan_stateIN3c107complexIfEELb0ELb1EEENS1_16block_id_wrapperIjLb1EEEEEvT_jT0_jPNSA_10value_typeE,"axG",@progbits,_ZN7rocprim17ROCPRIM_400000_NS6detail31init_lookback_scan_state_kernelINS1_19lookback_scan_stateIN3c107complexIfEELb0ELb1EEENS1_16block_id_wrapperIjLb1EEEEEvT_jT0_jPNSA_10value_typeE,comdat
	.protected	_ZN7rocprim17ROCPRIM_400000_NS6detail31init_lookback_scan_state_kernelINS1_19lookback_scan_stateIN3c107complexIfEELb0ELb1EEENS1_16block_id_wrapperIjLb1EEEEEvT_jT0_jPNSA_10value_typeE ; -- Begin function _ZN7rocprim17ROCPRIM_400000_NS6detail31init_lookback_scan_state_kernelINS1_19lookback_scan_stateIN3c107complexIfEELb0ELb1EEENS1_16block_id_wrapperIjLb1EEEEEvT_jT0_jPNSA_10value_typeE
	.globl	_ZN7rocprim17ROCPRIM_400000_NS6detail31init_lookback_scan_state_kernelINS1_19lookback_scan_stateIN3c107complexIfEELb0ELb1EEENS1_16block_id_wrapperIjLb1EEEEEvT_jT0_jPNSA_10value_typeE
	.p2align	8
	.type	_ZN7rocprim17ROCPRIM_400000_NS6detail31init_lookback_scan_state_kernelINS1_19lookback_scan_stateIN3c107complexIfEELb0ELb1EEENS1_16block_id_wrapperIjLb1EEEEEvT_jT0_jPNSA_10value_typeE,@function
_ZN7rocprim17ROCPRIM_400000_NS6detail31init_lookback_scan_state_kernelINS1_19lookback_scan_stateIN3c107complexIfEELb0ELb1EEENS1_16block_id_wrapperIjLb1EEEEEvT_jT0_jPNSA_10value_typeE: ; @_ZN7rocprim17ROCPRIM_400000_NS6detail31init_lookback_scan_state_kernelINS1_19lookback_scan_stateIN3c107complexIfEELb0ELb1EEENS1_16block_id_wrapperIjLb1EEEEEvT_jT0_jPNSA_10value_typeE
; %bb.0:
	s_load_dword s7, s[4:5], 0x34
	s_load_dwordx2 s[2:3], s[4:5], 0x20
	s_load_dwordx2 s[0:1], s[4:5], 0x0
	s_load_dword s14, s[4:5], 0x8
	s_waitcnt lgkmcnt(0)
	s_and_b32 s7, s7, 0xffff
	s_mul_i32 s6, s6, s7
	s_cmp_eq_u64 s[2:3], 0
	v_add_u32_e32 v0, s6, v0
	s_cbranch_scc1 .LBB328_8
; %bb.1:
	s_load_dword s8, s[4:5], 0x18
	s_mov_b32 s9, 0
	s_waitcnt lgkmcnt(0)
	s_cmp_lt_u32 s8, s14
	s_cselect_b32 s6, s8, 0
	v_cmp_eq_u32_e32 vcc, s6, v0
	s_and_saveexec_b64 s[6:7], vcc
	s_cbranch_execz .LBB328_7
; %bb.2:
	s_add_i32 s8, s8, 64
	s_lshl_b64 s[8:9], s[8:9], 4
	s_add_u32 s12, s0, s8
	s_addc_u32 s13, s1, s9
	v_mov_b32_e32 v1, s12
	v_mov_b32_e32 v2, s13
	;;#ASMSTART
	global_load_dwordx4 v[1:4], v[1:2] off glc	
s_waitcnt vmcnt(0)
	;;#ASMEND
	v_and_b32_e32 v4, 0xff, v3
	v_mov_b32_e32 v5, 0
	v_cmp_eq_u64_e32 vcc, 0, v[4:5]
	s_mov_b64 s[10:11], 0
	s_and_saveexec_b64 s[8:9], vcc
	s_cbranch_execz .LBB328_6
; %bb.3:
	v_mov_b32_e32 v6, s12
	v_mov_b32_e32 v7, s13
.LBB328_4:                              ; =>This Inner Loop Header: Depth=1
	;;#ASMSTART
	global_load_dwordx4 v[1:4], v[6:7] off glc	
s_waitcnt vmcnt(0)
	;;#ASMEND
	v_and_b32_e32 v4, 0xff, v3
	v_cmp_ne_u64_e32 vcc, 0, v[4:5]
	s_or_b64 s[10:11], vcc, s[10:11]
	s_andn2_b64 exec, exec, s[10:11]
	s_cbranch_execnz .LBB328_4
; %bb.5:
	s_or_b64 exec, exec, s[10:11]
.LBB328_6:
	s_or_b64 exec, exec, s[8:9]
	v_mov_b32_e32 v3, 0
	global_store_dwordx2 v3, v[1:2], s[2:3]
.LBB328_7:
	s_or_b64 exec, exec, s[6:7]
.LBB328_8:
	v_cmp_eq_u32_e32 vcc, 0, v0
	s_and_saveexec_b64 s[2:3], vcc
	s_cbranch_execnz .LBB328_12
; %bb.9:
	s_or_b64 exec, exec, s[2:3]
	v_cmp_gt_u32_e32 vcc, s14, v0
	s_and_saveexec_b64 s[2:3], vcc
	s_cbranch_execnz .LBB328_13
.LBB328_10:
	s_or_b64 exec, exec, s[2:3]
	v_cmp_gt_u32_e32 vcc, 64, v0
	s_and_saveexec_b64 s[2:3], vcc
	s_cbranch_execnz .LBB328_14
.LBB328_11:
	s_endpgm
.LBB328_12:
	s_load_dwordx2 s[4:5], s[4:5], 0x10
	v_mov_b32_e32 v1, 0
	s_waitcnt lgkmcnt(0)
	global_store_dword v1, v1, s[4:5]
	s_or_b64 exec, exec, s[2:3]
	v_cmp_gt_u32_e32 vcc, s14, v0
	s_and_saveexec_b64 s[2:3], vcc
	s_cbranch_execz .LBB328_10
.LBB328_13:
	v_add_u32_e32 v1, 64, v0
	v_mov_b32_e32 v2, 0
	v_lshlrev_b64 v[3:4], 4, v[1:2]
	v_mov_b32_e32 v1, s1
	v_add_co_u32_e32 v5, vcc, s0, v3
	v_addc_co_u32_e32 v6, vcc, v1, v4, vcc
	v_mov_b32_e32 v1, v2
	v_mov_b32_e32 v3, v2
	;; [unrolled: 1-line block ×3, first 2 shown]
	global_store_dwordx4 v[5:6], v[1:4], off
	s_or_b64 exec, exec, s[2:3]
	v_cmp_gt_u32_e32 vcc, 64, v0
	s_and_saveexec_b64 s[2:3], vcc
	s_cbranch_execz .LBB328_11
.LBB328_14:
	v_mov_b32_e32 v1, 0
	v_lshlrev_b64 v[2:3], 4, v[0:1]
	v_mov_b32_e32 v0, s1
	v_add_co_u32_e32 v4, vcc, s0, v2
	v_addc_co_u32_e32 v5, vcc, v0, v3, vcc
	v_mov_b32_e32 v2, 0xff
	v_mov_b32_e32 v0, v1
	v_mov_b32_e32 v3, v1
	global_store_dwordx4 v[4:5], v[0:3], off
	s_endpgm
	.section	.rodata,"a",@progbits
	.p2align	6, 0x0
	.amdhsa_kernel _ZN7rocprim17ROCPRIM_400000_NS6detail31init_lookback_scan_state_kernelINS1_19lookback_scan_stateIN3c107complexIfEELb0ELb1EEENS1_16block_id_wrapperIjLb1EEEEEvT_jT0_jPNSA_10value_typeE
		.amdhsa_group_segment_fixed_size 0
		.amdhsa_private_segment_fixed_size 0
		.amdhsa_kernarg_size 296
		.amdhsa_user_sgpr_count 6
		.amdhsa_user_sgpr_private_segment_buffer 1
		.amdhsa_user_sgpr_dispatch_ptr 0
		.amdhsa_user_sgpr_queue_ptr 0
		.amdhsa_user_sgpr_kernarg_segment_ptr 1
		.amdhsa_user_sgpr_dispatch_id 0
		.amdhsa_user_sgpr_flat_scratch_init 0
		.amdhsa_user_sgpr_private_segment_size 0
		.amdhsa_uses_dynamic_stack 0
		.amdhsa_system_sgpr_private_segment_wavefront_offset 0
		.amdhsa_system_sgpr_workgroup_id_x 1
		.amdhsa_system_sgpr_workgroup_id_y 0
		.amdhsa_system_sgpr_workgroup_id_z 0
		.amdhsa_system_sgpr_workgroup_info 0
		.amdhsa_system_vgpr_workitem_id 0
		.amdhsa_next_free_vgpr 8
		.amdhsa_next_free_sgpr 15
		.amdhsa_reserve_vcc 1
		.amdhsa_reserve_flat_scratch 0
		.amdhsa_float_round_mode_32 0
		.amdhsa_float_round_mode_16_64 0
		.amdhsa_float_denorm_mode_32 3
		.amdhsa_float_denorm_mode_16_64 3
		.amdhsa_dx10_clamp 1
		.amdhsa_ieee_mode 1
		.amdhsa_fp16_overflow 0
		.amdhsa_exception_fp_ieee_invalid_op 0
		.amdhsa_exception_fp_denorm_src 0
		.amdhsa_exception_fp_ieee_div_zero 0
		.amdhsa_exception_fp_ieee_overflow 0
		.amdhsa_exception_fp_ieee_underflow 0
		.amdhsa_exception_fp_ieee_inexact 0
		.amdhsa_exception_int_div_zero 0
	.end_amdhsa_kernel
	.section	.text._ZN7rocprim17ROCPRIM_400000_NS6detail31init_lookback_scan_state_kernelINS1_19lookback_scan_stateIN3c107complexIfEELb0ELb1EEENS1_16block_id_wrapperIjLb1EEEEEvT_jT0_jPNSA_10value_typeE,"axG",@progbits,_ZN7rocprim17ROCPRIM_400000_NS6detail31init_lookback_scan_state_kernelINS1_19lookback_scan_stateIN3c107complexIfEELb0ELb1EEENS1_16block_id_wrapperIjLb1EEEEEvT_jT0_jPNSA_10value_typeE,comdat
.Lfunc_end328:
	.size	_ZN7rocprim17ROCPRIM_400000_NS6detail31init_lookback_scan_state_kernelINS1_19lookback_scan_stateIN3c107complexIfEELb0ELb1EEENS1_16block_id_wrapperIjLb1EEEEEvT_jT0_jPNSA_10value_typeE, .Lfunc_end328-_ZN7rocprim17ROCPRIM_400000_NS6detail31init_lookback_scan_state_kernelINS1_19lookback_scan_stateIN3c107complexIfEELb0ELb1EEENS1_16block_id_wrapperIjLb1EEEEEvT_jT0_jPNSA_10value_typeE
                                        ; -- End function
	.set _ZN7rocprim17ROCPRIM_400000_NS6detail31init_lookback_scan_state_kernelINS1_19lookback_scan_stateIN3c107complexIfEELb0ELb1EEENS1_16block_id_wrapperIjLb1EEEEEvT_jT0_jPNSA_10value_typeE.num_vgpr, 8
	.set _ZN7rocprim17ROCPRIM_400000_NS6detail31init_lookback_scan_state_kernelINS1_19lookback_scan_stateIN3c107complexIfEELb0ELb1EEENS1_16block_id_wrapperIjLb1EEEEEvT_jT0_jPNSA_10value_typeE.num_agpr, 0
	.set _ZN7rocprim17ROCPRIM_400000_NS6detail31init_lookback_scan_state_kernelINS1_19lookback_scan_stateIN3c107complexIfEELb0ELb1EEENS1_16block_id_wrapperIjLb1EEEEEvT_jT0_jPNSA_10value_typeE.numbered_sgpr, 15
	.set _ZN7rocprim17ROCPRIM_400000_NS6detail31init_lookback_scan_state_kernelINS1_19lookback_scan_stateIN3c107complexIfEELb0ELb1EEENS1_16block_id_wrapperIjLb1EEEEEvT_jT0_jPNSA_10value_typeE.num_named_barrier, 0
	.set _ZN7rocprim17ROCPRIM_400000_NS6detail31init_lookback_scan_state_kernelINS1_19lookback_scan_stateIN3c107complexIfEELb0ELb1EEENS1_16block_id_wrapperIjLb1EEEEEvT_jT0_jPNSA_10value_typeE.private_seg_size, 0
	.set _ZN7rocprim17ROCPRIM_400000_NS6detail31init_lookback_scan_state_kernelINS1_19lookback_scan_stateIN3c107complexIfEELb0ELb1EEENS1_16block_id_wrapperIjLb1EEEEEvT_jT0_jPNSA_10value_typeE.uses_vcc, 1
	.set _ZN7rocprim17ROCPRIM_400000_NS6detail31init_lookback_scan_state_kernelINS1_19lookback_scan_stateIN3c107complexIfEELb0ELb1EEENS1_16block_id_wrapperIjLb1EEEEEvT_jT0_jPNSA_10value_typeE.uses_flat_scratch, 0
	.set _ZN7rocprim17ROCPRIM_400000_NS6detail31init_lookback_scan_state_kernelINS1_19lookback_scan_stateIN3c107complexIfEELb0ELb1EEENS1_16block_id_wrapperIjLb1EEEEEvT_jT0_jPNSA_10value_typeE.has_dyn_sized_stack, 0
	.set _ZN7rocprim17ROCPRIM_400000_NS6detail31init_lookback_scan_state_kernelINS1_19lookback_scan_stateIN3c107complexIfEELb0ELb1EEENS1_16block_id_wrapperIjLb1EEEEEvT_jT0_jPNSA_10value_typeE.has_recursion, 0
	.set _ZN7rocprim17ROCPRIM_400000_NS6detail31init_lookback_scan_state_kernelINS1_19lookback_scan_stateIN3c107complexIfEELb0ELb1EEENS1_16block_id_wrapperIjLb1EEEEEvT_jT0_jPNSA_10value_typeE.has_indirect_call, 0
	.section	.AMDGPU.csdata,"",@progbits
; Kernel info:
; codeLenInByte = 440
; TotalNumSgprs: 19
; NumVgprs: 8
; ScratchSize: 0
; MemoryBound: 0
; FloatMode: 240
; IeeeMode: 1
; LDSByteSize: 0 bytes/workgroup (compile time only)
; SGPRBlocks: 2
; VGPRBlocks: 1
; NumSGPRsForWavesPerEU: 19
; NumVGPRsForWavesPerEU: 8
; Occupancy: 10
; WaveLimiterHint : 0
; COMPUTE_PGM_RSRC2:SCRATCH_EN: 0
; COMPUTE_PGM_RSRC2:USER_SGPR: 6
; COMPUTE_PGM_RSRC2:TRAP_HANDLER: 0
; COMPUTE_PGM_RSRC2:TGID_X_EN: 1
; COMPUTE_PGM_RSRC2:TGID_Y_EN: 0
; COMPUTE_PGM_RSRC2:TGID_Z_EN: 0
; COMPUTE_PGM_RSRC2:TIDIG_COMP_CNT: 0
	.section	.text._ZN7rocprim17ROCPRIM_400000_NS6detail17trampoline_kernelINS0_14default_configENS1_20scan_config_selectorIN3c107complexIfEEEEZZNS1_9scan_implILNS1_25lookback_scan_determinismE0ELb0ELb0ES3_PKS7_PS7_S7_ZZZN2at6native31launch_logcumsumexp_cuda_kernelERKNSE_10TensorBaseESI_lENKUlvE_clEvENKUlvE2_clEvEUlS7_S7_E_S7_EEDaPvRmT3_T4_T5_mT6_P12ihipStream_tbENKUlT_T0_E_clISt17integral_constantIbLb0EESY_IbLb1EEEEDaSU_SV_EUlSU_E_NS1_11comp_targetILNS1_3genE0ELNS1_11target_archE4294967295ELNS1_3gpuE0ELNS1_3repE0EEENS1_30default_config_static_selectorELNS0_4arch9wavefront6targetE1EEEvT1_,"axG",@progbits,_ZN7rocprim17ROCPRIM_400000_NS6detail17trampoline_kernelINS0_14default_configENS1_20scan_config_selectorIN3c107complexIfEEEEZZNS1_9scan_implILNS1_25lookback_scan_determinismE0ELb0ELb0ES3_PKS7_PS7_S7_ZZZN2at6native31launch_logcumsumexp_cuda_kernelERKNSE_10TensorBaseESI_lENKUlvE_clEvENKUlvE2_clEvEUlS7_S7_E_S7_EEDaPvRmT3_T4_T5_mT6_P12ihipStream_tbENKUlT_T0_E_clISt17integral_constantIbLb0EESY_IbLb1EEEEDaSU_SV_EUlSU_E_NS1_11comp_targetILNS1_3genE0ELNS1_11target_archE4294967295ELNS1_3gpuE0ELNS1_3repE0EEENS1_30default_config_static_selectorELNS0_4arch9wavefront6targetE1EEEvT1_,comdat
	.globl	_ZN7rocprim17ROCPRIM_400000_NS6detail17trampoline_kernelINS0_14default_configENS1_20scan_config_selectorIN3c107complexIfEEEEZZNS1_9scan_implILNS1_25lookback_scan_determinismE0ELb0ELb0ES3_PKS7_PS7_S7_ZZZN2at6native31launch_logcumsumexp_cuda_kernelERKNSE_10TensorBaseESI_lENKUlvE_clEvENKUlvE2_clEvEUlS7_S7_E_S7_EEDaPvRmT3_T4_T5_mT6_P12ihipStream_tbENKUlT_T0_E_clISt17integral_constantIbLb0EESY_IbLb1EEEEDaSU_SV_EUlSU_E_NS1_11comp_targetILNS1_3genE0ELNS1_11target_archE4294967295ELNS1_3gpuE0ELNS1_3repE0EEENS1_30default_config_static_selectorELNS0_4arch9wavefront6targetE1EEEvT1_ ; -- Begin function _ZN7rocprim17ROCPRIM_400000_NS6detail17trampoline_kernelINS0_14default_configENS1_20scan_config_selectorIN3c107complexIfEEEEZZNS1_9scan_implILNS1_25lookback_scan_determinismE0ELb0ELb0ES3_PKS7_PS7_S7_ZZZN2at6native31launch_logcumsumexp_cuda_kernelERKNSE_10TensorBaseESI_lENKUlvE_clEvENKUlvE2_clEvEUlS7_S7_E_S7_EEDaPvRmT3_T4_T5_mT6_P12ihipStream_tbENKUlT_T0_E_clISt17integral_constantIbLb0EESY_IbLb1EEEEDaSU_SV_EUlSU_E_NS1_11comp_targetILNS1_3genE0ELNS1_11target_archE4294967295ELNS1_3gpuE0ELNS1_3repE0EEENS1_30default_config_static_selectorELNS0_4arch9wavefront6targetE1EEEvT1_
	.p2align	8
	.type	_ZN7rocprim17ROCPRIM_400000_NS6detail17trampoline_kernelINS0_14default_configENS1_20scan_config_selectorIN3c107complexIfEEEEZZNS1_9scan_implILNS1_25lookback_scan_determinismE0ELb0ELb0ES3_PKS7_PS7_S7_ZZZN2at6native31launch_logcumsumexp_cuda_kernelERKNSE_10TensorBaseESI_lENKUlvE_clEvENKUlvE2_clEvEUlS7_S7_E_S7_EEDaPvRmT3_T4_T5_mT6_P12ihipStream_tbENKUlT_T0_E_clISt17integral_constantIbLb0EESY_IbLb1EEEEDaSU_SV_EUlSU_E_NS1_11comp_targetILNS1_3genE0ELNS1_11target_archE4294967295ELNS1_3gpuE0ELNS1_3repE0EEENS1_30default_config_static_selectorELNS0_4arch9wavefront6targetE1EEEvT1_,@function
_ZN7rocprim17ROCPRIM_400000_NS6detail17trampoline_kernelINS0_14default_configENS1_20scan_config_selectorIN3c107complexIfEEEEZZNS1_9scan_implILNS1_25lookback_scan_determinismE0ELb0ELb0ES3_PKS7_PS7_S7_ZZZN2at6native31launch_logcumsumexp_cuda_kernelERKNSE_10TensorBaseESI_lENKUlvE_clEvENKUlvE2_clEvEUlS7_S7_E_S7_EEDaPvRmT3_T4_T5_mT6_P12ihipStream_tbENKUlT_T0_E_clISt17integral_constantIbLb0EESY_IbLb1EEEEDaSU_SV_EUlSU_E_NS1_11comp_targetILNS1_3genE0ELNS1_11target_archE4294967295ELNS1_3gpuE0ELNS1_3repE0EEENS1_30default_config_static_selectorELNS0_4arch9wavefront6targetE1EEEvT1_: ; @_ZN7rocprim17ROCPRIM_400000_NS6detail17trampoline_kernelINS0_14default_configENS1_20scan_config_selectorIN3c107complexIfEEEEZZNS1_9scan_implILNS1_25lookback_scan_determinismE0ELb0ELb0ES3_PKS7_PS7_S7_ZZZN2at6native31launch_logcumsumexp_cuda_kernelERKNSE_10TensorBaseESI_lENKUlvE_clEvENKUlvE2_clEvEUlS7_S7_E_S7_EEDaPvRmT3_T4_T5_mT6_P12ihipStream_tbENKUlT_T0_E_clISt17integral_constantIbLb0EESY_IbLb1EEEEDaSU_SV_EUlSU_E_NS1_11comp_targetILNS1_3genE0ELNS1_11target_archE4294967295ELNS1_3gpuE0ELNS1_3repE0EEENS1_30default_config_static_selectorELNS0_4arch9wavefront6targetE1EEEvT1_
; %bb.0:
	.section	.rodata,"a",@progbits
	.p2align	6, 0x0
	.amdhsa_kernel _ZN7rocprim17ROCPRIM_400000_NS6detail17trampoline_kernelINS0_14default_configENS1_20scan_config_selectorIN3c107complexIfEEEEZZNS1_9scan_implILNS1_25lookback_scan_determinismE0ELb0ELb0ES3_PKS7_PS7_S7_ZZZN2at6native31launch_logcumsumexp_cuda_kernelERKNSE_10TensorBaseESI_lENKUlvE_clEvENKUlvE2_clEvEUlS7_S7_E_S7_EEDaPvRmT3_T4_T5_mT6_P12ihipStream_tbENKUlT_T0_E_clISt17integral_constantIbLb0EESY_IbLb1EEEEDaSU_SV_EUlSU_E_NS1_11comp_targetILNS1_3genE0ELNS1_11target_archE4294967295ELNS1_3gpuE0ELNS1_3repE0EEENS1_30default_config_static_selectorELNS0_4arch9wavefront6targetE1EEEvT1_
		.amdhsa_group_segment_fixed_size 0
		.amdhsa_private_segment_fixed_size 0
		.amdhsa_kernarg_size 104
		.amdhsa_user_sgpr_count 6
		.amdhsa_user_sgpr_private_segment_buffer 1
		.amdhsa_user_sgpr_dispatch_ptr 0
		.amdhsa_user_sgpr_queue_ptr 0
		.amdhsa_user_sgpr_kernarg_segment_ptr 1
		.amdhsa_user_sgpr_dispatch_id 0
		.amdhsa_user_sgpr_flat_scratch_init 0
		.amdhsa_user_sgpr_private_segment_size 0
		.amdhsa_uses_dynamic_stack 0
		.amdhsa_system_sgpr_private_segment_wavefront_offset 0
		.amdhsa_system_sgpr_workgroup_id_x 1
		.amdhsa_system_sgpr_workgroup_id_y 0
		.amdhsa_system_sgpr_workgroup_id_z 0
		.amdhsa_system_sgpr_workgroup_info 0
		.amdhsa_system_vgpr_workitem_id 0
		.amdhsa_next_free_vgpr 1
		.amdhsa_next_free_sgpr 0
		.amdhsa_reserve_vcc 0
		.amdhsa_reserve_flat_scratch 0
		.amdhsa_float_round_mode_32 0
		.amdhsa_float_round_mode_16_64 0
		.amdhsa_float_denorm_mode_32 3
		.amdhsa_float_denorm_mode_16_64 3
		.amdhsa_dx10_clamp 1
		.amdhsa_ieee_mode 1
		.amdhsa_fp16_overflow 0
		.amdhsa_exception_fp_ieee_invalid_op 0
		.amdhsa_exception_fp_denorm_src 0
		.amdhsa_exception_fp_ieee_div_zero 0
		.amdhsa_exception_fp_ieee_overflow 0
		.amdhsa_exception_fp_ieee_underflow 0
		.amdhsa_exception_fp_ieee_inexact 0
		.amdhsa_exception_int_div_zero 0
	.end_amdhsa_kernel
	.section	.text._ZN7rocprim17ROCPRIM_400000_NS6detail17trampoline_kernelINS0_14default_configENS1_20scan_config_selectorIN3c107complexIfEEEEZZNS1_9scan_implILNS1_25lookback_scan_determinismE0ELb0ELb0ES3_PKS7_PS7_S7_ZZZN2at6native31launch_logcumsumexp_cuda_kernelERKNSE_10TensorBaseESI_lENKUlvE_clEvENKUlvE2_clEvEUlS7_S7_E_S7_EEDaPvRmT3_T4_T5_mT6_P12ihipStream_tbENKUlT_T0_E_clISt17integral_constantIbLb0EESY_IbLb1EEEEDaSU_SV_EUlSU_E_NS1_11comp_targetILNS1_3genE0ELNS1_11target_archE4294967295ELNS1_3gpuE0ELNS1_3repE0EEENS1_30default_config_static_selectorELNS0_4arch9wavefront6targetE1EEEvT1_,"axG",@progbits,_ZN7rocprim17ROCPRIM_400000_NS6detail17trampoline_kernelINS0_14default_configENS1_20scan_config_selectorIN3c107complexIfEEEEZZNS1_9scan_implILNS1_25lookback_scan_determinismE0ELb0ELb0ES3_PKS7_PS7_S7_ZZZN2at6native31launch_logcumsumexp_cuda_kernelERKNSE_10TensorBaseESI_lENKUlvE_clEvENKUlvE2_clEvEUlS7_S7_E_S7_EEDaPvRmT3_T4_T5_mT6_P12ihipStream_tbENKUlT_T0_E_clISt17integral_constantIbLb0EESY_IbLb1EEEEDaSU_SV_EUlSU_E_NS1_11comp_targetILNS1_3genE0ELNS1_11target_archE4294967295ELNS1_3gpuE0ELNS1_3repE0EEENS1_30default_config_static_selectorELNS0_4arch9wavefront6targetE1EEEvT1_,comdat
.Lfunc_end329:
	.size	_ZN7rocprim17ROCPRIM_400000_NS6detail17trampoline_kernelINS0_14default_configENS1_20scan_config_selectorIN3c107complexIfEEEEZZNS1_9scan_implILNS1_25lookback_scan_determinismE0ELb0ELb0ES3_PKS7_PS7_S7_ZZZN2at6native31launch_logcumsumexp_cuda_kernelERKNSE_10TensorBaseESI_lENKUlvE_clEvENKUlvE2_clEvEUlS7_S7_E_S7_EEDaPvRmT3_T4_T5_mT6_P12ihipStream_tbENKUlT_T0_E_clISt17integral_constantIbLb0EESY_IbLb1EEEEDaSU_SV_EUlSU_E_NS1_11comp_targetILNS1_3genE0ELNS1_11target_archE4294967295ELNS1_3gpuE0ELNS1_3repE0EEENS1_30default_config_static_selectorELNS0_4arch9wavefront6targetE1EEEvT1_, .Lfunc_end329-_ZN7rocprim17ROCPRIM_400000_NS6detail17trampoline_kernelINS0_14default_configENS1_20scan_config_selectorIN3c107complexIfEEEEZZNS1_9scan_implILNS1_25lookback_scan_determinismE0ELb0ELb0ES3_PKS7_PS7_S7_ZZZN2at6native31launch_logcumsumexp_cuda_kernelERKNSE_10TensorBaseESI_lENKUlvE_clEvENKUlvE2_clEvEUlS7_S7_E_S7_EEDaPvRmT3_T4_T5_mT6_P12ihipStream_tbENKUlT_T0_E_clISt17integral_constantIbLb0EESY_IbLb1EEEEDaSU_SV_EUlSU_E_NS1_11comp_targetILNS1_3genE0ELNS1_11target_archE4294967295ELNS1_3gpuE0ELNS1_3repE0EEENS1_30default_config_static_selectorELNS0_4arch9wavefront6targetE1EEEvT1_
                                        ; -- End function
	.set _ZN7rocprim17ROCPRIM_400000_NS6detail17trampoline_kernelINS0_14default_configENS1_20scan_config_selectorIN3c107complexIfEEEEZZNS1_9scan_implILNS1_25lookback_scan_determinismE0ELb0ELb0ES3_PKS7_PS7_S7_ZZZN2at6native31launch_logcumsumexp_cuda_kernelERKNSE_10TensorBaseESI_lENKUlvE_clEvENKUlvE2_clEvEUlS7_S7_E_S7_EEDaPvRmT3_T4_T5_mT6_P12ihipStream_tbENKUlT_T0_E_clISt17integral_constantIbLb0EESY_IbLb1EEEEDaSU_SV_EUlSU_E_NS1_11comp_targetILNS1_3genE0ELNS1_11target_archE4294967295ELNS1_3gpuE0ELNS1_3repE0EEENS1_30default_config_static_selectorELNS0_4arch9wavefront6targetE1EEEvT1_.num_vgpr, 0
	.set _ZN7rocprim17ROCPRIM_400000_NS6detail17trampoline_kernelINS0_14default_configENS1_20scan_config_selectorIN3c107complexIfEEEEZZNS1_9scan_implILNS1_25lookback_scan_determinismE0ELb0ELb0ES3_PKS7_PS7_S7_ZZZN2at6native31launch_logcumsumexp_cuda_kernelERKNSE_10TensorBaseESI_lENKUlvE_clEvENKUlvE2_clEvEUlS7_S7_E_S7_EEDaPvRmT3_T4_T5_mT6_P12ihipStream_tbENKUlT_T0_E_clISt17integral_constantIbLb0EESY_IbLb1EEEEDaSU_SV_EUlSU_E_NS1_11comp_targetILNS1_3genE0ELNS1_11target_archE4294967295ELNS1_3gpuE0ELNS1_3repE0EEENS1_30default_config_static_selectorELNS0_4arch9wavefront6targetE1EEEvT1_.num_agpr, 0
	.set _ZN7rocprim17ROCPRIM_400000_NS6detail17trampoline_kernelINS0_14default_configENS1_20scan_config_selectorIN3c107complexIfEEEEZZNS1_9scan_implILNS1_25lookback_scan_determinismE0ELb0ELb0ES3_PKS7_PS7_S7_ZZZN2at6native31launch_logcumsumexp_cuda_kernelERKNSE_10TensorBaseESI_lENKUlvE_clEvENKUlvE2_clEvEUlS7_S7_E_S7_EEDaPvRmT3_T4_T5_mT6_P12ihipStream_tbENKUlT_T0_E_clISt17integral_constantIbLb0EESY_IbLb1EEEEDaSU_SV_EUlSU_E_NS1_11comp_targetILNS1_3genE0ELNS1_11target_archE4294967295ELNS1_3gpuE0ELNS1_3repE0EEENS1_30default_config_static_selectorELNS0_4arch9wavefront6targetE1EEEvT1_.numbered_sgpr, 0
	.set _ZN7rocprim17ROCPRIM_400000_NS6detail17trampoline_kernelINS0_14default_configENS1_20scan_config_selectorIN3c107complexIfEEEEZZNS1_9scan_implILNS1_25lookback_scan_determinismE0ELb0ELb0ES3_PKS7_PS7_S7_ZZZN2at6native31launch_logcumsumexp_cuda_kernelERKNSE_10TensorBaseESI_lENKUlvE_clEvENKUlvE2_clEvEUlS7_S7_E_S7_EEDaPvRmT3_T4_T5_mT6_P12ihipStream_tbENKUlT_T0_E_clISt17integral_constantIbLb0EESY_IbLb1EEEEDaSU_SV_EUlSU_E_NS1_11comp_targetILNS1_3genE0ELNS1_11target_archE4294967295ELNS1_3gpuE0ELNS1_3repE0EEENS1_30default_config_static_selectorELNS0_4arch9wavefront6targetE1EEEvT1_.num_named_barrier, 0
	.set _ZN7rocprim17ROCPRIM_400000_NS6detail17trampoline_kernelINS0_14default_configENS1_20scan_config_selectorIN3c107complexIfEEEEZZNS1_9scan_implILNS1_25lookback_scan_determinismE0ELb0ELb0ES3_PKS7_PS7_S7_ZZZN2at6native31launch_logcumsumexp_cuda_kernelERKNSE_10TensorBaseESI_lENKUlvE_clEvENKUlvE2_clEvEUlS7_S7_E_S7_EEDaPvRmT3_T4_T5_mT6_P12ihipStream_tbENKUlT_T0_E_clISt17integral_constantIbLb0EESY_IbLb1EEEEDaSU_SV_EUlSU_E_NS1_11comp_targetILNS1_3genE0ELNS1_11target_archE4294967295ELNS1_3gpuE0ELNS1_3repE0EEENS1_30default_config_static_selectorELNS0_4arch9wavefront6targetE1EEEvT1_.private_seg_size, 0
	.set _ZN7rocprim17ROCPRIM_400000_NS6detail17trampoline_kernelINS0_14default_configENS1_20scan_config_selectorIN3c107complexIfEEEEZZNS1_9scan_implILNS1_25lookback_scan_determinismE0ELb0ELb0ES3_PKS7_PS7_S7_ZZZN2at6native31launch_logcumsumexp_cuda_kernelERKNSE_10TensorBaseESI_lENKUlvE_clEvENKUlvE2_clEvEUlS7_S7_E_S7_EEDaPvRmT3_T4_T5_mT6_P12ihipStream_tbENKUlT_T0_E_clISt17integral_constantIbLb0EESY_IbLb1EEEEDaSU_SV_EUlSU_E_NS1_11comp_targetILNS1_3genE0ELNS1_11target_archE4294967295ELNS1_3gpuE0ELNS1_3repE0EEENS1_30default_config_static_selectorELNS0_4arch9wavefront6targetE1EEEvT1_.uses_vcc, 0
	.set _ZN7rocprim17ROCPRIM_400000_NS6detail17trampoline_kernelINS0_14default_configENS1_20scan_config_selectorIN3c107complexIfEEEEZZNS1_9scan_implILNS1_25lookback_scan_determinismE0ELb0ELb0ES3_PKS7_PS7_S7_ZZZN2at6native31launch_logcumsumexp_cuda_kernelERKNSE_10TensorBaseESI_lENKUlvE_clEvENKUlvE2_clEvEUlS7_S7_E_S7_EEDaPvRmT3_T4_T5_mT6_P12ihipStream_tbENKUlT_T0_E_clISt17integral_constantIbLb0EESY_IbLb1EEEEDaSU_SV_EUlSU_E_NS1_11comp_targetILNS1_3genE0ELNS1_11target_archE4294967295ELNS1_3gpuE0ELNS1_3repE0EEENS1_30default_config_static_selectorELNS0_4arch9wavefront6targetE1EEEvT1_.uses_flat_scratch, 0
	.set _ZN7rocprim17ROCPRIM_400000_NS6detail17trampoline_kernelINS0_14default_configENS1_20scan_config_selectorIN3c107complexIfEEEEZZNS1_9scan_implILNS1_25lookback_scan_determinismE0ELb0ELb0ES3_PKS7_PS7_S7_ZZZN2at6native31launch_logcumsumexp_cuda_kernelERKNSE_10TensorBaseESI_lENKUlvE_clEvENKUlvE2_clEvEUlS7_S7_E_S7_EEDaPvRmT3_T4_T5_mT6_P12ihipStream_tbENKUlT_T0_E_clISt17integral_constantIbLb0EESY_IbLb1EEEEDaSU_SV_EUlSU_E_NS1_11comp_targetILNS1_3genE0ELNS1_11target_archE4294967295ELNS1_3gpuE0ELNS1_3repE0EEENS1_30default_config_static_selectorELNS0_4arch9wavefront6targetE1EEEvT1_.has_dyn_sized_stack, 0
	.set _ZN7rocprim17ROCPRIM_400000_NS6detail17trampoline_kernelINS0_14default_configENS1_20scan_config_selectorIN3c107complexIfEEEEZZNS1_9scan_implILNS1_25lookback_scan_determinismE0ELb0ELb0ES3_PKS7_PS7_S7_ZZZN2at6native31launch_logcumsumexp_cuda_kernelERKNSE_10TensorBaseESI_lENKUlvE_clEvENKUlvE2_clEvEUlS7_S7_E_S7_EEDaPvRmT3_T4_T5_mT6_P12ihipStream_tbENKUlT_T0_E_clISt17integral_constantIbLb0EESY_IbLb1EEEEDaSU_SV_EUlSU_E_NS1_11comp_targetILNS1_3genE0ELNS1_11target_archE4294967295ELNS1_3gpuE0ELNS1_3repE0EEENS1_30default_config_static_selectorELNS0_4arch9wavefront6targetE1EEEvT1_.has_recursion, 0
	.set _ZN7rocprim17ROCPRIM_400000_NS6detail17trampoline_kernelINS0_14default_configENS1_20scan_config_selectorIN3c107complexIfEEEEZZNS1_9scan_implILNS1_25lookback_scan_determinismE0ELb0ELb0ES3_PKS7_PS7_S7_ZZZN2at6native31launch_logcumsumexp_cuda_kernelERKNSE_10TensorBaseESI_lENKUlvE_clEvENKUlvE2_clEvEUlS7_S7_E_S7_EEDaPvRmT3_T4_T5_mT6_P12ihipStream_tbENKUlT_T0_E_clISt17integral_constantIbLb0EESY_IbLb1EEEEDaSU_SV_EUlSU_E_NS1_11comp_targetILNS1_3genE0ELNS1_11target_archE4294967295ELNS1_3gpuE0ELNS1_3repE0EEENS1_30default_config_static_selectorELNS0_4arch9wavefront6targetE1EEEvT1_.has_indirect_call, 0
	.section	.AMDGPU.csdata,"",@progbits
; Kernel info:
; codeLenInByte = 0
; TotalNumSgprs: 4
; NumVgprs: 0
; ScratchSize: 0
; MemoryBound: 0
; FloatMode: 240
; IeeeMode: 1
; LDSByteSize: 0 bytes/workgroup (compile time only)
; SGPRBlocks: 0
; VGPRBlocks: 0
; NumSGPRsForWavesPerEU: 4
; NumVGPRsForWavesPerEU: 1
; Occupancy: 10
; WaveLimiterHint : 0
; COMPUTE_PGM_RSRC2:SCRATCH_EN: 0
; COMPUTE_PGM_RSRC2:USER_SGPR: 6
; COMPUTE_PGM_RSRC2:TRAP_HANDLER: 0
; COMPUTE_PGM_RSRC2:TGID_X_EN: 1
; COMPUTE_PGM_RSRC2:TGID_Y_EN: 0
; COMPUTE_PGM_RSRC2:TGID_Z_EN: 0
; COMPUTE_PGM_RSRC2:TIDIG_COMP_CNT: 0
	.section	.text._ZN7rocprim17ROCPRIM_400000_NS6detail17trampoline_kernelINS0_14default_configENS1_20scan_config_selectorIN3c107complexIfEEEEZZNS1_9scan_implILNS1_25lookback_scan_determinismE0ELb0ELb0ES3_PKS7_PS7_S7_ZZZN2at6native31launch_logcumsumexp_cuda_kernelERKNSE_10TensorBaseESI_lENKUlvE_clEvENKUlvE2_clEvEUlS7_S7_E_S7_EEDaPvRmT3_T4_T5_mT6_P12ihipStream_tbENKUlT_T0_E_clISt17integral_constantIbLb0EESY_IbLb1EEEEDaSU_SV_EUlSU_E_NS1_11comp_targetILNS1_3genE5ELNS1_11target_archE942ELNS1_3gpuE9ELNS1_3repE0EEENS1_30default_config_static_selectorELNS0_4arch9wavefront6targetE1EEEvT1_,"axG",@progbits,_ZN7rocprim17ROCPRIM_400000_NS6detail17trampoline_kernelINS0_14default_configENS1_20scan_config_selectorIN3c107complexIfEEEEZZNS1_9scan_implILNS1_25lookback_scan_determinismE0ELb0ELb0ES3_PKS7_PS7_S7_ZZZN2at6native31launch_logcumsumexp_cuda_kernelERKNSE_10TensorBaseESI_lENKUlvE_clEvENKUlvE2_clEvEUlS7_S7_E_S7_EEDaPvRmT3_T4_T5_mT6_P12ihipStream_tbENKUlT_T0_E_clISt17integral_constantIbLb0EESY_IbLb1EEEEDaSU_SV_EUlSU_E_NS1_11comp_targetILNS1_3genE5ELNS1_11target_archE942ELNS1_3gpuE9ELNS1_3repE0EEENS1_30default_config_static_selectorELNS0_4arch9wavefront6targetE1EEEvT1_,comdat
	.globl	_ZN7rocprim17ROCPRIM_400000_NS6detail17trampoline_kernelINS0_14default_configENS1_20scan_config_selectorIN3c107complexIfEEEEZZNS1_9scan_implILNS1_25lookback_scan_determinismE0ELb0ELb0ES3_PKS7_PS7_S7_ZZZN2at6native31launch_logcumsumexp_cuda_kernelERKNSE_10TensorBaseESI_lENKUlvE_clEvENKUlvE2_clEvEUlS7_S7_E_S7_EEDaPvRmT3_T4_T5_mT6_P12ihipStream_tbENKUlT_T0_E_clISt17integral_constantIbLb0EESY_IbLb1EEEEDaSU_SV_EUlSU_E_NS1_11comp_targetILNS1_3genE5ELNS1_11target_archE942ELNS1_3gpuE9ELNS1_3repE0EEENS1_30default_config_static_selectorELNS0_4arch9wavefront6targetE1EEEvT1_ ; -- Begin function _ZN7rocprim17ROCPRIM_400000_NS6detail17trampoline_kernelINS0_14default_configENS1_20scan_config_selectorIN3c107complexIfEEEEZZNS1_9scan_implILNS1_25lookback_scan_determinismE0ELb0ELb0ES3_PKS7_PS7_S7_ZZZN2at6native31launch_logcumsumexp_cuda_kernelERKNSE_10TensorBaseESI_lENKUlvE_clEvENKUlvE2_clEvEUlS7_S7_E_S7_EEDaPvRmT3_T4_T5_mT6_P12ihipStream_tbENKUlT_T0_E_clISt17integral_constantIbLb0EESY_IbLb1EEEEDaSU_SV_EUlSU_E_NS1_11comp_targetILNS1_3genE5ELNS1_11target_archE942ELNS1_3gpuE9ELNS1_3repE0EEENS1_30default_config_static_selectorELNS0_4arch9wavefront6targetE1EEEvT1_
	.p2align	8
	.type	_ZN7rocprim17ROCPRIM_400000_NS6detail17trampoline_kernelINS0_14default_configENS1_20scan_config_selectorIN3c107complexIfEEEEZZNS1_9scan_implILNS1_25lookback_scan_determinismE0ELb0ELb0ES3_PKS7_PS7_S7_ZZZN2at6native31launch_logcumsumexp_cuda_kernelERKNSE_10TensorBaseESI_lENKUlvE_clEvENKUlvE2_clEvEUlS7_S7_E_S7_EEDaPvRmT3_T4_T5_mT6_P12ihipStream_tbENKUlT_T0_E_clISt17integral_constantIbLb0EESY_IbLb1EEEEDaSU_SV_EUlSU_E_NS1_11comp_targetILNS1_3genE5ELNS1_11target_archE942ELNS1_3gpuE9ELNS1_3repE0EEENS1_30default_config_static_selectorELNS0_4arch9wavefront6targetE1EEEvT1_,@function
_ZN7rocprim17ROCPRIM_400000_NS6detail17trampoline_kernelINS0_14default_configENS1_20scan_config_selectorIN3c107complexIfEEEEZZNS1_9scan_implILNS1_25lookback_scan_determinismE0ELb0ELb0ES3_PKS7_PS7_S7_ZZZN2at6native31launch_logcumsumexp_cuda_kernelERKNSE_10TensorBaseESI_lENKUlvE_clEvENKUlvE2_clEvEUlS7_S7_E_S7_EEDaPvRmT3_T4_T5_mT6_P12ihipStream_tbENKUlT_T0_E_clISt17integral_constantIbLb0EESY_IbLb1EEEEDaSU_SV_EUlSU_E_NS1_11comp_targetILNS1_3genE5ELNS1_11target_archE942ELNS1_3gpuE9ELNS1_3repE0EEENS1_30default_config_static_selectorELNS0_4arch9wavefront6targetE1EEEvT1_: ; @_ZN7rocprim17ROCPRIM_400000_NS6detail17trampoline_kernelINS0_14default_configENS1_20scan_config_selectorIN3c107complexIfEEEEZZNS1_9scan_implILNS1_25lookback_scan_determinismE0ELb0ELb0ES3_PKS7_PS7_S7_ZZZN2at6native31launch_logcumsumexp_cuda_kernelERKNSE_10TensorBaseESI_lENKUlvE_clEvENKUlvE2_clEvEUlS7_S7_E_S7_EEDaPvRmT3_T4_T5_mT6_P12ihipStream_tbENKUlT_T0_E_clISt17integral_constantIbLb0EESY_IbLb1EEEEDaSU_SV_EUlSU_E_NS1_11comp_targetILNS1_3genE5ELNS1_11target_archE942ELNS1_3gpuE9ELNS1_3repE0EEENS1_30default_config_static_selectorELNS0_4arch9wavefront6targetE1EEEvT1_
; %bb.0:
	.section	.rodata,"a",@progbits
	.p2align	6, 0x0
	.amdhsa_kernel _ZN7rocprim17ROCPRIM_400000_NS6detail17trampoline_kernelINS0_14default_configENS1_20scan_config_selectorIN3c107complexIfEEEEZZNS1_9scan_implILNS1_25lookback_scan_determinismE0ELb0ELb0ES3_PKS7_PS7_S7_ZZZN2at6native31launch_logcumsumexp_cuda_kernelERKNSE_10TensorBaseESI_lENKUlvE_clEvENKUlvE2_clEvEUlS7_S7_E_S7_EEDaPvRmT3_T4_T5_mT6_P12ihipStream_tbENKUlT_T0_E_clISt17integral_constantIbLb0EESY_IbLb1EEEEDaSU_SV_EUlSU_E_NS1_11comp_targetILNS1_3genE5ELNS1_11target_archE942ELNS1_3gpuE9ELNS1_3repE0EEENS1_30default_config_static_selectorELNS0_4arch9wavefront6targetE1EEEvT1_
		.amdhsa_group_segment_fixed_size 0
		.amdhsa_private_segment_fixed_size 0
		.amdhsa_kernarg_size 104
		.amdhsa_user_sgpr_count 6
		.amdhsa_user_sgpr_private_segment_buffer 1
		.amdhsa_user_sgpr_dispatch_ptr 0
		.amdhsa_user_sgpr_queue_ptr 0
		.amdhsa_user_sgpr_kernarg_segment_ptr 1
		.amdhsa_user_sgpr_dispatch_id 0
		.amdhsa_user_sgpr_flat_scratch_init 0
		.amdhsa_user_sgpr_private_segment_size 0
		.amdhsa_uses_dynamic_stack 0
		.amdhsa_system_sgpr_private_segment_wavefront_offset 0
		.amdhsa_system_sgpr_workgroup_id_x 1
		.amdhsa_system_sgpr_workgroup_id_y 0
		.amdhsa_system_sgpr_workgroup_id_z 0
		.amdhsa_system_sgpr_workgroup_info 0
		.amdhsa_system_vgpr_workitem_id 0
		.amdhsa_next_free_vgpr 1
		.amdhsa_next_free_sgpr 0
		.amdhsa_reserve_vcc 0
		.amdhsa_reserve_flat_scratch 0
		.amdhsa_float_round_mode_32 0
		.amdhsa_float_round_mode_16_64 0
		.amdhsa_float_denorm_mode_32 3
		.amdhsa_float_denorm_mode_16_64 3
		.amdhsa_dx10_clamp 1
		.amdhsa_ieee_mode 1
		.amdhsa_fp16_overflow 0
		.amdhsa_exception_fp_ieee_invalid_op 0
		.amdhsa_exception_fp_denorm_src 0
		.amdhsa_exception_fp_ieee_div_zero 0
		.amdhsa_exception_fp_ieee_overflow 0
		.amdhsa_exception_fp_ieee_underflow 0
		.amdhsa_exception_fp_ieee_inexact 0
		.amdhsa_exception_int_div_zero 0
	.end_amdhsa_kernel
	.section	.text._ZN7rocprim17ROCPRIM_400000_NS6detail17trampoline_kernelINS0_14default_configENS1_20scan_config_selectorIN3c107complexIfEEEEZZNS1_9scan_implILNS1_25lookback_scan_determinismE0ELb0ELb0ES3_PKS7_PS7_S7_ZZZN2at6native31launch_logcumsumexp_cuda_kernelERKNSE_10TensorBaseESI_lENKUlvE_clEvENKUlvE2_clEvEUlS7_S7_E_S7_EEDaPvRmT3_T4_T5_mT6_P12ihipStream_tbENKUlT_T0_E_clISt17integral_constantIbLb0EESY_IbLb1EEEEDaSU_SV_EUlSU_E_NS1_11comp_targetILNS1_3genE5ELNS1_11target_archE942ELNS1_3gpuE9ELNS1_3repE0EEENS1_30default_config_static_selectorELNS0_4arch9wavefront6targetE1EEEvT1_,"axG",@progbits,_ZN7rocprim17ROCPRIM_400000_NS6detail17trampoline_kernelINS0_14default_configENS1_20scan_config_selectorIN3c107complexIfEEEEZZNS1_9scan_implILNS1_25lookback_scan_determinismE0ELb0ELb0ES3_PKS7_PS7_S7_ZZZN2at6native31launch_logcumsumexp_cuda_kernelERKNSE_10TensorBaseESI_lENKUlvE_clEvENKUlvE2_clEvEUlS7_S7_E_S7_EEDaPvRmT3_T4_T5_mT6_P12ihipStream_tbENKUlT_T0_E_clISt17integral_constantIbLb0EESY_IbLb1EEEEDaSU_SV_EUlSU_E_NS1_11comp_targetILNS1_3genE5ELNS1_11target_archE942ELNS1_3gpuE9ELNS1_3repE0EEENS1_30default_config_static_selectorELNS0_4arch9wavefront6targetE1EEEvT1_,comdat
.Lfunc_end330:
	.size	_ZN7rocprim17ROCPRIM_400000_NS6detail17trampoline_kernelINS0_14default_configENS1_20scan_config_selectorIN3c107complexIfEEEEZZNS1_9scan_implILNS1_25lookback_scan_determinismE0ELb0ELb0ES3_PKS7_PS7_S7_ZZZN2at6native31launch_logcumsumexp_cuda_kernelERKNSE_10TensorBaseESI_lENKUlvE_clEvENKUlvE2_clEvEUlS7_S7_E_S7_EEDaPvRmT3_T4_T5_mT6_P12ihipStream_tbENKUlT_T0_E_clISt17integral_constantIbLb0EESY_IbLb1EEEEDaSU_SV_EUlSU_E_NS1_11comp_targetILNS1_3genE5ELNS1_11target_archE942ELNS1_3gpuE9ELNS1_3repE0EEENS1_30default_config_static_selectorELNS0_4arch9wavefront6targetE1EEEvT1_, .Lfunc_end330-_ZN7rocprim17ROCPRIM_400000_NS6detail17trampoline_kernelINS0_14default_configENS1_20scan_config_selectorIN3c107complexIfEEEEZZNS1_9scan_implILNS1_25lookback_scan_determinismE0ELb0ELb0ES3_PKS7_PS7_S7_ZZZN2at6native31launch_logcumsumexp_cuda_kernelERKNSE_10TensorBaseESI_lENKUlvE_clEvENKUlvE2_clEvEUlS7_S7_E_S7_EEDaPvRmT3_T4_T5_mT6_P12ihipStream_tbENKUlT_T0_E_clISt17integral_constantIbLb0EESY_IbLb1EEEEDaSU_SV_EUlSU_E_NS1_11comp_targetILNS1_3genE5ELNS1_11target_archE942ELNS1_3gpuE9ELNS1_3repE0EEENS1_30default_config_static_selectorELNS0_4arch9wavefront6targetE1EEEvT1_
                                        ; -- End function
	.set _ZN7rocprim17ROCPRIM_400000_NS6detail17trampoline_kernelINS0_14default_configENS1_20scan_config_selectorIN3c107complexIfEEEEZZNS1_9scan_implILNS1_25lookback_scan_determinismE0ELb0ELb0ES3_PKS7_PS7_S7_ZZZN2at6native31launch_logcumsumexp_cuda_kernelERKNSE_10TensorBaseESI_lENKUlvE_clEvENKUlvE2_clEvEUlS7_S7_E_S7_EEDaPvRmT3_T4_T5_mT6_P12ihipStream_tbENKUlT_T0_E_clISt17integral_constantIbLb0EESY_IbLb1EEEEDaSU_SV_EUlSU_E_NS1_11comp_targetILNS1_3genE5ELNS1_11target_archE942ELNS1_3gpuE9ELNS1_3repE0EEENS1_30default_config_static_selectorELNS0_4arch9wavefront6targetE1EEEvT1_.num_vgpr, 0
	.set _ZN7rocprim17ROCPRIM_400000_NS6detail17trampoline_kernelINS0_14default_configENS1_20scan_config_selectorIN3c107complexIfEEEEZZNS1_9scan_implILNS1_25lookback_scan_determinismE0ELb0ELb0ES3_PKS7_PS7_S7_ZZZN2at6native31launch_logcumsumexp_cuda_kernelERKNSE_10TensorBaseESI_lENKUlvE_clEvENKUlvE2_clEvEUlS7_S7_E_S7_EEDaPvRmT3_T4_T5_mT6_P12ihipStream_tbENKUlT_T0_E_clISt17integral_constantIbLb0EESY_IbLb1EEEEDaSU_SV_EUlSU_E_NS1_11comp_targetILNS1_3genE5ELNS1_11target_archE942ELNS1_3gpuE9ELNS1_3repE0EEENS1_30default_config_static_selectorELNS0_4arch9wavefront6targetE1EEEvT1_.num_agpr, 0
	.set _ZN7rocprim17ROCPRIM_400000_NS6detail17trampoline_kernelINS0_14default_configENS1_20scan_config_selectorIN3c107complexIfEEEEZZNS1_9scan_implILNS1_25lookback_scan_determinismE0ELb0ELb0ES3_PKS7_PS7_S7_ZZZN2at6native31launch_logcumsumexp_cuda_kernelERKNSE_10TensorBaseESI_lENKUlvE_clEvENKUlvE2_clEvEUlS7_S7_E_S7_EEDaPvRmT3_T4_T5_mT6_P12ihipStream_tbENKUlT_T0_E_clISt17integral_constantIbLb0EESY_IbLb1EEEEDaSU_SV_EUlSU_E_NS1_11comp_targetILNS1_3genE5ELNS1_11target_archE942ELNS1_3gpuE9ELNS1_3repE0EEENS1_30default_config_static_selectorELNS0_4arch9wavefront6targetE1EEEvT1_.numbered_sgpr, 0
	.set _ZN7rocprim17ROCPRIM_400000_NS6detail17trampoline_kernelINS0_14default_configENS1_20scan_config_selectorIN3c107complexIfEEEEZZNS1_9scan_implILNS1_25lookback_scan_determinismE0ELb0ELb0ES3_PKS7_PS7_S7_ZZZN2at6native31launch_logcumsumexp_cuda_kernelERKNSE_10TensorBaseESI_lENKUlvE_clEvENKUlvE2_clEvEUlS7_S7_E_S7_EEDaPvRmT3_T4_T5_mT6_P12ihipStream_tbENKUlT_T0_E_clISt17integral_constantIbLb0EESY_IbLb1EEEEDaSU_SV_EUlSU_E_NS1_11comp_targetILNS1_3genE5ELNS1_11target_archE942ELNS1_3gpuE9ELNS1_3repE0EEENS1_30default_config_static_selectorELNS0_4arch9wavefront6targetE1EEEvT1_.num_named_barrier, 0
	.set _ZN7rocprim17ROCPRIM_400000_NS6detail17trampoline_kernelINS0_14default_configENS1_20scan_config_selectorIN3c107complexIfEEEEZZNS1_9scan_implILNS1_25lookback_scan_determinismE0ELb0ELb0ES3_PKS7_PS7_S7_ZZZN2at6native31launch_logcumsumexp_cuda_kernelERKNSE_10TensorBaseESI_lENKUlvE_clEvENKUlvE2_clEvEUlS7_S7_E_S7_EEDaPvRmT3_T4_T5_mT6_P12ihipStream_tbENKUlT_T0_E_clISt17integral_constantIbLb0EESY_IbLb1EEEEDaSU_SV_EUlSU_E_NS1_11comp_targetILNS1_3genE5ELNS1_11target_archE942ELNS1_3gpuE9ELNS1_3repE0EEENS1_30default_config_static_selectorELNS0_4arch9wavefront6targetE1EEEvT1_.private_seg_size, 0
	.set _ZN7rocprim17ROCPRIM_400000_NS6detail17trampoline_kernelINS0_14default_configENS1_20scan_config_selectorIN3c107complexIfEEEEZZNS1_9scan_implILNS1_25lookback_scan_determinismE0ELb0ELb0ES3_PKS7_PS7_S7_ZZZN2at6native31launch_logcumsumexp_cuda_kernelERKNSE_10TensorBaseESI_lENKUlvE_clEvENKUlvE2_clEvEUlS7_S7_E_S7_EEDaPvRmT3_T4_T5_mT6_P12ihipStream_tbENKUlT_T0_E_clISt17integral_constantIbLb0EESY_IbLb1EEEEDaSU_SV_EUlSU_E_NS1_11comp_targetILNS1_3genE5ELNS1_11target_archE942ELNS1_3gpuE9ELNS1_3repE0EEENS1_30default_config_static_selectorELNS0_4arch9wavefront6targetE1EEEvT1_.uses_vcc, 0
	.set _ZN7rocprim17ROCPRIM_400000_NS6detail17trampoline_kernelINS0_14default_configENS1_20scan_config_selectorIN3c107complexIfEEEEZZNS1_9scan_implILNS1_25lookback_scan_determinismE0ELb0ELb0ES3_PKS7_PS7_S7_ZZZN2at6native31launch_logcumsumexp_cuda_kernelERKNSE_10TensorBaseESI_lENKUlvE_clEvENKUlvE2_clEvEUlS7_S7_E_S7_EEDaPvRmT3_T4_T5_mT6_P12ihipStream_tbENKUlT_T0_E_clISt17integral_constantIbLb0EESY_IbLb1EEEEDaSU_SV_EUlSU_E_NS1_11comp_targetILNS1_3genE5ELNS1_11target_archE942ELNS1_3gpuE9ELNS1_3repE0EEENS1_30default_config_static_selectorELNS0_4arch9wavefront6targetE1EEEvT1_.uses_flat_scratch, 0
	.set _ZN7rocprim17ROCPRIM_400000_NS6detail17trampoline_kernelINS0_14default_configENS1_20scan_config_selectorIN3c107complexIfEEEEZZNS1_9scan_implILNS1_25lookback_scan_determinismE0ELb0ELb0ES3_PKS7_PS7_S7_ZZZN2at6native31launch_logcumsumexp_cuda_kernelERKNSE_10TensorBaseESI_lENKUlvE_clEvENKUlvE2_clEvEUlS7_S7_E_S7_EEDaPvRmT3_T4_T5_mT6_P12ihipStream_tbENKUlT_T0_E_clISt17integral_constantIbLb0EESY_IbLb1EEEEDaSU_SV_EUlSU_E_NS1_11comp_targetILNS1_3genE5ELNS1_11target_archE942ELNS1_3gpuE9ELNS1_3repE0EEENS1_30default_config_static_selectorELNS0_4arch9wavefront6targetE1EEEvT1_.has_dyn_sized_stack, 0
	.set _ZN7rocprim17ROCPRIM_400000_NS6detail17trampoline_kernelINS0_14default_configENS1_20scan_config_selectorIN3c107complexIfEEEEZZNS1_9scan_implILNS1_25lookback_scan_determinismE0ELb0ELb0ES3_PKS7_PS7_S7_ZZZN2at6native31launch_logcumsumexp_cuda_kernelERKNSE_10TensorBaseESI_lENKUlvE_clEvENKUlvE2_clEvEUlS7_S7_E_S7_EEDaPvRmT3_T4_T5_mT6_P12ihipStream_tbENKUlT_T0_E_clISt17integral_constantIbLb0EESY_IbLb1EEEEDaSU_SV_EUlSU_E_NS1_11comp_targetILNS1_3genE5ELNS1_11target_archE942ELNS1_3gpuE9ELNS1_3repE0EEENS1_30default_config_static_selectorELNS0_4arch9wavefront6targetE1EEEvT1_.has_recursion, 0
	.set _ZN7rocprim17ROCPRIM_400000_NS6detail17trampoline_kernelINS0_14default_configENS1_20scan_config_selectorIN3c107complexIfEEEEZZNS1_9scan_implILNS1_25lookback_scan_determinismE0ELb0ELb0ES3_PKS7_PS7_S7_ZZZN2at6native31launch_logcumsumexp_cuda_kernelERKNSE_10TensorBaseESI_lENKUlvE_clEvENKUlvE2_clEvEUlS7_S7_E_S7_EEDaPvRmT3_T4_T5_mT6_P12ihipStream_tbENKUlT_T0_E_clISt17integral_constantIbLb0EESY_IbLb1EEEEDaSU_SV_EUlSU_E_NS1_11comp_targetILNS1_3genE5ELNS1_11target_archE942ELNS1_3gpuE9ELNS1_3repE0EEENS1_30default_config_static_selectorELNS0_4arch9wavefront6targetE1EEEvT1_.has_indirect_call, 0
	.section	.AMDGPU.csdata,"",@progbits
; Kernel info:
; codeLenInByte = 0
; TotalNumSgprs: 4
; NumVgprs: 0
; ScratchSize: 0
; MemoryBound: 0
; FloatMode: 240
; IeeeMode: 1
; LDSByteSize: 0 bytes/workgroup (compile time only)
; SGPRBlocks: 0
; VGPRBlocks: 0
; NumSGPRsForWavesPerEU: 4
; NumVGPRsForWavesPerEU: 1
; Occupancy: 10
; WaveLimiterHint : 0
; COMPUTE_PGM_RSRC2:SCRATCH_EN: 0
; COMPUTE_PGM_RSRC2:USER_SGPR: 6
; COMPUTE_PGM_RSRC2:TRAP_HANDLER: 0
; COMPUTE_PGM_RSRC2:TGID_X_EN: 1
; COMPUTE_PGM_RSRC2:TGID_Y_EN: 0
; COMPUTE_PGM_RSRC2:TGID_Z_EN: 0
; COMPUTE_PGM_RSRC2:TIDIG_COMP_CNT: 0
	.section	.text._ZN7rocprim17ROCPRIM_400000_NS6detail17trampoline_kernelINS0_14default_configENS1_20scan_config_selectorIN3c107complexIfEEEEZZNS1_9scan_implILNS1_25lookback_scan_determinismE0ELb0ELb0ES3_PKS7_PS7_S7_ZZZN2at6native31launch_logcumsumexp_cuda_kernelERKNSE_10TensorBaseESI_lENKUlvE_clEvENKUlvE2_clEvEUlS7_S7_E_S7_EEDaPvRmT3_T4_T5_mT6_P12ihipStream_tbENKUlT_T0_E_clISt17integral_constantIbLb0EESY_IbLb1EEEEDaSU_SV_EUlSU_E_NS1_11comp_targetILNS1_3genE4ELNS1_11target_archE910ELNS1_3gpuE8ELNS1_3repE0EEENS1_30default_config_static_selectorELNS0_4arch9wavefront6targetE1EEEvT1_,"axG",@progbits,_ZN7rocprim17ROCPRIM_400000_NS6detail17trampoline_kernelINS0_14default_configENS1_20scan_config_selectorIN3c107complexIfEEEEZZNS1_9scan_implILNS1_25lookback_scan_determinismE0ELb0ELb0ES3_PKS7_PS7_S7_ZZZN2at6native31launch_logcumsumexp_cuda_kernelERKNSE_10TensorBaseESI_lENKUlvE_clEvENKUlvE2_clEvEUlS7_S7_E_S7_EEDaPvRmT3_T4_T5_mT6_P12ihipStream_tbENKUlT_T0_E_clISt17integral_constantIbLb0EESY_IbLb1EEEEDaSU_SV_EUlSU_E_NS1_11comp_targetILNS1_3genE4ELNS1_11target_archE910ELNS1_3gpuE8ELNS1_3repE0EEENS1_30default_config_static_selectorELNS0_4arch9wavefront6targetE1EEEvT1_,comdat
	.globl	_ZN7rocprim17ROCPRIM_400000_NS6detail17trampoline_kernelINS0_14default_configENS1_20scan_config_selectorIN3c107complexIfEEEEZZNS1_9scan_implILNS1_25lookback_scan_determinismE0ELb0ELb0ES3_PKS7_PS7_S7_ZZZN2at6native31launch_logcumsumexp_cuda_kernelERKNSE_10TensorBaseESI_lENKUlvE_clEvENKUlvE2_clEvEUlS7_S7_E_S7_EEDaPvRmT3_T4_T5_mT6_P12ihipStream_tbENKUlT_T0_E_clISt17integral_constantIbLb0EESY_IbLb1EEEEDaSU_SV_EUlSU_E_NS1_11comp_targetILNS1_3genE4ELNS1_11target_archE910ELNS1_3gpuE8ELNS1_3repE0EEENS1_30default_config_static_selectorELNS0_4arch9wavefront6targetE1EEEvT1_ ; -- Begin function _ZN7rocprim17ROCPRIM_400000_NS6detail17trampoline_kernelINS0_14default_configENS1_20scan_config_selectorIN3c107complexIfEEEEZZNS1_9scan_implILNS1_25lookback_scan_determinismE0ELb0ELb0ES3_PKS7_PS7_S7_ZZZN2at6native31launch_logcumsumexp_cuda_kernelERKNSE_10TensorBaseESI_lENKUlvE_clEvENKUlvE2_clEvEUlS7_S7_E_S7_EEDaPvRmT3_T4_T5_mT6_P12ihipStream_tbENKUlT_T0_E_clISt17integral_constantIbLb0EESY_IbLb1EEEEDaSU_SV_EUlSU_E_NS1_11comp_targetILNS1_3genE4ELNS1_11target_archE910ELNS1_3gpuE8ELNS1_3repE0EEENS1_30default_config_static_selectorELNS0_4arch9wavefront6targetE1EEEvT1_
	.p2align	8
	.type	_ZN7rocprim17ROCPRIM_400000_NS6detail17trampoline_kernelINS0_14default_configENS1_20scan_config_selectorIN3c107complexIfEEEEZZNS1_9scan_implILNS1_25lookback_scan_determinismE0ELb0ELb0ES3_PKS7_PS7_S7_ZZZN2at6native31launch_logcumsumexp_cuda_kernelERKNSE_10TensorBaseESI_lENKUlvE_clEvENKUlvE2_clEvEUlS7_S7_E_S7_EEDaPvRmT3_T4_T5_mT6_P12ihipStream_tbENKUlT_T0_E_clISt17integral_constantIbLb0EESY_IbLb1EEEEDaSU_SV_EUlSU_E_NS1_11comp_targetILNS1_3genE4ELNS1_11target_archE910ELNS1_3gpuE8ELNS1_3repE0EEENS1_30default_config_static_selectorELNS0_4arch9wavefront6targetE1EEEvT1_,@function
_ZN7rocprim17ROCPRIM_400000_NS6detail17trampoline_kernelINS0_14default_configENS1_20scan_config_selectorIN3c107complexIfEEEEZZNS1_9scan_implILNS1_25lookback_scan_determinismE0ELb0ELb0ES3_PKS7_PS7_S7_ZZZN2at6native31launch_logcumsumexp_cuda_kernelERKNSE_10TensorBaseESI_lENKUlvE_clEvENKUlvE2_clEvEUlS7_S7_E_S7_EEDaPvRmT3_T4_T5_mT6_P12ihipStream_tbENKUlT_T0_E_clISt17integral_constantIbLb0EESY_IbLb1EEEEDaSU_SV_EUlSU_E_NS1_11comp_targetILNS1_3genE4ELNS1_11target_archE910ELNS1_3gpuE8ELNS1_3repE0EEENS1_30default_config_static_selectorELNS0_4arch9wavefront6targetE1EEEvT1_: ; @_ZN7rocprim17ROCPRIM_400000_NS6detail17trampoline_kernelINS0_14default_configENS1_20scan_config_selectorIN3c107complexIfEEEEZZNS1_9scan_implILNS1_25lookback_scan_determinismE0ELb0ELb0ES3_PKS7_PS7_S7_ZZZN2at6native31launch_logcumsumexp_cuda_kernelERKNSE_10TensorBaseESI_lENKUlvE_clEvENKUlvE2_clEvEUlS7_S7_E_S7_EEDaPvRmT3_T4_T5_mT6_P12ihipStream_tbENKUlT_T0_E_clISt17integral_constantIbLb0EESY_IbLb1EEEEDaSU_SV_EUlSU_E_NS1_11comp_targetILNS1_3genE4ELNS1_11target_archE910ELNS1_3gpuE8ELNS1_3repE0EEENS1_30default_config_static_selectorELNS0_4arch9wavefront6targetE1EEEvT1_
; %bb.0:
	.section	.rodata,"a",@progbits
	.p2align	6, 0x0
	.amdhsa_kernel _ZN7rocprim17ROCPRIM_400000_NS6detail17trampoline_kernelINS0_14default_configENS1_20scan_config_selectorIN3c107complexIfEEEEZZNS1_9scan_implILNS1_25lookback_scan_determinismE0ELb0ELb0ES3_PKS7_PS7_S7_ZZZN2at6native31launch_logcumsumexp_cuda_kernelERKNSE_10TensorBaseESI_lENKUlvE_clEvENKUlvE2_clEvEUlS7_S7_E_S7_EEDaPvRmT3_T4_T5_mT6_P12ihipStream_tbENKUlT_T0_E_clISt17integral_constantIbLb0EESY_IbLb1EEEEDaSU_SV_EUlSU_E_NS1_11comp_targetILNS1_3genE4ELNS1_11target_archE910ELNS1_3gpuE8ELNS1_3repE0EEENS1_30default_config_static_selectorELNS0_4arch9wavefront6targetE1EEEvT1_
		.amdhsa_group_segment_fixed_size 0
		.amdhsa_private_segment_fixed_size 0
		.amdhsa_kernarg_size 104
		.amdhsa_user_sgpr_count 6
		.amdhsa_user_sgpr_private_segment_buffer 1
		.amdhsa_user_sgpr_dispatch_ptr 0
		.amdhsa_user_sgpr_queue_ptr 0
		.amdhsa_user_sgpr_kernarg_segment_ptr 1
		.amdhsa_user_sgpr_dispatch_id 0
		.amdhsa_user_sgpr_flat_scratch_init 0
		.amdhsa_user_sgpr_private_segment_size 0
		.amdhsa_uses_dynamic_stack 0
		.amdhsa_system_sgpr_private_segment_wavefront_offset 0
		.amdhsa_system_sgpr_workgroup_id_x 1
		.amdhsa_system_sgpr_workgroup_id_y 0
		.amdhsa_system_sgpr_workgroup_id_z 0
		.amdhsa_system_sgpr_workgroup_info 0
		.amdhsa_system_vgpr_workitem_id 0
		.amdhsa_next_free_vgpr 1
		.amdhsa_next_free_sgpr 0
		.amdhsa_reserve_vcc 0
		.amdhsa_reserve_flat_scratch 0
		.amdhsa_float_round_mode_32 0
		.amdhsa_float_round_mode_16_64 0
		.amdhsa_float_denorm_mode_32 3
		.amdhsa_float_denorm_mode_16_64 3
		.amdhsa_dx10_clamp 1
		.amdhsa_ieee_mode 1
		.amdhsa_fp16_overflow 0
		.amdhsa_exception_fp_ieee_invalid_op 0
		.amdhsa_exception_fp_denorm_src 0
		.amdhsa_exception_fp_ieee_div_zero 0
		.amdhsa_exception_fp_ieee_overflow 0
		.amdhsa_exception_fp_ieee_underflow 0
		.amdhsa_exception_fp_ieee_inexact 0
		.amdhsa_exception_int_div_zero 0
	.end_amdhsa_kernel
	.section	.text._ZN7rocprim17ROCPRIM_400000_NS6detail17trampoline_kernelINS0_14default_configENS1_20scan_config_selectorIN3c107complexIfEEEEZZNS1_9scan_implILNS1_25lookback_scan_determinismE0ELb0ELb0ES3_PKS7_PS7_S7_ZZZN2at6native31launch_logcumsumexp_cuda_kernelERKNSE_10TensorBaseESI_lENKUlvE_clEvENKUlvE2_clEvEUlS7_S7_E_S7_EEDaPvRmT3_T4_T5_mT6_P12ihipStream_tbENKUlT_T0_E_clISt17integral_constantIbLb0EESY_IbLb1EEEEDaSU_SV_EUlSU_E_NS1_11comp_targetILNS1_3genE4ELNS1_11target_archE910ELNS1_3gpuE8ELNS1_3repE0EEENS1_30default_config_static_selectorELNS0_4arch9wavefront6targetE1EEEvT1_,"axG",@progbits,_ZN7rocprim17ROCPRIM_400000_NS6detail17trampoline_kernelINS0_14default_configENS1_20scan_config_selectorIN3c107complexIfEEEEZZNS1_9scan_implILNS1_25lookback_scan_determinismE0ELb0ELb0ES3_PKS7_PS7_S7_ZZZN2at6native31launch_logcumsumexp_cuda_kernelERKNSE_10TensorBaseESI_lENKUlvE_clEvENKUlvE2_clEvEUlS7_S7_E_S7_EEDaPvRmT3_T4_T5_mT6_P12ihipStream_tbENKUlT_T0_E_clISt17integral_constantIbLb0EESY_IbLb1EEEEDaSU_SV_EUlSU_E_NS1_11comp_targetILNS1_3genE4ELNS1_11target_archE910ELNS1_3gpuE8ELNS1_3repE0EEENS1_30default_config_static_selectorELNS0_4arch9wavefront6targetE1EEEvT1_,comdat
.Lfunc_end331:
	.size	_ZN7rocprim17ROCPRIM_400000_NS6detail17trampoline_kernelINS0_14default_configENS1_20scan_config_selectorIN3c107complexIfEEEEZZNS1_9scan_implILNS1_25lookback_scan_determinismE0ELb0ELb0ES3_PKS7_PS7_S7_ZZZN2at6native31launch_logcumsumexp_cuda_kernelERKNSE_10TensorBaseESI_lENKUlvE_clEvENKUlvE2_clEvEUlS7_S7_E_S7_EEDaPvRmT3_T4_T5_mT6_P12ihipStream_tbENKUlT_T0_E_clISt17integral_constantIbLb0EESY_IbLb1EEEEDaSU_SV_EUlSU_E_NS1_11comp_targetILNS1_3genE4ELNS1_11target_archE910ELNS1_3gpuE8ELNS1_3repE0EEENS1_30default_config_static_selectorELNS0_4arch9wavefront6targetE1EEEvT1_, .Lfunc_end331-_ZN7rocprim17ROCPRIM_400000_NS6detail17trampoline_kernelINS0_14default_configENS1_20scan_config_selectorIN3c107complexIfEEEEZZNS1_9scan_implILNS1_25lookback_scan_determinismE0ELb0ELb0ES3_PKS7_PS7_S7_ZZZN2at6native31launch_logcumsumexp_cuda_kernelERKNSE_10TensorBaseESI_lENKUlvE_clEvENKUlvE2_clEvEUlS7_S7_E_S7_EEDaPvRmT3_T4_T5_mT6_P12ihipStream_tbENKUlT_T0_E_clISt17integral_constantIbLb0EESY_IbLb1EEEEDaSU_SV_EUlSU_E_NS1_11comp_targetILNS1_3genE4ELNS1_11target_archE910ELNS1_3gpuE8ELNS1_3repE0EEENS1_30default_config_static_selectorELNS0_4arch9wavefront6targetE1EEEvT1_
                                        ; -- End function
	.set _ZN7rocprim17ROCPRIM_400000_NS6detail17trampoline_kernelINS0_14default_configENS1_20scan_config_selectorIN3c107complexIfEEEEZZNS1_9scan_implILNS1_25lookback_scan_determinismE0ELb0ELb0ES3_PKS7_PS7_S7_ZZZN2at6native31launch_logcumsumexp_cuda_kernelERKNSE_10TensorBaseESI_lENKUlvE_clEvENKUlvE2_clEvEUlS7_S7_E_S7_EEDaPvRmT3_T4_T5_mT6_P12ihipStream_tbENKUlT_T0_E_clISt17integral_constantIbLb0EESY_IbLb1EEEEDaSU_SV_EUlSU_E_NS1_11comp_targetILNS1_3genE4ELNS1_11target_archE910ELNS1_3gpuE8ELNS1_3repE0EEENS1_30default_config_static_selectorELNS0_4arch9wavefront6targetE1EEEvT1_.num_vgpr, 0
	.set _ZN7rocprim17ROCPRIM_400000_NS6detail17trampoline_kernelINS0_14default_configENS1_20scan_config_selectorIN3c107complexIfEEEEZZNS1_9scan_implILNS1_25lookback_scan_determinismE0ELb0ELb0ES3_PKS7_PS7_S7_ZZZN2at6native31launch_logcumsumexp_cuda_kernelERKNSE_10TensorBaseESI_lENKUlvE_clEvENKUlvE2_clEvEUlS7_S7_E_S7_EEDaPvRmT3_T4_T5_mT6_P12ihipStream_tbENKUlT_T0_E_clISt17integral_constantIbLb0EESY_IbLb1EEEEDaSU_SV_EUlSU_E_NS1_11comp_targetILNS1_3genE4ELNS1_11target_archE910ELNS1_3gpuE8ELNS1_3repE0EEENS1_30default_config_static_selectorELNS0_4arch9wavefront6targetE1EEEvT1_.num_agpr, 0
	.set _ZN7rocprim17ROCPRIM_400000_NS6detail17trampoline_kernelINS0_14default_configENS1_20scan_config_selectorIN3c107complexIfEEEEZZNS1_9scan_implILNS1_25lookback_scan_determinismE0ELb0ELb0ES3_PKS7_PS7_S7_ZZZN2at6native31launch_logcumsumexp_cuda_kernelERKNSE_10TensorBaseESI_lENKUlvE_clEvENKUlvE2_clEvEUlS7_S7_E_S7_EEDaPvRmT3_T4_T5_mT6_P12ihipStream_tbENKUlT_T0_E_clISt17integral_constantIbLb0EESY_IbLb1EEEEDaSU_SV_EUlSU_E_NS1_11comp_targetILNS1_3genE4ELNS1_11target_archE910ELNS1_3gpuE8ELNS1_3repE0EEENS1_30default_config_static_selectorELNS0_4arch9wavefront6targetE1EEEvT1_.numbered_sgpr, 0
	.set _ZN7rocprim17ROCPRIM_400000_NS6detail17trampoline_kernelINS0_14default_configENS1_20scan_config_selectorIN3c107complexIfEEEEZZNS1_9scan_implILNS1_25lookback_scan_determinismE0ELb0ELb0ES3_PKS7_PS7_S7_ZZZN2at6native31launch_logcumsumexp_cuda_kernelERKNSE_10TensorBaseESI_lENKUlvE_clEvENKUlvE2_clEvEUlS7_S7_E_S7_EEDaPvRmT3_T4_T5_mT6_P12ihipStream_tbENKUlT_T0_E_clISt17integral_constantIbLb0EESY_IbLb1EEEEDaSU_SV_EUlSU_E_NS1_11comp_targetILNS1_3genE4ELNS1_11target_archE910ELNS1_3gpuE8ELNS1_3repE0EEENS1_30default_config_static_selectorELNS0_4arch9wavefront6targetE1EEEvT1_.num_named_barrier, 0
	.set _ZN7rocprim17ROCPRIM_400000_NS6detail17trampoline_kernelINS0_14default_configENS1_20scan_config_selectorIN3c107complexIfEEEEZZNS1_9scan_implILNS1_25lookback_scan_determinismE0ELb0ELb0ES3_PKS7_PS7_S7_ZZZN2at6native31launch_logcumsumexp_cuda_kernelERKNSE_10TensorBaseESI_lENKUlvE_clEvENKUlvE2_clEvEUlS7_S7_E_S7_EEDaPvRmT3_T4_T5_mT6_P12ihipStream_tbENKUlT_T0_E_clISt17integral_constantIbLb0EESY_IbLb1EEEEDaSU_SV_EUlSU_E_NS1_11comp_targetILNS1_3genE4ELNS1_11target_archE910ELNS1_3gpuE8ELNS1_3repE0EEENS1_30default_config_static_selectorELNS0_4arch9wavefront6targetE1EEEvT1_.private_seg_size, 0
	.set _ZN7rocprim17ROCPRIM_400000_NS6detail17trampoline_kernelINS0_14default_configENS1_20scan_config_selectorIN3c107complexIfEEEEZZNS1_9scan_implILNS1_25lookback_scan_determinismE0ELb0ELb0ES3_PKS7_PS7_S7_ZZZN2at6native31launch_logcumsumexp_cuda_kernelERKNSE_10TensorBaseESI_lENKUlvE_clEvENKUlvE2_clEvEUlS7_S7_E_S7_EEDaPvRmT3_T4_T5_mT6_P12ihipStream_tbENKUlT_T0_E_clISt17integral_constantIbLb0EESY_IbLb1EEEEDaSU_SV_EUlSU_E_NS1_11comp_targetILNS1_3genE4ELNS1_11target_archE910ELNS1_3gpuE8ELNS1_3repE0EEENS1_30default_config_static_selectorELNS0_4arch9wavefront6targetE1EEEvT1_.uses_vcc, 0
	.set _ZN7rocprim17ROCPRIM_400000_NS6detail17trampoline_kernelINS0_14default_configENS1_20scan_config_selectorIN3c107complexIfEEEEZZNS1_9scan_implILNS1_25lookback_scan_determinismE0ELb0ELb0ES3_PKS7_PS7_S7_ZZZN2at6native31launch_logcumsumexp_cuda_kernelERKNSE_10TensorBaseESI_lENKUlvE_clEvENKUlvE2_clEvEUlS7_S7_E_S7_EEDaPvRmT3_T4_T5_mT6_P12ihipStream_tbENKUlT_T0_E_clISt17integral_constantIbLb0EESY_IbLb1EEEEDaSU_SV_EUlSU_E_NS1_11comp_targetILNS1_3genE4ELNS1_11target_archE910ELNS1_3gpuE8ELNS1_3repE0EEENS1_30default_config_static_selectorELNS0_4arch9wavefront6targetE1EEEvT1_.uses_flat_scratch, 0
	.set _ZN7rocprim17ROCPRIM_400000_NS6detail17trampoline_kernelINS0_14default_configENS1_20scan_config_selectorIN3c107complexIfEEEEZZNS1_9scan_implILNS1_25lookback_scan_determinismE0ELb0ELb0ES3_PKS7_PS7_S7_ZZZN2at6native31launch_logcumsumexp_cuda_kernelERKNSE_10TensorBaseESI_lENKUlvE_clEvENKUlvE2_clEvEUlS7_S7_E_S7_EEDaPvRmT3_T4_T5_mT6_P12ihipStream_tbENKUlT_T0_E_clISt17integral_constantIbLb0EESY_IbLb1EEEEDaSU_SV_EUlSU_E_NS1_11comp_targetILNS1_3genE4ELNS1_11target_archE910ELNS1_3gpuE8ELNS1_3repE0EEENS1_30default_config_static_selectorELNS0_4arch9wavefront6targetE1EEEvT1_.has_dyn_sized_stack, 0
	.set _ZN7rocprim17ROCPRIM_400000_NS6detail17trampoline_kernelINS0_14default_configENS1_20scan_config_selectorIN3c107complexIfEEEEZZNS1_9scan_implILNS1_25lookback_scan_determinismE0ELb0ELb0ES3_PKS7_PS7_S7_ZZZN2at6native31launch_logcumsumexp_cuda_kernelERKNSE_10TensorBaseESI_lENKUlvE_clEvENKUlvE2_clEvEUlS7_S7_E_S7_EEDaPvRmT3_T4_T5_mT6_P12ihipStream_tbENKUlT_T0_E_clISt17integral_constantIbLb0EESY_IbLb1EEEEDaSU_SV_EUlSU_E_NS1_11comp_targetILNS1_3genE4ELNS1_11target_archE910ELNS1_3gpuE8ELNS1_3repE0EEENS1_30default_config_static_selectorELNS0_4arch9wavefront6targetE1EEEvT1_.has_recursion, 0
	.set _ZN7rocprim17ROCPRIM_400000_NS6detail17trampoline_kernelINS0_14default_configENS1_20scan_config_selectorIN3c107complexIfEEEEZZNS1_9scan_implILNS1_25lookback_scan_determinismE0ELb0ELb0ES3_PKS7_PS7_S7_ZZZN2at6native31launch_logcumsumexp_cuda_kernelERKNSE_10TensorBaseESI_lENKUlvE_clEvENKUlvE2_clEvEUlS7_S7_E_S7_EEDaPvRmT3_T4_T5_mT6_P12ihipStream_tbENKUlT_T0_E_clISt17integral_constantIbLb0EESY_IbLb1EEEEDaSU_SV_EUlSU_E_NS1_11comp_targetILNS1_3genE4ELNS1_11target_archE910ELNS1_3gpuE8ELNS1_3repE0EEENS1_30default_config_static_selectorELNS0_4arch9wavefront6targetE1EEEvT1_.has_indirect_call, 0
	.section	.AMDGPU.csdata,"",@progbits
; Kernel info:
; codeLenInByte = 0
; TotalNumSgprs: 4
; NumVgprs: 0
; ScratchSize: 0
; MemoryBound: 0
; FloatMode: 240
; IeeeMode: 1
; LDSByteSize: 0 bytes/workgroup (compile time only)
; SGPRBlocks: 0
; VGPRBlocks: 0
; NumSGPRsForWavesPerEU: 4
; NumVGPRsForWavesPerEU: 1
; Occupancy: 10
; WaveLimiterHint : 0
; COMPUTE_PGM_RSRC2:SCRATCH_EN: 0
; COMPUTE_PGM_RSRC2:USER_SGPR: 6
; COMPUTE_PGM_RSRC2:TRAP_HANDLER: 0
; COMPUTE_PGM_RSRC2:TGID_X_EN: 1
; COMPUTE_PGM_RSRC2:TGID_Y_EN: 0
; COMPUTE_PGM_RSRC2:TGID_Z_EN: 0
; COMPUTE_PGM_RSRC2:TIDIG_COMP_CNT: 0
	.section	.text._ZN7rocprim17ROCPRIM_400000_NS6detail17trampoline_kernelINS0_14default_configENS1_20scan_config_selectorIN3c107complexIfEEEEZZNS1_9scan_implILNS1_25lookback_scan_determinismE0ELb0ELb0ES3_PKS7_PS7_S7_ZZZN2at6native31launch_logcumsumexp_cuda_kernelERKNSE_10TensorBaseESI_lENKUlvE_clEvENKUlvE2_clEvEUlS7_S7_E_S7_EEDaPvRmT3_T4_T5_mT6_P12ihipStream_tbENKUlT_T0_E_clISt17integral_constantIbLb0EESY_IbLb1EEEEDaSU_SV_EUlSU_E_NS1_11comp_targetILNS1_3genE3ELNS1_11target_archE908ELNS1_3gpuE7ELNS1_3repE0EEENS1_30default_config_static_selectorELNS0_4arch9wavefront6targetE1EEEvT1_,"axG",@progbits,_ZN7rocprim17ROCPRIM_400000_NS6detail17trampoline_kernelINS0_14default_configENS1_20scan_config_selectorIN3c107complexIfEEEEZZNS1_9scan_implILNS1_25lookback_scan_determinismE0ELb0ELb0ES3_PKS7_PS7_S7_ZZZN2at6native31launch_logcumsumexp_cuda_kernelERKNSE_10TensorBaseESI_lENKUlvE_clEvENKUlvE2_clEvEUlS7_S7_E_S7_EEDaPvRmT3_T4_T5_mT6_P12ihipStream_tbENKUlT_T0_E_clISt17integral_constantIbLb0EESY_IbLb1EEEEDaSU_SV_EUlSU_E_NS1_11comp_targetILNS1_3genE3ELNS1_11target_archE908ELNS1_3gpuE7ELNS1_3repE0EEENS1_30default_config_static_selectorELNS0_4arch9wavefront6targetE1EEEvT1_,comdat
	.globl	_ZN7rocprim17ROCPRIM_400000_NS6detail17trampoline_kernelINS0_14default_configENS1_20scan_config_selectorIN3c107complexIfEEEEZZNS1_9scan_implILNS1_25lookback_scan_determinismE0ELb0ELb0ES3_PKS7_PS7_S7_ZZZN2at6native31launch_logcumsumexp_cuda_kernelERKNSE_10TensorBaseESI_lENKUlvE_clEvENKUlvE2_clEvEUlS7_S7_E_S7_EEDaPvRmT3_T4_T5_mT6_P12ihipStream_tbENKUlT_T0_E_clISt17integral_constantIbLb0EESY_IbLb1EEEEDaSU_SV_EUlSU_E_NS1_11comp_targetILNS1_3genE3ELNS1_11target_archE908ELNS1_3gpuE7ELNS1_3repE0EEENS1_30default_config_static_selectorELNS0_4arch9wavefront6targetE1EEEvT1_ ; -- Begin function _ZN7rocprim17ROCPRIM_400000_NS6detail17trampoline_kernelINS0_14default_configENS1_20scan_config_selectorIN3c107complexIfEEEEZZNS1_9scan_implILNS1_25lookback_scan_determinismE0ELb0ELb0ES3_PKS7_PS7_S7_ZZZN2at6native31launch_logcumsumexp_cuda_kernelERKNSE_10TensorBaseESI_lENKUlvE_clEvENKUlvE2_clEvEUlS7_S7_E_S7_EEDaPvRmT3_T4_T5_mT6_P12ihipStream_tbENKUlT_T0_E_clISt17integral_constantIbLb0EESY_IbLb1EEEEDaSU_SV_EUlSU_E_NS1_11comp_targetILNS1_3genE3ELNS1_11target_archE908ELNS1_3gpuE7ELNS1_3repE0EEENS1_30default_config_static_selectorELNS0_4arch9wavefront6targetE1EEEvT1_
	.p2align	8
	.type	_ZN7rocprim17ROCPRIM_400000_NS6detail17trampoline_kernelINS0_14default_configENS1_20scan_config_selectorIN3c107complexIfEEEEZZNS1_9scan_implILNS1_25lookback_scan_determinismE0ELb0ELb0ES3_PKS7_PS7_S7_ZZZN2at6native31launch_logcumsumexp_cuda_kernelERKNSE_10TensorBaseESI_lENKUlvE_clEvENKUlvE2_clEvEUlS7_S7_E_S7_EEDaPvRmT3_T4_T5_mT6_P12ihipStream_tbENKUlT_T0_E_clISt17integral_constantIbLb0EESY_IbLb1EEEEDaSU_SV_EUlSU_E_NS1_11comp_targetILNS1_3genE3ELNS1_11target_archE908ELNS1_3gpuE7ELNS1_3repE0EEENS1_30default_config_static_selectorELNS0_4arch9wavefront6targetE1EEEvT1_,@function
_ZN7rocprim17ROCPRIM_400000_NS6detail17trampoline_kernelINS0_14default_configENS1_20scan_config_selectorIN3c107complexIfEEEEZZNS1_9scan_implILNS1_25lookback_scan_determinismE0ELb0ELb0ES3_PKS7_PS7_S7_ZZZN2at6native31launch_logcumsumexp_cuda_kernelERKNSE_10TensorBaseESI_lENKUlvE_clEvENKUlvE2_clEvEUlS7_S7_E_S7_EEDaPvRmT3_T4_T5_mT6_P12ihipStream_tbENKUlT_T0_E_clISt17integral_constantIbLb0EESY_IbLb1EEEEDaSU_SV_EUlSU_E_NS1_11comp_targetILNS1_3genE3ELNS1_11target_archE908ELNS1_3gpuE7ELNS1_3repE0EEENS1_30default_config_static_selectorELNS0_4arch9wavefront6targetE1EEEvT1_: ; @_ZN7rocprim17ROCPRIM_400000_NS6detail17trampoline_kernelINS0_14default_configENS1_20scan_config_selectorIN3c107complexIfEEEEZZNS1_9scan_implILNS1_25lookback_scan_determinismE0ELb0ELb0ES3_PKS7_PS7_S7_ZZZN2at6native31launch_logcumsumexp_cuda_kernelERKNSE_10TensorBaseESI_lENKUlvE_clEvENKUlvE2_clEvEUlS7_S7_E_S7_EEDaPvRmT3_T4_T5_mT6_P12ihipStream_tbENKUlT_T0_E_clISt17integral_constantIbLb0EESY_IbLb1EEEEDaSU_SV_EUlSU_E_NS1_11comp_targetILNS1_3genE3ELNS1_11target_archE908ELNS1_3gpuE7ELNS1_3repE0EEENS1_30default_config_static_selectorELNS0_4arch9wavefront6targetE1EEEvT1_
; %bb.0:
	.section	.rodata,"a",@progbits
	.p2align	6, 0x0
	.amdhsa_kernel _ZN7rocprim17ROCPRIM_400000_NS6detail17trampoline_kernelINS0_14default_configENS1_20scan_config_selectorIN3c107complexIfEEEEZZNS1_9scan_implILNS1_25lookback_scan_determinismE0ELb0ELb0ES3_PKS7_PS7_S7_ZZZN2at6native31launch_logcumsumexp_cuda_kernelERKNSE_10TensorBaseESI_lENKUlvE_clEvENKUlvE2_clEvEUlS7_S7_E_S7_EEDaPvRmT3_T4_T5_mT6_P12ihipStream_tbENKUlT_T0_E_clISt17integral_constantIbLb0EESY_IbLb1EEEEDaSU_SV_EUlSU_E_NS1_11comp_targetILNS1_3genE3ELNS1_11target_archE908ELNS1_3gpuE7ELNS1_3repE0EEENS1_30default_config_static_selectorELNS0_4arch9wavefront6targetE1EEEvT1_
		.amdhsa_group_segment_fixed_size 0
		.amdhsa_private_segment_fixed_size 0
		.amdhsa_kernarg_size 104
		.amdhsa_user_sgpr_count 6
		.amdhsa_user_sgpr_private_segment_buffer 1
		.amdhsa_user_sgpr_dispatch_ptr 0
		.amdhsa_user_sgpr_queue_ptr 0
		.amdhsa_user_sgpr_kernarg_segment_ptr 1
		.amdhsa_user_sgpr_dispatch_id 0
		.amdhsa_user_sgpr_flat_scratch_init 0
		.amdhsa_user_sgpr_private_segment_size 0
		.amdhsa_uses_dynamic_stack 0
		.amdhsa_system_sgpr_private_segment_wavefront_offset 0
		.amdhsa_system_sgpr_workgroup_id_x 1
		.amdhsa_system_sgpr_workgroup_id_y 0
		.amdhsa_system_sgpr_workgroup_id_z 0
		.amdhsa_system_sgpr_workgroup_info 0
		.amdhsa_system_vgpr_workitem_id 0
		.amdhsa_next_free_vgpr 1
		.amdhsa_next_free_sgpr 0
		.amdhsa_reserve_vcc 0
		.amdhsa_reserve_flat_scratch 0
		.amdhsa_float_round_mode_32 0
		.amdhsa_float_round_mode_16_64 0
		.amdhsa_float_denorm_mode_32 3
		.amdhsa_float_denorm_mode_16_64 3
		.amdhsa_dx10_clamp 1
		.amdhsa_ieee_mode 1
		.amdhsa_fp16_overflow 0
		.amdhsa_exception_fp_ieee_invalid_op 0
		.amdhsa_exception_fp_denorm_src 0
		.amdhsa_exception_fp_ieee_div_zero 0
		.amdhsa_exception_fp_ieee_overflow 0
		.amdhsa_exception_fp_ieee_underflow 0
		.amdhsa_exception_fp_ieee_inexact 0
		.amdhsa_exception_int_div_zero 0
	.end_amdhsa_kernel
	.section	.text._ZN7rocprim17ROCPRIM_400000_NS6detail17trampoline_kernelINS0_14default_configENS1_20scan_config_selectorIN3c107complexIfEEEEZZNS1_9scan_implILNS1_25lookback_scan_determinismE0ELb0ELb0ES3_PKS7_PS7_S7_ZZZN2at6native31launch_logcumsumexp_cuda_kernelERKNSE_10TensorBaseESI_lENKUlvE_clEvENKUlvE2_clEvEUlS7_S7_E_S7_EEDaPvRmT3_T4_T5_mT6_P12ihipStream_tbENKUlT_T0_E_clISt17integral_constantIbLb0EESY_IbLb1EEEEDaSU_SV_EUlSU_E_NS1_11comp_targetILNS1_3genE3ELNS1_11target_archE908ELNS1_3gpuE7ELNS1_3repE0EEENS1_30default_config_static_selectorELNS0_4arch9wavefront6targetE1EEEvT1_,"axG",@progbits,_ZN7rocprim17ROCPRIM_400000_NS6detail17trampoline_kernelINS0_14default_configENS1_20scan_config_selectorIN3c107complexIfEEEEZZNS1_9scan_implILNS1_25lookback_scan_determinismE0ELb0ELb0ES3_PKS7_PS7_S7_ZZZN2at6native31launch_logcumsumexp_cuda_kernelERKNSE_10TensorBaseESI_lENKUlvE_clEvENKUlvE2_clEvEUlS7_S7_E_S7_EEDaPvRmT3_T4_T5_mT6_P12ihipStream_tbENKUlT_T0_E_clISt17integral_constantIbLb0EESY_IbLb1EEEEDaSU_SV_EUlSU_E_NS1_11comp_targetILNS1_3genE3ELNS1_11target_archE908ELNS1_3gpuE7ELNS1_3repE0EEENS1_30default_config_static_selectorELNS0_4arch9wavefront6targetE1EEEvT1_,comdat
.Lfunc_end332:
	.size	_ZN7rocprim17ROCPRIM_400000_NS6detail17trampoline_kernelINS0_14default_configENS1_20scan_config_selectorIN3c107complexIfEEEEZZNS1_9scan_implILNS1_25lookback_scan_determinismE0ELb0ELb0ES3_PKS7_PS7_S7_ZZZN2at6native31launch_logcumsumexp_cuda_kernelERKNSE_10TensorBaseESI_lENKUlvE_clEvENKUlvE2_clEvEUlS7_S7_E_S7_EEDaPvRmT3_T4_T5_mT6_P12ihipStream_tbENKUlT_T0_E_clISt17integral_constantIbLb0EESY_IbLb1EEEEDaSU_SV_EUlSU_E_NS1_11comp_targetILNS1_3genE3ELNS1_11target_archE908ELNS1_3gpuE7ELNS1_3repE0EEENS1_30default_config_static_selectorELNS0_4arch9wavefront6targetE1EEEvT1_, .Lfunc_end332-_ZN7rocprim17ROCPRIM_400000_NS6detail17trampoline_kernelINS0_14default_configENS1_20scan_config_selectorIN3c107complexIfEEEEZZNS1_9scan_implILNS1_25lookback_scan_determinismE0ELb0ELb0ES3_PKS7_PS7_S7_ZZZN2at6native31launch_logcumsumexp_cuda_kernelERKNSE_10TensorBaseESI_lENKUlvE_clEvENKUlvE2_clEvEUlS7_S7_E_S7_EEDaPvRmT3_T4_T5_mT6_P12ihipStream_tbENKUlT_T0_E_clISt17integral_constantIbLb0EESY_IbLb1EEEEDaSU_SV_EUlSU_E_NS1_11comp_targetILNS1_3genE3ELNS1_11target_archE908ELNS1_3gpuE7ELNS1_3repE0EEENS1_30default_config_static_selectorELNS0_4arch9wavefront6targetE1EEEvT1_
                                        ; -- End function
	.set _ZN7rocprim17ROCPRIM_400000_NS6detail17trampoline_kernelINS0_14default_configENS1_20scan_config_selectorIN3c107complexIfEEEEZZNS1_9scan_implILNS1_25lookback_scan_determinismE0ELb0ELb0ES3_PKS7_PS7_S7_ZZZN2at6native31launch_logcumsumexp_cuda_kernelERKNSE_10TensorBaseESI_lENKUlvE_clEvENKUlvE2_clEvEUlS7_S7_E_S7_EEDaPvRmT3_T4_T5_mT6_P12ihipStream_tbENKUlT_T0_E_clISt17integral_constantIbLb0EESY_IbLb1EEEEDaSU_SV_EUlSU_E_NS1_11comp_targetILNS1_3genE3ELNS1_11target_archE908ELNS1_3gpuE7ELNS1_3repE0EEENS1_30default_config_static_selectorELNS0_4arch9wavefront6targetE1EEEvT1_.num_vgpr, 0
	.set _ZN7rocprim17ROCPRIM_400000_NS6detail17trampoline_kernelINS0_14default_configENS1_20scan_config_selectorIN3c107complexIfEEEEZZNS1_9scan_implILNS1_25lookback_scan_determinismE0ELb0ELb0ES3_PKS7_PS7_S7_ZZZN2at6native31launch_logcumsumexp_cuda_kernelERKNSE_10TensorBaseESI_lENKUlvE_clEvENKUlvE2_clEvEUlS7_S7_E_S7_EEDaPvRmT3_T4_T5_mT6_P12ihipStream_tbENKUlT_T0_E_clISt17integral_constantIbLb0EESY_IbLb1EEEEDaSU_SV_EUlSU_E_NS1_11comp_targetILNS1_3genE3ELNS1_11target_archE908ELNS1_3gpuE7ELNS1_3repE0EEENS1_30default_config_static_selectorELNS0_4arch9wavefront6targetE1EEEvT1_.num_agpr, 0
	.set _ZN7rocprim17ROCPRIM_400000_NS6detail17trampoline_kernelINS0_14default_configENS1_20scan_config_selectorIN3c107complexIfEEEEZZNS1_9scan_implILNS1_25lookback_scan_determinismE0ELb0ELb0ES3_PKS7_PS7_S7_ZZZN2at6native31launch_logcumsumexp_cuda_kernelERKNSE_10TensorBaseESI_lENKUlvE_clEvENKUlvE2_clEvEUlS7_S7_E_S7_EEDaPvRmT3_T4_T5_mT6_P12ihipStream_tbENKUlT_T0_E_clISt17integral_constantIbLb0EESY_IbLb1EEEEDaSU_SV_EUlSU_E_NS1_11comp_targetILNS1_3genE3ELNS1_11target_archE908ELNS1_3gpuE7ELNS1_3repE0EEENS1_30default_config_static_selectorELNS0_4arch9wavefront6targetE1EEEvT1_.numbered_sgpr, 0
	.set _ZN7rocprim17ROCPRIM_400000_NS6detail17trampoline_kernelINS0_14default_configENS1_20scan_config_selectorIN3c107complexIfEEEEZZNS1_9scan_implILNS1_25lookback_scan_determinismE0ELb0ELb0ES3_PKS7_PS7_S7_ZZZN2at6native31launch_logcumsumexp_cuda_kernelERKNSE_10TensorBaseESI_lENKUlvE_clEvENKUlvE2_clEvEUlS7_S7_E_S7_EEDaPvRmT3_T4_T5_mT6_P12ihipStream_tbENKUlT_T0_E_clISt17integral_constantIbLb0EESY_IbLb1EEEEDaSU_SV_EUlSU_E_NS1_11comp_targetILNS1_3genE3ELNS1_11target_archE908ELNS1_3gpuE7ELNS1_3repE0EEENS1_30default_config_static_selectorELNS0_4arch9wavefront6targetE1EEEvT1_.num_named_barrier, 0
	.set _ZN7rocprim17ROCPRIM_400000_NS6detail17trampoline_kernelINS0_14default_configENS1_20scan_config_selectorIN3c107complexIfEEEEZZNS1_9scan_implILNS1_25lookback_scan_determinismE0ELb0ELb0ES3_PKS7_PS7_S7_ZZZN2at6native31launch_logcumsumexp_cuda_kernelERKNSE_10TensorBaseESI_lENKUlvE_clEvENKUlvE2_clEvEUlS7_S7_E_S7_EEDaPvRmT3_T4_T5_mT6_P12ihipStream_tbENKUlT_T0_E_clISt17integral_constantIbLb0EESY_IbLb1EEEEDaSU_SV_EUlSU_E_NS1_11comp_targetILNS1_3genE3ELNS1_11target_archE908ELNS1_3gpuE7ELNS1_3repE0EEENS1_30default_config_static_selectorELNS0_4arch9wavefront6targetE1EEEvT1_.private_seg_size, 0
	.set _ZN7rocprim17ROCPRIM_400000_NS6detail17trampoline_kernelINS0_14default_configENS1_20scan_config_selectorIN3c107complexIfEEEEZZNS1_9scan_implILNS1_25lookback_scan_determinismE0ELb0ELb0ES3_PKS7_PS7_S7_ZZZN2at6native31launch_logcumsumexp_cuda_kernelERKNSE_10TensorBaseESI_lENKUlvE_clEvENKUlvE2_clEvEUlS7_S7_E_S7_EEDaPvRmT3_T4_T5_mT6_P12ihipStream_tbENKUlT_T0_E_clISt17integral_constantIbLb0EESY_IbLb1EEEEDaSU_SV_EUlSU_E_NS1_11comp_targetILNS1_3genE3ELNS1_11target_archE908ELNS1_3gpuE7ELNS1_3repE0EEENS1_30default_config_static_selectorELNS0_4arch9wavefront6targetE1EEEvT1_.uses_vcc, 0
	.set _ZN7rocprim17ROCPRIM_400000_NS6detail17trampoline_kernelINS0_14default_configENS1_20scan_config_selectorIN3c107complexIfEEEEZZNS1_9scan_implILNS1_25lookback_scan_determinismE0ELb0ELb0ES3_PKS7_PS7_S7_ZZZN2at6native31launch_logcumsumexp_cuda_kernelERKNSE_10TensorBaseESI_lENKUlvE_clEvENKUlvE2_clEvEUlS7_S7_E_S7_EEDaPvRmT3_T4_T5_mT6_P12ihipStream_tbENKUlT_T0_E_clISt17integral_constantIbLb0EESY_IbLb1EEEEDaSU_SV_EUlSU_E_NS1_11comp_targetILNS1_3genE3ELNS1_11target_archE908ELNS1_3gpuE7ELNS1_3repE0EEENS1_30default_config_static_selectorELNS0_4arch9wavefront6targetE1EEEvT1_.uses_flat_scratch, 0
	.set _ZN7rocprim17ROCPRIM_400000_NS6detail17trampoline_kernelINS0_14default_configENS1_20scan_config_selectorIN3c107complexIfEEEEZZNS1_9scan_implILNS1_25lookback_scan_determinismE0ELb0ELb0ES3_PKS7_PS7_S7_ZZZN2at6native31launch_logcumsumexp_cuda_kernelERKNSE_10TensorBaseESI_lENKUlvE_clEvENKUlvE2_clEvEUlS7_S7_E_S7_EEDaPvRmT3_T4_T5_mT6_P12ihipStream_tbENKUlT_T0_E_clISt17integral_constantIbLb0EESY_IbLb1EEEEDaSU_SV_EUlSU_E_NS1_11comp_targetILNS1_3genE3ELNS1_11target_archE908ELNS1_3gpuE7ELNS1_3repE0EEENS1_30default_config_static_selectorELNS0_4arch9wavefront6targetE1EEEvT1_.has_dyn_sized_stack, 0
	.set _ZN7rocprim17ROCPRIM_400000_NS6detail17trampoline_kernelINS0_14default_configENS1_20scan_config_selectorIN3c107complexIfEEEEZZNS1_9scan_implILNS1_25lookback_scan_determinismE0ELb0ELb0ES3_PKS7_PS7_S7_ZZZN2at6native31launch_logcumsumexp_cuda_kernelERKNSE_10TensorBaseESI_lENKUlvE_clEvENKUlvE2_clEvEUlS7_S7_E_S7_EEDaPvRmT3_T4_T5_mT6_P12ihipStream_tbENKUlT_T0_E_clISt17integral_constantIbLb0EESY_IbLb1EEEEDaSU_SV_EUlSU_E_NS1_11comp_targetILNS1_3genE3ELNS1_11target_archE908ELNS1_3gpuE7ELNS1_3repE0EEENS1_30default_config_static_selectorELNS0_4arch9wavefront6targetE1EEEvT1_.has_recursion, 0
	.set _ZN7rocprim17ROCPRIM_400000_NS6detail17trampoline_kernelINS0_14default_configENS1_20scan_config_selectorIN3c107complexIfEEEEZZNS1_9scan_implILNS1_25lookback_scan_determinismE0ELb0ELb0ES3_PKS7_PS7_S7_ZZZN2at6native31launch_logcumsumexp_cuda_kernelERKNSE_10TensorBaseESI_lENKUlvE_clEvENKUlvE2_clEvEUlS7_S7_E_S7_EEDaPvRmT3_T4_T5_mT6_P12ihipStream_tbENKUlT_T0_E_clISt17integral_constantIbLb0EESY_IbLb1EEEEDaSU_SV_EUlSU_E_NS1_11comp_targetILNS1_3genE3ELNS1_11target_archE908ELNS1_3gpuE7ELNS1_3repE0EEENS1_30default_config_static_selectorELNS0_4arch9wavefront6targetE1EEEvT1_.has_indirect_call, 0
	.section	.AMDGPU.csdata,"",@progbits
; Kernel info:
; codeLenInByte = 0
; TotalNumSgprs: 4
; NumVgprs: 0
; ScratchSize: 0
; MemoryBound: 0
; FloatMode: 240
; IeeeMode: 1
; LDSByteSize: 0 bytes/workgroup (compile time only)
; SGPRBlocks: 0
; VGPRBlocks: 0
; NumSGPRsForWavesPerEU: 4
; NumVGPRsForWavesPerEU: 1
; Occupancy: 10
; WaveLimiterHint : 0
; COMPUTE_PGM_RSRC2:SCRATCH_EN: 0
; COMPUTE_PGM_RSRC2:USER_SGPR: 6
; COMPUTE_PGM_RSRC2:TRAP_HANDLER: 0
; COMPUTE_PGM_RSRC2:TGID_X_EN: 1
; COMPUTE_PGM_RSRC2:TGID_Y_EN: 0
; COMPUTE_PGM_RSRC2:TGID_Z_EN: 0
; COMPUTE_PGM_RSRC2:TIDIG_COMP_CNT: 0
	.section	.text._ZN7rocprim17ROCPRIM_400000_NS6detail17trampoline_kernelINS0_14default_configENS1_20scan_config_selectorIN3c107complexIfEEEEZZNS1_9scan_implILNS1_25lookback_scan_determinismE0ELb0ELb0ES3_PKS7_PS7_S7_ZZZN2at6native31launch_logcumsumexp_cuda_kernelERKNSE_10TensorBaseESI_lENKUlvE_clEvENKUlvE2_clEvEUlS7_S7_E_S7_EEDaPvRmT3_T4_T5_mT6_P12ihipStream_tbENKUlT_T0_E_clISt17integral_constantIbLb0EESY_IbLb1EEEEDaSU_SV_EUlSU_E_NS1_11comp_targetILNS1_3genE2ELNS1_11target_archE906ELNS1_3gpuE6ELNS1_3repE0EEENS1_30default_config_static_selectorELNS0_4arch9wavefront6targetE1EEEvT1_,"axG",@progbits,_ZN7rocprim17ROCPRIM_400000_NS6detail17trampoline_kernelINS0_14default_configENS1_20scan_config_selectorIN3c107complexIfEEEEZZNS1_9scan_implILNS1_25lookback_scan_determinismE0ELb0ELb0ES3_PKS7_PS7_S7_ZZZN2at6native31launch_logcumsumexp_cuda_kernelERKNSE_10TensorBaseESI_lENKUlvE_clEvENKUlvE2_clEvEUlS7_S7_E_S7_EEDaPvRmT3_T4_T5_mT6_P12ihipStream_tbENKUlT_T0_E_clISt17integral_constantIbLb0EESY_IbLb1EEEEDaSU_SV_EUlSU_E_NS1_11comp_targetILNS1_3genE2ELNS1_11target_archE906ELNS1_3gpuE6ELNS1_3repE0EEENS1_30default_config_static_selectorELNS0_4arch9wavefront6targetE1EEEvT1_,comdat
	.globl	_ZN7rocprim17ROCPRIM_400000_NS6detail17trampoline_kernelINS0_14default_configENS1_20scan_config_selectorIN3c107complexIfEEEEZZNS1_9scan_implILNS1_25lookback_scan_determinismE0ELb0ELb0ES3_PKS7_PS7_S7_ZZZN2at6native31launch_logcumsumexp_cuda_kernelERKNSE_10TensorBaseESI_lENKUlvE_clEvENKUlvE2_clEvEUlS7_S7_E_S7_EEDaPvRmT3_T4_T5_mT6_P12ihipStream_tbENKUlT_T0_E_clISt17integral_constantIbLb0EESY_IbLb1EEEEDaSU_SV_EUlSU_E_NS1_11comp_targetILNS1_3genE2ELNS1_11target_archE906ELNS1_3gpuE6ELNS1_3repE0EEENS1_30default_config_static_selectorELNS0_4arch9wavefront6targetE1EEEvT1_ ; -- Begin function _ZN7rocprim17ROCPRIM_400000_NS6detail17trampoline_kernelINS0_14default_configENS1_20scan_config_selectorIN3c107complexIfEEEEZZNS1_9scan_implILNS1_25lookback_scan_determinismE0ELb0ELb0ES3_PKS7_PS7_S7_ZZZN2at6native31launch_logcumsumexp_cuda_kernelERKNSE_10TensorBaseESI_lENKUlvE_clEvENKUlvE2_clEvEUlS7_S7_E_S7_EEDaPvRmT3_T4_T5_mT6_P12ihipStream_tbENKUlT_T0_E_clISt17integral_constantIbLb0EESY_IbLb1EEEEDaSU_SV_EUlSU_E_NS1_11comp_targetILNS1_3genE2ELNS1_11target_archE906ELNS1_3gpuE6ELNS1_3repE0EEENS1_30default_config_static_selectorELNS0_4arch9wavefront6targetE1EEEvT1_
	.p2align	8
	.type	_ZN7rocprim17ROCPRIM_400000_NS6detail17trampoline_kernelINS0_14default_configENS1_20scan_config_selectorIN3c107complexIfEEEEZZNS1_9scan_implILNS1_25lookback_scan_determinismE0ELb0ELb0ES3_PKS7_PS7_S7_ZZZN2at6native31launch_logcumsumexp_cuda_kernelERKNSE_10TensorBaseESI_lENKUlvE_clEvENKUlvE2_clEvEUlS7_S7_E_S7_EEDaPvRmT3_T4_T5_mT6_P12ihipStream_tbENKUlT_T0_E_clISt17integral_constantIbLb0EESY_IbLb1EEEEDaSU_SV_EUlSU_E_NS1_11comp_targetILNS1_3genE2ELNS1_11target_archE906ELNS1_3gpuE6ELNS1_3repE0EEENS1_30default_config_static_selectorELNS0_4arch9wavefront6targetE1EEEvT1_,@function
_ZN7rocprim17ROCPRIM_400000_NS6detail17trampoline_kernelINS0_14default_configENS1_20scan_config_selectorIN3c107complexIfEEEEZZNS1_9scan_implILNS1_25lookback_scan_determinismE0ELb0ELb0ES3_PKS7_PS7_S7_ZZZN2at6native31launch_logcumsumexp_cuda_kernelERKNSE_10TensorBaseESI_lENKUlvE_clEvENKUlvE2_clEvEUlS7_S7_E_S7_EEDaPvRmT3_T4_T5_mT6_P12ihipStream_tbENKUlT_T0_E_clISt17integral_constantIbLb0EESY_IbLb1EEEEDaSU_SV_EUlSU_E_NS1_11comp_targetILNS1_3genE2ELNS1_11target_archE906ELNS1_3gpuE6ELNS1_3repE0EEENS1_30default_config_static_selectorELNS0_4arch9wavefront6targetE1EEEvT1_: ; @_ZN7rocprim17ROCPRIM_400000_NS6detail17trampoline_kernelINS0_14default_configENS1_20scan_config_selectorIN3c107complexIfEEEEZZNS1_9scan_implILNS1_25lookback_scan_determinismE0ELb0ELb0ES3_PKS7_PS7_S7_ZZZN2at6native31launch_logcumsumexp_cuda_kernelERKNSE_10TensorBaseESI_lENKUlvE_clEvENKUlvE2_clEvEUlS7_S7_E_S7_EEDaPvRmT3_T4_T5_mT6_P12ihipStream_tbENKUlT_T0_E_clISt17integral_constantIbLb0EESY_IbLb1EEEEDaSU_SV_EUlSU_E_NS1_11comp_targetILNS1_3genE2ELNS1_11target_archE906ELNS1_3gpuE6ELNS1_3repE0EEENS1_30default_config_static_selectorELNS0_4arch9wavefront6targetE1EEEvT1_
; %bb.0:
	s_load_dwordx2 s[52:53], s[4:5], 0x30
	s_add_u32 s0, s0, s7
	v_mov_b32_e32 v78, v0
	s_addc_u32 s1, s1, 0
	v_cmp_ne_u32_e64 s[22:23], 0, v78
	v_cmp_eq_u32_e64 s[24:25], 0, v78
	s_mov_b32 s32, 0
	s_and_saveexec_b64 s[6:7], s[24:25]
	s_cbranch_execz .LBB333_4
; %bb.1:
	s_mov_b64 s[10:11], exec
	v_mbcnt_lo_u32_b32 v0, s10, 0
	v_mbcnt_hi_u32_b32 v0, s11, v0
	v_cmp_eq_u32_e32 vcc, 0, v0
                                        ; implicit-def: $vgpr1
	s_and_saveexec_b64 s[8:9], vcc
	s_cbranch_execz .LBB333_3
; %bb.2:
	s_load_dwordx2 s[12:13], s[4:5], 0x60
	s_bcnt1_i32_b64 s10, s[10:11]
	v_mov_b32_e32 v1, 0
	v_mov_b32_e32 v2, s10
	s_waitcnt lgkmcnt(0)
	global_atomic_add v1, v1, v2, s[12:13] glc
.LBB333_3:
	s_or_b64 exec, exec, s[8:9]
	s_waitcnt vmcnt(0)
	v_readfirstlane_b32 s8, v1
	v_add_u32_e32 v0, s8, v0
	v_mov_b32_e32 v1, 0
	ds_write_b32 v1, v0
.LBB333_4:
	s_or_b64 exec, exec, s[6:7]
	s_load_dwordx8 s[44:51], s[4:5], 0x0
	s_load_dword s6, s[4:5], 0x38
	s_load_dwordx8 s[36:43], s[4:5], 0x40
	v_mov_b32_e32 v0, 0
	s_waitcnt lgkmcnt(0)
	; wave barrier
	ds_read_b32 v0, v0
	s_lshl_b64 s[28:29], s[46:47], 3
	s_add_u32 s7, s44, s28
	s_addc_u32 s8, s45, s29
	s_add_i32 s6, s6, -1
	s_waitcnt lgkmcnt(0)
	v_readfirstlane_b32 s54, v0
	s_mul_i32 s9, s6, 0x380
	s_mov_b32 s5, 0
	s_mul_i32 s4, s54, 0x380
	s_sub_u32 s33, s50, s9
	s_subb_u32 s50, s51, 0
	s_lshl_b64 s[34:35], s[4:5], 3
	v_cmp_ne_u32_e64 s[20:21], s6, v0
	s_add_u32 s6, s7, s34
	s_addc_u32 s7, s8, s35
	s_mov_b64 s[4:5], -1
	s_and_b64 vcc, exec, s[20:21]
	v_lshlrev_b32_e32 v80, 3, v78
	; wave barrier
	s_cbranch_vccz .LBB333_6
; %bb.5:
	v_mov_b32_e32 v0, s7
	v_add_co_u32_e32 v16, vcc, s6, v80
	v_addc_co_u32_e32 v17, vcc, 0, v0, vcc
	v_add_co_u32_e32 v16, vcc, 0x1000, v16
	v_addc_co_u32_e32 v17, vcc, 0, v17, vcc
	global_load_dwordx2 v[0:1], v80, s[6:7]
	global_load_dwordx2 v[2:3], v80, s[6:7] offset:512
	global_load_dwordx2 v[4:5], v80, s[6:7] offset:1024
	;; [unrolled: 1-line block ×7, first 2 shown]
	global_load_dwordx2 v[18:19], v[16:17], off
	global_load_dwordx2 v[20:21], v[16:17], off offset:512
	global_load_dwordx2 v[22:23], v[16:17], off offset:1024
	;; [unrolled: 1-line block ×5, first 2 shown]
	s_mov_b64 s[4:5], 0
	s_waitcnt vmcnt(12)
	ds_write2st64_b64 v80, v[0:1], v[2:3] offset1:1
	s_waitcnt vmcnt(10)
	ds_write2st64_b64 v80, v[4:5], v[6:7] offset0:2 offset1:3
	s_waitcnt vmcnt(8)
	ds_write2st64_b64 v80, v[8:9], v[10:11] offset0:4 offset1:5
	;; [unrolled: 2-line block ×6, first 2 shown]
	s_waitcnt lgkmcnt(0)
	; wave barrier
.LBB333_6:
	s_andn2_b64 vcc, exec, s[4:5]
	v_cmp_gt_u32_e64 s[4:5], s33, v78
	s_cbranch_vccnz .LBB333_36
; %bb.7:
	v_mov_b32_e32 v0, 0
	global_load_dwordx2 v[0:1], v0, s[6:7]
	s_waitcnt vmcnt(0)
	v_mov_b32_e32 v3, v1
	v_mov_b32_e32 v2, v0
	s_and_saveexec_b64 s[8:9], s[4:5]
	s_cbranch_execz .LBB333_9
; %bb.8:
	global_load_dwordx2 v[2:3], v80, s[6:7]
.LBB333_9:
	s_or_b64 exec, exec, s[8:9]
	v_or_b32_e32 v4, 64, v78
	v_cmp_gt_u32_e32 vcc, s33, v4
	v_mov_b32_e32 v5, v1
	v_mov_b32_e32 v4, v0
	s_and_saveexec_b64 s[4:5], vcc
	s_cbranch_execz .LBB333_11
; %bb.10:
	global_load_dwordx2 v[4:5], v80, s[6:7] offset:512
.LBB333_11:
	s_or_b64 exec, exec, s[4:5]
	v_or_b32_e32 v6, 0x80, v78
	v_cmp_gt_u32_e32 vcc, s33, v6
	v_mov_b32_e32 v7, v1
	v_mov_b32_e32 v6, v0
	s_and_saveexec_b64 s[4:5], vcc
	s_cbranch_execz .LBB333_13
; %bb.12:
	global_load_dwordx2 v[6:7], v80, s[6:7] offset:1024
.LBB333_13:
	;; [unrolled: 10-line block ×7, first 2 shown]
	s_or_b64 exec, exec, s[4:5]
	v_or_b32_e32 v20, 0x200, v78
	v_cmp_gt_u32_e32 vcc, s33, v20
	v_mov_b32_e32 v19, v1
	v_mov_b32_e32 v18, v0
	s_and_saveexec_b64 s[4:5], vcc
	s_cbranch_execz .LBB333_25
; %bb.24:
	v_lshlrev_b32_e32 v18, 3, v20
	global_load_dwordx2 v[18:19], v18, s[6:7]
.LBB333_25:
	s_or_b64 exec, exec, s[4:5]
	v_or_b32_e32 v22, 0x240, v78
	v_cmp_gt_u32_e32 vcc, s33, v22
	v_mov_b32_e32 v21, v1
	v_mov_b32_e32 v20, v0
	s_and_saveexec_b64 s[4:5], vcc
	s_cbranch_execz .LBB333_27
; %bb.26:
	v_lshlrev_b32_e32 v20, 3, v22
	global_load_dwordx2 v[20:21], v20, s[6:7]
.LBB333_27:
	;; [unrolled: 11-line block ×5, first 2 shown]
	s_or_b64 exec, exec, s[4:5]
	v_or_b32_e32 v28, 0x340, v78
	v_cmp_gt_u32_e32 vcc, s33, v28
	s_and_saveexec_b64 s[4:5], vcc
	s_cbranch_execz .LBB333_35
; %bb.34:
	v_lshlrev_b32_e32 v0, 3, v28
	global_load_dwordx2 v[0:1], v0, s[6:7]
.LBB333_35:
	s_or_b64 exec, exec, s[4:5]
	s_waitcnt vmcnt(0)
	ds_write2st64_b64 v80, v[2:3], v[4:5] offset1:1
	ds_write2st64_b64 v80, v[6:7], v[8:9] offset0:2 offset1:3
	ds_write2st64_b64 v80, v[10:11], v[12:13] offset0:4 offset1:5
	;; [unrolled: 1-line block ×6, first 2 shown]
	s_waitcnt lgkmcnt(0)
	; wave barrier
.LBB333_36:
	v_mul_u32_u24_e32 v81, 0x70, v78
	ds_read_b128 v[22:25], v81
	ds_read_b128 v[46:49], v81 offset:16
	ds_read_b128 v[42:45], v81 offset:32
	;; [unrolled: 1-line block ×6, first 2 shown]
	s_cmp_lg_u32 s54, 0
	s_waitcnt lgkmcnt(0)
	; wave barrier
	s_cbranch_scc0 .LBB333_97
; %bb.37:
	s_getpc_b64 s[26:27]
	s_add_u32 s26, s26, _ZZZZN2at6native31launch_logcumsumexp_cuda_kernelERKNS_10TensorBaseES3_lENKUlvE_clEvENKUlvE2_clEvENKUlN3c107complexIfEES8_E_clES8_S8_@rel32@lo+4
	s_addc_u32 s27, s27, _ZZZZN2at6native31launch_logcumsumexp_cuda_kernelERKNS_10TensorBaseES3_lENKUlvE_clEvENKUlvE2_clEvENKUlN3c107complexIfEES8_E_clES8_S8_@rel32@hi+12
	v_mov_b32_e32 v0, v22
	v_mov_b32_e32 v1, v23
	;; [unrolled: 1-line block ×4, first 2 shown]
	s_swappc_b64 s[30:31], s[26:27]
	v_mov_b32_e32 v2, v46
	v_mov_b32_e32 v3, v47
	s_swappc_b64 s[30:31], s[26:27]
	v_mov_b32_e32 v2, v48
	v_mov_b32_e32 v3, v49
	;; [unrolled: 3-line block ×12, first 2 shown]
	s_swappc_b64 s[30:31], s[26:27]
	v_mov_b32_e32 v2, v0
	v_mbcnt_lo_u32_b32 v0, -1, 0
	v_mbcnt_hi_u32_b32 v58, -1, v0
	v_mov_b32_e32 v3, v1
	v_and_b32_e32 v50, 15, v58
	v_mov_b32_dpp v0, v2 row_shr:1 row_mask:0xf bank_mask:0xf
	v_mov_b32_dpp v1, v3 row_shr:1 row_mask:0xf bank_mask:0xf
	v_cmp_ne_u32_e32 vcc, 0, v50
	s_and_saveexec_b64 s[44:45], vcc
	s_cbranch_execz .LBB333_39
; %bb.38:
	s_swappc_b64 s[30:31], s[26:27]
	v_mov_b32_e32 v2, v0
	v_mov_b32_e32 v3, v1
.LBB333_39:
	s_or_b64 exec, exec, s[44:45]
	v_mov_b32_dpp v0, v2 row_shr:2 row_mask:0xf bank_mask:0xf
	v_mov_b32_dpp v1, v3 row_shr:2 row_mask:0xf bank_mask:0xf
	v_cmp_lt_u32_e32 vcc, 1, v50
	s_and_saveexec_b64 s[26:27], vcc
	s_cbranch_execz .LBB333_41
; %bb.40:
	s_getpc_b64 s[4:5]
	s_add_u32 s4, s4, _ZZZZN2at6native31launch_logcumsumexp_cuda_kernelERKNS_10TensorBaseES3_lENKUlvE_clEvENKUlvE2_clEvENKUlN3c107complexIfEES8_E_clES8_S8_@rel32@lo+4
	s_addc_u32 s5, s5, _ZZZZN2at6native31launch_logcumsumexp_cuda_kernelERKNS_10TensorBaseES3_lENKUlvE_clEvENKUlvE2_clEvENKUlN3c107complexIfEES8_E_clES8_S8_@rel32@hi+12
	s_swappc_b64 s[30:31], s[4:5]
	v_mov_b32_e32 v2, v0
	v_mov_b32_e32 v3, v1
.LBB333_41:
	s_or_b64 exec, exec, s[26:27]
	v_mov_b32_dpp v0, v2 row_shr:4 row_mask:0xf bank_mask:0xf
	v_mov_b32_dpp v1, v3 row_shr:4 row_mask:0xf bank_mask:0xf
	v_cmp_lt_u32_e32 vcc, 3, v50
	s_and_saveexec_b64 s[26:27], vcc
	s_cbranch_execz .LBB333_43
; %bb.42:
	s_getpc_b64 s[4:5]
	s_add_u32 s4, s4, _ZZZZN2at6native31launch_logcumsumexp_cuda_kernelERKNS_10TensorBaseES3_lENKUlvE_clEvENKUlvE2_clEvENKUlN3c107complexIfEES8_E_clES8_S8_@rel32@lo+4
	s_addc_u32 s5, s5, _ZZZZN2at6native31launch_logcumsumexp_cuda_kernelERKNS_10TensorBaseES3_lENKUlvE_clEvENKUlvE2_clEvENKUlN3c107complexIfEES8_E_clES8_S8_@rel32@hi+12
	s_swappc_b64 s[30:31], s[4:5]
	v_mov_b32_e32 v2, v0
	v_mov_b32_e32 v3, v1
.LBB333_43:
	;; [unrolled: 14-line block ×3, first 2 shown]
	s_or_b64 exec, exec, s[26:27]
	v_and_b32_e32 v4, 16, v58
	v_mov_b32_dpp v0, v2 row_bcast:15 row_mask:0xf bank_mask:0xf
	v_mov_b32_dpp v1, v3 row_bcast:15 row_mask:0xf bank_mask:0xf
	v_cmp_ne_u32_e32 vcc, 0, v4
	s_and_saveexec_b64 s[26:27], vcc
	s_cbranch_execz .LBB333_47
; %bb.46:
	s_getpc_b64 s[4:5]
	s_add_u32 s4, s4, _ZZZZN2at6native31launch_logcumsumexp_cuda_kernelERKNS_10TensorBaseES3_lENKUlvE_clEvENKUlvE2_clEvENKUlN3c107complexIfEES8_E_clES8_S8_@rel32@lo+4
	s_addc_u32 s5, s5, _ZZZZN2at6native31launch_logcumsumexp_cuda_kernelERKNS_10TensorBaseES3_lENKUlvE_clEvENKUlvE2_clEvENKUlN3c107complexIfEES8_E_clES8_S8_@rel32@hi+12
	s_swappc_b64 s[30:31], s[4:5]
	v_mov_b32_e32 v2, v0
	v_mov_b32_e32 v3, v1
.LBB333_47:
	s_or_b64 exec, exec, s[26:27]
	v_mov_b32_dpp v0, v2 row_bcast:31 row_mask:0xf bank_mask:0xf
	v_mov_b32_dpp v1, v3 row_bcast:31 row_mask:0xf bank_mask:0xf
	v_cmp_lt_u32_e32 vcc, 31, v58
	s_and_saveexec_b64 s[26:27], vcc
	s_cbranch_execz .LBB333_49
; %bb.48:
	s_getpc_b64 s[4:5]
	s_add_u32 s4, s4, _ZZZZN2at6native31launch_logcumsumexp_cuda_kernelERKNS_10TensorBaseES3_lENKUlvE_clEvENKUlvE2_clEvENKUlN3c107complexIfEES8_E_clES8_S8_@rel32@lo+4
	s_addc_u32 s5, s5, _ZZZZN2at6native31launch_logcumsumexp_cuda_kernelERKNS_10TensorBaseES3_lENKUlvE_clEvENKUlvE2_clEvENKUlN3c107complexIfEES8_E_clES8_S8_@rel32@hi+12
	s_swappc_b64 s[30:31], s[4:5]
	v_mov_b32_e32 v2, v0
	v_mov_b32_e32 v3, v1
.LBB333_49:
	s_or_b64 exec, exec, s[26:27]
	v_cmp_eq_u32_e32 vcc, 63, v78
	s_and_saveexec_b64 s[4:5], vcc
; %bb.50:
	v_mov_b32_e32 v0, 0
	ds_write_b64 v0, v[2:3]
; %bb.51:
	s_or_b64 exec, exec, s[4:5]
	v_subrev_co_u32_e64 v0, s[26:27], 1, v58
	v_and_b32_e32 v1, 64, v58
	v_cmp_lt_i32_e32 vcc, v0, v1
	v_cndmask_b32_e32 v0, v0, v58, vcc
	v_lshlrev_b32_e32 v0, 2, v0
	v_mov_b32_e32 v53, 0
	s_waitcnt lgkmcnt(0)
	; wave barrier
	ds_bpermute_b32 v61, v0, v2
	ds_bpermute_b32 v62, v0, v3
	ds_read_b64 v[50:51], v53
	s_and_saveexec_b64 s[4:5], s[26:27]
	s_cbranch_execz .LBB333_53
; %bb.52:
	s_add_i32 s6, s54, 64
	s_mov_b32 s7, 0
	s_lshl_b64 s[6:7], s[6:7], 4
	s_add_u32 s6, s52, s6
	s_addc_u32 s7, s53, s7
	v_mov_b32_e32 v0, s6
	v_mov_b32_e32 v52, 1
	;; [unrolled: 1-line block ×3, first 2 shown]
	s_waitcnt lgkmcnt(0)
	;;#ASMSTART
	global_store_dwordx4 v[0:1], v[50:53] off	
s_waitcnt vmcnt(0)
	;;#ASMEND
.LBB333_53:
	s_or_b64 exec, exec, s[4:5]
	v_xad_u32 v69, v58, -1, s54
	v_add_u32_e32 v52, 64, v69
	v_lshlrev_b64 v[0:1], 4, v[52:53]
	v_mov_b32_e32 v2, s53
	v_add_co_u32_e32 v0, vcc, s52, v0
	v_addc_co_u32_e32 v1, vcc, v2, v1, vcc
	;;#ASMSTART
	global_load_dwordx4 v[54:57], v[0:1] off glc	
s_waitcnt vmcnt(0)
	;;#ASMEND
	v_cmp_eq_u16_sdwa s[6:7], v56, v53 src0_sel:BYTE_0 src1_sel:DWORD
	s_and_saveexec_b64 s[4:5], s[6:7]
	s_cbranch_execz .LBB333_57
; %bb.54:
	s_mov_b64 s[6:7], 0
	v_mov_b32_e32 v2, 0
.LBB333_55:                             ; =>This Inner Loop Header: Depth=1
	;;#ASMSTART
	global_load_dwordx4 v[54:57], v[0:1] off glc	
s_waitcnt vmcnt(0)
	;;#ASMEND
	v_cmp_ne_u16_sdwa s[8:9], v56, v2 src0_sel:BYTE_0 src1_sel:DWORD
	s_or_b64 s[6:7], s[8:9], s[6:7]
	s_andn2_b64 exec, exec, s[6:7]
	s_cbranch_execnz .LBB333_55
; %bb.56:
	s_or_b64 exec, exec, s[6:7]
.LBB333_57:
	s_or_b64 exec, exec, s[4:5]
	v_mov_b32_e32 v0, 2
	v_lshlrev_b64 v[65:66], v58, -1
	v_cmp_eq_u16_sdwa s[4:5], v56, v0 src0_sel:BYTE_0 src1_sel:DWORD
	v_and_b32_e32 v0, s5, v66
	v_and_b32_e32 v70, 63, v58
	v_or_b32_e32 v0, 0x80000000, v0
	v_cmp_ne_u32_e32 vcc, 63, v70
	v_ffbl_b32_e32 v3, v0
	v_addc_co_u32_e32 v0, vcc, 0, v58, vcc
	v_lshlrev_b32_e32 v71, 2, v0
	ds_bpermute_b32 v0, v71, v54
	ds_bpermute_b32 v1, v71, v55
	v_and_b32_e32 v2, s4, v65
	v_add_u32_e32 v3, 32, v3
	v_ffbl_b32_e32 v2, v2
	v_min_u32_e32 v52, v2, v3
	v_mov_b32_e32 v63, v23
	v_mov_b32_e32 v64, v22
	v_cmp_lt_u32_e32 vcc, v70, v52
	s_and_saveexec_b64 s[44:45], vcc
	s_cbranch_execz .LBB333_59
; %bb.58:
	s_getpc_b64 s[4:5]
	s_add_u32 s4, s4, _ZZZZN2at6native31launch_logcumsumexp_cuda_kernelERKNS_10TensorBaseES3_lENKUlvE_clEvENKUlvE2_clEvENKUlN3c107complexIfEES8_E_clES8_S8_@rel32@lo+4
	s_addc_u32 s5, s5, _ZZZZN2at6native31launch_logcumsumexp_cuda_kernelERKNS_10TensorBaseES3_lENKUlvE_clEvENKUlvE2_clEvENKUlN3c107complexIfEES8_E_clES8_S8_@rel32@hi+12
	v_mov_b32_e32 v2, v54
	v_mov_b32_e32 v3, v55
	s_swappc_b64 s[30:31], s[4:5]
	v_mov_b32_e32 v54, v0
	v_mov_b32_e32 v55, v1
.LBB333_59:
	s_or_b64 exec, exec, s[44:45]
	v_cmp_gt_u32_e32 vcc, 62, v70
	s_waitcnt lgkmcnt(1)
	v_cndmask_b32_e64 v0, 0, 2, vcc
	v_add_lshl_u32 v72, v0, v58, 2
	ds_bpermute_b32 v0, v72, v54
	s_waitcnt lgkmcnt(1)
	ds_bpermute_b32 v1, v72, v55
	v_add_u32_e32 v73, 2, v70
	v_cmp_le_u32_e32 vcc, v73, v52
	s_and_saveexec_b64 s[44:45], vcc
	s_cbranch_execz .LBB333_61
; %bb.60:
	s_getpc_b64 s[4:5]
	s_add_u32 s4, s4, _ZZZZN2at6native31launch_logcumsumexp_cuda_kernelERKNS_10TensorBaseES3_lENKUlvE_clEvENKUlvE2_clEvENKUlN3c107complexIfEES8_E_clES8_S8_@rel32@lo+4
	s_addc_u32 s5, s5, _ZZZZN2at6native31launch_logcumsumexp_cuda_kernelERKNS_10TensorBaseES3_lENKUlvE_clEvENKUlvE2_clEvENKUlN3c107complexIfEES8_E_clES8_S8_@rel32@hi+12
	v_mov_b32_e32 v2, v54
	v_mov_b32_e32 v3, v55
	s_swappc_b64 s[30:31], s[4:5]
	v_mov_b32_e32 v54, v0
	v_mov_b32_e32 v55, v1
.LBB333_61:
	s_or_b64 exec, exec, s[44:45]
	v_cmp_gt_u32_e32 vcc, 60, v70
	s_waitcnt lgkmcnt(1)
	v_cndmask_b32_e64 v0, 0, 4, vcc
	v_add_lshl_u32 v74, v0, v58, 2
	ds_bpermute_b32 v0, v74, v54
	s_waitcnt lgkmcnt(1)
	ds_bpermute_b32 v1, v74, v55
	v_add_u32_e32 v75, 4, v70
	v_cmp_le_u32_e32 vcc, v75, v52
	;; [unrolled: 22-line block ×4, first 2 shown]
	s_and_saveexec_b64 s[44:45], vcc
	s_cbranch_execz .LBB333_67
; %bb.66:
	s_getpc_b64 s[4:5]
	s_add_u32 s4, s4, _ZZZZN2at6native31launch_logcumsumexp_cuda_kernelERKNS_10TensorBaseES3_lENKUlvE_clEvENKUlvE2_clEvENKUlN3c107complexIfEES8_E_clES8_S8_@rel32@lo+4
	s_addc_u32 s5, s5, _ZZZZN2at6native31launch_logcumsumexp_cuda_kernelERKNS_10TensorBaseES3_lENKUlvE_clEvENKUlvE2_clEvENKUlN3c107complexIfEES8_E_clES8_S8_@rel32@hi+12
	v_mov_b32_e32 v2, v54
	v_mov_b32_e32 v3, v55
	s_swappc_b64 s[30:31], s[4:5]
	v_mov_b32_e32 v54, v0
	v_mov_b32_e32 v55, v1
.LBB333_67:
	s_or_b64 exec, exec, s[44:45]
	s_waitcnt lgkmcnt(1)
	v_mov_b32_e32 v0, 0x80
	v_lshl_or_b32 v84, v58, 2, v0
	ds_bpermute_b32 v57, v84, v54
	ds_bpermute_b32 v58, v84, v55
	v_add_u32_e32 v83, 32, v70
	v_cmp_le_u32_e64 s[44:45], v83, v52
	v_mov_b32_e32 v68, 0
	v_mov_b32_e32 v85, 2
	;; [unrolled: 1-line block ×6, first 2 shown]
.LBB333_68:                             ; =>This Loop Header: Depth=1
                                        ;     Child Loop BB333_73 Depth 2
	s_waitcnt lgkmcnt(1)
	v_mov_b32_e32 v0, v56
	v_mov_b32_e32 v67, v69
	v_mov_b32_e32 v52, v54
	v_mov_b32_e32 v53, v55
	s_and_saveexec_b64 s[4:5], s[44:45]
	s_xor_b64 s[44:45], exec, s[4:5]
	s_cbranch_execz .LBB333_70
; %bb.69:                               ;   in Loop: Header=BB333_68 Depth=1
	s_getpc_b64 s[4:5]
	s_add_u32 s4, s4, _ZZZZN2at6native31launch_logcumsumexp_cuda_kernelERKNS_10TensorBaseES3_lENKUlvE_clEvENKUlvE2_clEvENKUlN3c107complexIfEES8_E_clES8_S8_@rel32@lo+4
	s_addc_u32 s5, s5, _ZZZZN2at6native31launch_logcumsumexp_cuda_kernelERKNS_10TensorBaseES3_lENKUlvE_clEvENKUlvE2_clEvENKUlN3c107complexIfEES8_E_clES8_S8_@rel32@hi+12
	s_waitcnt lgkmcnt(1)
	v_mov_b32_e32 v0, v57
	s_waitcnt lgkmcnt(0)
	v_mov_b32_e32 v1, v58
	s_swappc_b64 s[30:31], s[4:5]
	v_mov_b32_e32 v52, v0
	v_mov_b32_e32 v53, v1
	;; [unrolled: 1-line block ×4, first 2 shown]
.LBB333_70:                             ;   in Loop: Header=BB333_68 Depth=1
	s_or_b64 exec, exec, s[44:45]
	v_cmp_ne_u16_sdwa s[4:5], v0, v85 src0_sel:BYTE_0 src1_sel:DWORD
	s_mov_b64 s[44:45], -1
	s_cmp_lg_u64 s[4:5], exec
	s_mov_b64 s[4:5], -1
                                        ; implicit-def: $vgpr57
                                        ; implicit-def: $vgpr60
	s_cbranch_scc1 .LBB333_88
; %bb.71:                               ;   in Loop: Header=BB333_68 Depth=1
	s_waitcnt lgkmcnt(0)
	v_lshlrev_b64 v[0:1], 4, v[67:68]
	v_mov_b32_e32 v2, s53
	v_add_co_u32_e32 v0, vcc, s52, v0
	v_addc_co_u32_e32 v1, vcc, v2, v1, vcc
	s_waitcnt lgkmcnt(0)
	;;#ASMSTART
	global_load_dwordx4 v[57:60], v[0:1] off glc	
s_waitcnt vmcnt(0)
	;;#ASMEND
	v_cmp_eq_u16_sdwa s[6:7], v59, v68 src0_sel:BYTE_0 src1_sel:DWORD
	s_and_saveexec_b64 s[4:5], s[6:7]
	s_cbranch_execz .LBB333_75
; %bb.72:                               ;   in Loop: Header=BB333_68 Depth=1
	s_mov_b64 s[6:7], 0
.LBB333_73:                             ;   Parent Loop BB333_68 Depth=1
                                        ; =>  This Inner Loop Header: Depth=2
	;;#ASMSTART
	global_load_dwordx4 v[57:60], v[0:1] off glc	
s_waitcnt vmcnt(0)
	;;#ASMEND
	v_cmp_ne_u16_sdwa s[8:9], v59, v68 src0_sel:BYTE_0 src1_sel:DWORD
	s_or_b64 s[6:7], s[8:9], s[6:7]
	s_andn2_b64 exec, exec, s[6:7]
	s_cbranch_execnz .LBB333_73
; %bb.74:                               ;   in Loop: Header=BB333_68 Depth=1
	s_or_b64 exec, exec, s[6:7]
.LBB333_75:                             ;   in Loop: Header=BB333_68 Depth=1
	s_or_b64 exec, exec, s[4:5]
	v_cmp_eq_u16_sdwa s[4:5], v59, v85 src0_sel:BYTE_0 src1_sel:DWORD
	v_and_b32_e32 v0, s5, v66
	v_or_b32_e32 v0, 0x80000000, v0
	v_ffbl_b32_e32 v3, v0
	ds_bpermute_b32 v0, v71, v57
	ds_bpermute_b32 v1, v71, v58
	v_and_b32_e32 v2, s4, v65
	v_add_u32_e32 v3, 32, v3
	v_ffbl_b32_e32 v2, v2
	v_min_u32_e32 v60, v2, v3
	v_cmp_lt_u32_e32 vcc, v70, v60
	s_and_saveexec_b64 s[46:47], vcc
	s_cbranch_execz .LBB333_77
; %bb.76:                               ;   in Loop: Header=BB333_68 Depth=1
	s_getpc_b64 s[4:5]
	s_add_u32 s4, s4, _ZZZZN2at6native31launch_logcumsumexp_cuda_kernelERKNS_10TensorBaseES3_lENKUlvE_clEvENKUlvE2_clEvENKUlN3c107complexIfEES8_E_clES8_S8_@rel32@lo+4
	s_addc_u32 s5, s5, _ZZZZN2at6native31launch_logcumsumexp_cuda_kernelERKNS_10TensorBaseES3_lENKUlvE_clEvENKUlvE2_clEvENKUlN3c107complexIfEES8_E_clES8_S8_@rel32@hi+12
	v_mov_b32_e32 v2, v57
	v_mov_b32_e32 v3, v58
	s_swappc_b64 s[30:31], s[4:5]
	v_mov_b32_e32 v57, v0
	v_mov_b32_e32 v58, v1
.LBB333_77:                             ;   in Loop: Header=BB333_68 Depth=1
	s_or_b64 exec, exec, s[46:47]
	s_waitcnt lgkmcnt(1)
	ds_bpermute_b32 v0, v72, v57
	s_waitcnt lgkmcnt(1)
	ds_bpermute_b32 v1, v72, v58
	v_cmp_le_u32_e32 vcc, v73, v60
	s_and_saveexec_b64 s[46:47], vcc
	s_cbranch_execz .LBB333_79
; %bb.78:                               ;   in Loop: Header=BB333_68 Depth=1
	s_getpc_b64 s[4:5]
	s_add_u32 s4, s4, _ZZZZN2at6native31launch_logcumsumexp_cuda_kernelERKNS_10TensorBaseES3_lENKUlvE_clEvENKUlvE2_clEvENKUlN3c107complexIfEES8_E_clES8_S8_@rel32@lo+4
	s_addc_u32 s5, s5, _ZZZZN2at6native31launch_logcumsumexp_cuda_kernelERKNS_10TensorBaseES3_lENKUlvE_clEvENKUlvE2_clEvENKUlN3c107complexIfEES8_E_clES8_S8_@rel32@hi+12
	v_mov_b32_e32 v2, v57
	v_mov_b32_e32 v3, v58
	s_swappc_b64 s[30:31], s[4:5]
	v_mov_b32_e32 v57, v0
	v_mov_b32_e32 v58, v1
.LBB333_79:                             ;   in Loop: Header=BB333_68 Depth=1
	s_or_b64 exec, exec, s[46:47]
	s_waitcnt lgkmcnt(1)
	ds_bpermute_b32 v0, v74, v57
	s_waitcnt lgkmcnt(1)
	ds_bpermute_b32 v1, v74, v58
	v_cmp_le_u32_e32 vcc, v75, v60
	;; [unrolled: 18-line block ×5, first 2 shown]
	s_and_saveexec_b64 s[46:47], vcc
	s_cbranch_execz .LBB333_87
; %bb.86:                               ;   in Loop: Header=BB333_68 Depth=1
	s_getpc_b64 s[4:5]
	s_add_u32 s4, s4, _ZZZZN2at6native31launch_logcumsumexp_cuda_kernelERKNS_10TensorBaseES3_lENKUlvE_clEvENKUlvE2_clEvENKUlN3c107complexIfEES8_E_clES8_S8_@rel32@lo+4
	s_addc_u32 s5, s5, _ZZZZN2at6native31launch_logcumsumexp_cuda_kernelERKNS_10TensorBaseES3_lENKUlvE_clEvENKUlvE2_clEvENKUlN3c107complexIfEES8_E_clES8_S8_@rel32@hi+12
	v_mov_b32_e32 v2, v57
	v_mov_b32_e32 v3, v58
	s_swappc_b64 s[30:31], s[4:5]
	v_mov_b32_e32 v57, v0
	v_mov_b32_e32 v58, v1
.LBB333_87:                             ;   in Loop: Header=BB333_68 Depth=1
	s_or_b64 exec, exec, s[46:47]
	v_subrev_u32_e32 v60, 64, v67
	s_mov_b64 s[4:5], 0
.LBB333_88:                             ;   in Loop: Header=BB333_68 Depth=1
	s_and_b64 vcc, exec, s[4:5]
	s_cbranch_vccnz .LBB333_90
; %bb.89:                               ;   in Loop: Header=BB333_68 Depth=1
	v_mov_b32_e32 v3, v53
	v_mov_b32_e32 v2, v52
	s_branch .LBB333_68
.LBB333_90:
	s_and_saveexec_b64 s[44:45], s[26:27]
	s_cbranch_execz .LBB333_92
; %bb.91:
	s_getpc_b64 s[4:5]
	s_add_u32 s4, s4, _ZZZZN2at6native31launch_logcumsumexp_cuda_kernelERKNS_10TensorBaseES3_lENKUlvE_clEvENKUlvE2_clEvENKUlN3c107complexIfEES8_E_clES8_S8_@rel32@lo+4
	s_addc_u32 s5, s5, _ZZZZN2at6native31launch_logcumsumexp_cuda_kernelERKNS_10TensorBaseES3_lENKUlvE_clEvENKUlvE2_clEvENKUlN3c107complexIfEES8_E_clES8_S8_@rel32@hi+12
	s_waitcnt lgkmcnt(1)
	v_mov_b32_e32 v0, v52
	s_waitcnt lgkmcnt(0)
	v_mov_b32_e32 v1, v53
	v_mov_b32_e32 v2, v50
	;; [unrolled: 1-line block ×3, first 2 shown]
	s_swappc_b64 s[30:31], s[4:5]
	s_add_i32 s4, s54, 64
	s_mov_b32 s5, 0
	s_lshl_b64 s[4:5], s[4:5], 4
	s_add_u32 s4, s52, s4
	s_addc_u32 s5, s53, s5
	v_mov_b32_e32 v4, s4
	v_mov_b32_e32 v2, 2
	;; [unrolled: 1-line block ×4, first 2 shown]
	;;#ASMSTART
	global_store_dwordx4 v[4:5], v[0:3] off	
s_waitcnt vmcnt(0)
	;;#ASMEND
.LBB333_92:
	s_or_b64 exec, exec, s[44:45]
	s_and_saveexec_b64 s[4:5], s[24:25]
	s_cbranch_execz .LBB333_94
; %bb.93:
	s_waitcnt lgkmcnt(1)
	v_mov_b32_e32 v0, 0
	ds_write_b64 v0, v[52:53]
.LBB333_94:
	s_or_b64 exec, exec, s[4:5]
	s_waitcnt lgkmcnt(1)
	v_mov_b32_e32 v0, 0
	s_waitcnt lgkmcnt(0)
	; wave barrier
	ds_read_b64 v[50:51], v0
	s_and_saveexec_b64 s[26:27], s[22:23]
	s_cbranch_execz .LBB333_96
; %bb.95:
	s_getpc_b64 s[4:5]
	s_add_u32 s4, s4, _ZZZZN2at6native31launch_logcumsumexp_cuda_kernelERKNS_10TensorBaseES3_lENKUlvE_clEvENKUlvE2_clEvENKUlN3c107complexIfEES8_E_clES8_S8_@rel32@lo+4
	s_addc_u32 s5, s5, _ZZZZN2at6native31launch_logcumsumexp_cuda_kernelERKNS_10TensorBaseES3_lENKUlvE_clEvENKUlvE2_clEvENKUlN3c107complexIfEES8_E_clES8_S8_@rel32@hi+12
	v_mov_b32_e32 v0, v61
	v_mov_b32_e32 v1, v62
	;; [unrolled: 1-line block ×4, first 2 shown]
	s_swappc_b64 s[30:31], s[4:5]
	v_mov_b32_e32 v64, v0
	v_mov_b32_e32 v63, v1
.LBB333_96:
	s_or_b64 exec, exec, s[26:27]
	s_getpc_b64 s[26:27]
	s_add_u32 s26, s26, _ZZZZN2at6native31launch_logcumsumexp_cuda_kernelERKNS_10TensorBaseES3_lENKUlvE_clEvENKUlvE2_clEvENKUlN3c107complexIfEES8_E_clES8_S8_@rel32@lo+4
	s_addc_u32 s27, s27, _ZZZZN2at6native31launch_logcumsumexp_cuda_kernelERKNS_10TensorBaseES3_lENKUlvE_clEvENKUlvE2_clEvENKUlN3c107complexIfEES8_E_clES8_S8_@rel32@hi+12
	s_waitcnt lgkmcnt(0)
	v_mov_b32_e32 v0, v50
	v_mov_b32_e32 v1, v51
	v_mov_b32_e32 v2, v64
	v_mov_b32_e32 v3, v63
	s_swappc_b64 s[30:31], s[26:27]
	v_mov_b32_e32 v2, v24
	v_mov_b32_e32 v3, v25
	v_mov_b32_e32 v50, v0
	v_mov_b32_e32 v51, v1
	s_swappc_b64 s[30:31], s[26:27]
	;; [unrolled: 5-line block ×14, first 2 shown]
	v_mov_b32_e32 v76, v0
	v_mov_b32_e32 v77, v1
	s_branch .LBB333_119
.LBB333_97:
                                        ; implicit-def: $vgpr52
                                        ; implicit-def: $vgpr54
                                        ; implicit-def: $vgpr58
                                        ; implicit-def: $vgpr62
                                        ; implicit-def: $vgpr66
                                        ; implicit-def: $vgpr70
                                        ; implicit-def: $vgpr74
	s_cbranch_execz .LBB333_119
; %bb.98:
	s_cmp_lg_u64 s[40:41], 0
	s_cselect_b64 s[4:5], -1, 0
	s_and_b64 s[4:5], s[24:25], s[4:5]
	s_and_saveexec_b64 s[24:25], s[4:5]
	s_cbranch_execz .LBB333_100
; %bb.99:
	v_mov_b32_e32 v0, 0
	global_load_dwordx2 v[0:1], v0, s[36:37]
	s_getpc_b64 s[4:5]
	s_add_u32 s4, s4, _ZZZZN2at6native31launch_logcumsumexp_cuda_kernelERKNS_10TensorBaseES3_lENKUlvE_clEvENKUlvE2_clEvENKUlN3c107complexIfEES8_E_clES8_S8_@rel32@lo+4
	s_addc_u32 s5, s5, _ZZZZN2at6native31launch_logcumsumexp_cuda_kernelERKNS_10TensorBaseES3_lENKUlvE_clEvENKUlvE2_clEvENKUlN3c107complexIfEES8_E_clES8_S8_@rel32@hi+12
	v_mov_b32_e32 v2, v22
	v_mov_b32_e32 v3, v23
	s_swappc_b64 s[30:31], s[4:5]
	v_mov_b32_e32 v22, v0
	v_mov_b32_e32 v23, v1
.LBB333_100:
	s_or_b64 exec, exec, s[24:25]
	s_getpc_b64 s[24:25]
	s_add_u32 s24, s24, _ZZZZN2at6native31launch_logcumsumexp_cuda_kernelERKNS_10TensorBaseES3_lENKUlvE_clEvENKUlvE2_clEvENKUlN3c107complexIfEES8_E_clES8_S8_@rel32@lo+4
	s_addc_u32 s25, s25, _ZZZZN2at6native31launch_logcumsumexp_cuda_kernelERKNS_10TensorBaseES3_lENKUlvE_clEvENKUlvE2_clEvENKUlN3c107complexIfEES8_E_clES8_S8_@rel32@hi+12
	v_mov_b32_e32 v0, v22
	v_mov_b32_e32 v1, v23
	v_mov_b32_e32 v2, v24
	v_mov_b32_e32 v3, v25
	s_swappc_b64 s[30:31], s[24:25]
	v_mov_b32_e32 v2, v46
	v_mov_b32_e32 v3, v47
	v_mov_b32_e32 v52, v0
	v_mov_b32_e32 v53, v1
	s_swappc_b64 s[30:31], s[24:25]
	;; [unrolled: 5-line block ×13, first 2 shown]
	v_mov_b32_e32 v76, v0
	v_mbcnt_lo_u32_b32 v0, -1, 0
	v_mbcnt_hi_u32_b32 v50, -1, v0
	v_mov_b32_e32 v77, v1
	v_and_b32_e32 v51, 15, v50
	v_mov_b32_dpp v0, v76 row_shr:1 row_mask:0xf bank_mask:0xf
	v_mov_b32_dpp v1, v77 row_shr:1 row_mask:0xf bank_mask:0xf
	v_cmp_ne_u32_e32 vcc, 0, v51
	v_mov_b32_e32 v5, v77
	v_mov_b32_e32 v4, v76
	;; [unrolled: 1-line block ×4, first 2 shown]
	s_and_saveexec_b64 s[26:27], vcc
	s_cbranch_execz .LBB333_102
; %bb.101:
	v_mov_b32_e32 v2, v76
	v_mov_b32_e32 v3, v77
	s_swappc_b64 s[30:31], s[24:25]
	v_mov_b32_e32 v4, v0
	v_mov_b32_e32 v5, v1
	;; [unrolled: 1-line block ×4, first 2 shown]
.LBB333_102:
	s_or_b64 exec, exec, s[26:27]
	v_mov_b32_dpp v0, v4 row_shr:2 row_mask:0xf bank_mask:0xf
	v_mov_b32_dpp v1, v5 row_shr:2 row_mask:0xf bank_mask:0xf
	v_cmp_lt_u32_e32 vcc, 1, v51
	s_and_saveexec_b64 s[24:25], vcc
	s_cbranch_execz .LBB333_104
; %bb.103:
	s_getpc_b64 s[4:5]
	s_add_u32 s4, s4, _ZZZZN2at6native31launch_logcumsumexp_cuda_kernelERKNS_10TensorBaseES3_lENKUlvE_clEvENKUlvE2_clEvENKUlN3c107complexIfEES8_E_clES8_S8_@rel32@lo+4
	s_addc_u32 s5, s5, _ZZZZN2at6native31launch_logcumsumexp_cuda_kernelERKNS_10TensorBaseES3_lENKUlvE_clEvENKUlvE2_clEvENKUlN3c107complexIfEES8_E_clES8_S8_@rel32@hi+12
	s_swappc_b64 s[30:31], s[4:5]
	v_mov_b32_e32 v4, v0
	v_mov_b32_e32 v5, v1
.LBB333_104:
	s_or_b64 exec, exec, s[24:25]
	v_mov_b32_dpp v0, v4 row_shr:4 row_mask:0xf bank_mask:0xf
	v_mov_b32_dpp v1, v5 row_shr:4 row_mask:0xf bank_mask:0xf
	v_cmp_lt_u32_e32 vcc, 3, v51
	s_and_saveexec_b64 s[24:25], vcc
	s_cbranch_execz .LBB333_106
; %bb.105:
	s_getpc_b64 s[4:5]
	s_add_u32 s4, s4, _ZZZZN2at6native31launch_logcumsumexp_cuda_kernelERKNS_10TensorBaseES3_lENKUlvE_clEvENKUlvE2_clEvENKUlN3c107complexIfEES8_E_clES8_S8_@rel32@lo+4
	s_addc_u32 s5, s5, _ZZZZN2at6native31launch_logcumsumexp_cuda_kernelERKNS_10TensorBaseES3_lENKUlvE_clEvENKUlvE2_clEvENKUlN3c107complexIfEES8_E_clES8_S8_@rel32@hi+12
	v_mov_b32_e32 v2, v4
	v_mov_b32_e32 v3, v5
	s_swappc_b64 s[30:31], s[4:5]
	v_mov_b32_e32 v4, v0
	v_mov_b32_e32 v5, v1
.LBB333_106:
	s_or_b64 exec, exec, s[24:25]
	v_mov_b32_dpp v0, v4 row_shr:8 row_mask:0xf bank_mask:0xf
	v_mov_b32_dpp v1, v5 row_shr:8 row_mask:0xf bank_mask:0xf
	v_cmp_lt_u32_e32 vcc, 7, v51
	s_and_saveexec_b64 s[24:25], vcc
	s_cbranch_execz .LBB333_108
; %bb.107:
	s_getpc_b64 s[4:5]
	s_add_u32 s4, s4, _ZZZZN2at6native31launch_logcumsumexp_cuda_kernelERKNS_10TensorBaseES3_lENKUlvE_clEvENKUlvE2_clEvENKUlN3c107complexIfEES8_E_clES8_S8_@rel32@lo+4
	s_addc_u32 s5, s5, _ZZZZN2at6native31launch_logcumsumexp_cuda_kernelERKNS_10TensorBaseES3_lENKUlvE_clEvENKUlvE2_clEvENKUlN3c107complexIfEES8_E_clES8_S8_@rel32@hi+12
	v_mov_b32_e32 v2, v4
	v_mov_b32_e32 v3, v5
	s_swappc_b64 s[30:31], s[4:5]
	v_mov_b32_e32 v4, v0
	v_mov_b32_e32 v5, v1
.LBB333_108:
	s_or_b64 exec, exec, s[24:25]
	v_and_b32_e32 v2, 16, v50
	v_mov_b32_dpp v0, v4 row_bcast:15 row_mask:0xf bank_mask:0xf
	v_mov_b32_dpp v1, v5 row_bcast:15 row_mask:0xf bank_mask:0xf
	v_cmp_ne_u32_e32 vcc, 0, v2
	s_and_saveexec_b64 s[24:25], vcc
	s_cbranch_execz .LBB333_110
; %bb.109:
	s_getpc_b64 s[4:5]
	s_add_u32 s4, s4, _ZZZZN2at6native31launch_logcumsumexp_cuda_kernelERKNS_10TensorBaseES3_lENKUlvE_clEvENKUlvE2_clEvENKUlN3c107complexIfEES8_E_clES8_S8_@rel32@lo+4
	s_addc_u32 s5, s5, _ZZZZN2at6native31launch_logcumsumexp_cuda_kernelERKNS_10TensorBaseES3_lENKUlvE_clEvENKUlvE2_clEvENKUlN3c107complexIfEES8_E_clES8_S8_@rel32@hi+12
	v_mov_b32_e32 v2, v4
	v_mov_b32_e32 v3, v5
	s_swappc_b64 s[30:31], s[4:5]
	v_mov_b32_e32 v4, v0
	v_mov_b32_e32 v5, v1
.LBB333_110:
	s_or_b64 exec, exec, s[24:25]
	v_mov_b32_dpp v0, v4 row_bcast:31 row_mask:0xf bank_mask:0xf
	v_mov_b32_dpp v1, v5 row_bcast:31 row_mask:0xf bank_mask:0xf
	v_cmp_lt_u32_e32 vcc, 31, v50
	s_and_saveexec_b64 s[24:25], vcc
	s_cbranch_execz .LBB333_112
; %bb.111:
	s_getpc_b64 s[4:5]
	s_add_u32 s4, s4, _ZZZZN2at6native31launch_logcumsumexp_cuda_kernelERKNS_10TensorBaseES3_lENKUlvE_clEvENKUlvE2_clEvENKUlN3c107complexIfEES8_E_clES8_S8_@rel32@lo+4
	s_addc_u32 s5, s5, _ZZZZN2at6native31launch_logcumsumexp_cuda_kernelERKNS_10TensorBaseES3_lENKUlvE_clEvENKUlvE2_clEvENKUlN3c107complexIfEES8_E_clES8_S8_@rel32@hi+12
	v_mov_b32_e32 v2, v4
	v_mov_b32_e32 v3, v5
	s_swappc_b64 s[30:31], s[4:5]
	v_mov_b32_e32 v4, v0
	v_mov_b32_e32 v5, v1
.LBB333_112:
	s_or_b64 exec, exec, s[24:25]
	v_cmp_eq_u32_e64 s[24:25], 63, v78
	s_and_saveexec_b64 s[4:5], s[24:25]
; %bb.113:
	v_mov_b32_e32 v0, 0
	ds_write_b64 v0, v[4:5]
; %bb.114:
	s_or_b64 exec, exec, s[4:5]
	v_add_u32_e32 v0, -1, v50
	v_and_b32_e32 v1, 64, v50
	v_cmp_lt_i32_e32 vcc, v0, v1
	v_cndmask_b32_e32 v0, v0, v50, vcc
	v_lshlrev_b32_e32 v1, 2, v0
	ds_bpermute_b32 v0, v1, v4
	ds_bpermute_b32 v1, v1, v5
	s_waitcnt lgkmcnt(0)
	; wave barrier
	s_and_saveexec_b64 s[26:27], s[22:23]
	s_cbranch_execz .LBB333_116
; %bb.115:
	s_getpc_b64 s[22:23]
	s_add_u32 s22, s22, _ZZZZN2at6native31launch_logcumsumexp_cuda_kernelERKNS_10TensorBaseES3_lENKUlvE_clEvENKUlvE2_clEvENKUlN3c107complexIfEES8_E_clES8_S8_@rel32@lo+4
	s_addc_u32 s23, s23, _ZZZZN2at6native31launch_logcumsumexp_cuda_kernelERKNS_10TensorBaseES3_lENKUlvE_clEvENKUlvE2_clEvENKUlN3c107complexIfEES8_E_clES8_S8_@rel32@hi+12
	v_mov_b32_e32 v2, v22
	v_mov_b32_e32 v3, v23
	s_swappc_b64 s[30:31], s[22:23]
	v_mov_b32_e32 v2, v24
	v_mov_b32_e32 v3, v25
	;; [unrolled: 1-line block ×4, first 2 shown]
	;;#ASMSTART
	;;#ASMEND
	s_swappc_b64 s[30:31], s[22:23]
	v_mov_b32_e32 v2, v46
	v_mov_b32_e32 v3, v47
	v_mov_b32_e32 v52, v0
	v_mov_b32_e32 v53, v1
	s_swappc_b64 s[30:31], s[22:23]
	v_mov_b32_e32 v2, v48
	v_mov_b32_e32 v3, v49
	v_mov_b32_e32 v54, v0
	v_mov_b32_e32 v55, v1
	;; [unrolled: 5-line block ×12, first 2 shown]
	s_swappc_b64 s[30:31], s[22:23]
	v_mov_b32_e32 v76, v0
	v_mov_b32_e32 v77, v1
.LBB333_116:
	s_or_b64 exec, exec, s[26:27]
	s_and_saveexec_b64 s[4:5], s[24:25]
	s_cbranch_execz .LBB333_118
; %bb.117:
	s_add_u32 s6, s52, 0x400
	s_addc_u32 s7, s53, 0
	v_mov_b32_e32 v4, s6
	v_mov_b32_e32 v2, 2
	;; [unrolled: 1-line block ×6, first 2 shown]
	;;#ASMSTART
	global_store_dwordx4 v[4:5], v[0:3] off	
s_waitcnt vmcnt(0)
	;;#ASMEND
.LBB333_118:
	s_or_b64 exec, exec, s[4:5]
	v_mov_b32_e32 v50, v22
	v_mov_b32_e32 v51, v23
.LBB333_119:
	s_add_u32 s4, s48, s28
	s_addc_u32 s5, s49, s29
	s_add_u32 s4, s4, s34
	s_addc_u32 s5, s5, s35
	s_mov_b64 s[6:7], -1
	s_and_b64 vcc, exec, s[20:21]
	; wave barrier
	s_cbranch_vccz .LBB333_121
; %bb.120:
	ds_write_b128 v81, v[50:53]
	ds_write_b128 v81, v[54:57] offset:16
	ds_write_b128 v81, v[58:61] offset:32
	;; [unrolled: 1-line block ×6, first 2 shown]
	s_waitcnt lgkmcnt(0)
	; wave barrier
	ds_read2st64_b64 v[0:3], v80 offset1:1
	ds_read2st64_b64 v[4:7], v80 offset0:2 offset1:3
	ds_read2st64_b64 v[8:11], v80 offset0:4 offset1:5
	;; [unrolled: 1-line block ×6, first 2 shown]
	v_mov_b32_e32 v28, s5
	v_add_co_u32_e32 v29, vcc, s4, v80
	v_addc_co_u32_e32 v28, vcc, 0, v28, vcc
	s_waitcnt lgkmcnt(6)
	global_store_dwordx2 v80, v[0:1], s[4:5]
	global_store_dwordx2 v80, v[2:3], s[4:5] offset:512
	s_waitcnt lgkmcnt(5)
	global_store_dwordx2 v80, v[4:5], s[4:5] offset:1024
	global_store_dwordx2 v80, v[6:7], s[4:5] offset:1536
	s_waitcnt lgkmcnt(4)
	global_store_dwordx2 v80, v[8:9], s[4:5] offset:2048
	;; [unrolled: 3-line block ×3, first 2 shown]
	global_store_dwordx2 v80, v[14:15], s[4:5] offset:3584
	v_add_co_u32_e32 v0, vcc, 0x1000, v29
	v_addc_co_u32_e32 v1, vcc, 0, v28, vcc
	s_waitcnt lgkmcnt(2)
	global_store_dwordx2 v[0:1], v[16:17], off
	global_store_dwordx2 v[0:1], v[18:19], off offset:512
	s_waitcnt lgkmcnt(1)
	global_store_dwordx2 v[0:1], v[20:21], off offset:1024
	global_store_dwordx2 v[0:1], v[22:23], off offset:1536
	s_waitcnt lgkmcnt(0)
	global_store_dwordx2 v[0:1], v[24:25], off offset:2048
	global_store_dwordx2 v[0:1], v[26:27], off offset:2560
	s_mov_b64 s[6:7], 0
.LBB333_121:
	s_andn2_b64 vcc, exec, s[6:7]
	s_cbranch_vccnz .LBB333_201
; %bb.122:
	s_movk_i32 s6, 0xff98
	v_mad_i32_i24 v24, v78, s6, v81
	ds_write_b128 v81, v[50:53]
	ds_write_b128 v81, v[54:57] offset:16
	ds_write_b128 v81, v[58:61] offset:32
	;; [unrolled: 1-line block ×6, first 2 shown]
	s_waitcnt lgkmcnt(0)
	; wave barrier
	ds_read2st64_b64 v[4:7], v24 offset1:1
	ds_read2st64_b64 v[8:11], v24 offset0:2 offset1:3
	ds_read2st64_b64 v[12:15], v24 offset0:4 offset1:5
	ds_read2st64_b64 v[0:3], v24 offset0:6 offset1:7
	ds_read2st64_b64 v[20:23], v24 offset0:8 offset1:9
	ds_read2st64_b64 v[16:19], v24 offset0:10 offset1:11
	ds_read2st64_b64 v[24:27], v24 offset0:12 offset1:13
	v_mov_b32_e32 v29, s5
	v_add_co_u32_e32 v28, vcc, s4, v80
	v_addc_co_u32_e32 v29, vcc, 0, v29, vcc
	v_mov_b32_e32 v79, 0
	v_cmp_gt_u32_e32 vcc, s33, v78
	s_and_saveexec_b64 s[4:5], vcc
	s_cbranch_execz .LBB333_124
; %bb.123:
	v_mul_i32_i24_e32 v30, 0xffffff98, v78
	v_add_u32_e32 v30, v81, v30
	ds_read_b64 v[30:31], v30
	s_waitcnt lgkmcnt(0)
	global_store_dwordx2 v[28:29], v[30:31], off
.LBB333_124:
	s_or_b64 exec, exec, s[4:5]
	v_or_b32_e32 v30, 64, v78
	v_cmp_gt_u32_e32 vcc, s33, v30
	s_and_saveexec_b64 s[4:5], vcc
	s_cbranch_execz .LBB333_126
; %bb.125:
	s_waitcnt lgkmcnt(6)
	global_store_dwordx2 v[28:29], v[6:7], off offset:512
.LBB333_126:
	s_or_b64 exec, exec, s[4:5]
	v_or_b32_e32 v30, 0x80, v78
	v_cmp_gt_u32_e32 vcc, s33, v30
	s_and_saveexec_b64 s[4:5], vcc
	s_cbranch_execz .LBB333_128
; %bb.127:
	s_waitcnt lgkmcnt(5)
	global_store_dwordx2 v[28:29], v[8:9], off offset:1024
.LBB333_128:
	;; [unrolled: 9-line block ×7, first 2 shown]
	s_or_b64 exec, exec, s[4:5]
	v_or_b32_e32 v30, 0x200, v78
	v_cmp_gt_u32_e32 vcc, s33, v30
	s_and_saveexec_b64 s[4:5], vcc
	s_cbranch_execz .LBB333_140
; %bb.139:
	v_add_co_u32_e32 v30, vcc, 0x1000, v28
	v_addc_co_u32_e32 v31, vcc, 0, v29, vcc
	s_waitcnt lgkmcnt(2)
	global_store_dwordx2 v[30:31], v[20:21], off
.LBB333_140:
	s_or_b64 exec, exec, s[4:5]
	v_or_b32_e32 v30, 0x240, v78
	v_cmp_gt_u32_e32 vcc, s33, v30
	s_and_saveexec_b64 s[4:5], vcc
	s_cbranch_execz .LBB333_142
; %bb.141:
	v_add_co_u32_e32 v30, vcc, 0x1000, v28
	v_addc_co_u32_e32 v31, vcc, 0, v29, vcc
	s_waitcnt lgkmcnt(2)
	global_store_dwordx2 v[30:31], v[22:23], off offset:512
.LBB333_142:
	s_or_b64 exec, exec, s[4:5]
	v_or_b32_e32 v30, 0x280, v78
	v_cmp_gt_u32_e32 vcc, s33, v30
	s_and_saveexec_b64 s[4:5], vcc
	s_cbranch_execz .LBB333_144
; %bb.143:
	v_add_co_u32_e32 v30, vcc, 0x1000, v28
	v_addc_co_u32_e32 v31, vcc, 0, v29, vcc
	s_waitcnt lgkmcnt(1)
	global_store_dwordx2 v[30:31], v[16:17], off offset:1024
.LBB333_144:
	;; [unrolled: 11-line block ×5, first 2 shown]
	s_or_b64 exec, exec, s[4:5]
	v_cmp_lt_u64_e64 s[4:5], s[42:43], 2
	s_and_b64 vcc, exec, s[4:5]
	s_cbranch_vccnz .LBB333_201
; %bb.151:
	s_add_u32 s4, s33, -1
	s_addc_u32 s5, s50, -1
	s_lshr_b64 s[6:7], s[4:5], 1
	s_lshr_b32 s9, s5, 1
	s_mul_hi_u32 s7, s6, 0x49249249
	s_mul_i32 s8, s6, 0x49249249
	s_mul_i32 s11, s9, 0x24924925
	s_mul_hi_u32 s6, s6, 0x24924925
	s_mul_hi_u32 s10, s9, 0x24924925
	s_add_u32 s6, s11, s6
	s_addc_u32 s10, s10, 0
	s_add_u32 s6, s8, s6
	s_addc_u32 s6, s7, 0
	;; [unrolled: 2-line block ×3, first 2 shown]
	s_mul_hi_u32 s8, s9, 0x49249249
	s_mul_i32 s9, s9, 0x49249249
	s_add_u32 s6, s9, s6
	s_addc_u32 s7, s8, s7
	s_lshr_b64 s[6:7], s[6:7], 1
	v_cmp_eq_u64_e32 vcc, s[6:7], v[78:79]
	s_and_saveexec_b64 s[6:7], vcc
	s_cbranch_execz .LBB333_201
; %bb.152:
	v_mul_u32_u24_e32 v28, 14, v78
	v_mul_hi_u32_u24_e32 v29, 14, v78
	v_mov_b32_e32 v30, s5
	v_sub_co_u32_e32 v28, vcc, s4, v28
	v_subb_co_u32_e32 v29, vcc, v30, v29, vcc
	v_cmp_lt_i64_e32 vcc, 6, v[28:29]
	s_and_saveexec_b64 s[4:5], vcc
	s_xor_b64 s[4:5], exec, s[4:5]
	s_cbranch_execz .LBB333_178
; %bb.153:
	v_cmp_lt_i64_e32 vcc, 9, v[28:29]
	s_and_saveexec_b64 s[6:7], vcc
	s_xor_b64 s[6:7], exec, s[6:7]
	s_cbranch_execz .LBB333_167
; %bb.154:
	;; [unrolled: 5-line block ×4, first 2 shown]
	s_waitcnt lgkmcnt(3)
	v_mov_b32_e32 v0, 0
	s_waitcnt lgkmcnt(0)
	global_store_dwordx2 v0, v[26:27], s[38:39]
                                        ; implicit-def: $vgpr24_vgpr25_vgpr26_vgpr27
.LBB333_157:
	s_andn2_saveexec_b64 s[10:11], s[10:11]
	s_cbranch_execz .LBB333_159
; %bb.158:
	s_waitcnt lgkmcnt(3)
	v_mov_b32_e32 v0, 0
	s_waitcnt lgkmcnt(0)
	global_store_dwordx2 v0, v[24:25], s[38:39]
.LBB333_159:
	s_or_b64 exec, exec, s[10:11]
                                        ; implicit-def: $vgpr16_vgpr17_vgpr18_vgpr19
                                        ; implicit-def: $vgpr28_vgpr29
.LBB333_160:
	s_andn2_saveexec_b64 s[8:9], s[8:9]
	s_cbranch_execz .LBB333_166
; %bb.161:
	v_cmp_lt_i64_e32 vcc, 10, v[28:29]
	s_and_saveexec_b64 s[10:11], vcc
	s_xor_b64 s[10:11], exec, s[10:11]
	s_cbranch_execz .LBB333_163
; %bb.162:
	s_waitcnt lgkmcnt(3)
	v_mov_b32_e32 v0, 0
	s_waitcnt lgkmcnt(1)
	global_store_dwordx2 v0, v[18:19], s[38:39]
                                        ; implicit-def: $vgpr16_vgpr17_vgpr18_vgpr19
.LBB333_163:
	s_andn2_saveexec_b64 s[10:11], s[10:11]
	s_cbranch_execz .LBB333_165
; %bb.164:
	s_waitcnt lgkmcnt(3)
	v_mov_b32_e32 v0, 0
	s_waitcnt lgkmcnt(1)
	global_store_dwordx2 v0, v[16:17], s[38:39]
.LBB333_165:
	s_or_b64 exec, exec, s[10:11]
.LBB333_166:
	s_or_b64 exec, exec, s[8:9]
                                        ; implicit-def: $vgpr0_vgpr1_vgpr2_vgpr3
                                        ; implicit-def: $vgpr28_vgpr29
                                        ; implicit-def: $vgpr20_vgpr21_vgpr22_vgpr23
.LBB333_167:
	s_andn2_saveexec_b64 s[6:7], s[6:7]
	s_cbranch_execz .LBB333_177
; %bb.168:
	v_cmp_lt_i64_e32 vcc, 7, v[28:29]
	s_and_saveexec_b64 s[8:9], vcc
	s_xor_b64 s[8:9], exec, s[8:9]
	s_cbranch_execz .LBB333_174
; %bb.169:
	v_cmp_lt_i64_e32 vcc, 8, v[28:29]
	s_and_saveexec_b64 s[10:11], vcc
	s_xor_b64 s[10:11], exec, s[10:11]
	s_cbranch_execz .LBB333_171
; %bb.170:
	s_waitcnt lgkmcnt(3)
	v_mov_b32_e32 v0, 0
	s_waitcnt lgkmcnt(2)
	global_store_dwordx2 v0, v[22:23], s[38:39]
                                        ; implicit-def: $vgpr20_vgpr21_vgpr22_vgpr23
.LBB333_171:
	s_andn2_saveexec_b64 s[10:11], s[10:11]
	s_cbranch_execz .LBB333_173
; %bb.172:
	s_waitcnt lgkmcnt(3)
	v_mov_b32_e32 v0, 0
	s_waitcnt lgkmcnt(2)
	global_store_dwordx2 v0, v[20:21], s[38:39]
.LBB333_173:
	s_or_b64 exec, exec, s[10:11]
                                        ; implicit-def: $vgpr0_vgpr1_vgpr2_vgpr3
.LBB333_174:
	s_andn2_saveexec_b64 s[8:9], s[8:9]
	s_cbranch_execz .LBB333_176
; %bb.175:
	s_waitcnt lgkmcnt(3)
	v_mov_b32_e32 v0, 0
	global_store_dwordx2 v0, v[2:3], s[38:39]
.LBB333_176:
	s_or_b64 exec, exec, s[8:9]
.LBB333_177:
	s_or_b64 exec, exec, s[6:7]
                                        ; implicit-def: $vgpr28_vgpr29
                                        ; implicit-def: $vgpr12_vgpr13_vgpr14_vgpr15
                                        ; implicit-def: $vgpr4_vgpr5_vgpr6_vgpr7
                                        ; implicit-def: $vgpr8_vgpr9_vgpr10_vgpr11
                                        ; implicit-def: $vgpr0_vgpr1_vgpr2_vgpr3
.LBB333_178:
	s_andn2_saveexec_b64 s[4:5], s[4:5]
	s_cbranch_execz .LBB333_201
; %bb.179:
	v_cmp_lt_i64_e32 vcc, 3, v[28:29]
	s_and_saveexec_b64 s[4:5], vcc
	s_xor_b64 s[4:5], exec, s[4:5]
	s_cbranch_execz .LBB333_189
; %bb.180:
	v_cmp_lt_i64_e32 vcc, 4, v[28:29]
	s_and_saveexec_b64 s[6:7], vcc
	s_xor_b64 s[6:7], exec, s[6:7]
	;; [unrolled: 5-line block ×3, first 2 shown]
	s_cbranch_execz .LBB333_183
; %bb.182:
	s_waitcnt lgkmcnt(3)
	v_mov_b32_e32 v2, 0
	global_store_dwordx2 v2, v[0:1], s[38:39]
                                        ; implicit-def: $vgpr12_vgpr13_vgpr14_vgpr15
.LBB333_183:
	s_andn2_saveexec_b64 s[8:9], s[8:9]
	s_cbranch_execz .LBB333_185
; %bb.184:
	s_waitcnt lgkmcnt(3)
	v_mov_b32_e32 v0, 0
	global_store_dwordx2 v0, v[14:15], s[38:39]
.LBB333_185:
	s_or_b64 exec, exec, s[8:9]
                                        ; implicit-def: $vgpr12_vgpr13_vgpr14_vgpr15
.LBB333_186:
	s_andn2_saveexec_b64 s[6:7], s[6:7]
	s_cbranch_execz .LBB333_188
; %bb.187:
	s_waitcnt lgkmcnt(3)
	v_mov_b32_e32 v0, 0
	global_store_dwordx2 v0, v[12:13], s[38:39]
.LBB333_188:
	s_or_b64 exec, exec, s[6:7]
                                        ; implicit-def: $vgpr28_vgpr29
                                        ; implicit-def: $vgpr4_vgpr5_vgpr6_vgpr7
                                        ; implicit-def: $vgpr8_vgpr9_vgpr10_vgpr11
.LBB333_189:
	s_andn2_saveexec_b64 s[4:5], s[4:5]
	s_cbranch_execz .LBB333_201
; %bb.190:
	v_cmp_lt_i64_e32 vcc, 1, v[28:29]
	s_and_saveexec_b64 s[4:5], vcc
	s_xor_b64 s[4:5], exec, s[4:5]
	s_cbranch_execz .LBB333_196
; %bb.191:
	v_cmp_lt_i64_e32 vcc, 2, v[28:29]
	s_and_saveexec_b64 s[6:7], vcc
	s_xor_b64 s[6:7], exec, s[6:7]
	s_cbranch_execz .LBB333_193
; %bb.192:
	s_waitcnt lgkmcnt(3)
	v_mov_b32_e32 v0, 0
	global_store_dwordx2 v0, v[10:11], s[38:39]
                                        ; implicit-def: $vgpr8_vgpr9_vgpr10_vgpr11
.LBB333_193:
	s_andn2_saveexec_b64 s[6:7], s[6:7]
	s_cbranch_execz .LBB333_195
; %bb.194:
	s_waitcnt lgkmcnt(3)
	v_mov_b32_e32 v0, 0
	global_store_dwordx2 v0, v[8:9], s[38:39]
.LBB333_195:
	s_or_b64 exec, exec, s[6:7]
                                        ; implicit-def: $vgpr4_vgpr5_vgpr6_vgpr7
                                        ; implicit-def: $vgpr28_vgpr29
.LBB333_196:
	s_andn2_saveexec_b64 s[4:5], s[4:5]
	s_cbranch_execz .LBB333_201
; %bb.197:
	v_cmp_ne_u64_e32 vcc, 1, v[28:29]
	s_and_saveexec_b64 s[4:5], vcc
	s_xor_b64 s[4:5], exec, s[4:5]
	s_cbranch_execz .LBB333_199
; %bb.198:
	s_waitcnt lgkmcnt(3)
	v_mov_b32_e32 v0, 0
	global_store_dwordx2 v0, v[4:5], s[38:39]
                                        ; implicit-def: $vgpr4_vgpr5_vgpr6_vgpr7
.LBB333_199:
	s_andn2_saveexec_b64 s[4:5], s[4:5]
	s_cbranch_execz .LBB333_201
; %bb.200:
	s_waitcnt lgkmcnt(3)
	v_mov_b32_e32 v0, 0
	global_store_dwordx2 v0, v[6:7], s[38:39]
.LBB333_201:
	s_endpgm
	.section	.rodata,"a",@progbits
	.p2align	6, 0x0
	.amdhsa_kernel _ZN7rocprim17ROCPRIM_400000_NS6detail17trampoline_kernelINS0_14default_configENS1_20scan_config_selectorIN3c107complexIfEEEEZZNS1_9scan_implILNS1_25lookback_scan_determinismE0ELb0ELb0ES3_PKS7_PS7_S7_ZZZN2at6native31launch_logcumsumexp_cuda_kernelERKNSE_10TensorBaseESI_lENKUlvE_clEvENKUlvE2_clEvEUlS7_S7_E_S7_EEDaPvRmT3_T4_T5_mT6_P12ihipStream_tbENKUlT_T0_E_clISt17integral_constantIbLb0EESY_IbLb1EEEEDaSU_SV_EUlSU_E_NS1_11comp_targetILNS1_3genE2ELNS1_11target_archE906ELNS1_3gpuE6ELNS1_3repE0EEENS1_30default_config_static_selectorELNS0_4arch9wavefront6targetE1EEEvT1_
		.amdhsa_group_segment_fixed_size 7168
		.amdhsa_private_segment_fixed_size 0
		.amdhsa_kernarg_size 104
		.amdhsa_user_sgpr_count 6
		.amdhsa_user_sgpr_private_segment_buffer 1
		.amdhsa_user_sgpr_dispatch_ptr 0
		.amdhsa_user_sgpr_queue_ptr 0
		.amdhsa_user_sgpr_kernarg_segment_ptr 1
		.amdhsa_user_sgpr_dispatch_id 0
		.amdhsa_user_sgpr_flat_scratch_init 0
		.amdhsa_user_sgpr_private_segment_size 0
		.amdhsa_uses_dynamic_stack 0
		.amdhsa_system_sgpr_private_segment_wavefront_offset 0
		.amdhsa_system_sgpr_workgroup_id_x 1
		.amdhsa_system_sgpr_workgroup_id_y 0
		.amdhsa_system_sgpr_workgroup_id_z 0
		.amdhsa_system_sgpr_workgroup_info 0
		.amdhsa_system_vgpr_workitem_id 0
		.amdhsa_next_free_vgpr 86
		.amdhsa_next_free_sgpr 98
		.amdhsa_reserve_vcc 1
		.amdhsa_reserve_flat_scratch 0
		.amdhsa_float_round_mode_32 0
		.amdhsa_float_round_mode_16_64 0
		.amdhsa_float_denorm_mode_32 3
		.amdhsa_float_denorm_mode_16_64 3
		.amdhsa_dx10_clamp 1
		.amdhsa_ieee_mode 1
		.amdhsa_fp16_overflow 0
		.amdhsa_exception_fp_ieee_invalid_op 0
		.amdhsa_exception_fp_denorm_src 0
		.amdhsa_exception_fp_ieee_div_zero 0
		.amdhsa_exception_fp_ieee_overflow 0
		.amdhsa_exception_fp_ieee_underflow 0
		.amdhsa_exception_fp_ieee_inexact 0
		.amdhsa_exception_int_div_zero 0
	.end_amdhsa_kernel
	.section	.text._ZN7rocprim17ROCPRIM_400000_NS6detail17trampoline_kernelINS0_14default_configENS1_20scan_config_selectorIN3c107complexIfEEEEZZNS1_9scan_implILNS1_25lookback_scan_determinismE0ELb0ELb0ES3_PKS7_PS7_S7_ZZZN2at6native31launch_logcumsumexp_cuda_kernelERKNSE_10TensorBaseESI_lENKUlvE_clEvENKUlvE2_clEvEUlS7_S7_E_S7_EEDaPvRmT3_T4_T5_mT6_P12ihipStream_tbENKUlT_T0_E_clISt17integral_constantIbLb0EESY_IbLb1EEEEDaSU_SV_EUlSU_E_NS1_11comp_targetILNS1_3genE2ELNS1_11target_archE906ELNS1_3gpuE6ELNS1_3repE0EEENS1_30default_config_static_selectorELNS0_4arch9wavefront6targetE1EEEvT1_,"axG",@progbits,_ZN7rocprim17ROCPRIM_400000_NS6detail17trampoline_kernelINS0_14default_configENS1_20scan_config_selectorIN3c107complexIfEEEEZZNS1_9scan_implILNS1_25lookback_scan_determinismE0ELb0ELb0ES3_PKS7_PS7_S7_ZZZN2at6native31launch_logcumsumexp_cuda_kernelERKNSE_10TensorBaseESI_lENKUlvE_clEvENKUlvE2_clEvEUlS7_S7_E_S7_EEDaPvRmT3_T4_T5_mT6_P12ihipStream_tbENKUlT_T0_E_clISt17integral_constantIbLb0EESY_IbLb1EEEEDaSU_SV_EUlSU_E_NS1_11comp_targetILNS1_3genE2ELNS1_11target_archE906ELNS1_3gpuE6ELNS1_3repE0EEENS1_30default_config_static_selectorELNS0_4arch9wavefront6targetE1EEEvT1_,comdat
.Lfunc_end333:
	.size	_ZN7rocprim17ROCPRIM_400000_NS6detail17trampoline_kernelINS0_14default_configENS1_20scan_config_selectorIN3c107complexIfEEEEZZNS1_9scan_implILNS1_25lookback_scan_determinismE0ELb0ELb0ES3_PKS7_PS7_S7_ZZZN2at6native31launch_logcumsumexp_cuda_kernelERKNSE_10TensorBaseESI_lENKUlvE_clEvENKUlvE2_clEvEUlS7_S7_E_S7_EEDaPvRmT3_T4_T5_mT6_P12ihipStream_tbENKUlT_T0_E_clISt17integral_constantIbLb0EESY_IbLb1EEEEDaSU_SV_EUlSU_E_NS1_11comp_targetILNS1_3genE2ELNS1_11target_archE906ELNS1_3gpuE6ELNS1_3repE0EEENS1_30default_config_static_selectorELNS0_4arch9wavefront6targetE1EEEvT1_, .Lfunc_end333-_ZN7rocprim17ROCPRIM_400000_NS6detail17trampoline_kernelINS0_14default_configENS1_20scan_config_selectorIN3c107complexIfEEEEZZNS1_9scan_implILNS1_25lookback_scan_determinismE0ELb0ELb0ES3_PKS7_PS7_S7_ZZZN2at6native31launch_logcumsumexp_cuda_kernelERKNSE_10TensorBaseESI_lENKUlvE_clEvENKUlvE2_clEvEUlS7_S7_E_S7_EEDaPvRmT3_T4_T5_mT6_P12ihipStream_tbENKUlT_T0_E_clISt17integral_constantIbLb0EESY_IbLb1EEEEDaSU_SV_EUlSU_E_NS1_11comp_targetILNS1_3genE2ELNS1_11target_archE906ELNS1_3gpuE6ELNS1_3repE0EEENS1_30default_config_static_selectorELNS0_4arch9wavefront6targetE1EEEvT1_
                                        ; -- End function
	.set _ZN7rocprim17ROCPRIM_400000_NS6detail17trampoline_kernelINS0_14default_configENS1_20scan_config_selectorIN3c107complexIfEEEEZZNS1_9scan_implILNS1_25lookback_scan_determinismE0ELb0ELb0ES3_PKS7_PS7_S7_ZZZN2at6native31launch_logcumsumexp_cuda_kernelERKNSE_10TensorBaseESI_lENKUlvE_clEvENKUlvE2_clEvEUlS7_S7_E_S7_EEDaPvRmT3_T4_T5_mT6_P12ihipStream_tbENKUlT_T0_E_clISt17integral_constantIbLb0EESY_IbLb1EEEEDaSU_SV_EUlSU_E_NS1_11comp_targetILNS1_3genE2ELNS1_11target_archE906ELNS1_3gpuE6ELNS1_3repE0EEENS1_30default_config_static_selectorELNS0_4arch9wavefront6targetE1EEEvT1_.num_vgpr, max(86, .L_ZZZZN2at6native31launch_logcumsumexp_cuda_kernelERKNS_10TensorBaseES3_lENKUlvE_clEvENKUlvE2_clEvENKUlN3c107complexIfEES8_E_clES8_S8_.num_vgpr)
	.set _ZN7rocprim17ROCPRIM_400000_NS6detail17trampoline_kernelINS0_14default_configENS1_20scan_config_selectorIN3c107complexIfEEEEZZNS1_9scan_implILNS1_25lookback_scan_determinismE0ELb0ELb0ES3_PKS7_PS7_S7_ZZZN2at6native31launch_logcumsumexp_cuda_kernelERKNSE_10TensorBaseESI_lENKUlvE_clEvENKUlvE2_clEvEUlS7_S7_E_S7_EEDaPvRmT3_T4_T5_mT6_P12ihipStream_tbENKUlT_T0_E_clISt17integral_constantIbLb0EESY_IbLb1EEEEDaSU_SV_EUlSU_E_NS1_11comp_targetILNS1_3genE2ELNS1_11target_archE906ELNS1_3gpuE6ELNS1_3repE0EEENS1_30default_config_static_selectorELNS0_4arch9wavefront6targetE1EEEvT1_.num_agpr, max(0, .L_ZZZZN2at6native31launch_logcumsumexp_cuda_kernelERKNS_10TensorBaseES3_lENKUlvE_clEvENKUlvE2_clEvENKUlN3c107complexIfEES8_E_clES8_S8_.num_agpr)
	.set _ZN7rocprim17ROCPRIM_400000_NS6detail17trampoline_kernelINS0_14default_configENS1_20scan_config_selectorIN3c107complexIfEEEEZZNS1_9scan_implILNS1_25lookback_scan_determinismE0ELb0ELb0ES3_PKS7_PS7_S7_ZZZN2at6native31launch_logcumsumexp_cuda_kernelERKNSE_10TensorBaseESI_lENKUlvE_clEvENKUlvE2_clEvEUlS7_S7_E_S7_EEDaPvRmT3_T4_T5_mT6_P12ihipStream_tbENKUlT_T0_E_clISt17integral_constantIbLb0EESY_IbLb1EEEEDaSU_SV_EUlSU_E_NS1_11comp_targetILNS1_3genE2ELNS1_11target_archE906ELNS1_3gpuE6ELNS1_3repE0EEENS1_30default_config_static_selectorELNS0_4arch9wavefront6targetE1EEEvT1_.numbered_sgpr, max(55, .L_ZZZZN2at6native31launch_logcumsumexp_cuda_kernelERKNS_10TensorBaseES3_lENKUlvE_clEvENKUlvE2_clEvENKUlN3c107complexIfEES8_E_clES8_S8_.numbered_sgpr)
	.set _ZN7rocprim17ROCPRIM_400000_NS6detail17trampoline_kernelINS0_14default_configENS1_20scan_config_selectorIN3c107complexIfEEEEZZNS1_9scan_implILNS1_25lookback_scan_determinismE0ELb0ELb0ES3_PKS7_PS7_S7_ZZZN2at6native31launch_logcumsumexp_cuda_kernelERKNSE_10TensorBaseESI_lENKUlvE_clEvENKUlvE2_clEvEUlS7_S7_E_S7_EEDaPvRmT3_T4_T5_mT6_P12ihipStream_tbENKUlT_T0_E_clISt17integral_constantIbLb0EESY_IbLb1EEEEDaSU_SV_EUlSU_E_NS1_11comp_targetILNS1_3genE2ELNS1_11target_archE906ELNS1_3gpuE6ELNS1_3repE0EEENS1_30default_config_static_selectorELNS0_4arch9wavefront6targetE1EEEvT1_.num_named_barrier, max(0, .L_ZZZZN2at6native31launch_logcumsumexp_cuda_kernelERKNS_10TensorBaseES3_lENKUlvE_clEvENKUlvE2_clEvENKUlN3c107complexIfEES8_E_clES8_S8_.num_named_barrier)
	.set _ZN7rocprim17ROCPRIM_400000_NS6detail17trampoline_kernelINS0_14default_configENS1_20scan_config_selectorIN3c107complexIfEEEEZZNS1_9scan_implILNS1_25lookback_scan_determinismE0ELb0ELb0ES3_PKS7_PS7_S7_ZZZN2at6native31launch_logcumsumexp_cuda_kernelERKNSE_10TensorBaseESI_lENKUlvE_clEvENKUlvE2_clEvEUlS7_S7_E_S7_EEDaPvRmT3_T4_T5_mT6_P12ihipStream_tbENKUlT_T0_E_clISt17integral_constantIbLb0EESY_IbLb1EEEEDaSU_SV_EUlSU_E_NS1_11comp_targetILNS1_3genE2ELNS1_11target_archE906ELNS1_3gpuE6ELNS1_3repE0EEENS1_30default_config_static_selectorELNS0_4arch9wavefront6targetE1EEEvT1_.private_seg_size, 0+max(.L_ZZZZN2at6native31launch_logcumsumexp_cuda_kernelERKNS_10TensorBaseES3_lENKUlvE_clEvENKUlvE2_clEvENKUlN3c107complexIfEES8_E_clES8_S8_.private_seg_size)
	.set _ZN7rocprim17ROCPRIM_400000_NS6detail17trampoline_kernelINS0_14default_configENS1_20scan_config_selectorIN3c107complexIfEEEEZZNS1_9scan_implILNS1_25lookback_scan_determinismE0ELb0ELb0ES3_PKS7_PS7_S7_ZZZN2at6native31launch_logcumsumexp_cuda_kernelERKNSE_10TensorBaseESI_lENKUlvE_clEvENKUlvE2_clEvEUlS7_S7_E_S7_EEDaPvRmT3_T4_T5_mT6_P12ihipStream_tbENKUlT_T0_E_clISt17integral_constantIbLb0EESY_IbLb1EEEEDaSU_SV_EUlSU_E_NS1_11comp_targetILNS1_3genE2ELNS1_11target_archE906ELNS1_3gpuE6ELNS1_3repE0EEENS1_30default_config_static_selectorELNS0_4arch9wavefront6targetE1EEEvT1_.uses_vcc, or(1, .L_ZZZZN2at6native31launch_logcumsumexp_cuda_kernelERKNS_10TensorBaseES3_lENKUlvE_clEvENKUlvE2_clEvENKUlN3c107complexIfEES8_E_clES8_S8_.uses_vcc)
	.set _ZN7rocprim17ROCPRIM_400000_NS6detail17trampoline_kernelINS0_14default_configENS1_20scan_config_selectorIN3c107complexIfEEEEZZNS1_9scan_implILNS1_25lookback_scan_determinismE0ELb0ELb0ES3_PKS7_PS7_S7_ZZZN2at6native31launch_logcumsumexp_cuda_kernelERKNSE_10TensorBaseESI_lENKUlvE_clEvENKUlvE2_clEvEUlS7_S7_E_S7_EEDaPvRmT3_T4_T5_mT6_P12ihipStream_tbENKUlT_T0_E_clISt17integral_constantIbLb0EESY_IbLb1EEEEDaSU_SV_EUlSU_E_NS1_11comp_targetILNS1_3genE2ELNS1_11target_archE906ELNS1_3gpuE6ELNS1_3repE0EEENS1_30default_config_static_selectorELNS0_4arch9wavefront6targetE1EEEvT1_.uses_flat_scratch, or(0, .L_ZZZZN2at6native31launch_logcumsumexp_cuda_kernelERKNS_10TensorBaseES3_lENKUlvE_clEvENKUlvE2_clEvENKUlN3c107complexIfEES8_E_clES8_S8_.uses_flat_scratch)
	.set _ZN7rocprim17ROCPRIM_400000_NS6detail17trampoline_kernelINS0_14default_configENS1_20scan_config_selectorIN3c107complexIfEEEEZZNS1_9scan_implILNS1_25lookback_scan_determinismE0ELb0ELb0ES3_PKS7_PS7_S7_ZZZN2at6native31launch_logcumsumexp_cuda_kernelERKNSE_10TensorBaseESI_lENKUlvE_clEvENKUlvE2_clEvEUlS7_S7_E_S7_EEDaPvRmT3_T4_T5_mT6_P12ihipStream_tbENKUlT_T0_E_clISt17integral_constantIbLb0EESY_IbLb1EEEEDaSU_SV_EUlSU_E_NS1_11comp_targetILNS1_3genE2ELNS1_11target_archE906ELNS1_3gpuE6ELNS1_3repE0EEENS1_30default_config_static_selectorELNS0_4arch9wavefront6targetE1EEEvT1_.has_dyn_sized_stack, or(0, .L_ZZZZN2at6native31launch_logcumsumexp_cuda_kernelERKNS_10TensorBaseES3_lENKUlvE_clEvENKUlvE2_clEvENKUlN3c107complexIfEES8_E_clES8_S8_.has_dyn_sized_stack)
	.set _ZN7rocprim17ROCPRIM_400000_NS6detail17trampoline_kernelINS0_14default_configENS1_20scan_config_selectorIN3c107complexIfEEEEZZNS1_9scan_implILNS1_25lookback_scan_determinismE0ELb0ELb0ES3_PKS7_PS7_S7_ZZZN2at6native31launch_logcumsumexp_cuda_kernelERKNSE_10TensorBaseESI_lENKUlvE_clEvENKUlvE2_clEvEUlS7_S7_E_S7_EEDaPvRmT3_T4_T5_mT6_P12ihipStream_tbENKUlT_T0_E_clISt17integral_constantIbLb0EESY_IbLb1EEEEDaSU_SV_EUlSU_E_NS1_11comp_targetILNS1_3genE2ELNS1_11target_archE906ELNS1_3gpuE6ELNS1_3repE0EEENS1_30default_config_static_selectorELNS0_4arch9wavefront6targetE1EEEvT1_.has_recursion, or(0, .L_ZZZZN2at6native31launch_logcumsumexp_cuda_kernelERKNS_10TensorBaseES3_lENKUlvE_clEvENKUlvE2_clEvENKUlN3c107complexIfEES8_E_clES8_S8_.has_recursion)
	.set _ZN7rocprim17ROCPRIM_400000_NS6detail17trampoline_kernelINS0_14default_configENS1_20scan_config_selectorIN3c107complexIfEEEEZZNS1_9scan_implILNS1_25lookback_scan_determinismE0ELb0ELb0ES3_PKS7_PS7_S7_ZZZN2at6native31launch_logcumsumexp_cuda_kernelERKNSE_10TensorBaseESI_lENKUlvE_clEvENKUlvE2_clEvEUlS7_S7_E_S7_EEDaPvRmT3_T4_T5_mT6_P12ihipStream_tbENKUlT_T0_E_clISt17integral_constantIbLb0EESY_IbLb1EEEEDaSU_SV_EUlSU_E_NS1_11comp_targetILNS1_3genE2ELNS1_11target_archE906ELNS1_3gpuE6ELNS1_3repE0EEENS1_30default_config_static_selectorELNS0_4arch9wavefront6targetE1EEEvT1_.has_indirect_call, or(0, .L_ZZZZN2at6native31launch_logcumsumexp_cuda_kernelERKNS_10TensorBaseES3_lENKUlvE_clEvENKUlvE2_clEvENKUlN3c107complexIfEES8_E_clES8_S8_.has_indirect_call)
	.section	.AMDGPU.csdata,"",@progbits
; Kernel info:
; codeLenInByte = 7084
; TotalNumSgprs: 59
; NumVgprs: 86
; ScratchSize: 0
; MemoryBound: 0
; FloatMode: 240
; IeeeMode: 1
; LDSByteSize: 7168 bytes/workgroup (compile time only)
; SGPRBlocks: 12
; VGPRBlocks: 21
; NumSGPRsForWavesPerEU: 102
; NumVGPRsForWavesPerEU: 86
; Occupancy: 2
; WaveLimiterHint : 0
; COMPUTE_PGM_RSRC2:SCRATCH_EN: 0
; COMPUTE_PGM_RSRC2:USER_SGPR: 6
; COMPUTE_PGM_RSRC2:TRAP_HANDLER: 0
; COMPUTE_PGM_RSRC2:TGID_X_EN: 1
; COMPUTE_PGM_RSRC2:TGID_Y_EN: 0
; COMPUTE_PGM_RSRC2:TGID_Z_EN: 0
; COMPUTE_PGM_RSRC2:TIDIG_COMP_CNT: 0
	.section	.text._ZN7rocprim17ROCPRIM_400000_NS6detail17trampoline_kernelINS0_14default_configENS1_20scan_config_selectorIN3c107complexIfEEEEZZNS1_9scan_implILNS1_25lookback_scan_determinismE0ELb0ELb0ES3_PKS7_PS7_S7_ZZZN2at6native31launch_logcumsumexp_cuda_kernelERKNSE_10TensorBaseESI_lENKUlvE_clEvENKUlvE2_clEvEUlS7_S7_E_S7_EEDaPvRmT3_T4_T5_mT6_P12ihipStream_tbENKUlT_T0_E_clISt17integral_constantIbLb0EESY_IbLb1EEEEDaSU_SV_EUlSU_E_NS1_11comp_targetILNS1_3genE10ELNS1_11target_archE1201ELNS1_3gpuE5ELNS1_3repE0EEENS1_30default_config_static_selectorELNS0_4arch9wavefront6targetE1EEEvT1_,"axG",@progbits,_ZN7rocprim17ROCPRIM_400000_NS6detail17trampoline_kernelINS0_14default_configENS1_20scan_config_selectorIN3c107complexIfEEEEZZNS1_9scan_implILNS1_25lookback_scan_determinismE0ELb0ELb0ES3_PKS7_PS7_S7_ZZZN2at6native31launch_logcumsumexp_cuda_kernelERKNSE_10TensorBaseESI_lENKUlvE_clEvENKUlvE2_clEvEUlS7_S7_E_S7_EEDaPvRmT3_T4_T5_mT6_P12ihipStream_tbENKUlT_T0_E_clISt17integral_constantIbLb0EESY_IbLb1EEEEDaSU_SV_EUlSU_E_NS1_11comp_targetILNS1_3genE10ELNS1_11target_archE1201ELNS1_3gpuE5ELNS1_3repE0EEENS1_30default_config_static_selectorELNS0_4arch9wavefront6targetE1EEEvT1_,comdat
	.globl	_ZN7rocprim17ROCPRIM_400000_NS6detail17trampoline_kernelINS0_14default_configENS1_20scan_config_selectorIN3c107complexIfEEEEZZNS1_9scan_implILNS1_25lookback_scan_determinismE0ELb0ELb0ES3_PKS7_PS7_S7_ZZZN2at6native31launch_logcumsumexp_cuda_kernelERKNSE_10TensorBaseESI_lENKUlvE_clEvENKUlvE2_clEvEUlS7_S7_E_S7_EEDaPvRmT3_T4_T5_mT6_P12ihipStream_tbENKUlT_T0_E_clISt17integral_constantIbLb0EESY_IbLb1EEEEDaSU_SV_EUlSU_E_NS1_11comp_targetILNS1_3genE10ELNS1_11target_archE1201ELNS1_3gpuE5ELNS1_3repE0EEENS1_30default_config_static_selectorELNS0_4arch9wavefront6targetE1EEEvT1_ ; -- Begin function _ZN7rocprim17ROCPRIM_400000_NS6detail17trampoline_kernelINS0_14default_configENS1_20scan_config_selectorIN3c107complexIfEEEEZZNS1_9scan_implILNS1_25lookback_scan_determinismE0ELb0ELb0ES3_PKS7_PS7_S7_ZZZN2at6native31launch_logcumsumexp_cuda_kernelERKNSE_10TensorBaseESI_lENKUlvE_clEvENKUlvE2_clEvEUlS7_S7_E_S7_EEDaPvRmT3_T4_T5_mT6_P12ihipStream_tbENKUlT_T0_E_clISt17integral_constantIbLb0EESY_IbLb1EEEEDaSU_SV_EUlSU_E_NS1_11comp_targetILNS1_3genE10ELNS1_11target_archE1201ELNS1_3gpuE5ELNS1_3repE0EEENS1_30default_config_static_selectorELNS0_4arch9wavefront6targetE1EEEvT1_
	.p2align	8
	.type	_ZN7rocprim17ROCPRIM_400000_NS6detail17trampoline_kernelINS0_14default_configENS1_20scan_config_selectorIN3c107complexIfEEEEZZNS1_9scan_implILNS1_25lookback_scan_determinismE0ELb0ELb0ES3_PKS7_PS7_S7_ZZZN2at6native31launch_logcumsumexp_cuda_kernelERKNSE_10TensorBaseESI_lENKUlvE_clEvENKUlvE2_clEvEUlS7_S7_E_S7_EEDaPvRmT3_T4_T5_mT6_P12ihipStream_tbENKUlT_T0_E_clISt17integral_constantIbLb0EESY_IbLb1EEEEDaSU_SV_EUlSU_E_NS1_11comp_targetILNS1_3genE10ELNS1_11target_archE1201ELNS1_3gpuE5ELNS1_3repE0EEENS1_30default_config_static_selectorELNS0_4arch9wavefront6targetE1EEEvT1_,@function
_ZN7rocprim17ROCPRIM_400000_NS6detail17trampoline_kernelINS0_14default_configENS1_20scan_config_selectorIN3c107complexIfEEEEZZNS1_9scan_implILNS1_25lookback_scan_determinismE0ELb0ELb0ES3_PKS7_PS7_S7_ZZZN2at6native31launch_logcumsumexp_cuda_kernelERKNSE_10TensorBaseESI_lENKUlvE_clEvENKUlvE2_clEvEUlS7_S7_E_S7_EEDaPvRmT3_T4_T5_mT6_P12ihipStream_tbENKUlT_T0_E_clISt17integral_constantIbLb0EESY_IbLb1EEEEDaSU_SV_EUlSU_E_NS1_11comp_targetILNS1_3genE10ELNS1_11target_archE1201ELNS1_3gpuE5ELNS1_3repE0EEENS1_30default_config_static_selectorELNS0_4arch9wavefront6targetE1EEEvT1_: ; @_ZN7rocprim17ROCPRIM_400000_NS6detail17trampoline_kernelINS0_14default_configENS1_20scan_config_selectorIN3c107complexIfEEEEZZNS1_9scan_implILNS1_25lookback_scan_determinismE0ELb0ELb0ES3_PKS7_PS7_S7_ZZZN2at6native31launch_logcumsumexp_cuda_kernelERKNSE_10TensorBaseESI_lENKUlvE_clEvENKUlvE2_clEvEUlS7_S7_E_S7_EEDaPvRmT3_T4_T5_mT6_P12ihipStream_tbENKUlT_T0_E_clISt17integral_constantIbLb0EESY_IbLb1EEEEDaSU_SV_EUlSU_E_NS1_11comp_targetILNS1_3genE10ELNS1_11target_archE1201ELNS1_3gpuE5ELNS1_3repE0EEENS1_30default_config_static_selectorELNS0_4arch9wavefront6targetE1EEEvT1_
; %bb.0:
	.section	.rodata,"a",@progbits
	.p2align	6, 0x0
	.amdhsa_kernel _ZN7rocprim17ROCPRIM_400000_NS6detail17trampoline_kernelINS0_14default_configENS1_20scan_config_selectorIN3c107complexIfEEEEZZNS1_9scan_implILNS1_25lookback_scan_determinismE0ELb0ELb0ES3_PKS7_PS7_S7_ZZZN2at6native31launch_logcumsumexp_cuda_kernelERKNSE_10TensorBaseESI_lENKUlvE_clEvENKUlvE2_clEvEUlS7_S7_E_S7_EEDaPvRmT3_T4_T5_mT6_P12ihipStream_tbENKUlT_T0_E_clISt17integral_constantIbLb0EESY_IbLb1EEEEDaSU_SV_EUlSU_E_NS1_11comp_targetILNS1_3genE10ELNS1_11target_archE1201ELNS1_3gpuE5ELNS1_3repE0EEENS1_30default_config_static_selectorELNS0_4arch9wavefront6targetE1EEEvT1_
		.amdhsa_group_segment_fixed_size 0
		.amdhsa_private_segment_fixed_size 0
		.amdhsa_kernarg_size 104
		.amdhsa_user_sgpr_count 6
		.amdhsa_user_sgpr_private_segment_buffer 1
		.amdhsa_user_sgpr_dispatch_ptr 0
		.amdhsa_user_sgpr_queue_ptr 0
		.amdhsa_user_sgpr_kernarg_segment_ptr 1
		.amdhsa_user_sgpr_dispatch_id 0
		.amdhsa_user_sgpr_flat_scratch_init 0
		.amdhsa_user_sgpr_private_segment_size 0
		.amdhsa_uses_dynamic_stack 0
		.amdhsa_system_sgpr_private_segment_wavefront_offset 0
		.amdhsa_system_sgpr_workgroup_id_x 1
		.amdhsa_system_sgpr_workgroup_id_y 0
		.amdhsa_system_sgpr_workgroup_id_z 0
		.amdhsa_system_sgpr_workgroup_info 0
		.amdhsa_system_vgpr_workitem_id 0
		.amdhsa_next_free_vgpr 1
		.amdhsa_next_free_sgpr 0
		.amdhsa_reserve_vcc 0
		.amdhsa_reserve_flat_scratch 0
		.amdhsa_float_round_mode_32 0
		.amdhsa_float_round_mode_16_64 0
		.amdhsa_float_denorm_mode_32 3
		.amdhsa_float_denorm_mode_16_64 3
		.amdhsa_dx10_clamp 1
		.amdhsa_ieee_mode 1
		.amdhsa_fp16_overflow 0
		.amdhsa_exception_fp_ieee_invalid_op 0
		.amdhsa_exception_fp_denorm_src 0
		.amdhsa_exception_fp_ieee_div_zero 0
		.amdhsa_exception_fp_ieee_overflow 0
		.amdhsa_exception_fp_ieee_underflow 0
		.amdhsa_exception_fp_ieee_inexact 0
		.amdhsa_exception_int_div_zero 0
	.end_amdhsa_kernel
	.section	.text._ZN7rocprim17ROCPRIM_400000_NS6detail17trampoline_kernelINS0_14default_configENS1_20scan_config_selectorIN3c107complexIfEEEEZZNS1_9scan_implILNS1_25lookback_scan_determinismE0ELb0ELb0ES3_PKS7_PS7_S7_ZZZN2at6native31launch_logcumsumexp_cuda_kernelERKNSE_10TensorBaseESI_lENKUlvE_clEvENKUlvE2_clEvEUlS7_S7_E_S7_EEDaPvRmT3_T4_T5_mT6_P12ihipStream_tbENKUlT_T0_E_clISt17integral_constantIbLb0EESY_IbLb1EEEEDaSU_SV_EUlSU_E_NS1_11comp_targetILNS1_3genE10ELNS1_11target_archE1201ELNS1_3gpuE5ELNS1_3repE0EEENS1_30default_config_static_selectorELNS0_4arch9wavefront6targetE1EEEvT1_,"axG",@progbits,_ZN7rocprim17ROCPRIM_400000_NS6detail17trampoline_kernelINS0_14default_configENS1_20scan_config_selectorIN3c107complexIfEEEEZZNS1_9scan_implILNS1_25lookback_scan_determinismE0ELb0ELb0ES3_PKS7_PS7_S7_ZZZN2at6native31launch_logcumsumexp_cuda_kernelERKNSE_10TensorBaseESI_lENKUlvE_clEvENKUlvE2_clEvEUlS7_S7_E_S7_EEDaPvRmT3_T4_T5_mT6_P12ihipStream_tbENKUlT_T0_E_clISt17integral_constantIbLb0EESY_IbLb1EEEEDaSU_SV_EUlSU_E_NS1_11comp_targetILNS1_3genE10ELNS1_11target_archE1201ELNS1_3gpuE5ELNS1_3repE0EEENS1_30default_config_static_selectorELNS0_4arch9wavefront6targetE1EEEvT1_,comdat
.Lfunc_end334:
	.size	_ZN7rocprim17ROCPRIM_400000_NS6detail17trampoline_kernelINS0_14default_configENS1_20scan_config_selectorIN3c107complexIfEEEEZZNS1_9scan_implILNS1_25lookback_scan_determinismE0ELb0ELb0ES3_PKS7_PS7_S7_ZZZN2at6native31launch_logcumsumexp_cuda_kernelERKNSE_10TensorBaseESI_lENKUlvE_clEvENKUlvE2_clEvEUlS7_S7_E_S7_EEDaPvRmT3_T4_T5_mT6_P12ihipStream_tbENKUlT_T0_E_clISt17integral_constantIbLb0EESY_IbLb1EEEEDaSU_SV_EUlSU_E_NS1_11comp_targetILNS1_3genE10ELNS1_11target_archE1201ELNS1_3gpuE5ELNS1_3repE0EEENS1_30default_config_static_selectorELNS0_4arch9wavefront6targetE1EEEvT1_, .Lfunc_end334-_ZN7rocprim17ROCPRIM_400000_NS6detail17trampoline_kernelINS0_14default_configENS1_20scan_config_selectorIN3c107complexIfEEEEZZNS1_9scan_implILNS1_25lookback_scan_determinismE0ELb0ELb0ES3_PKS7_PS7_S7_ZZZN2at6native31launch_logcumsumexp_cuda_kernelERKNSE_10TensorBaseESI_lENKUlvE_clEvENKUlvE2_clEvEUlS7_S7_E_S7_EEDaPvRmT3_T4_T5_mT6_P12ihipStream_tbENKUlT_T0_E_clISt17integral_constantIbLb0EESY_IbLb1EEEEDaSU_SV_EUlSU_E_NS1_11comp_targetILNS1_3genE10ELNS1_11target_archE1201ELNS1_3gpuE5ELNS1_3repE0EEENS1_30default_config_static_selectorELNS0_4arch9wavefront6targetE1EEEvT1_
                                        ; -- End function
	.set _ZN7rocprim17ROCPRIM_400000_NS6detail17trampoline_kernelINS0_14default_configENS1_20scan_config_selectorIN3c107complexIfEEEEZZNS1_9scan_implILNS1_25lookback_scan_determinismE0ELb0ELb0ES3_PKS7_PS7_S7_ZZZN2at6native31launch_logcumsumexp_cuda_kernelERKNSE_10TensorBaseESI_lENKUlvE_clEvENKUlvE2_clEvEUlS7_S7_E_S7_EEDaPvRmT3_T4_T5_mT6_P12ihipStream_tbENKUlT_T0_E_clISt17integral_constantIbLb0EESY_IbLb1EEEEDaSU_SV_EUlSU_E_NS1_11comp_targetILNS1_3genE10ELNS1_11target_archE1201ELNS1_3gpuE5ELNS1_3repE0EEENS1_30default_config_static_selectorELNS0_4arch9wavefront6targetE1EEEvT1_.num_vgpr, 0
	.set _ZN7rocprim17ROCPRIM_400000_NS6detail17trampoline_kernelINS0_14default_configENS1_20scan_config_selectorIN3c107complexIfEEEEZZNS1_9scan_implILNS1_25lookback_scan_determinismE0ELb0ELb0ES3_PKS7_PS7_S7_ZZZN2at6native31launch_logcumsumexp_cuda_kernelERKNSE_10TensorBaseESI_lENKUlvE_clEvENKUlvE2_clEvEUlS7_S7_E_S7_EEDaPvRmT3_T4_T5_mT6_P12ihipStream_tbENKUlT_T0_E_clISt17integral_constantIbLb0EESY_IbLb1EEEEDaSU_SV_EUlSU_E_NS1_11comp_targetILNS1_3genE10ELNS1_11target_archE1201ELNS1_3gpuE5ELNS1_3repE0EEENS1_30default_config_static_selectorELNS0_4arch9wavefront6targetE1EEEvT1_.num_agpr, 0
	.set _ZN7rocprim17ROCPRIM_400000_NS6detail17trampoline_kernelINS0_14default_configENS1_20scan_config_selectorIN3c107complexIfEEEEZZNS1_9scan_implILNS1_25lookback_scan_determinismE0ELb0ELb0ES3_PKS7_PS7_S7_ZZZN2at6native31launch_logcumsumexp_cuda_kernelERKNSE_10TensorBaseESI_lENKUlvE_clEvENKUlvE2_clEvEUlS7_S7_E_S7_EEDaPvRmT3_T4_T5_mT6_P12ihipStream_tbENKUlT_T0_E_clISt17integral_constantIbLb0EESY_IbLb1EEEEDaSU_SV_EUlSU_E_NS1_11comp_targetILNS1_3genE10ELNS1_11target_archE1201ELNS1_3gpuE5ELNS1_3repE0EEENS1_30default_config_static_selectorELNS0_4arch9wavefront6targetE1EEEvT1_.numbered_sgpr, 0
	.set _ZN7rocprim17ROCPRIM_400000_NS6detail17trampoline_kernelINS0_14default_configENS1_20scan_config_selectorIN3c107complexIfEEEEZZNS1_9scan_implILNS1_25lookback_scan_determinismE0ELb0ELb0ES3_PKS7_PS7_S7_ZZZN2at6native31launch_logcumsumexp_cuda_kernelERKNSE_10TensorBaseESI_lENKUlvE_clEvENKUlvE2_clEvEUlS7_S7_E_S7_EEDaPvRmT3_T4_T5_mT6_P12ihipStream_tbENKUlT_T0_E_clISt17integral_constantIbLb0EESY_IbLb1EEEEDaSU_SV_EUlSU_E_NS1_11comp_targetILNS1_3genE10ELNS1_11target_archE1201ELNS1_3gpuE5ELNS1_3repE0EEENS1_30default_config_static_selectorELNS0_4arch9wavefront6targetE1EEEvT1_.num_named_barrier, 0
	.set _ZN7rocprim17ROCPRIM_400000_NS6detail17trampoline_kernelINS0_14default_configENS1_20scan_config_selectorIN3c107complexIfEEEEZZNS1_9scan_implILNS1_25lookback_scan_determinismE0ELb0ELb0ES3_PKS7_PS7_S7_ZZZN2at6native31launch_logcumsumexp_cuda_kernelERKNSE_10TensorBaseESI_lENKUlvE_clEvENKUlvE2_clEvEUlS7_S7_E_S7_EEDaPvRmT3_T4_T5_mT6_P12ihipStream_tbENKUlT_T0_E_clISt17integral_constantIbLb0EESY_IbLb1EEEEDaSU_SV_EUlSU_E_NS1_11comp_targetILNS1_3genE10ELNS1_11target_archE1201ELNS1_3gpuE5ELNS1_3repE0EEENS1_30default_config_static_selectorELNS0_4arch9wavefront6targetE1EEEvT1_.private_seg_size, 0
	.set _ZN7rocprim17ROCPRIM_400000_NS6detail17trampoline_kernelINS0_14default_configENS1_20scan_config_selectorIN3c107complexIfEEEEZZNS1_9scan_implILNS1_25lookback_scan_determinismE0ELb0ELb0ES3_PKS7_PS7_S7_ZZZN2at6native31launch_logcumsumexp_cuda_kernelERKNSE_10TensorBaseESI_lENKUlvE_clEvENKUlvE2_clEvEUlS7_S7_E_S7_EEDaPvRmT3_T4_T5_mT6_P12ihipStream_tbENKUlT_T0_E_clISt17integral_constantIbLb0EESY_IbLb1EEEEDaSU_SV_EUlSU_E_NS1_11comp_targetILNS1_3genE10ELNS1_11target_archE1201ELNS1_3gpuE5ELNS1_3repE0EEENS1_30default_config_static_selectorELNS0_4arch9wavefront6targetE1EEEvT1_.uses_vcc, 0
	.set _ZN7rocprim17ROCPRIM_400000_NS6detail17trampoline_kernelINS0_14default_configENS1_20scan_config_selectorIN3c107complexIfEEEEZZNS1_9scan_implILNS1_25lookback_scan_determinismE0ELb0ELb0ES3_PKS7_PS7_S7_ZZZN2at6native31launch_logcumsumexp_cuda_kernelERKNSE_10TensorBaseESI_lENKUlvE_clEvENKUlvE2_clEvEUlS7_S7_E_S7_EEDaPvRmT3_T4_T5_mT6_P12ihipStream_tbENKUlT_T0_E_clISt17integral_constantIbLb0EESY_IbLb1EEEEDaSU_SV_EUlSU_E_NS1_11comp_targetILNS1_3genE10ELNS1_11target_archE1201ELNS1_3gpuE5ELNS1_3repE0EEENS1_30default_config_static_selectorELNS0_4arch9wavefront6targetE1EEEvT1_.uses_flat_scratch, 0
	.set _ZN7rocprim17ROCPRIM_400000_NS6detail17trampoline_kernelINS0_14default_configENS1_20scan_config_selectorIN3c107complexIfEEEEZZNS1_9scan_implILNS1_25lookback_scan_determinismE0ELb0ELb0ES3_PKS7_PS7_S7_ZZZN2at6native31launch_logcumsumexp_cuda_kernelERKNSE_10TensorBaseESI_lENKUlvE_clEvENKUlvE2_clEvEUlS7_S7_E_S7_EEDaPvRmT3_T4_T5_mT6_P12ihipStream_tbENKUlT_T0_E_clISt17integral_constantIbLb0EESY_IbLb1EEEEDaSU_SV_EUlSU_E_NS1_11comp_targetILNS1_3genE10ELNS1_11target_archE1201ELNS1_3gpuE5ELNS1_3repE0EEENS1_30default_config_static_selectorELNS0_4arch9wavefront6targetE1EEEvT1_.has_dyn_sized_stack, 0
	.set _ZN7rocprim17ROCPRIM_400000_NS6detail17trampoline_kernelINS0_14default_configENS1_20scan_config_selectorIN3c107complexIfEEEEZZNS1_9scan_implILNS1_25lookback_scan_determinismE0ELb0ELb0ES3_PKS7_PS7_S7_ZZZN2at6native31launch_logcumsumexp_cuda_kernelERKNSE_10TensorBaseESI_lENKUlvE_clEvENKUlvE2_clEvEUlS7_S7_E_S7_EEDaPvRmT3_T4_T5_mT6_P12ihipStream_tbENKUlT_T0_E_clISt17integral_constantIbLb0EESY_IbLb1EEEEDaSU_SV_EUlSU_E_NS1_11comp_targetILNS1_3genE10ELNS1_11target_archE1201ELNS1_3gpuE5ELNS1_3repE0EEENS1_30default_config_static_selectorELNS0_4arch9wavefront6targetE1EEEvT1_.has_recursion, 0
	.set _ZN7rocprim17ROCPRIM_400000_NS6detail17trampoline_kernelINS0_14default_configENS1_20scan_config_selectorIN3c107complexIfEEEEZZNS1_9scan_implILNS1_25lookback_scan_determinismE0ELb0ELb0ES3_PKS7_PS7_S7_ZZZN2at6native31launch_logcumsumexp_cuda_kernelERKNSE_10TensorBaseESI_lENKUlvE_clEvENKUlvE2_clEvEUlS7_S7_E_S7_EEDaPvRmT3_T4_T5_mT6_P12ihipStream_tbENKUlT_T0_E_clISt17integral_constantIbLb0EESY_IbLb1EEEEDaSU_SV_EUlSU_E_NS1_11comp_targetILNS1_3genE10ELNS1_11target_archE1201ELNS1_3gpuE5ELNS1_3repE0EEENS1_30default_config_static_selectorELNS0_4arch9wavefront6targetE1EEEvT1_.has_indirect_call, 0
	.section	.AMDGPU.csdata,"",@progbits
; Kernel info:
; codeLenInByte = 0
; TotalNumSgprs: 4
; NumVgprs: 0
; ScratchSize: 0
; MemoryBound: 0
; FloatMode: 240
; IeeeMode: 1
; LDSByteSize: 0 bytes/workgroup (compile time only)
; SGPRBlocks: 0
; VGPRBlocks: 0
; NumSGPRsForWavesPerEU: 4
; NumVGPRsForWavesPerEU: 1
; Occupancy: 10
; WaveLimiterHint : 0
; COMPUTE_PGM_RSRC2:SCRATCH_EN: 0
; COMPUTE_PGM_RSRC2:USER_SGPR: 6
; COMPUTE_PGM_RSRC2:TRAP_HANDLER: 0
; COMPUTE_PGM_RSRC2:TGID_X_EN: 1
; COMPUTE_PGM_RSRC2:TGID_Y_EN: 0
; COMPUTE_PGM_RSRC2:TGID_Z_EN: 0
; COMPUTE_PGM_RSRC2:TIDIG_COMP_CNT: 0
	.section	.text._ZN7rocprim17ROCPRIM_400000_NS6detail17trampoline_kernelINS0_14default_configENS1_20scan_config_selectorIN3c107complexIfEEEEZZNS1_9scan_implILNS1_25lookback_scan_determinismE0ELb0ELb0ES3_PKS7_PS7_S7_ZZZN2at6native31launch_logcumsumexp_cuda_kernelERKNSE_10TensorBaseESI_lENKUlvE_clEvENKUlvE2_clEvEUlS7_S7_E_S7_EEDaPvRmT3_T4_T5_mT6_P12ihipStream_tbENKUlT_T0_E_clISt17integral_constantIbLb0EESY_IbLb1EEEEDaSU_SV_EUlSU_E_NS1_11comp_targetILNS1_3genE10ELNS1_11target_archE1200ELNS1_3gpuE4ELNS1_3repE0EEENS1_30default_config_static_selectorELNS0_4arch9wavefront6targetE1EEEvT1_,"axG",@progbits,_ZN7rocprim17ROCPRIM_400000_NS6detail17trampoline_kernelINS0_14default_configENS1_20scan_config_selectorIN3c107complexIfEEEEZZNS1_9scan_implILNS1_25lookback_scan_determinismE0ELb0ELb0ES3_PKS7_PS7_S7_ZZZN2at6native31launch_logcumsumexp_cuda_kernelERKNSE_10TensorBaseESI_lENKUlvE_clEvENKUlvE2_clEvEUlS7_S7_E_S7_EEDaPvRmT3_T4_T5_mT6_P12ihipStream_tbENKUlT_T0_E_clISt17integral_constantIbLb0EESY_IbLb1EEEEDaSU_SV_EUlSU_E_NS1_11comp_targetILNS1_3genE10ELNS1_11target_archE1200ELNS1_3gpuE4ELNS1_3repE0EEENS1_30default_config_static_selectorELNS0_4arch9wavefront6targetE1EEEvT1_,comdat
	.globl	_ZN7rocprim17ROCPRIM_400000_NS6detail17trampoline_kernelINS0_14default_configENS1_20scan_config_selectorIN3c107complexIfEEEEZZNS1_9scan_implILNS1_25lookback_scan_determinismE0ELb0ELb0ES3_PKS7_PS7_S7_ZZZN2at6native31launch_logcumsumexp_cuda_kernelERKNSE_10TensorBaseESI_lENKUlvE_clEvENKUlvE2_clEvEUlS7_S7_E_S7_EEDaPvRmT3_T4_T5_mT6_P12ihipStream_tbENKUlT_T0_E_clISt17integral_constantIbLb0EESY_IbLb1EEEEDaSU_SV_EUlSU_E_NS1_11comp_targetILNS1_3genE10ELNS1_11target_archE1200ELNS1_3gpuE4ELNS1_3repE0EEENS1_30default_config_static_selectorELNS0_4arch9wavefront6targetE1EEEvT1_ ; -- Begin function _ZN7rocprim17ROCPRIM_400000_NS6detail17trampoline_kernelINS0_14default_configENS1_20scan_config_selectorIN3c107complexIfEEEEZZNS1_9scan_implILNS1_25lookback_scan_determinismE0ELb0ELb0ES3_PKS7_PS7_S7_ZZZN2at6native31launch_logcumsumexp_cuda_kernelERKNSE_10TensorBaseESI_lENKUlvE_clEvENKUlvE2_clEvEUlS7_S7_E_S7_EEDaPvRmT3_T4_T5_mT6_P12ihipStream_tbENKUlT_T0_E_clISt17integral_constantIbLb0EESY_IbLb1EEEEDaSU_SV_EUlSU_E_NS1_11comp_targetILNS1_3genE10ELNS1_11target_archE1200ELNS1_3gpuE4ELNS1_3repE0EEENS1_30default_config_static_selectorELNS0_4arch9wavefront6targetE1EEEvT1_
	.p2align	8
	.type	_ZN7rocprim17ROCPRIM_400000_NS6detail17trampoline_kernelINS0_14default_configENS1_20scan_config_selectorIN3c107complexIfEEEEZZNS1_9scan_implILNS1_25lookback_scan_determinismE0ELb0ELb0ES3_PKS7_PS7_S7_ZZZN2at6native31launch_logcumsumexp_cuda_kernelERKNSE_10TensorBaseESI_lENKUlvE_clEvENKUlvE2_clEvEUlS7_S7_E_S7_EEDaPvRmT3_T4_T5_mT6_P12ihipStream_tbENKUlT_T0_E_clISt17integral_constantIbLb0EESY_IbLb1EEEEDaSU_SV_EUlSU_E_NS1_11comp_targetILNS1_3genE10ELNS1_11target_archE1200ELNS1_3gpuE4ELNS1_3repE0EEENS1_30default_config_static_selectorELNS0_4arch9wavefront6targetE1EEEvT1_,@function
_ZN7rocprim17ROCPRIM_400000_NS6detail17trampoline_kernelINS0_14default_configENS1_20scan_config_selectorIN3c107complexIfEEEEZZNS1_9scan_implILNS1_25lookback_scan_determinismE0ELb0ELb0ES3_PKS7_PS7_S7_ZZZN2at6native31launch_logcumsumexp_cuda_kernelERKNSE_10TensorBaseESI_lENKUlvE_clEvENKUlvE2_clEvEUlS7_S7_E_S7_EEDaPvRmT3_T4_T5_mT6_P12ihipStream_tbENKUlT_T0_E_clISt17integral_constantIbLb0EESY_IbLb1EEEEDaSU_SV_EUlSU_E_NS1_11comp_targetILNS1_3genE10ELNS1_11target_archE1200ELNS1_3gpuE4ELNS1_3repE0EEENS1_30default_config_static_selectorELNS0_4arch9wavefront6targetE1EEEvT1_: ; @_ZN7rocprim17ROCPRIM_400000_NS6detail17trampoline_kernelINS0_14default_configENS1_20scan_config_selectorIN3c107complexIfEEEEZZNS1_9scan_implILNS1_25lookback_scan_determinismE0ELb0ELb0ES3_PKS7_PS7_S7_ZZZN2at6native31launch_logcumsumexp_cuda_kernelERKNSE_10TensorBaseESI_lENKUlvE_clEvENKUlvE2_clEvEUlS7_S7_E_S7_EEDaPvRmT3_T4_T5_mT6_P12ihipStream_tbENKUlT_T0_E_clISt17integral_constantIbLb0EESY_IbLb1EEEEDaSU_SV_EUlSU_E_NS1_11comp_targetILNS1_3genE10ELNS1_11target_archE1200ELNS1_3gpuE4ELNS1_3repE0EEENS1_30default_config_static_selectorELNS0_4arch9wavefront6targetE1EEEvT1_
; %bb.0:
	.section	.rodata,"a",@progbits
	.p2align	6, 0x0
	.amdhsa_kernel _ZN7rocprim17ROCPRIM_400000_NS6detail17trampoline_kernelINS0_14default_configENS1_20scan_config_selectorIN3c107complexIfEEEEZZNS1_9scan_implILNS1_25lookback_scan_determinismE0ELb0ELb0ES3_PKS7_PS7_S7_ZZZN2at6native31launch_logcumsumexp_cuda_kernelERKNSE_10TensorBaseESI_lENKUlvE_clEvENKUlvE2_clEvEUlS7_S7_E_S7_EEDaPvRmT3_T4_T5_mT6_P12ihipStream_tbENKUlT_T0_E_clISt17integral_constantIbLb0EESY_IbLb1EEEEDaSU_SV_EUlSU_E_NS1_11comp_targetILNS1_3genE10ELNS1_11target_archE1200ELNS1_3gpuE4ELNS1_3repE0EEENS1_30default_config_static_selectorELNS0_4arch9wavefront6targetE1EEEvT1_
		.amdhsa_group_segment_fixed_size 0
		.amdhsa_private_segment_fixed_size 0
		.amdhsa_kernarg_size 104
		.amdhsa_user_sgpr_count 6
		.amdhsa_user_sgpr_private_segment_buffer 1
		.amdhsa_user_sgpr_dispatch_ptr 0
		.amdhsa_user_sgpr_queue_ptr 0
		.amdhsa_user_sgpr_kernarg_segment_ptr 1
		.amdhsa_user_sgpr_dispatch_id 0
		.amdhsa_user_sgpr_flat_scratch_init 0
		.amdhsa_user_sgpr_private_segment_size 0
		.amdhsa_uses_dynamic_stack 0
		.amdhsa_system_sgpr_private_segment_wavefront_offset 0
		.amdhsa_system_sgpr_workgroup_id_x 1
		.amdhsa_system_sgpr_workgroup_id_y 0
		.amdhsa_system_sgpr_workgroup_id_z 0
		.amdhsa_system_sgpr_workgroup_info 0
		.amdhsa_system_vgpr_workitem_id 0
		.amdhsa_next_free_vgpr 1
		.amdhsa_next_free_sgpr 0
		.amdhsa_reserve_vcc 0
		.amdhsa_reserve_flat_scratch 0
		.amdhsa_float_round_mode_32 0
		.amdhsa_float_round_mode_16_64 0
		.amdhsa_float_denorm_mode_32 3
		.amdhsa_float_denorm_mode_16_64 3
		.amdhsa_dx10_clamp 1
		.amdhsa_ieee_mode 1
		.amdhsa_fp16_overflow 0
		.amdhsa_exception_fp_ieee_invalid_op 0
		.amdhsa_exception_fp_denorm_src 0
		.amdhsa_exception_fp_ieee_div_zero 0
		.amdhsa_exception_fp_ieee_overflow 0
		.amdhsa_exception_fp_ieee_underflow 0
		.amdhsa_exception_fp_ieee_inexact 0
		.amdhsa_exception_int_div_zero 0
	.end_amdhsa_kernel
	.section	.text._ZN7rocprim17ROCPRIM_400000_NS6detail17trampoline_kernelINS0_14default_configENS1_20scan_config_selectorIN3c107complexIfEEEEZZNS1_9scan_implILNS1_25lookback_scan_determinismE0ELb0ELb0ES3_PKS7_PS7_S7_ZZZN2at6native31launch_logcumsumexp_cuda_kernelERKNSE_10TensorBaseESI_lENKUlvE_clEvENKUlvE2_clEvEUlS7_S7_E_S7_EEDaPvRmT3_T4_T5_mT6_P12ihipStream_tbENKUlT_T0_E_clISt17integral_constantIbLb0EESY_IbLb1EEEEDaSU_SV_EUlSU_E_NS1_11comp_targetILNS1_3genE10ELNS1_11target_archE1200ELNS1_3gpuE4ELNS1_3repE0EEENS1_30default_config_static_selectorELNS0_4arch9wavefront6targetE1EEEvT1_,"axG",@progbits,_ZN7rocprim17ROCPRIM_400000_NS6detail17trampoline_kernelINS0_14default_configENS1_20scan_config_selectorIN3c107complexIfEEEEZZNS1_9scan_implILNS1_25lookback_scan_determinismE0ELb0ELb0ES3_PKS7_PS7_S7_ZZZN2at6native31launch_logcumsumexp_cuda_kernelERKNSE_10TensorBaseESI_lENKUlvE_clEvENKUlvE2_clEvEUlS7_S7_E_S7_EEDaPvRmT3_T4_T5_mT6_P12ihipStream_tbENKUlT_T0_E_clISt17integral_constantIbLb0EESY_IbLb1EEEEDaSU_SV_EUlSU_E_NS1_11comp_targetILNS1_3genE10ELNS1_11target_archE1200ELNS1_3gpuE4ELNS1_3repE0EEENS1_30default_config_static_selectorELNS0_4arch9wavefront6targetE1EEEvT1_,comdat
.Lfunc_end335:
	.size	_ZN7rocprim17ROCPRIM_400000_NS6detail17trampoline_kernelINS0_14default_configENS1_20scan_config_selectorIN3c107complexIfEEEEZZNS1_9scan_implILNS1_25lookback_scan_determinismE0ELb0ELb0ES3_PKS7_PS7_S7_ZZZN2at6native31launch_logcumsumexp_cuda_kernelERKNSE_10TensorBaseESI_lENKUlvE_clEvENKUlvE2_clEvEUlS7_S7_E_S7_EEDaPvRmT3_T4_T5_mT6_P12ihipStream_tbENKUlT_T0_E_clISt17integral_constantIbLb0EESY_IbLb1EEEEDaSU_SV_EUlSU_E_NS1_11comp_targetILNS1_3genE10ELNS1_11target_archE1200ELNS1_3gpuE4ELNS1_3repE0EEENS1_30default_config_static_selectorELNS0_4arch9wavefront6targetE1EEEvT1_, .Lfunc_end335-_ZN7rocprim17ROCPRIM_400000_NS6detail17trampoline_kernelINS0_14default_configENS1_20scan_config_selectorIN3c107complexIfEEEEZZNS1_9scan_implILNS1_25lookback_scan_determinismE0ELb0ELb0ES3_PKS7_PS7_S7_ZZZN2at6native31launch_logcumsumexp_cuda_kernelERKNSE_10TensorBaseESI_lENKUlvE_clEvENKUlvE2_clEvEUlS7_S7_E_S7_EEDaPvRmT3_T4_T5_mT6_P12ihipStream_tbENKUlT_T0_E_clISt17integral_constantIbLb0EESY_IbLb1EEEEDaSU_SV_EUlSU_E_NS1_11comp_targetILNS1_3genE10ELNS1_11target_archE1200ELNS1_3gpuE4ELNS1_3repE0EEENS1_30default_config_static_selectorELNS0_4arch9wavefront6targetE1EEEvT1_
                                        ; -- End function
	.set _ZN7rocprim17ROCPRIM_400000_NS6detail17trampoline_kernelINS0_14default_configENS1_20scan_config_selectorIN3c107complexIfEEEEZZNS1_9scan_implILNS1_25lookback_scan_determinismE0ELb0ELb0ES3_PKS7_PS7_S7_ZZZN2at6native31launch_logcumsumexp_cuda_kernelERKNSE_10TensorBaseESI_lENKUlvE_clEvENKUlvE2_clEvEUlS7_S7_E_S7_EEDaPvRmT3_T4_T5_mT6_P12ihipStream_tbENKUlT_T0_E_clISt17integral_constantIbLb0EESY_IbLb1EEEEDaSU_SV_EUlSU_E_NS1_11comp_targetILNS1_3genE10ELNS1_11target_archE1200ELNS1_3gpuE4ELNS1_3repE0EEENS1_30default_config_static_selectorELNS0_4arch9wavefront6targetE1EEEvT1_.num_vgpr, 0
	.set _ZN7rocprim17ROCPRIM_400000_NS6detail17trampoline_kernelINS0_14default_configENS1_20scan_config_selectorIN3c107complexIfEEEEZZNS1_9scan_implILNS1_25lookback_scan_determinismE0ELb0ELb0ES3_PKS7_PS7_S7_ZZZN2at6native31launch_logcumsumexp_cuda_kernelERKNSE_10TensorBaseESI_lENKUlvE_clEvENKUlvE2_clEvEUlS7_S7_E_S7_EEDaPvRmT3_T4_T5_mT6_P12ihipStream_tbENKUlT_T0_E_clISt17integral_constantIbLb0EESY_IbLb1EEEEDaSU_SV_EUlSU_E_NS1_11comp_targetILNS1_3genE10ELNS1_11target_archE1200ELNS1_3gpuE4ELNS1_3repE0EEENS1_30default_config_static_selectorELNS0_4arch9wavefront6targetE1EEEvT1_.num_agpr, 0
	.set _ZN7rocprim17ROCPRIM_400000_NS6detail17trampoline_kernelINS0_14default_configENS1_20scan_config_selectorIN3c107complexIfEEEEZZNS1_9scan_implILNS1_25lookback_scan_determinismE0ELb0ELb0ES3_PKS7_PS7_S7_ZZZN2at6native31launch_logcumsumexp_cuda_kernelERKNSE_10TensorBaseESI_lENKUlvE_clEvENKUlvE2_clEvEUlS7_S7_E_S7_EEDaPvRmT3_T4_T5_mT6_P12ihipStream_tbENKUlT_T0_E_clISt17integral_constantIbLb0EESY_IbLb1EEEEDaSU_SV_EUlSU_E_NS1_11comp_targetILNS1_3genE10ELNS1_11target_archE1200ELNS1_3gpuE4ELNS1_3repE0EEENS1_30default_config_static_selectorELNS0_4arch9wavefront6targetE1EEEvT1_.numbered_sgpr, 0
	.set _ZN7rocprim17ROCPRIM_400000_NS6detail17trampoline_kernelINS0_14default_configENS1_20scan_config_selectorIN3c107complexIfEEEEZZNS1_9scan_implILNS1_25lookback_scan_determinismE0ELb0ELb0ES3_PKS7_PS7_S7_ZZZN2at6native31launch_logcumsumexp_cuda_kernelERKNSE_10TensorBaseESI_lENKUlvE_clEvENKUlvE2_clEvEUlS7_S7_E_S7_EEDaPvRmT3_T4_T5_mT6_P12ihipStream_tbENKUlT_T0_E_clISt17integral_constantIbLb0EESY_IbLb1EEEEDaSU_SV_EUlSU_E_NS1_11comp_targetILNS1_3genE10ELNS1_11target_archE1200ELNS1_3gpuE4ELNS1_3repE0EEENS1_30default_config_static_selectorELNS0_4arch9wavefront6targetE1EEEvT1_.num_named_barrier, 0
	.set _ZN7rocprim17ROCPRIM_400000_NS6detail17trampoline_kernelINS0_14default_configENS1_20scan_config_selectorIN3c107complexIfEEEEZZNS1_9scan_implILNS1_25lookback_scan_determinismE0ELb0ELb0ES3_PKS7_PS7_S7_ZZZN2at6native31launch_logcumsumexp_cuda_kernelERKNSE_10TensorBaseESI_lENKUlvE_clEvENKUlvE2_clEvEUlS7_S7_E_S7_EEDaPvRmT3_T4_T5_mT6_P12ihipStream_tbENKUlT_T0_E_clISt17integral_constantIbLb0EESY_IbLb1EEEEDaSU_SV_EUlSU_E_NS1_11comp_targetILNS1_3genE10ELNS1_11target_archE1200ELNS1_3gpuE4ELNS1_3repE0EEENS1_30default_config_static_selectorELNS0_4arch9wavefront6targetE1EEEvT1_.private_seg_size, 0
	.set _ZN7rocprim17ROCPRIM_400000_NS6detail17trampoline_kernelINS0_14default_configENS1_20scan_config_selectorIN3c107complexIfEEEEZZNS1_9scan_implILNS1_25lookback_scan_determinismE0ELb0ELb0ES3_PKS7_PS7_S7_ZZZN2at6native31launch_logcumsumexp_cuda_kernelERKNSE_10TensorBaseESI_lENKUlvE_clEvENKUlvE2_clEvEUlS7_S7_E_S7_EEDaPvRmT3_T4_T5_mT6_P12ihipStream_tbENKUlT_T0_E_clISt17integral_constantIbLb0EESY_IbLb1EEEEDaSU_SV_EUlSU_E_NS1_11comp_targetILNS1_3genE10ELNS1_11target_archE1200ELNS1_3gpuE4ELNS1_3repE0EEENS1_30default_config_static_selectorELNS0_4arch9wavefront6targetE1EEEvT1_.uses_vcc, 0
	.set _ZN7rocprim17ROCPRIM_400000_NS6detail17trampoline_kernelINS0_14default_configENS1_20scan_config_selectorIN3c107complexIfEEEEZZNS1_9scan_implILNS1_25lookback_scan_determinismE0ELb0ELb0ES3_PKS7_PS7_S7_ZZZN2at6native31launch_logcumsumexp_cuda_kernelERKNSE_10TensorBaseESI_lENKUlvE_clEvENKUlvE2_clEvEUlS7_S7_E_S7_EEDaPvRmT3_T4_T5_mT6_P12ihipStream_tbENKUlT_T0_E_clISt17integral_constantIbLb0EESY_IbLb1EEEEDaSU_SV_EUlSU_E_NS1_11comp_targetILNS1_3genE10ELNS1_11target_archE1200ELNS1_3gpuE4ELNS1_3repE0EEENS1_30default_config_static_selectorELNS0_4arch9wavefront6targetE1EEEvT1_.uses_flat_scratch, 0
	.set _ZN7rocprim17ROCPRIM_400000_NS6detail17trampoline_kernelINS0_14default_configENS1_20scan_config_selectorIN3c107complexIfEEEEZZNS1_9scan_implILNS1_25lookback_scan_determinismE0ELb0ELb0ES3_PKS7_PS7_S7_ZZZN2at6native31launch_logcumsumexp_cuda_kernelERKNSE_10TensorBaseESI_lENKUlvE_clEvENKUlvE2_clEvEUlS7_S7_E_S7_EEDaPvRmT3_T4_T5_mT6_P12ihipStream_tbENKUlT_T0_E_clISt17integral_constantIbLb0EESY_IbLb1EEEEDaSU_SV_EUlSU_E_NS1_11comp_targetILNS1_3genE10ELNS1_11target_archE1200ELNS1_3gpuE4ELNS1_3repE0EEENS1_30default_config_static_selectorELNS0_4arch9wavefront6targetE1EEEvT1_.has_dyn_sized_stack, 0
	.set _ZN7rocprim17ROCPRIM_400000_NS6detail17trampoline_kernelINS0_14default_configENS1_20scan_config_selectorIN3c107complexIfEEEEZZNS1_9scan_implILNS1_25lookback_scan_determinismE0ELb0ELb0ES3_PKS7_PS7_S7_ZZZN2at6native31launch_logcumsumexp_cuda_kernelERKNSE_10TensorBaseESI_lENKUlvE_clEvENKUlvE2_clEvEUlS7_S7_E_S7_EEDaPvRmT3_T4_T5_mT6_P12ihipStream_tbENKUlT_T0_E_clISt17integral_constantIbLb0EESY_IbLb1EEEEDaSU_SV_EUlSU_E_NS1_11comp_targetILNS1_3genE10ELNS1_11target_archE1200ELNS1_3gpuE4ELNS1_3repE0EEENS1_30default_config_static_selectorELNS0_4arch9wavefront6targetE1EEEvT1_.has_recursion, 0
	.set _ZN7rocprim17ROCPRIM_400000_NS6detail17trampoline_kernelINS0_14default_configENS1_20scan_config_selectorIN3c107complexIfEEEEZZNS1_9scan_implILNS1_25lookback_scan_determinismE0ELb0ELb0ES3_PKS7_PS7_S7_ZZZN2at6native31launch_logcumsumexp_cuda_kernelERKNSE_10TensorBaseESI_lENKUlvE_clEvENKUlvE2_clEvEUlS7_S7_E_S7_EEDaPvRmT3_T4_T5_mT6_P12ihipStream_tbENKUlT_T0_E_clISt17integral_constantIbLb0EESY_IbLb1EEEEDaSU_SV_EUlSU_E_NS1_11comp_targetILNS1_3genE10ELNS1_11target_archE1200ELNS1_3gpuE4ELNS1_3repE0EEENS1_30default_config_static_selectorELNS0_4arch9wavefront6targetE1EEEvT1_.has_indirect_call, 0
	.section	.AMDGPU.csdata,"",@progbits
; Kernel info:
; codeLenInByte = 0
; TotalNumSgprs: 4
; NumVgprs: 0
; ScratchSize: 0
; MemoryBound: 0
; FloatMode: 240
; IeeeMode: 1
; LDSByteSize: 0 bytes/workgroup (compile time only)
; SGPRBlocks: 0
; VGPRBlocks: 0
; NumSGPRsForWavesPerEU: 4
; NumVGPRsForWavesPerEU: 1
; Occupancy: 10
; WaveLimiterHint : 0
; COMPUTE_PGM_RSRC2:SCRATCH_EN: 0
; COMPUTE_PGM_RSRC2:USER_SGPR: 6
; COMPUTE_PGM_RSRC2:TRAP_HANDLER: 0
; COMPUTE_PGM_RSRC2:TGID_X_EN: 1
; COMPUTE_PGM_RSRC2:TGID_Y_EN: 0
; COMPUTE_PGM_RSRC2:TGID_Z_EN: 0
; COMPUTE_PGM_RSRC2:TIDIG_COMP_CNT: 0
	.section	.text._ZN7rocprim17ROCPRIM_400000_NS6detail17trampoline_kernelINS0_14default_configENS1_20scan_config_selectorIN3c107complexIfEEEEZZNS1_9scan_implILNS1_25lookback_scan_determinismE0ELb0ELb0ES3_PKS7_PS7_S7_ZZZN2at6native31launch_logcumsumexp_cuda_kernelERKNSE_10TensorBaseESI_lENKUlvE_clEvENKUlvE2_clEvEUlS7_S7_E_S7_EEDaPvRmT3_T4_T5_mT6_P12ihipStream_tbENKUlT_T0_E_clISt17integral_constantIbLb0EESY_IbLb1EEEEDaSU_SV_EUlSU_E_NS1_11comp_targetILNS1_3genE9ELNS1_11target_archE1100ELNS1_3gpuE3ELNS1_3repE0EEENS1_30default_config_static_selectorELNS0_4arch9wavefront6targetE1EEEvT1_,"axG",@progbits,_ZN7rocprim17ROCPRIM_400000_NS6detail17trampoline_kernelINS0_14default_configENS1_20scan_config_selectorIN3c107complexIfEEEEZZNS1_9scan_implILNS1_25lookback_scan_determinismE0ELb0ELb0ES3_PKS7_PS7_S7_ZZZN2at6native31launch_logcumsumexp_cuda_kernelERKNSE_10TensorBaseESI_lENKUlvE_clEvENKUlvE2_clEvEUlS7_S7_E_S7_EEDaPvRmT3_T4_T5_mT6_P12ihipStream_tbENKUlT_T0_E_clISt17integral_constantIbLb0EESY_IbLb1EEEEDaSU_SV_EUlSU_E_NS1_11comp_targetILNS1_3genE9ELNS1_11target_archE1100ELNS1_3gpuE3ELNS1_3repE0EEENS1_30default_config_static_selectorELNS0_4arch9wavefront6targetE1EEEvT1_,comdat
	.globl	_ZN7rocprim17ROCPRIM_400000_NS6detail17trampoline_kernelINS0_14default_configENS1_20scan_config_selectorIN3c107complexIfEEEEZZNS1_9scan_implILNS1_25lookback_scan_determinismE0ELb0ELb0ES3_PKS7_PS7_S7_ZZZN2at6native31launch_logcumsumexp_cuda_kernelERKNSE_10TensorBaseESI_lENKUlvE_clEvENKUlvE2_clEvEUlS7_S7_E_S7_EEDaPvRmT3_T4_T5_mT6_P12ihipStream_tbENKUlT_T0_E_clISt17integral_constantIbLb0EESY_IbLb1EEEEDaSU_SV_EUlSU_E_NS1_11comp_targetILNS1_3genE9ELNS1_11target_archE1100ELNS1_3gpuE3ELNS1_3repE0EEENS1_30default_config_static_selectorELNS0_4arch9wavefront6targetE1EEEvT1_ ; -- Begin function _ZN7rocprim17ROCPRIM_400000_NS6detail17trampoline_kernelINS0_14default_configENS1_20scan_config_selectorIN3c107complexIfEEEEZZNS1_9scan_implILNS1_25lookback_scan_determinismE0ELb0ELb0ES3_PKS7_PS7_S7_ZZZN2at6native31launch_logcumsumexp_cuda_kernelERKNSE_10TensorBaseESI_lENKUlvE_clEvENKUlvE2_clEvEUlS7_S7_E_S7_EEDaPvRmT3_T4_T5_mT6_P12ihipStream_tbENKUlT_T0_E_clISt17integral_constantIbLb0EESY_IbLb1EEEEDaSU_SV_EUlSU_E_NS1_11comp_targetILNS1_3genE9ELNS1_11target_archE1100ELNS1_3gpuE3ELNS1_3repE0EEENS1_30default_config_static_selectorELNS0_4arch9wavefront6targetE1EEEvT1_
	.p2align	8
	.type	_ZN7rocprim17ROCPRIM_400000_NS6detail17trampoline_kernelINS0_14default_configENS1_20scan_config_selectorIN3c107complexIfEEEEZZNS1_9scan_implILNS1_25lookback_scan_determinismE0ELb0ELb0ES3_PKS7_PS7_S7_ZZZN2at6native31launch_logcumsumexp_cuda_kernelERKNSE_10TensorBaseESI_lENKUlvE_clEvENKUlvE2_clEvEUlS7_S7_E_S7_EEDaPvRmT3_T4_T5_mT6_P12ihipStream_tbENKUlT_T0_E_clISt17integral_constantIbLb0EESY_IbLb1EEEEDaSU_SV_EUlSU_E_NS1_11comp_targetILNS1_3genE9ELNS1_11target_archE1100ELNS1_3gpuE3ELNS1_3repE0EEENS1_30default_config_static_selectorELNS0_4arch9wavefront6targetE1EEEvT1_,@function
_ZN7rocprim17ROCPRIM_400000_NS6detail17trampoline_kernelINS0_14default_configENS1_20scan_config_selectorIN3c107complexIfEEEEZZNS1_9scan_implILNS1_25lookback_scan_determinismE0ELb0ELb0ES3_PKS7_PS7_S7_ZZZN2at6native31launch_logcumsumexp_cuda_kernelERKNSE_10TensorBaseESI_lENKUlvE_clEvENKUlvE2_clEvEUlS7_S7_E_S7_EEDaPvRmT3_T4_T5_mT6_P12ihipStream_tbENKUlT_T0_E_clISt17integral_constantIbLb0EESY_IbLb1EEEEDaSU_SV_EUlSU_E_NS1_11comp_targetILNS1_3genE9ELNS1_11target_archE1100ELNS1_3gpuE3ELNS1_3repE0EEENS1_30default_config_static_selectorELNS0_4arch9wavefront6targetE1EEEvT1_: ; @_ZN7rocprim17ROCPRIM_400000_NS6detail17trampoline_kernelINS0_14default_configENS1_20scan_config_selectorIN3c107complexIfEEEEZZNS1_9scan_implILNS1_25lookback_scan_determinismE0ELb0ELb0ES3_PKS7_PS7_S7_ZZZN2at6native31launch_logcumsumexp_cuda_kernelERKNSE_10TensorBaseESI_lENKUlvE_clEvENKUlvE2_clEvEUlS7_S7_E_S7_EEDaPvRmT3_T4_T5_mT6_P12ihipStream_tbENKUlT_T0_E_clISt17integral_constantIbLb0EESY_IbLb1EEEEDaSU_SV_EUlSU_E_NS1_11comp_targetILNS1_3genE9ELNS1_11target_archE1100ELNS1_3gpuE3ELNS1_3repE0EEENS1_30default_config_static_selectorELNS0_4arch9wavefront6targetE1EEEvT1_
; %bb.0:
	.section	.rodata,"a",@progbits
	.p2align	6, 0x0
	.amdhsa_kernel _ZN7rocprim17ROCPRIM_400000_NS6detail17trampoline_kernelINS0_14default_configENS1_20scan_config_selectorIN3c107complexIfEEEEZZNS1_9scan_implILNS1_25lookback_scan_determinismE0ELb0ELb0ES3_PKS7_PS7_S7_ZZZN2at6native31launch_logcumsumexp_cuda_kernelERKNSE_10TensorBaseESI_lENKUlvE_clEvENKUlvE2_clEvEUlS7_S7_E_S7_EEDaPvRmT3_T4_T5_mT6_P12ihipStream_tbENKUlT_T0_E_clISt17integral_constantIbLb0EESY_IbLb1EEEEDaSU_SV_EUlSU_E_NS1_11comp_targetILNS1_3genE9ELNS1_11target_archE1100ELNS1_3gpuE3ELNS1_3repE0EEENS1_30default_config_static_selectorELNS0_4arch9wavefront6targetE1EEEvT1_
		.amdhsa_group_segment_fixed_size 0
		.amdhsa_private_segment_fixed_size 0
		.amdhsa_kernarg_size 104
		.amdhsa_user_sgpr_count 6
		.amdhsa_user_sgpr_private_segment_buffer 1
		.amdhsa_user_sgpr_dispatch_ptr 0
		.amdhsa_user_sgpr_queue_ptr 0
		.amdhsa_user_sgpr_kernarg_segment_ptr 1
		.amdhsa_user_sgpr_dispatch_id 0
		.amdhsa_user_sgpr_flat_scratch_init 0
		.amdhsa_user_sgpr_private_segment_size 0
		.amdhsa_uses_dynamic_stack 0
		.amdhsa_system_sgpr_private_segment_wavefront_offset 0
		.amdhsa_system_sgpr_workgroup_id_x 1
		.amdhsa_system_sgpr_workgroup_id_y 0
		.amdhsa_system_sgpr_workgroup_id_z 0
		.amdhsa_system_sgpr_workgroup_info 0
		.amdhsa_system_vgpr_workitem_id 0
		.amdhsa_next_free_vgpr 1
		.amdhsa_next_free_sgpr 0
		.amdhsa_reserve_vcc 0
		.amdhsa_reserve_flat_scratch 0
		.amdhsa_float_round_mode_32 0
		.amdhsa_float_round_mode_16_64 0
		.amdhsa_float_denorm_mode_32 3
		.amdhsa_float_denorm_mode_16_64 3
		.amdhsa_dx10_clamp 1
		.amdhsa_ieee_mode 1
		.amdhsa_fp16_overflow 0
		.amdhsa_exception_fp_ieee_invalid_op 0
		.amdhsa_exception_fp_denorm_src 0
		.amdhsa_exception_fp_ieee_div_zero 0
		.amdhsa_exception_fp_ieee_overflow 0
		.amdhsa_exception_fp_ieee_underflow 0
		.amdhsa_exception_fp_ieee_inexact 0
		.amdhsa_exception_int_div_zero 0
	.end_amdhsa_kernel
	.section	.text._ZN7rocprim17ROCPRIM_400000_NS6detail17trampoline_kernelINS0_14default_configENS1_20scan_config_selectorIN3c107complexIfEEEEZZNS1_9scan_implILNS1_25lookback_scan_determinismE0ELb0ELb0ES3_PKS7_PS7_S7_ZZZN2at6native31launch_logcumsumexp_cuda_kernelERKNSE_10TensorBaseESI_lENKUlvE_clEvENKUlvE2_clEvEUlS7_S7_E_S7_EEDaPvRmT3_T4_T5_mT6_P12ihipStream_tbENKUlT_T0_E_clISt17integral_constantIbLb0EESY_IbLb1EEEEDaSU_SV_EUlSU_E_NS1_11comp_targetILNS1_3genE9ELNS1_11target_archE1100ELNS1_3gpuE3ELNS1_3repE0EEENS1_30default_config_static_selectorELNS0_4arch9wavefront6targetE1EEEvT1_,"axG",@progbits,_ZN7rocprim17ROCPRIM_400000_NS6detail17trampoline_kernelINS0_14default_configENS1_20scan_config_selectorIN3c107complexIfEEEEZZNS1_9scan_implILNS1_25lookback_scan_determinismE0ELb0ELb0ES3_PKS7_PS7_S7_ZZZN2at6native31launch_logcumsumexp_cuda_kernelERKNSE_10TensorBaseESI_lENKUlvE_clEvENKUlvE2_clEvEUlS7_S7_E_S7_EEDaPvRmT3_T4_T5_mT6_P12ihipStream_tbENKUlT_T0_E_clISt17integral_constantIbLb0EESY_IbLb1EEEEDaSU_SV_EUlSU_E_NS1_11comp_targetILNS1_3genE9ELNS1_11target_archE1100ELNS1_3gpuE3ELNS1_3repE0EEENS1_30default_config_static_selectorELNS0_4arch9wavefront6targetE1EEEvT1_,comdat
.Lfunc_end336:
	.size	_ZN7rocprim17ROCPRIM_400000_NS6detail17trampoline_kernelINS0_14default_configENS1_20scan_config_selectorIN3c107complexIfEEEEZZNS1_9scan_implILNS1_25lookback_scan_determinismE0ELb0ELb0ES3_PKS7_PS7_S7_ZZZN2at6native31launch_logcumsumexp_cuda_kernelERKNSE_10TensorBaseESI_lENKUlvE_clEvENKUlvE2_clEvEUlS7_S7_E_S7_EEDaPvRmT3_T4_T5_mT6_P12ihipStream_tbENKUlT_T0_E_clISt17integral_constantIbLb0EESY_IbLb1EEEEDaSU_SV_EUlSU_E_NS1_11comp_targetILNS1_3genE9ELNS1_11target_archE1100ELNS1_3gpuE3ELNS1_3repE0EEENS1_30default_config_static_selectorELNS0_4arch9wavefront6targetE1EEEvT1_, .Lfunc_end336-_ZN7rocprim17ROCPRIM_400000_NS6detail17trampoline_kernelINS0_14default_configENS1_20scan_config_selectorIN3c107complexIfEEEEZZNS1_9scan_implILNS1_25lookback_scan_determinismE0ELb0ELb0ES3_PKS7_PS7_S7_ZZZN2at6native31launch_logcumsumexp_cuda_kernelERKNSE_10TensorBaseESI_lENKUlvE_clEvENKUlvE2_clEvEUlS7_S7_E_S7_EEDaPvRmT3_T4_T5_mT6_P12ihipStream_tbENKUlT_T0_E_clISt17integral_constantIbLb0EESY_IbLb1EEEEDaSU_SV_EUlSU_E_NS1_11comp_targetILNS1_3genE9ELNS1_11target_archE1100ELNS1_3gpuE3ELNS1_3repE0EEENS1_30default_config_static_selectorELNS0_4arch9wavefront6targetE1EEEvT1_
                                        ; -- End function
	.set _ZN7rocprim17ROCPRIM_400000_NS6detail17trampoline_kernelINS0_14default_configENS1_20scan_config_selectorIN3c107complexIfEEEEZZNS1_9scan_implILNS1_25lookback_scan_determinismE0ELb0ELb0ES3_PKS7_PS7_S7_ZZZN2at6native31launch_logcumsumexp_cuda_kernelERKNSE_10TensorBaseESI_lENKUlvE_clEvENKUlvE2_clEvEUlS7_S7_E_S7_EEDaPvRmT3_T4_T5_mT6_P12ihipStream_tbENKUlT_T0_E_clISt17integral_constantIbLb0EESY_IbLb1EEEEDaSU_SV_EUlSU_E_NS1_11comp_targetILNS1_3genE9ELNS1_11target_archE1100ELNS1_3gpuE3ELNS1_3repE0EEENS1_30default_config_static_selectorELNS0_4arch9wavefront6targetE1EEEvT1_.num_vgpr, 0
	.set _ZN7rocprim17ROCPRIM_400000_NS6detail17trampoline_kernelINS0_14default_configENS1_20scan_config_selectorIN3c107complexIfEEEEZZNS1_9scan_implILNS1_25lookback_scan_determinismE0ELb0ELb0ES3_PKS7_PS7_S7_ZZZN2at6native31launch_logcumsumexp_cuda_kernelERKNSE_10TensorBaseESI_lENKUlvE_clEvENKUlvE2_clEvEUlS7_S7_E_S7_EEDaPvRmT3_T4_T5_mT6_P12ihipStream_tbENKUlT_T0_E_clISt17integral_constantIbLb0EESY_IbLb1EEEEDaSU_SV_EUlSU_E_NS1_11comp_targetILNS1_3genE9ELNS1_11target_archE1100ELNS1_3gpuE3ELNS1_3repE0EEENS1_30default_config_static_selectorELNS0_4arch9wavefront6targetE1EEEvT1_.num_agpr, 0
	.set _ZN7rocprim17ROCPRIM_400000_NS6detail17trampoline_kernelINS0_14default_configENS1_20scan_config_selectorIN3c107complexIfEEEEZZNS1_9scan_implILNS1_25lookback_scan_determinismE0ELb0ELb0ES3_PKS7_PS7_S7_ZZZN2at6native31launch_logcumsumexp_cuda_kernelERKNSE_10TensorBaseESI_lENKUlvE_clEvENKUlvE2_clEvEUlS7_S7_E_S7_EEDaPvRmT3_T4_T5_mT6_P12ihipStream_tbENKUlT_T0_E_clISt17integral_constantIbLb0EESY_IbLb1EEEEDaSU_SV_EUlSU_E_NS1_11comp_targetILNS1_3genE9ELNS1_11target_archE1100ELNS1_3gpuE3ELNS1_3repE0EEENS1_30default_config_static_selectorELNS0_4arch9wavefront6targetE1EEEvT1_.numbered_sgpr, 0
	.set _ZN7rocprim17ROCPRIM_400000_NS6detail17trampoline_kernelINS0_14default_configENS1_20scan_config_selectorIN3c107complexIfEEEEZZNS1_9scan_implILNS1_25lookback_scan_determinismE0ELb0ELb0ES3_PKS7_PS7_S7_ZZZN2at6native31launch_logcumsumexp_cuda_kernelERKNSE_10TensorBaseESI_lENKUlvE_clEvENKUlvE2_clEvEUlS7_S7_E_S7_EEDaPvRmT3_T4_T5_mT6_P12ihipStream_tbENKUlT_T0_E_clISt17integral_constantIbLb0EESY_IbLb1EEEEDaSU_SV_EUlSU_E_NS1_11comp_targetILNS1_3genE9ELNS1_11target_archE1100ELNS1_3gpuE3ELNS1_3repE0EEENS1_30default_config_static_selectorELNS0_4arch9wavefront6targetE1EEEvT1_.num_named_barrier, 0
	.set _ZN7rocprim17ROCPRIM_400000_NS6detail17trampoline_kernelINS0_14default_configENS1_20scan_config_selectorIN3c107complexIfEEEEZZNS1_9scan_implILNS1_25lookback_scan_determinismE0ELb0ELb0ES3_PKS7_PS7_S7_ZZZN2at6native31launch_logcumsumexp_cuda_kernelERKNSE_10TensorBaseESI_lENKUlvE_clEvENKUlvE2_clEvEUlS7_S7_E_S7_EEDaPvRmT3_T4_T5_mT6_P12ihipStream_tbENKUlT_T0_E_clISt17integral_constantIbLb0EESY_IbLb1EEEEDaSU_SV_EUlSU_E_NS1_11comp_targetILNS1_3genE9ELNS1_11target_archE1100ELNS1_3gpuE3ELNS1_3repE0EEENS1_30default_config_static_selectorELNS0_4arch9wavefront6targetE1EEEvT1_.private_seg_size, 0
	.set _ZN7rocprim17ROCPRIM_400000_NS6detail17trampoline_kernelINS0_14default_configENS1_20scan_config_selectorIN3c107complexIfEEEEZZNS1_9scan_implILNS1_25lookback_scan_determinismE0ELb0ELb0ES3_PKS7_PS7_S7_ZZZN2at6native31launch_logcumsumexp_cuda_kernelERKNSE_10TensorBaseESI_lENKUlvE_clEvENKUlvE2_clEvEUlS7_S7_E_S7_EEDaPvRmT3_T4_T5_mT6_P12ihipStream_tbENKUlT_T0_E_clISt17integral_constantIbLb0EESY_IbLb1EEEEDaSU_SV_EUlSU_E_NS1_11comp_targetILNS1_3genE9ELNS1_11target_archE1100ELNS1_3gpuE3ELNS1_3repE0EEENS1_30default_config_static_selectorELNS0_4arch9wavefront6targetE1EEEvT1_.uses_vcc, 0
	.set _ZN7rocprim17ROCPRIM_400000_NS6detail17trampoline_kernelINS0_14default_configENS1_20scan_config_selectorIN3c107complexIfEEEEZZNS1_9scan_implILNS1_25lookback_scan_determinismE0ELb0ELb0ES3_PKS7_PS7_S7_ZZZN2at6native31launch_logcumsumexp_cuda_kernelERKNSE_10TensorBaseESI_lENKUlvE_clEvENKUlvE2_clEvEUlS7_S7_E_S7_EEDaPvRmT3_T4_T5_mT6_P12ihipStream_tbENKUlT_T0_E_clISt17integral_constantIbLb0EESY_IbLb1EEEEDaSU_SV_EUlSU_E_NS1_11comp_targetILNS1_3genE9ELNS1_11target_archE1100ELNS1_3gpuE3ELNS1_3repE0EEENS1_30default_config_static_selectorELNS0_4arch9wavefront6targetE1EEEvT1_.uses_flat_scratch, 0
	.set _ZN7rocprim17ROCPRIM_400000_NS6detail17trampoline_kernelINS0_14default_configENS1_20scan_config_selectorIN3c107complexIfEEEEZZNS1_9scan_implILNS1_25lookback_scan_determinismE0ELb0ELb0ES3_PKS7_PS7_S7_ZZZN2at6native31launch_logcumsumexp_cuda_kernelERKNSE_10TensorBaseESI_lENKUlvE_clEvENKUlvE2_clEvEUlS7_S7_E_S7_EEDaPvRmT3_T4_T5_mT6_P12ihipStream_tbENKUlT_T0_E_clISt17integral_constantIbLb0EESY_IbLb1EEEEDaSU_SV_EUlSU_E_NS1_11comp_targetILNS1_3genE9ELNS1_11target_archE1100ELNS1_3gpuE3ELNS1_3repE0EEENS1_30default_config_static_selectorELNS0_4arch9wavefront6targetE1EEEvT1_.has_dyn_sized_stack, 0
	.set _ZN7rocprim17ROCPRIM_400000_NS6detail17trampoline_kernelINS0_14default_configENS1_20scan_config_selectorIN3c107complexIfEEEEZZNS1_9scan_implILNS1_25lookback_scan_determinismE0ELb0ELb0ES3_PKS7_PS7_S7_ZZZN2at6native31launch_logcumsumexp_cuda_kernelERKNSE_10TensorBaseESI_lENKUlvE_clEvENKUlvE2_clEvEUlS7_S7_E_S7_EEDaPvRmT3_T4_T5_mT6_P12ihipStream_tbENKUlT_T0_E_clISt17integral_constantIbLb0EESY_IbLb1EEEEDaSU_SV_EUlSU_E_NS1_11comp_targetILNS1_3genE9ELNS1_11target_archE1100ELNS1_3gpuE3ELNS1_3repE0EEENS1_30default_config_static_selectorELNS0_4arch9wavefront6targetE1EEEvT1_.has_recursion, 0
	.set _ZN7rocprim17ROCPRIM_400000_NS6detail17trampoline_kernelINS0_14default_configENS1_20scan_config_selectorIN3c107complexIfEEEEZZNS1_9scan_implILNS1_25lookback_scan_determinismE0ELb0ELb0ES3_PKS7_PS7_S7_ZZZN2at6native31launch_logcumsumexp_cuda_kernelERKNSE_10TensorBaseESI_lENKUlvE_clEvENKUlvE2_clEvEUlS7_S7_E_S7_EEDaPvRmT3_T4_T5_mT6_P12ihipStream_tbENKUlT_T0_E_clISt17integral_constantIbLb0EESY_IbLb1EEEEDaSU_SV_EUlSU_E_NS1_11comp_targetILNS1_3genE9ELNS1_11target_archE1100ELNS1_3gpuE3ELNS1_3repE0EEENS1_30default_config_static_selectorELNS0_4arch9wavefront6targetE1EEEvT1_.has_indirect_call, 0
	.section	.AMDGPU.csdata,"",@progbits
; Kernel info:
; codeLenInByte = 0
; TotalNumSgprs: 4
; NumVgprs: 0
; ScratchSize: 0
; MemoryBound: 0
; FloatMode: 240
; IeeeMode: 1
; LDSByteSize: 0 bytes/workgroup (compile time only)
; SGPRBlocks: 0
; VGPRBlocks: 0
; NumSGPRsForWavesPerEU: 4
; NumVGPRsForWavesPerEU: 1
; Occupancy: 10
; WaveLimiterHint : 0
; COMPUTE_PGM_RSRC2:SCRATCH_EN: 0
; COMPUTE_PGM_RSRC2:USER_SGPR: 6
; COMPUTE_PGM_RSRC2:TRAP_HANDLER: 0
; COMPUTE_PGM_RSRC2:TGID_X_EN: 1
; COMPUTE_PGM_RSRC2:TGID_Y_EN: 0
; COMPUTE_PGM_RSRC2:TGID_Z_EN: 0
; COMPUTE_PGM_RSRC2:TIDIG_COMP_CNT: 0
	.section	.text._ZN7rocprim17ROCPRIM_400000_NS6detail17trampoline_kernelINS0_14default_configENS1_20scan_config_selectorIN3c107complexIfEEEEZZNS1_9scan_implILNS1_25lookback_scan_determinismE0ELb0ELb0ES3_PKS7_PS7_S7_ZZZN2at6native31launch_logcumsumexp_cuda_kernelERKNSE_10TensorBaseESI_lENKUlvE_clEvENKUlvE2_clEvEUlS7_S7_E_S7_EEDaPvRmT3_T4_T5_mT6_P12ihipStream_tbENKUlT_T0_E_clISt17integral_constantIbLb0EESY_IbLb1EEEEDaSU_SV_EUlSU_E_NS1_11comp_targetILNS1_3genE8ELNS1_11target_archE1030ELNS1_3gpuE2ELNS1_3repE0EEENS1_30default_config_static_selectorELNS0_4arch9wavefront6targetE1EEEvT1_,"axG",@progbits,_ZN7rocprim17ROCPRIM_400000_NS6detail17trampoline_kernelINS0_14default_configENS1_20scan_config_selectorIN3c107complexIfEEEEZZNS1_9scan_implILNS1_25lookback_scan_determinismE0ELb0ELb0ES3_PKS7_PS7_S7_ZZZN2at6native31launch_logcumsumexp_cuda_kernelERKNSE_10TensorBaseESI_lENKUlvE_clEvENKUlvE2_clEvEUlS7_S7_E_S7_EEDaPvRmT3_T4_T5_mT6_P12ihipStream_tbENKUlT_T0_E_clISt17integral_constantIbLb0EESY_IbLb1EEEEDaSU_SV_EUlSU_E_NS1_11comp_targetILNS1_3genE8ELNS1_11target_archE1030ELNS1_3gpuE2ELNS1_3repE0EEENS1_30default_config_static_selectorELNS0_4arch9wavefront6targetE1EEEvT1_,comdat
	.globl	_ZN7rocprim17ROCPRIM_400000_NS6detail17trampoline_kernelINS0_14default_configENS1_20scan_config_selectorIN3c107complexIfEEEEZZNS1_9scan_implILNS1_25lookback_scan_determinismE0ELb0ELb0ES3_PKS7_PS7_S7_ZZZN2at6native31launch_logcumsumexp_cuda_kernelERKNSE_10TensorBaseESI_lENKUlvE_clEvENKUlvE2_clEvEUlS7_S7_E_S7_EEDaPvRmT3_T4_T5_mT6_P12ihipStream_tbENKUlT_T0_E_clISt17integral_constantIbLb0EESY_IbLb1EEEEDaSU_SV_EUlSU_E_NS1_11comp_targetILNS1_3genE8ELNS1_11target_archE1030ELNS1_3gpuE2ELNS1_3repE0EEENS1_30default_config_static_selectorELNS0_4arch9wavefront6targetE1EEEvT1_ ; -- Begin function _ZN7rocprim17ROCPRIM_400000_NS6detail17trampoline_kernelINS0_14default_configENS1_20scan_config_selectorIN3c107complexIfEEEEZZNS1_9scan_implILNS1_25lookback_scan_determinismE0ELb0ELb0ES3_PKS7_PS7_S7_ZZZN2at6native31launch_logcumsumexp_cuda_kernelERKNSE_10TensorBaseESI_lENKUlvE_clEvENKUlvE2_clEvEUlS7_S7_E_S7_EEDaPvRmT3_T4_T5_mT6_P12ihipStream_tbENKUlT_T0_E_clISt17integral_constantIbLb0EESY_IbLb1EEEEDaSU_SV_EUlSU_E_NS1_11comp_targetILNS1_3genE8ELNS1_11target_archE1030ELNS1_3gpuE2ELNS1_3repE0EEENS1_30default_config_static_selectorELNS0_4arch9wavefront6targetE1EEEvT1_
	.p2align	8
	.type	_ZN7rocprim17ROCPRIM_400000_NS6detail17trampoline_kernelINS0_14default_configENS1_20scan_config_selectorIN3c107complexIfEEEEZZNS1_9scan_implILNS1_25lookback_scan_determinismE0ELb0ELb0ES3_PKS7_PS7_S7_ZZZN2at6native31launch_logcumsumexp_cuda_kernelERKNSE_10TensorBaseESI_lENKUlvE_clEvENKUlvE2_clEvEUlS7_S7_E_S7_EEDaPvRmT3_T4_T5_mT6_P12ihipStream_tbENKUlT_T0_E_clISt17integral_constantIbLb0EESY_IbLb1EEEEDaSU_SV_EUlSU_E_NS1_11comp_targetILNS1_3genE8ELNS1_11target_archE1030ELNS1_3gpuE2ELNS1_3repE0EEENS1_30default_config_static_selectorELNS0_4arch9wavefront6targetE1EEEvT1_,@function
_ZN7rocprim17ROCPRIM_400000_NS6detail17trampoline_kernelINS0_14default_configENS1_20scan_config_selectorIN3c107complexIfEEEEZZNS1_9scan_implILNS1_25lookback_scan_determinismE0ELb0ELb0ES3_PKS7_PS7_S7_ZZZN2at6native31launch_logcumsumexp_cuda_kernelERKNSE_10TensorBaseESI_lENKUlvE_clEvENKUlvE2_clEvEUlS7_S7_E_S7_EEDaPvRmT3_T4_T5_mT6_P12ihipStream_tbENKUlT_T0_E_clISt17integral_constantIbLb0EESY_IbLb1EEEEDaSU_SV_EUlSU_E_NS1_11comp_targetILNS1_3genE8ELNS1_11target_archE1030ELNS1_3gpuE2ELNS1_3repE0EEENS1_30default_config_static_selectorELNS0_4arch9wavefront6targetE1EEEvT1_: ; @_ZN7rocprim17ROCPRIM_400000_NS6detail17trampoline_kernelINS0_14default_configENS1_20scan_config_selectorIN3c107complexIfEEEEZZNS1_9scan_implILNS1_25lookback_scan_determinismE0ELb0ELb0ES3_PKS7_PS7_S7_ZZZN2at6native31launch_logcumsumexp_cuda_kernelERKNSE_10TensorBaseESI_lENKUlvE_clEvENKUlvE2_clEvEUlS7_S7_E_S7_EEDaPvRmT3_T4_T5_mT6_P12ihipStream_tbENKUlT_T0_E_clISt17integral_constantIbLb0EESY_IbLb1EEEEDaSU_SV_EUlSU_E_NS1_11comp_targetILNS1_3genE8ELNS1_11target_archE1030ELNS1_3gpuE2ELNS1_3repE0EEENS1_30default_config_static_selectorELNS0_4arch9wavefront6targetE1EEEvT1_
; %bb.0:
	.section	.rodata,"a",@progbits
	.p2align	6, 0x0
	.amdhsa_kernel _ZN7rocprim17ROCPRIM_400000_NS6detail17trampoline_kernelINS0_14default_configENS1_20scan_config_selectorIN3c107complexIfEEEEZZNS1_9scan_implILNS1_25lookback_scan_determinismE0ELb0ELb0ES3_PKS7_PS7_S7_ZZZN2at6native31launch_logcumsumexp_cuda_kernelERKNSE_10TensorBaseESI_lENKUlvE_clEvENKUlvE2_clEvEUlS7_S7_E_S7_EEDaPvRmT3_T4_T5_mT6_P12ihipStream_tbENKUlT_T0_E_clISt17integral_constantIbLb0EESY_IbLb1EEEEDaSU_SV_EUlSU_E_NS1_11comp_targetILNS1_3genE8ELNS1_11target_archE1030ELNS1_3gpuE2ELNS1_3repE0EEENS1_30default_config_static_selectorELNS0_4arch9wavefront6targetE1EEEvT1_
		.amdhsa_group_segment_fixed_size 0
		.amdhsa_private_segment_fixed_size 0
		.amdhsa_kernarg_size 104
		.amdhsa_user_sgpr_count 6
		.amdhsa_user_sgpr_private_segment_buffer 1
		.amdhsa_user_sgpr_dispatch_ptr 0
		.amdhsa_user_sgpr_queue_ptr 0
		.amdhsa_user_sgpr_kernarg_segment_ptr 1
		.amdhsa_user_sgpr_dispatch_id 0
		.amdhsa_user_sgpr_flat_scratch_init 0
		.amdhsa_user_sgpr_private_segment_size 0
		.amdhsa_uses_dynamic_stack 0
		.amdhsa_system_sgpr_private_segment_wavefront_offset 0
		.amdhsa_system_sgpr_workgroup_id_x 1
		.amdhsa_system_sgpr_workgroup_id_y 0
		.amdhsa_system_sgpr_workgroup_id_z 0
		.amdhsa_system_sgpr_workgroup_info 0
		.amdhsa_system_vgpr_workitem_id 0
		.amdhsa_next_free_vgpr 1
		.amdhsa_next_free_sgpr 0
		.amdhsa_reserve_vcc 0
		.amdhsa_reserve_flat_scratch 0
		.amdhsa_float_round_mode_32 0
		.amdhsa_float_round_mode_16_64 0
		.amdhsa_float_denorm_mode_32 3
		.amdhsa_float_denorm_mode_16_64 3
		.amdhsa_dx10_clamp 1
		.amdhsa_ieee_mode 1
		.amdhsa_fp16_overflow 0
		.amdhsa_exception_fp_ieee_invalid_op 0
		.amdhsa_exception_fp_denorm_src 0
		.amdhsa_exception_fp_ieee_div_zero 0
		.amdhsa_exception_fp_ieee_overflow 0
		.amdhsa_exception_fp_ieee_underflow 0
		.amdhsa_exception_fp_ieee_inexact 0
		.amdhsa_exception_int_div_zero 0
	.end_amdhsa_kernel
	.section	.text._ZN7rocprim17ROCPRIM_400000_NS6detail17trampoline_kernelINS0_14default_configENS1_20scan_config_selectorIN3c107complexIfEEEEZZNS1_9scan_implILNS1_25lookback_scan_determinismE0ELb0ELb0ES3_PKS7_PS7_S7_ZZZN2at6native31launch_logcumsumexp_cuda_kernelERKNSE_10TensorBaseESI_lENKUlvE_clEvENKUlvE2_clEvEUlS7_S7_E_S7_EEDaPvRmT3_T4_T5_mT6_P12ihipStream_tbENKUlT_T0_E_clISt17integral_constantIbLb0EESY_IbLb1EEEEDaSU_SV_EUlSU_E_NS1_11comp_targetILNS1_3genE8ELNS1_11target_archE1030ELNS1_3gpuE2ELNS1_3repE0EEENS1_30default_config_static_selectorELNS0_4arch9wavefront6targetE1EEEvT1_,"axG",@progbits,_ZN7rocprim17ROCPRIM_400000_NS6detail17trampoline_kernelINS0_14default_configENS1_20scan_config_selectorIN3c107complexIfEEEEZZNS1_9scan_implILNS1_25lookback_scan_determinismE0ELb0ELb0ES3_PKS7_PS7_S7_ZZZN2at6native31launch_logcumsumexp_cuda_kernelERKNSE_10TensorBaseESI_lENKUlvE_clEvENKUlvE2_clEvEUlS7_S7_E_S7_EEDaPvRmT3_T4_T5_mT6_P12ihipStream_tbENKUlT_T0_E_clISt17integral_constantIbLb0EESY_IbLb1EEEEDaSU_SV_EUlSU_E_NS1_11comp_targetILNS1_3genE8ELNS1_11target_archE1030ELNS1_3gpuE2ELNS1_3repE0EEENS1_30default_config_static_selectorELNS0_4arch9wavefront6targetE1EEEvT1_,comdat
.Lfunc_end337:
	.size	_ZN7rocprim17ROCPRIM_400000_NS6detail17trampoline_kernelINS0_14default_configENS1_20scan_config_selectorIN3c107complexIfEEEEZZNS1_9scan_implILNS1_25lookback_scan_determinismE0ELb0ELb0ES3_PKS7_PS7_S7_ZZZN2at6native31launch_logcumsumexp_cuda_kernelERKNSE_10TensorBaseESI_lENKUlvE_clEvENKUlvE2_clEvEUlS7_S7_E_S7_EEDaPvRmT3_T4_T5_mT6_P12ihipStream_tbENKUlT_T0_E_clISt17integral_constantIbLb0EESY_IbLb1EEEEDaSU_SV_EUlSU_E_NS1_11comp_targetILNS1_3genE8ELNS1_11target_archE1030ELNS1_3gpuE2ELNS1_3repE0EEENS1_30default_config_static_selectorELNS0_4arch9wavefront6targetE1EEEvT1_, .Lfunc_end337-_ZN7rocprim17ROCPRIM_400000_NS6detail17trampoline_kernelINS0_14default_configENS1_20scan_config_selectorIN3c107complexIfEEEEZZNS1_9scan_implILNS1_25lookback_scan_determinismE0ELb0ELb0ES3_PKS7_PS7_S7_ZZZN2at6native31launch_logcumsumexp_cuda_kernelERKNSE_10TensorBaseESI_lENKUlvE_clEvENKUlvE2_clEvEUlS7_S7_E_S7_EEDaPvRmT3_T4_T5_mT6_P12ihipStream_tbENKUlT_T0_E_clISt17integral_constantIbLb0EESY_IbLb1EEEEDaSU_SV_EUlSU_E_NS1_11comp_targetILNS1_3genE8ELNS1_11target_archE1030ELNS1_3gpuE2ELNS1_3repE0EEENS1_30default_config_static_selectorELNS0_4arch9wavefront6targetE1EEEvT1_
                                        ; -- End function
	.set _ZN7rocprim17ROCPRIM_400000_NS6detail17trampoline_kernelINS0_14default_configENS1_20scan_config_selectorIN3c107complexIfEEEEZZNS1_9scan_implILNS1_25lookback_scan_determinismE0ELb0ELb0ES3_PKS7_PS7_S7_ZZZN2at6native31launch_logcumsumexp_cuda_kernelERKNSE_10TensorBaseESI_lENKUlvE_clEvENKUlvE2_clEvEUlS7_S7_E_S7_EEDaPvRmT3_T4_T5_mT6_P12ihipStream_tbENKUlT_T0_E_clISt17integral_constantIbLb0EESY_IbLb1EEEEDaSU_SV_EUlSU_E_NS1_11comp_targetILNS1_3genE8ELNS1_11target_archE1030ELNS1_3gpuE2ELNS1_3repE0EEENS1_30default_config_static_selectorELNS0_4arch9wavefront6targetE1EEEvT1_.num_vgpr, 0
	.set _ZN7rocprim17ROCPRIM_400000_NS6detail17trampoline_kernelINS0_14default_configENS1_20scan_config_selectorIN3c107complexIfEEEEZZNS1_9scan_implILNS1_25lookback_scan_determinismE0ELb0ELb0ES3_PKS7_PS7_S7_ZZZN2at6native31launch_logcumsumexp_cuda_kernelERKNSE_10TensorBaseESI_lENKUlvE_clEvENKUlvE2_clEvEUlS7_S7_E_S7_EEDaPvRmT3_T4_T5_mT6_P12ihipStream_tbENKUlT_T0_E_clISt17integral_constantIbLb0EESY_IbLb1EEEEDaSU_SV_EUlSU_E_NS1_11comp_targetILNS1_3genE8ELNS1_11target_archE1030ELNS1_3gpuE2ELNS1_3repE0EEENS1_30default_config_static_selectorELNS0_4arch9wavefront6targetE1EEEvT1_.num_agpr, 0
	.set _ZN7rocprim17ROCPRIM_400000_NS6detail17trampoline_kernelINS0_14default_configENS1_20scan_config_selectorIN3c107complexIfEEEEZZNS1_9scan_implILNS1_25lookback_scan_determinismE0ELb0ELb0ES3_PKS7_PS7_S7_ZZZN2at6native31launch_logcumsumexp_cuda_kernelERKNSE_10TensorBaseESI_lENKUlvE_clEvENKUlvE2_clEvEUlS7_S7_E_S7_EEDaPvRmT3_T4_T5_mT6_P12ihipStream_tbENKUlT_T0_E_clISt17integral_constantIbLb0EESY_IbLb1EEEEDaSU_SV_EUlSU_E_NS1_11comp_targetILNS1_3genE8ELNS1_11target_archE1030ELNS1_3gpuE2ELNS1_3repE0EEENS1_30default_config_static_selectorELNS0_4arch9wavefront6targetE1EEEvT1_.numbered_sgpr, 0
	.set _ZN7rocprim17ROCPRIM_400000_NS6detail17trampoline_kernelINS0_14default_configENS1_20scan_config_selectorIN3c107complexIfEEEEZZNS1_9scan_implILNS1_25lookback_scan_determinismE0ELb0ELb0ES3_PKS7_PS7_S7_ZZZN2at6native31launch_logcumsumexp_cuda_kernelERKNSE_10TensorBaseESI_lENKUlvE_clEvENKUlvE2_clEvEUlS7_S7_E_S7_EEDaPvRmT3_T4_T5_mT6_P12ihipStream_tbENKUlT_T0_E_clISt17integral_constantIbLb0EESY_IbLb1EEEEDaSU_SV_EUlSU_E_NS1_11comp_targetILNS1_3genE8ELNS1_11target_archE1030ELNS1_3gpuE2ELNS1_3repE0EEENS1_30default_config_static_selectorELNS0_4arch9wavefront6targetE1EEEvT1_.num_named_barrier, 0
	.set _ZN7rocprim17ROCPRIM_400000_NS6detail17trampoline_kernelINS0_14default_configENS1_20scan_config_selectorIN3c107complexIfEEEEZZNS1_9scan_implILNS1_25lookback_scan_determinismE0ELb0ELb0ES3_PKS7_PS7_S7_ZZZN2at6native31launch_logcumsumexp_cuda_kernelERKNSE_10TensorBaseESI_lENKUlvE_clEvENKUlvE2_clEvEUlS7_S7_E_S7_EEDaPvRmT3_T4_T5_mT6_P12ihipStream_tbENKUlT_T0_E_clISt17integral_constantIbLb0EESY_IbLb1EEEEDaSU_SV_EUlSU_E_NS1_11comp_targetILNS1_3genE8ELNS1_11target_archE1030ELNS1_3gpuE2ELNS1_3repE0EEENS1_30default_config_static_selectorELNS0_4arch9wavefront6targetE1EEEvT1_.private_seg_size, 0
	.set _ZN7rocprim17ROCPRIM_400000_NS6detail17trampoline_kernelINS0_14default_configENS1_20scan_config_selectorIN3c107complexIfEEEEZZNS1_9scan_implILNS1_25lookback_scan_determinismE0ELb0ELb0ES3_PKS7_PS7_S7_ZZZN2at6native31launch_logcumsumexp_cuda_kernelERKNSE_10TensorBaseESI_lENKUlvE_clEvENKUlvE2_clEvEUlS7_S7_E_S7_EEDaPvRmT3_T4_T5_mT6_P12ihipStream_tbENKUlT_T0_E_clISt17integral_constantIbLb0EESY_IbLb1EEEEDaSU_SV_EUlSU_E_NS1_11comp_targetILNS1_3genE8ELNS1_11target_archE1030ELNS1_3gpuE2ELNS1_3repE0EEENS1_30default_config_static_selectorELNS0_4arch9wavefront6targetE1EEEvT1_.uses_vcc, 0
	.set _ZN7rocprim17ROCPRIM_400000_NS6detail17trampoline_kernelINS0_14default_configENS1_20scan_config_selectorIN3c107complexIfEEEEZZNS1_9scan_implILNS1_25lookback_scan_determinismE0ELb0ELb0ES3_PKS7_PS7_S7_ZZZN2at6native31launch_logcumsumexp_cuda_kernelERKNSE_10TensorBaseESI_lENKUlvE_clEvENKUlvE2_clEvEUlS7_S7_E_S7_EEDaPvRmT3_T4_T5_mT6_P12ihipStream_tbENKUlT_T0_E_clISt17integral_constantIbLb0EESY_IbLb1EEEEDaSU_SV_EUlSU_E_NS1_11comp_targetILNS1_3genE8ELNS1_11target_archE1030ELNS1_3gpuE2ELNS1_3repE0EEENS1_30default_config_static_selectorELNS0_4arch9wavefront6targetE1EEEvT1_.uses_flat_scratch, 0
	.set _ZN7rocprim17ROCPRIM_400000_NS6detail17trampoline_kernelINS0_14default_configENS1_20scan_config_selectorIN3c107complexIfEEEEZZNS1_9scan_implILNS1_25lookback_scan_determinismE0ELb0ELb0ES3_PKS7_PS7_S7_ZZZN2at6native31launch_logcumsumexp_cuda_kernelERKNSE_10TensorBaseESI_lENKUlvE_clEvENKUlvE2_clEvEUlS7_S7_E_S7_EEDaPvRmT3_T4_T5_mT6_P12ihipStream_tbENKUlT_T0_E_clISt17integral_constantIbLb0EESY_IbLb1EEEEDaSU_SV_EUlSU_E_NS1_11comp_targetILNS1_3genE8ELNS1_11target_archE1030ELNS1_3gpuE2ELNS1_3repE0EEENS1_30default_config_static_selectorELNS0_4arch9wavefront6targetE1EEEvT1_.has_dyn_sized_stack, 0
	.set _ZN7rocprim17ROCPRIM_400000_NS6detail17trampoline_kernelINS0_14default_configENS1_20scan_config_selectorIN3c107complexIfEEEEZZNS1_9scan_implILNS1_25lookback_scan_determinismE0ELb0ELb0ES3_PKS7_PS7_S7_ZZZN2at6native31launch_logcumsumexp_cuda_kernelERKNSE_10TensorBaseESI_lENKUlvE_clEvENKUlvE2_clEvEUlS7_S7_E_S7_EEDaPvRmT3_T4_T5_mT6_P12ihipStream_tbENKUlT_T0_E_clISt17integral_constantIbLb0EESY_IbLb1EEEEDaSU_SV_EUlSU_E_NS1_11comp_targetILNS1_3genE8ELNS1_11target_archE1030ELNS1_3gpuE2ELNS1_3repE0EEENS1_30default_config_static_selectorELNS0_4arch9wavefront6targetE1EEEvT1_.has_recursion, 0
	.set _ZN7rocprim17ROCPRIM_400000_NS6detail17trampoline_kernelINS0_14default_configENS1_20scan_config_selectorIN3c107complexIfEEEEZZNS1_9scan_implILNS1_25lookback_scan_determinismE0ELb0ELb0ES3_PKS7_PS7_S7_ZZZN2at6native31launch_logcumsumexp_cuda_kernelERKNSE_10TensorBaseESI_lENKUlvE_clEvENKUlvE2_clEvEUlS7_S7_E_S7_EEDaPvRmT3_T4_T5_mT6_P12ihipStream_tbENKUlT_T0_E_clISt17integral_constantIbLb0EESY_IbLb1EEEEDaSU_SV_EUlSU_E_NS1_11comp_targetILNS1_3genE8ELNS1_11target_archE1030ELNS1_3gpuE2ELNS1_3repE0EEENS1_30default_config_static_selectorELNS0_4arch9wavefront6targetE1EEEvT1_.has_indirect_call, 0
	.section	.AMDGPU.csdata,"",@progbits
; Kernel info:
; codeLenInByte = 0
; TotalNumSgprs: 4
; NumVgprs: 0
; ScratchSize: 0
; MemoryBound: 0
; FloatMode: 240
; IeeeMode: 1
; LDSByteSize: 0 bytes/workgroup (compile time only)
; SGPRBlocks: 0
; VGPRBlocks: 0
; NumSGPRsForWavesPerEU: 4
; NumVGPRsForWavesPerEU: 1
; Occupancy: 10
; WaveLimiterHint : 0
; COMPUTE_PGM_RSRC2:SCRATCH_EN: 0
; COMPUTE_PGM_RSRC2:USER_SGPR: 6
; COMPUTE_PGM_RSRC2:TRAP_HANDLER: 0
; COMPUTE_PGM_RSRC2:TGID_X_EN: 1
; COMPUTE_PGM_RSRC2:TGID_Y_EN: 0
; COMPUTE_PGM_RSRC2:TGID_Z_EN: 0
; COMPUTE_PGM_RSRC2:TIDIG_COMP_CNT: 0
	.section	.text._ZN7rocprim17ROCPRIM_400000_NS6detail17trampoline_kernelINS0_14default_configENS1_20scan_config_selectorIN3c107complexIfEEEEZZNS1_9scan_implILNS1_25lookback_scan_determinismE0ELb0ELb0ES3_PKS7_PS7_S7_ZZZN2at6native31launch_logcumsumexp_cuda_kernelERKNSE_10TensorBaseESI_lENKUlvE_clEvENKUlvE2_clEvEUlS7_S7_E_S7_EEDaPvRmT3_T4_T5_mT6_P12ihipStream_tbENKUlT_T0_E_clISt17integral_constantIbLb0EESY_IbLb1EEEEDaSU_SV_EUlSU_E0_NS1_11comp_targetILNS1_3genE0ELNS1_11target_archE4294967295ELNS1_3gpuE0ELNS1_3repE0EEENS1_30default_config_static_selectorELNS0_4arch9wavefront6targetE1EEEvT1_,"axG",@progbits,_ZN7rocprim17ROCPRIM_400000_NS6detail17trampoline_kernelINS0_14default_configENS1_20scan_config_selectorIN3c107complexIfEEEEZZNS1_9scan_implILNS1_25lookback_scan_determinismE0ELb0ELb0ES3_PKS7_PS7_S7_ZZZN2at6native31launch_logcumsumexp_cuda_kernelERKNSE_10TensorBaseESI_lENKUlvE_clEvENKUlvE2_clEvEUlS7_S7_E_S7_EEDaPvRmT3_T4_T5_mT6_P12ihipStream_tbENKUlT_T0_E_clISt17integral_constantIbLb0EESY_IbLb1EEEEDaSU_SV_EUlSU_E0_NS1_11comp_targetILNS1_3genE0ELNS1_11target_archE4294967295ELNS1_3gpuE0ELNS1_3repE0EEENS1_30default_config_static_selectorELNS0_4arch9wavefront6targetE1EEEvT1_,comdat
	.globl	_ZN7rocprim17ROCPRIM_400000_NS6detail17trampoline_kernelINS0_14default_configENS1_20scan_config_selectorIN3c107complexIfEEEEZZNS1_9scan_implILNS1_25lookback_scan_determinismE0ELb0ELb0ES3_PKS7_PS7_S7_ZZZN2at6native31launch_logcumsumexp_cuda_kernelERKNSE_10TensorBaseESI_lENKUlvE_clEvENKUlvE2_clEvEUlS7_S7_E_S7_EEDaPvRmT3_T4_T5_mT6_P12ihipStream_tbENKUlT_T0_E_clISt17integral_constantIbLb0EESY_IbLb1EEEEDaSU_SV_EUlSU_E0_NS1_11comp_targetILNS1_3genE0ELNS1_11target_archE4294967295ELNS1_3gpuE0ELNS1_3repE0EEENS1_30default_config_static_selectorELNS0_4arch9wavefront6targetE1EEEvT1_ ; -- Begin function _ZN7rocprim17ROCPRIM_400000_NS6detail17trampoline_kernelINS0_14default_configENS1_20scan_config_selectorIN3c107complexIfEEEEZZNS1_9scan_implILNS1_25lookback_scan_determinismE0ELb0ELb0ES3_PKS7_PS7_S7_ZZZN2at6native31launch_logcumsumexp_cuda_kernelERKNSE_10TensorBaseESI_lENKUlvE_clEvENKUlvE2_clEvEUlS7_S7_E_S7_EEDaPvRmT3_T4_T5_mT6_P12ihipStream_tbENKUlT_T0_E_clISt17integral_constantIbLb0EESY_IbLb1EEEEDaSU_SV_EUlSU_E0_NS1_11comp_targetILNS1_3genE0ELNS1_11target_archE4294967295ELNS1_3gpuE0ELNS1_3repE0EEENS1_30default_config_static_selectorELNS0_4arch9wavefront6targetE1EEEvT1_
	.p2align	8
	.type	_ZN7rocprim17ROCPRIM_400000_NS6detail17trampoline_kernelINS0_14default_configENS1_20scan_config_selectorIN3c107complexIfEEEEZZNS1_9scan_implILNS1_25lookback_scan_determinismE0ELb0ELb0ES3_PKS7_PS7_S7_ZZZN2at6native31launch_logcumsumexp_cuda_kernelERKNSE_10TensorBaseESI_lENKUlvE_clEvENKUlvE2_clEvEUlS7_S7_E_S7_EEDaPvRmT3_T4_T5_mT6_P12ihipStream_tbENKUlT_T0_E_clISt17integral_constantIbLb0EESY_IbLb1EEEEDaSU_SV_EUlSU_E0_NS1_11comp_targetILNS1_3genE0ELNS1_11target_archE4294967295ELNS1_3gpuE0ELNS1_3repE0EEENS1_30default_config_static_selectorELNS0_4arch9wavefront6targetE1EEEvT1_,@function
_ZN7rocprim17ROCPRIM_400000_NS6detail17trampoline_kernelINS0_14default_configENS1_20scan_config_selectorIN3c107complexIfEEEEZZNS1_9scan_implILNS1_25lookback_scan_determinismE0ELb0ELb0ES3_PKS7_PS7_S7_ZZZN2at6native31launch_logcumsumexp_cuda_kernelERKNSE_10TensorBaseESI_lENKUlvE_clEvENKUlvE2_clEvEUlS7_S7_E_S7_EEDaPvRmT3_T4_T5_mT6_P12ihipStream_tbENKUlT_T0_E_clISt17integral_constantIbLb0EESY_IbLb1EEEEDaSU_SV_EUlSU_E0_NS1_11comp_targetILNS1_3genE0ELNS1_11target_archE4294967295ELNS1_3gpuE0ELNS1_3repE0EEENS1_30default_config_static_selectorELNS0_4arch9wavefront6targetE1EEEvT1_: ; @_ZN7rocprim17ROCPRIM_400000_NS6detail17trampoline_kernelINS0_14default_configENS1_20scan_config_selectorIN3c107complexIfEEEEZZNS1_9scan_implILNS1_25lookback_scan_determinismE0ELb0ELb0ES3_PKS7_PS7_S7_ZZZN2at6native31launch_logcumsumexp_cuda_kernelERKNSE_10TensorBaseESI_lENKUlvE_clEvENKUlvE2_clEvEUlS7_S7_E_S7_EEDaPvRmT3_T4_T5_mT6_P12ihipStream_tbENKUlT_T0_E_clISt17integral_constantIbLb0EESY_IbLb1EEEEDaSU_SV_EUlSU_E0_NS1_11comp_targetILNS1_3genE0ELNS1_11target_archE4294967295ELNS1_3gpuE0ELNS1_3repE0EEENS1_30default_config_static_selectorELNS0_4arch9wavefront6targetE1EEEvT1_
; %bb.0:
	.section	.rodata,"a",@progbits
	.p2align	6, 0x0
	.amdhsa_kernel _ZN7rocprim17ROCPRIM_400000_NS6detail17trampoline_kernelINS0_14default_configENS1_20scan_config_selectorIN3c107complexIfEEEEZZNS1_9scan_implILNS1_25lookback_scan_determinismE0ELb0ELb0ES3_PKS7_PS7_S7_ZZZN2at6native31launch_logcumsumexp_cuda_kernelERKNSE_10TensorBaseESI_lENKUlvE_clEvENKUlvE2_clEvEUlS7_S7_E_S7_EEDaPvRmT3_T4_T5_mT6_P12ihipStream_tbENKUlT_T0_E_clISt17integral_constantIbLb0EESY_IbLb1EEEEDaSU_SV_EUlSU_E0_NS1_11comp_targetILNS1_3genE0ELNS1_11target_archE4294967295ELNS1_3gpuE0ELNS1_3repE0EEENS1_30default_config_static_selectorELNS0_4arch9wavefront6targetE1EEEvT1_
		.amdhsa_group_segment_fixed_size 0
		.amdhsa_private_segment_fixed_size 0
		.amdhsa_kernarg_size 40
		.amdhsa_user_sgpr_count 6
		.amdhsa_user_sgpr_private_segment_buffer 1
		.amdhsa_user_sgpr_dispatch_ptr 0
		.amdhsa_user_sgpr_queue_ptr 0
		.amdhsa_user_sgpr_kernarg_segment_ptr 1
		.amdhsa_user_sgpr_dispatch_id 0
		.amdhsa_user_sgpr_flat_scratch_init 0
		.amdhsa_user_sgpr_private_segment_size 0
		.amdhsa_uses_dynamic_stack 0
		.amdhsa_system_sgpr_private_segment_wavefront_offset 0
		.amdhsa_system_sgpr_workgroup_id_x 1
		.amdhsa_system_sgpr_workgroup_id_y 0
		.amdhsa_system_sgpr_workgroup_id_z 0
		.amdhsa_system_sgpr_workgroup_info 0
		.amdhsa_system_vgpr_workitem_id 0
		.amdhsa_next_free_vgpr 1
		.amdhsa_next_free_sgpr 0
		.amdhsa_reserve_vcc 0
		.amdhsa_reserve_flat_scratch 0
		.amdhsa_float_round_mode_32 0
		.amdhsa_float_round_mode_16_64 0
		.amdhsa_float_denorm_mode_32 3
		.amdhsa_float_denorm_mode_16_64 3
		.amdhsa_dx10_clamp 1
		.amdhsa_ieee_mode 1
		.amdhsa_fp16_overflow 0
		.amdhsa_exception_fp_ieee_invalid_op 0
		.amdhsa_exception_fp_denorm_src 0
		.amdhsa_exception_fp_ieee_div_zero 0
		.amdhsa_exception_fp_ieee_overflow 0
		.amdhsa_exception_fp_ieee_underflow 0
		.amdhsa_exception_fp_ieee_inexact 0
		.amdhsa_exception_int_div_zero 0
	.end_amdhsa_kernel
	.section	.text._ZN7rocprim17ROCPRIM_400000_NS6detail17trampoline_kernelINS0_14default_configENS1_20scan_config_selectorIN3c107complexIfEEEEZZNS1_9scan_implILNS1_25lookback_scan_determinismE0ELb0ELb0ES3_PKS7_PS7_S7_ZZZN2at6native31launch_logcumsumexp_cuda_kernelERKNSE_10TensorBaseESI_lENKUlvE_clEvENKUlvE2_clEvEUlS7_S7_E_S7_EEDaPvRmT3_T4_T5_mT6_P12ihipStream_tbENKUlT_T0_E_clISt17integral_constantIbLb0EESY_IbLb1EEEEDaSU_SV_EUlSU_E0_NS1_11comp_targetILNS1_3genE0ELNS1_11target_archE4294967295ELNS1_3gpuE0ELNS1_3repE0EEENS1_30default_config_static_selectorELNS0_4arch9wavefront6targetE1EEEvT1_,"axG",@progbits,_ZN7rocprim17ROCPRIM_400000_NS6detail17trampoline_kernelINS0_14default_configENS1_20scan_config_selectorIN3c107complexIfEEEEZZNS1_9scan_implILNS1_25lookback_scan_determinismE0ELb0ELb0ES3_PKS7_PS7_S7_ZZZN2at6native31launch_logcumsumexp_cuda_kernelERKNSE_10TensorBaseESI_lENKUlvE_clEvENKUlvE2_clEvEUlS7_S7_E_S7_EEDaPvRmT3_T4_T5_mT6_P12ihipStream_tbENKUlT_T0_E_clISt17integral_constantIbLb0EESY_IbLb1EEEEDaSU_SV_EUlSU_E0_NS1_11comp_targetILNS1_3genE0ELNS1_11target_archE4294967295ELNS1_3gpuE0ELNS1_3repE0EEENS1_30default_config_static_selectorELNS0_4arch9wavefront6targetE1EEEvT1_,comdat
.Lfunc_end338:
	.size	_ZN7rocprim17ROCPRIM_400000_NS6detail17trampoline_kernelINS0_14default_configENS1_20scan_config_selectorIN3c107complexIfEEEEZZNS1_9scan_implILNS1_25lookback_scan_determinismE0ELb0ELb0ES3_PKS7_PS7_S7_ZZZN2at6native31launch_logcumsumexp_cuda_kernelERKNSE_10TensorBaseESI_lENKUlvE_clEvENKUlvE2_clEvEUlS7_S7_E_S7_EEDaPvRmT3_T4_T5_mT6_P12ihipStream_tbENKUlT_T0_E_clISt17integral_constantIbLb0EESY_IbLb1EEEEDaSU_SV_EUlSU_E0_NS1_11comp_targetILNS1_3genE0ELNS1_11target_archE4294967295ELNS1_3gpuE0ELNS1_3repE0EEENS1_30default_config_static_selectorELNS0_4arch9wavefront6targetE1EEEvT1_, .Lfunc_end338-_ZN7rocprim17ROCPRIM_400000_NS6detail17trampoline_kernelINS0_14default_configENS1_20scan_config_selectorIN3c107complexIfEEEEZZNS1_9scan_implILNS1_25lookback_scan_determinismE0ELb0ELb0ES3_PKS7_PS7_S7_ZZZN2at6native31launch_logcumsumexp_cuda_kernelERKNSE_10TensorBaseESI_lENKUlvE_clEvENKUlvE2_clEvEUlS7_S7_E_S7_EEDaPvRmT3_T4_T5_mT6_P12ihipStream_tbENKUlT_T0_E_clISt17integral_constantIbLb0EESY_IbLb1EEEEDaSU_SV_EUlSU_E0_NS1_11comp_targetILNS1_3genE0ELNS1_11target_archE4294967295ELNS1_3gpuE0ELNS1_3repE0EEENS1_30default_config_static_selectorELNS0_4arch9wavefront6targetE1EEEvT1_
                                        ; -- End function
	.set _ZN7rocprim17ROCPRIM_400000_NS6detail17trampoline_kernelINS0_14default_configENS1_20scan_config_selectorIN3c107complexIfEEEEZZNS1_9scan_implILNS1_25lookback_scan_determinismE0ELb0ELb0ES3_PKS7_PS7_S7_ZZZN2at6native31launch_logcumsumexp_cuda_kernelERKNSE_10TensorBaseESI_lENKUlvE_clEvENKUlvE2_clEvEUlS7_S7_E_S7_EEDaPvRmT3_T4_T5_mT6_P12ihipStream_tbENKUlT_T0_E_clISt17integral_constantIbLb0EESY_IbLb1EEEEDaSU_SV_EUlSU_E0_NS1_11comp_targetILNS1_3genE0ELNS1_11target_archE4294967295ELNS1_3gpuE0ELNS1_3repE0EEENS1_30default_config_static_selectorELNS0_4arch9wavefront6targetE1EEEvT1_.num_vgpr, 0
	.set _ZN7rocprim17ROCPRIM_400000_NS6detail17trampoline_kernelINS0_14default_configENS1_20scan_config_selectorIN3c107complexIfEEEEZZNS1_9scan_implILNS1_25lookback_scan_determinismE0ELb0ELb0ES3_PKS7_PS7_S7_ZZZN2at6native31launch_logcumsumexp_cuda_kernelERKNSE_10TensorBaseESI_lENKUlvE_clEvENKUlvE2_clEvEUlS7_S7_E_S7_EEDaPvRmT3_T4_T5_mT6_P12ihipStream_tbENKUlT_T0_E_clISt17integral_constantIbLb0EESY_IbLb1EEEEDaSU_SV_EUlSU_E0_NS1_11comp_targetILNS1_3genE0ELNS1_11target_archE4294967295ELNS1_3gpuE0ELNS1_3repE0EEENS1_30default_config_static_selectorELNS0_4arch9wavefront6targetE1EEEvT1_.num_agpr, 0
	.set _ZN7rocprim17ROCPRIM_400000_NS6detail17trampoline_kernelINS0_14default_configENS1_20scan_config_selectorIN3c107complexIfEEEEZZNS1_9scan_implILNS1_25lookback_scan_determinismE0ELb0ELb0ES3_PKS7_PS7_S7_ZZZN2at6native31launch_logcumsumexp_cuda_kernelERKNSE_10TensorBaseESI_lENKUlvE_clEvENKUlvE2_clEvEUlS7_S7_E_S7_EEDaPvRmT3_T4_T5_mT6_P12ihipStream_tbENKUlT_T0_E_clISt17integral_constantIbLb0EESY_IbLb1EEEEDaSU_SV_EUlSU_E0_NS1_11comp_targetILNS1_3genE0ELNS1_11target_archE4294967295ELNS1_3gpuE0ELNS1_3repE0EEENS1_30default_config_static_selectorELNS0_4arch9wavefront6targetE1EEEvT1_.numbered_sgpr, 0
	.set _ZN7rocprim17ROCPRIM_400000_NS6detail17trampoline_kernelINS0_14default_configENS1_20scan_config_selectorIN3c107complexIfEEEEZZNS1_9scan_implILNS1_25lookback_scan_determinismE0ELb0ELb0ES3_PKS7_PS7_S7_ZZZN2at6native31launch_logcumsumexp_cuda_kernelERKNSE_10TensorBaseESI_lENKUlvE_clEvENKUlvE2_clEvEUlS7_S7_E_S7_EEDaPvRmT3_T4_T5_mT6_P12ihipStream_tbENKUlT_T0_E_clISt17integral_constantIbLb0EESY_IbLb1EEEEDaSU_SV_EUlSU_E0_NS1_11comp_targetILNS1_3genE0ELNS1_11target_archE4294967295ELNS1_3gpuE0ELNS1_3repE0EEENS1_30default_config_static_selectorELNS0_4arch9wavefront6targetE1EEEvT1_.num_named_barrier, 0
	.set _ZN7rocprim17ROCPRIM_400000_NS6detail17trampoline_kernelINS0_14default_configENS1_20scan_config_selectorIN3c107complexIfEEEEZZNS1_9scan_implILNS1_25lookback_scan_determinismE0ELb0ELb0ES3_PKS7_PS7_S7_ZZZN2at6native31launch_logcumsumexp_cuda_kernelERKNSE_10TensorBaseESI_lENKUlvE_clEvENKUlvE2_clEvEUlS7_S7_E_S7_EEDaPvRmT3_T4_T5_mT6_P12ihipStream_tbENKUlT_T0_E_clISt17integral_constantIbLb0EESY_IbLb1EEEEDaSU_SV_EUlSU_E0_NS1_11comp_targetILNS1_3genE0ELNS1_11target_archE4294967295ELNS1_3gpuE0ELNS1_3repE0EEENS1_30default_config_static_selectorELNS0_4arch9wavefront6targetE1EEEvT1_.private_seg_size, 0
	.set _ZN7rocprim17ROCPRIM_400000_NS6detail17trampoline_kernelINS0_14default_configENS1_20scan_config_selectorIN3c107complexIfEEEEZZNS1_9scan_implILNS1_25lookback_scan_determinismE0ELb0ELb0ES3_PKS7_PS7_S7_ZZZN2at6native31launch_logcumsumexp_cuda_kernelERKNSE_10TensorBaseESI_lENKUlvE_clEvENKUlvE2_clEvEUlS7_S7_E_S7_EEDaPvRmT3_T4_T5_mT6_P12ihipStream_tbENKUlT_T0_E_clISt17integral_constantIbLb0EESY_IbLb1EEEEDaSU_SV_EUlSU_E0_NS1_11comp_targetILNS1_3genE0ELNS1_11target_archE4294967295ELNS1_3gpuE0ELNS1_3repE0EEENS1_30default_config_static_selectorELNS0_4arch9wavefront6targetE1EEEvT1_.uses_vcc, 0
	.set _ZN7rocprim17ROCPRIM_400000_NS6detail17trampoline_kernelINS0_14default_configENS1_20scan_config_selectorIN3c107complexIfEEEEZZNS1_9scan_implILNS1_25lookback_scan_determinismE0ELb0ELb0ES3_PKS7_PS7_S7_ZZZN2at6native31launch_logcumsumexp_cuda_kernelERKNSE_10TensorBaseESI_lENKUlvE_clEvENKUlvE2_clEvEUlS7_S7_E_S7_EEDaPvRmT3_T4_T5_mT6_P12ihipStream_tbENKUlT_T0_E_clISt17integral_constantIbLb0EESY_IbLb1EEEEDaSU_SV_EUlSU_E0_NS1_11comp_targetILNS1_3genE0ELNS1_11target_archE4294967295ELNS1_3gpuE0ELNS1_3repE0EEENS1_30default_config_static_selectorELNS0_4arch9wavefront6targetE1EEEvT1_.uses_flat_scratch, 0
	.set _ZN7rocprim17ROCPRIM_400000_NS6detail17trampoline_kernelINS0_14default_configENS1_20scan_config_selectorIN3c107complexIfEEEEZZNS1_9scan_implILNS1_25lookback_scan_determinismE0ELb0ELb0ES3_PKS7_PS7_S7_ZZZN2at6native31launch_logcumsumexp_cuda_kernelERKNSE_10TensorBaseESI_lENKUlvE_clEvENKUlvE2_clEvEUlS7_S7_E_S7_EEDaPvRmT3_T4_T5_mT6_P12ihipStream_tbENKUlT_T0_E_clISt17integral_constantIbLb0EESY_IbLb1EEEEDaSU_SV_EUlSU_E0_NS1_11comp_targetILNS1_3genE0ELNS1_11target_archE4294967295ELNS1_3gpuE0ELNS1_3repE0EEENS1_30default_config_static_selectorELNS0_4arch9wavefront6targetE1EEEvT1_.has_dyn_sized_stack, 0
	.set _ZN7rocprim17ROCPRIM_400000_NS6detail17trampoline_kernelINS0_14default_configENS1_20scan_config_selectorIN3c107complexIfEEEEZZNS1_9scan_implILNS1_25lookback_scan_determinismE0ELb0ELb0ES3_PKS7_PS7_S7_ZZZN2at6native31launch_logcumsumexp_cuda_kernelERKNSE_10TensorBaseESI_lENKUlvE_clEvENKUlvE2_clEvEUlS7_S7_E_S7_EEDaPvRmT3_T4_T5_mT6_P12ihipStream_tbENKUlT_T0_E_clISt17integral_constantIbLb0EESY_IbLb1EEEEDaSU_SV_EUlSU_E0_NS1_11comp_targetILNS1_3genE0ELNS1_11target_archE4294967295ELNS1_3gpuE0ELNS1_3repE0EEENS1_30default_config_static_selectorELNS0_4arch9wavefront6targetE1EEEvT1_.has_recursion, 0
	.set _ZN7rocprim17ROCPRIM_400000_NS6detail17trampoline_kernelINS0_14default_configENS1_20scan_config_selectorIN3c107complexIfEEEEZZNS1_9scan_implILNS1_25lookback_scan_determinismE0ELb0ELb0ES3_PKS7_PS7_S7_ZZZN2at6native31launch_logcumsumexp_cuda_kernelERKNSE_10TensorBaseESI_lENKUlvE_clEvENKUlvE2_clEvEUlS7_S7_E_S7_EEDaPvRmT3_T4_T5_mT6_P12ihipStream_tbENKUlT_T0_E_clISt17integral_constantIbLb0EESY_IbLb1EEEEDaSU_SV_EUlSU_E0_NS1_11comp_targetILNS1_3genE0ELNS1_11target_archE4294967295ELNS1_3gpuE0ELNS1_3repE0EEENS1_30default_config_static_selectorELNS0_4arch9wavefront6targetE1EEEvT1_.has_indirect_call, 0
	.section	.AMDGPU.csdata,"",@progbits
; Kernel info:
; codeLenInByte = 0
; TotalNumSgprs: 4
; NumVgprs: 0
; ScratchSize: 0
; MemoryBound: 0
; FloatMode: 240
; IeeeMode: 1
; LDSByteSize: 0 bytes/workgroup (compile time only)
; SGPRBlocks: 0
; VGPRBlocks: 0
; NumSGPRsForWavesPerEU: 4
; NumVGPRsForWavesPerEU: 1
; Occupancy: 10
; WaveLimiterHint : 0
; COMPUTE_PGM_RSRC2:SCRATCH_EN: 0
; COMPUTE_PGM_RSRC2:USER_SGPR: 6
; COMPUTE_PGM_RSRC2:TRAP_HANDLER: 0
; COMPUTE_PGM_RSRC2:TGID_X_EN: 1
; COMPUTE_PGM_RSRC2:TGID_Y_EN: 0
; COMPUTE_PGM_RSRC2:TGID_Z_EN: 0
; COMPUTE_PGM_RSRC2:TIDIG_COMP_CNT: 0
	.section	.text._ZN7rocprim17ROCPRIM_400000_NS6detail17trampoline_kernelINS0_14default_configENS1_20scan_config_selectorIN3c107complexIfEEEEZZNS1_9scan_implILNS1_25lookback_scan_determinismE0ELb0ELb0ES3_PKS7_PS7_S7_ZZZN2at6native31launch_logcumsumexp_cuda_kernelERKNSE_10TensorBaseESI_lENKUlvE_clEvENKUlvE2_clEvEUlS7_S7_E_S7_EEDaPvRmT3_T4_T5_mT6_P12ihipStream_tbENKUlT_T0_E_clISt17integral_constantIbLb0EESY_IbLb1EEEEDaSU_SV_EUlSU_E0_NS1_11comp_targetILNS1_3genE5ELNS1_11target_archE942ELNS1_3gpuE9ELNS1_3repE0EEENS1_30default_config_static_selectorELNS0_4arch9wavefront6targetE1EEEvT1_,"axG",@progbits,_ZN7rocprim17ROCPRIM_400000_NS6detail17trampoline_kernelINS0_14default_configENS1_20scan_config_selectorIN3c107complexIfEEEEZZNS1_9scan_implILNS1_25lookback_scan_determinismE0ELb0ELb0ES3_PKS7_PS7_S7_ZZZN2at6native31launch_logcumsumexp_cuda_kernelERKNSE_10TensorBaseESI_lENKUlvE_clEvENKUlvE2_clEvEUlS7_S7_E_S7_EEDaPvRmT3_T4_T5_mT6_P12ihipStream_tbENKUlT_T0_E_clISt17integral_constantIbLb0EESY_IbLb1EEEEDaSU_SV_EUlSU_E0_NS1_11comp_targetILNS1_3genE5ELNS1_11target_archE942ELNS1_3gpuE9ELNS1_3repE0EEENS1_30default_config_static_selectorELNS0_4arch9wavefront6targetE1EEEvT1_,comdat
	.globl	_ZN7rocprim17ROCPRIM_400000_NS6detail17trampoline_kernelINS0_14default_configENS1_20scan_config_selectorIN3c107complexIfEEEEZZNS1_9scan_implILNS1_25lookback_scan_determinismE0ELb0ELb0ES3_PKS7_PS7_S7_ZZZN2at6native31launch_logcumsumexp_cuda_kernelERKNSE_10TensorBaseESI_lENKUlvE_clEvENKUlvE2_clEvEUlS7_S7_E_S7_EEDaPvRmT3_T4_T5_mT6_P12ihipStream_tbENKUlT_T0_E_clISt17integral_constantIbLb0EESY_IbLb1EEEEDaSU_SV_EUlSU_E0_NS1_11comp_targetILNS1_3genE5ELNS1_11target_archE942ELNS1_3gpuE9ELNS1_3repE0EEENS1_30default_config_static_selectorELNS0_4arch9wavefront6targetE1EEEvT1_ ; -- Begin function _ZN7rocprim17ROCPRIM_400000_NS6detail17trampoline_kernelINS0_14default_configENS1_20scan_config_selectorIN3c107complexIfEEEEZZNS1_9scan_implILNS1_25lookback_scan_determinismE0ELb0ELb0ES3_PKS7_PS7_S7_ZZZN2at6native31launch_logcumsumexp_cuda_kernelERKNSE_10TensorBaseESI_lENKUlvE_clEvENKUlvE2_clEvEUlS7_S7_E_S7_EEDaPvRmT3_T4_T5_mT6_P12ihipStream_tbENKUlT_T0_E_clISt17integral_constantIbLb0EESY_IbLb1EEEEDaSU_SV_EUlSU_E0_NS1_11comp_targetILNS1_3genE5ELNS1_11target_archE942ELNS1_3gpuE9ELNS1_3repE0EEENS1_30default_config_static_selectorELNS0_4arch9wavefront6targetE1EEEvT1_
	.p2align	8
	.type	_ZN7rocprim17ROCPRIM_400000_NS6detail17trampoline_kernelINS0_14default_configENS1_20scan_config_selectorIN3c107complexIfEEEEZZNS1_9scan_implILNS1_25lookback_scan_determinismE0ELb0ELb0ES3_PKS7_PS7_S7_ZZZN2at6native31launch_logcumsumexp_cuda_kernelERKNSE_10TensorBaseESI_lENKUlvE_clEvENKUlvE2_clEvEUlS7_S7_E_S7_EEDaPvRmT3_T4_T5_mT6_P12ihipStream_tbENKUlT_T0_E_clISt17integral_constantIbLb0EESY_IbLb1EEEEDaSU_SV_EUlSU_E0_NS1_11comp_targetILNS1_3genE5ELNS1_11target_archE942ELNS1_3gpuE9ELNS1_3repE0EEENS1_30default_config_static_selectorELNS0_4arch9wavefront6targetE1EEEvT1_,@function
_ZN7rocprim17ROCPRIM_400000_NS6detail17trampoline_kernelINS0_14default_configENS1_20scan_config_selectorIN3c107complexIfEEEEZZNS1_9scan_implILNS1_25lookback_scan_determinismE0ELb0ELb0ES3_PKS7_PS7_S7_ZZZN2at6native31launch_logcumsumexp_cuda_kernelERKNSE_10TensorBaseESI_lENKUlvE_clEvENKUlvE2_clEvEUlS7_S7_E_S7_EEDaPvRmT3_T4_T5_mT6_P12ihipStream_tbENKUlT_T0_E_clISt17integral_constantIbLb0EESY_IbLb1EEEEDaSU_SV_EUlSU_E0_NS1_11comp_targetILNS1_3genE5ELNS1_11target_archE942ELNS1_3gpuE9ELNS1_3repE0EEENS1_30default_config_static_selectorELNS0_4arch9wavefront6targetE1EEEvT1_: ; @_ZN7rocprim17ROCPRIM_400000_NS6detail17trampoline_kernelINS0_14default_configENS1_20scan_config_selectorIN3c107complexIfEEEEZZNS1_9scan_implILNS1_25lookback_scan_determinismE0ELb0ELb0ES3_PKS7_PS7_S7_ZZZN2at6native31launch_logcumsumexp_cuda_kernelERKNSE_10TensorBaseESI_lENKUlvE_clEvENKUlvE2_clEvEUlS7_S7_E_S7_EEDaPvRmT3_T4_T5_mT6_P12ihipStream_tbENKUlT_T0_E_clISt17integral_constantIbLb0EESY_IbLb1EEEEDaSU_SV_EUlSU_E0_NS1_11comp_targetILNS1_3genE5ELNS1_11target_archE942ELNS1_3gpuE9ELNS1_3repE0EEENS1_30default_config_static_selectorELNS0_4arch9wavefront6targetE1EEEvT1_
; %bb.0:
	.section	.rodata,"a",@progbits
	.p2align	6, 0x0
	.amdhsa_kernel _ZN7rocprim17ROCPRIM_400000_NS6detail17trampoline_kernelINS0_14default_configENS1_20scan_config_selectorIN3c107complexIfEEEEZZNS1_9scan_implILNS1_25lookback_scan_determinismE0ELb0ELb0ES3_PKS7_PS7_S7_ZZZN2at6native31launch_logcumsumexp_cuda_kernelERKNSE_10TensorBaseESI_lENKUlvE_clEvENKUlvE2_clEvEUlS7_S7_E_S7_EEDaPvRmT3_T4_T5_mT6_P12ihipStream_tbENKUlT_T0_E_clISt17integral_constantIbLb0EESY_IbLb1EEEEDaSU_SV_EUlSU_E0_NS1_11comp_targetILNS1_3genE5ELNS1_11target_archE942ELNS1_3gpuE9ELNS1_3repE0EEENS1_30default_config_static_selectorELNS0_4arch9wavefront6targetE1EEEvT1_
		.amdhsa_group_segment_fixed_size 0
		.amdhsa_private_segment_fixed_size 0
		.amdhsa_kernarg_size 40
		.amdhsa_user_sgpr_count 6
		.amdhsa_user_sgpr_private_segment_buffer 1
		.amdhsa_user_sgpr_dispatch_ptr 0
		.amdhsa_user_sgpr_queue_ptr 0
		.amdhsa_user_sgpr_kernarg_segment_ptr 1
		.amdhsa_user_sgpr_dispatch_id 0
		.amdhsa_user_sgpr_flat_scratch_init 0
		.amdhsa_user_sgpr_private_segment_size 0
		.amdhsa_uses_dynamic_stack 0
		.amdhsa_system_sgpr_private_segment_wavefront_offset 0
		.amdhsa_system_sgpr_workgroup_id_x 1
		.amdhsa_system_sgpr_workgroup_id_y 0
		.amdhsa_system_sgpr_workgroup_id_z 0
		.amdhsa_system_sgpr_workgroup_info 0
		.amdhsa_system_vgpr_workitem_id 0
		.amdhsa_next_free_vgpr 1
		.amdhsa_next_free_sgpr 0
		.amdhsa_reserve_vcc 0
		.amdhsa_reserve_flat_scratch 0
		.amdhsa_float_round_mode_32 0
		.amdhsa_float_round_mode_16_64 0
		.amdhsa_float_denorm_mode_32 3
		.amdhsa_float_denorm_mode_16_64 3
		.amdhsa_dx10_clamp 1
		.amdhsa_ieee_mode 1
		.amdhsa_fp16_overflow 0
		.amdhsa_exception_fp_ieee_invalid_op 0
		.amdhsa_exception_fp_denorm_src 0
		.amdhsa_exception_fp_ieee_div_zero 0
		.amdhsa_exception_fp_ieee_overflow 0
		.amdhsa_exception_fp_ieee_underflow 0
		.amdhsa_exception_fp_ieee_inexact 0
		.amdhsa_exception_int_div_zero 0
	.end_amdhsa_kernel
	.section	.text._ZN7rocprim17ROCPRIM_400000_NS6detail17trampoline_kernelINS0_14default_configENS1_20scan_config_selectorIN3c107complexIfEEEEZZNS1_9scan_implILNS1_25lookback_scan_determinismE0ELb0ELb0ES3_PKS7_PS7_S7_ZZZN2at6native31launch_logcumsumexp_cuda_kernelERKNSE_10TensorBaseESI_lENKUlvE_clEvENKUlvE2_clEvEUlS7_S7_E_S7_EEDaPvRmT3_T4_T5_mT6_P12ihipStream_tbENKUlT_T0_E_clISt17integral_constantIbLb0EESY_IbLb1EEEEDaSU_SV_EUlSU_E0_NS1_11comp_targetILNS1_3genE5ELNS1_11target_archE942ELNS1_3gpuE9ELNS1_3repE0EEENS1_30default_config_static_selectorELNS0_4arch9wavefront6targetE1EEEvT1_,"axG",@progbits,_ZN7rocprim17ROCPRIM_400000_NS6detail17trampoline_kernelINS0_14default_configENS1_20scan_config_selectorIN3c107complexIfEEEEZZNS1_9scan_implILNS1_25lookback_scan_determinismE0ELb0ELb0ES3_PKS7_PS7_S7_ZZZN2at6native31launch_logcumsumexp_cuda_kernelERKNSE_10TensorBaseESI_lENKUlvE_clEvENKUlvE2_clEvEUlS7_S7_E_S7_EEDaPvRmT3_T4_T5_mT6_P12ihipStream_tbENKUlT_T0_E_clISt17integral_constantIbLb0EESY_IbLb1EEEEDaSU_SV_EUlSU_E0_NS1_11comp_targetILNS1_3genE5ELNS1_11target_archE942ELNS1_3gpuE9ELNS1_3repE0EEENS1_30default_config_static_selectorELNS0_4arch9wavefront6targetE1EEEvT1_,comdat
.Lfunc_end339:
	.size	_ZN7rocprim17ROCPRIM_400000_NS6detail17trampoline_kernelINS0_14default_configENS1_20scan_config_selectorIN3c107complexIfEEEEZZNS1_9scan_implILNS1_25lookback_scan_determinismE0ELb0ELb0ES3_PKS7_PS7_S7_ZZZN2at6native31launch_logcumsumexp_cuda_kernelERKNSE_10TensorBaseESI_lENKUlvE_clEvENKUlvE2_clEvEUlS7_S7_E_S7_EEDaPvRmT3_T4_T5_mT6_P12ihipStream_tbENKUlT_T0_E_clISt17integral_constantIbLb0EESY_IbLb1EEEEDaSU_SV_EUlSU_E0_NS1_11comp_targetILNS1_3genE5ELNS1_11target_archE942ELNS1_3gpuE9ELNS1_3repE0EEENS1_30default_config_static_selectorELNS0_4arch9wavefront6targetE1EEEvT1_, .Lfunc_end339-_ZN7rocprim17ROCPRIM_400000_NS6detail17trampoline_kernelINS0_14default_configENS1_20scan_config_selectorIN3c107complexIfEEEEZZNS1_9scan_implILNS1_25lookback_scan_determinismE0ELb0ELb0ES3_PKS7_PS7_S7_ZZZN2at6native31launch_logcumsumexp_cuda_kernelERKNSE_10TensorBaseESI_lENKUlvE_clEvENKUlvE2_clEvEUlS7_S7_E_S7_EEDaPvRmT3_T4_T5_mT6_P12ihipStream_tbENKUlT_T0_E_clISt17integral_constantIbLb0EESY_IbLb1EEEEDaSU_SV_EUlSU_E0_NS1_11comp_targetILNS1_3genE5ELNS1_11target_archE942ELNS1_3gpuE9ELNS1_3repE0EEENS1_30default_config_static_selectorELNS0_4arch9wavefront6targetE1EEEvT1_
                                        ; -- End function
	.set _ZN7rocprim17ROCPRIM_400000_NS6detail17trampoline_kernelINS0_14default_configENS1_20scan_config_selectorIN3c107complexIfEEEEZZNS1_9scan_implILNS1_25lookback_scan_determinismE0ELb0ELb0ES3_PKS7_PS7_S7_ZZZN2at6native31launch_logcumsumexp_cuda_kernelERKNSE_10TensorBaseESI_lENKUlvE_clEvENKUlvE2_clEvEUlS7_S7_E_S7_EEDaPvRmT3_T4_T5_mT6_P12ihipStream_tbENKUlT_T0_E_clISt17integral_constantIbLb0EESY_IbLb1EEEEDaSU_SV_EUlSU_E0_NS1_11comp_targetILNS1_3genE5ELNS1_11target_archE942ELNS1_3gpuE9ELNS1_3repE0EEENS1_30default_config_static_selectorELNS0_4arch9wavefront6targetE1EEEvT1_.num_vgpr, 0
	.set _ZN7rocprim17ROCPRIM_400000_NS6detail17trampoline_kernelINS0_14default_configENS1_20scan_config_selectorIN3c107complexIfEEEEZZNS1_9scan_implILNS1_25lookback_scan_determinismE0ELb0ELb0ES3_PKS7_PS7_S7_ZZZN2at6native31launch_logcumsumexp_cuda_kernelERKNSE_10TensorBaseESI_lENKUlvE_clEvENKUlvE2_clEvEUlS7_S7_E_S7_EEDaPvRmT3_T4_T5_mT6_P12ihipStream_tbENKUlT_T0_E_clISt17integral_constantIbLb0EESY_IbLb1EEEEDaSU_SV_EUlSU_E0_NS1_11comp_targetILNS1_3genE5ELNS1_11target_archE942ELNS1_3gpuE9ELNS1_3repE0EEENS1_30default_config_static_selectorELNS0_4arch9wavefront6targetE1EEEvT1_.num_agpr, 0
	.set _ZN7rocprim17ROCPRIM_400000_NS6detail17trampoline_kernelINS0_14default_configENS1_20scan_config_selectorIN3c107complexIfEEEEZZNS1_9scan_implILNS1_25lookback_scan_determinismE0ELb0ELb0ES3_PKS7_PS7_S7_ZZZN2at6native31launch_logcumsumexp_cuda_kernelERKNSE_10TensorBaseESI_lENKUlvE_clEvENKUlvE2_clEvEUlS7_S7_E_S7_EEDaPvRmT3_T4_T5_mT6_P12ihipStream_tbENKUlT_T0_E_clISt17integral_constantIbLb0EESY_IbLb1EEEEDaSU_SV_EUlSU_E0_NS1_11comp_targetILNS1_3genE5ELNS1_11target_archE942ELNS1_3gpuE9ELNS1_3repE0EEENS1_30default_config_static_selectorELNS0_4arch9wavefront6targetE1EEEvT1_.numbered_sgpr, 0
	.set _ZN7rocprim17ROCPRIM_400000_NS6detail17trampoline_kernelINS0_14default_configENS1_20scan_config_selectorIN3c107complexIfEEEEZZNS1_9scan_implILNS1_25lookback_scan_determinismE0ELb0ELb0ES3_PKS7_PS7_S7_ZZZN2at6native31launch_logcumsumexp_cuda_kernelERKNSE_10TensorBaseESI_lENKUlvE_clEvENKUlvE2_clEvEUlS7_S7_E_S7_EEDaPvRmT3_T4_T5_mT6_P12ihipStream_tbENKUlT_T0_E_clISt17integral_constantIbLb0EESY_IbLb1EEEEDaSU_SV_EUlSU_E0_NS1_11comp_targetILNS1_3genE5ELNS1_11target_archE942ELNS1_3gpuE9ELNS1_3repE0EEENS1_30default_config_static_selectorELNS0_4arch9wavefront6targetE1EEEvT1_.num_named_barrier, 0
	.set _ZN7rocprim17ROCPRIM_400000_NS6detail17trampoline_kernelINS0_14default_configENS1_20scan_config_selectorIN3c107complexIfEEEEZZNS1_9scan_implILNS1_25lookback_scan_determinismE0ELb0ELb0ES3_PKS7_PS7_S7_ZZZN2at6native31launch_logcumsumexp_cuda_kernelERKNSE_10TensorBaseESI_lENKUlvE_clEvENKUlvE2_clEvEUlS7_S7_E_S7_EEDaPvRmT3_T4_T5_mT6_P12ihipStream_tbENKUlT_T0_E_clISt17integral_constantIbLb0EESY_IbLb1EEEEDaSU_SV_EUlSU_E0_NS1_11comp_targetILNS1_3genE5ELNS1_11target_archE942ELNS1_3gpuE9ELNS1_3repE0EEENS1_30default_config_static_selectorELNS0_4arch9wavefront6targetE1EEEvT1_.private_seg_size, 0
	.set _ZN7rocprim17ROCPRIM_400000_NS6detail17trampoline_kernelINS0_14default_configENS1_20scan_config_selectorIN3c107complexIfEEEEZZNS1_9scan_implILNS1_25lookback_scan_determinismE0ELb0ELb0ES3_PKS7_PS7_S7_ZZZN2at6native31launch_logcumsumexp_cuda_kernelERKNSE_10TensorBaseESI_lENKUlvE_clEvENKUlvE2_clEvEUlS7_S7_E_S7_EEDaPvRmT3_T4_T5_mT6_P12ihipStream_tbENKUlT_T0_E_clISt17integral_constantIbLb0EESY_IbLb1EEEEDaSU_SV_EUlSU_E0_NS1_11comp_targetILNS1_3genE5ELNS1_11target_archE942ELNS1_3gpuE9ELNS1_3repE0EEENS1_30default_config_static_selectorELNS0_4arch9wavefront6targetE1EEEvT1_.uses_vcc, 0
	.set _ZN7rocprim17ROCPRIM_400000_NS6detail17trampoline_kernelINS0_14default_configENS1_20scan_config_selectorIN3c107complexIfEEEEZZNS1_9scan_implILNS1_25lookback_scan_determinismE0ELb0ELb0ES3_PKS7_PS7_S7_ZZZN2at6native31launch_logcumsumexp_cuda_kernelERKNSE_10TensorBaseESI_lENKUlvE_clEvENKUlvE2_clEvEUlS7_S7_E_S7_EEDaPvRmT3_T4_T5_mT6_P12ihipStream_tbENKUlT_T0_E_clISt17integral_constantIbLb0EESY_IbLb1EEEEDaSU_SV_EUlSU_E0_NS1_11comp_targetILNS1_3genE5ELNS1_11target_archE942ELNS1_3gpuE9ELNS1_3repE0EEENS1_30default_config_static_selectorELNS0_4arch9wavefront6targetE1EEEvT1_.uses_flat_scratch, 0
	.set _ZN7rocprim17ROCPRIM_400000_NS6detail17trampoline_kernelINS0_14default_configENS1_20scan_config_selectorIN3c107complexIfEEEEZZNS1_9scan_implILNS1_25lookback_scan_determinismE0ELb0ELb0ES3_PKS7_PS7_S7_ZZZN2at6native31launch_logcumsumexp_cuda_kernelERKNSE_10TensorBaseESI_lENKUlvE_clEvENKUlvE2_clEvEUlS7_S7_E_S7_EEDaPvRmT3_T4_T5_mT6_P12ihipStream_tbENKUlT_T0_E_clISt17integral_constantIbLb0EESY_IbLb1EEEEDaSU_SV_EUlSU_E0_NS1_11comp_targetILNS1_3genE5ELNS1_11target_archE942ELNS1_3gpuE9ELNS1_3repE0EEENS1_30default_config_static_selectorELNS0_4arch9wavefront6targetE1EEEvT1_.has_dyn_sized_stack, 0
	.set _ZN7rocprim17ROCPRIM_400000_NS6detail17trampoline_kernelINS0_14default_configENS1_20scan_config_selectorIN3c107complexIfEEEEZZNS1_9scan_implILNS1_25lookback_scan_determinismE0ELb0ELb0ES3_PKS7_PS7_S7_ZZZN2at6native31launch_logcumsumexp_cuda_kernelERKNSE_10TensorBaseESI_lENKUlvE_clEvENKUlvE2_clEvEUlS7_S7_E_S7_EEDaPvRmT3_T4_T5_mT6_P12ihipStream_tbENKUlT_T0_E_clISt17integral_constantIbLb0EESY_IbLb1EEEEDaSU_SV_EUlSU_E0_NS1_11comp_targetILNS1_3genE5ELNS1_11target_archE942ELNS1_3gpuE9ELNS1_3repE0EEENS1_30default_config_static_selectorELNS0_4arch9wavefront6targetE1EEEvT1_.has_recursion, 0
	.set _ZN7rocprim17ROCPRIM_400000_NS6detail17trampoline_kernelINS0_14default_configENS1_20scan_config_selectorIN3c107complexIfEEEEZZNS1_9scan_implILNS1_25lookback_scan_determinismE0ELb0ELb0ES3_PKS7_PS7_S7_ZZZN2at6native31launch_logcumsumexp_cuda_kernelERKNSE_10TensorBaseESI_lENKUlvE_clEvENKUlvE2_clEvEUlS7_S7_E_S7_EEDaPvRmT3_T4_T5_mT6_P12ihipStream_tbENKUlT_T0_E_clISt17integral_constantIbLb0EESY_IbLb1EEEEDaSU_SV_EUlSU_E0_NS1_11comp_targetILNS1_3genE5ELNS1_11target_archE942ELNS1_3gpuE9ELNS1_3repE0EEENS1_30default_config_static_selectorELNS0_4arch9wavefront6targetE1EEEvT1_.has_indirect_call, 0
	.section	.AMDGPU.csdata,"",@progbits
; Kernel info:
; codeLenInByte = 0
; TotalNumSgprs: 4
; NumVgprs: 0
; ScratchSize: 0
; MemoryBound: 0
; FloatMode: 240
; IeeeMode: 1
; LDSByteSize: 0 bytes/workgroup (compile time only)
; SGPRBlocks: 0
; VGPRBlocks: 0
; NumSGPRsForWavesPerEU: 4
; NumVGPRsForWavesPerEU: 1
; Occupancy: 10
; WaveLimiterHint : 0
; COMPUTE_PGM_RSRC2:SCRATCH_EN: 0
; COMPUTE_PGM_RSRC2:USER_SGPR: 6
; COMPUTE_PGM_RSRC2:TRAP_HANDLER: 0
; COMPUTE_PGM_RSRC2:TGID_X_EN: 1
; COMPUTE_PGM_RSRC2:TGID_Y_EN: 0
; COMPUTE_PGM_RSRC2:TGID_Z_EN: 0
; COMPUTE_PGM_RSRC2:TIDIG_COMP_CNT: 0
	.section	.text._ZN7rocprim17ROCPRIM_400000_NS6detail17trampoline_kernelINS0_14default_configENS1_20scan_config_selectorIN3c107complexIfEEEEZZNS1_9scan_implILNS1_25lookback_scan_determinismE0ELb0ELb0ES3_PKS7_PS7_S7_ZZZN2at6native31launch_logcumsumexp_cuda_kernelERKNSE_10TensorBaseESI_lENKUlvE_clEvENKUlvE2_clEvEUlS7_S7_E_S7_EEDaPvRmT3_T4_T5_mT6_P12ihipStream_tbENKUlT_T0_E_clISt17integral_constantIbLb0EESY_IbLb1EEEEDaSU_SV_EUlSU_E0_NS1_11comp_targetILNS1_3genE4ELNS1_11target_archE910ELNS1_3gpuE8ELNS1_3repE0EEENS1_30default_config_static_selectorELNS0_4arch9wavefront6targetE1EEEvT1_,"axG",@progbits,_ZN7rocprim17ROCPRIM_400000_NS6detail17trampoline_kernelINS0_14default_configENS1_20scan_config_selectorIN3c107complexIfEEEEZZNS1_9scan_implILNS1_25lookback_scan_determinismE0ELb0ELb0ES3_PKS7_PS7_S7_ZZZN2at6native31launch_logcumsumexp_cuda_kernelERKNSE_10TensorBaseESI_lENKUlvE_clEvENKUlvE2_clEvEUlS7_S7_E_S7_EEDaPvRmT3_T4_T5_mT6_P12ihipStream_tbENKUlT_T0_E_clISt17integral_constantIbLb0EESY_IbLb1EEEEDaSU_SV_EUlSU_E0_NS1_11comp_targetILNS1_3genE4ELNS1_11target_archE910ELNS1_3gpuE8ELNS1_3repE0EEENS1_30default_config_static_selectorELNS0_4arch9wavefront6targetE1EEEvT1_,comdat
	.globl	_ZN7rocprim17ROCPRIM_400000_NS6detail17trampoline_kernelINS0_14default_configENS1_20scan_config_selectorIN3c107complexIfEEEEZZNS1_9scan_implILNS1_25lookback_scan_determinismE0ELb0ELb0ES3_PKS7_PS7_S7_ZZZN2at6native31launch_logcumsumexp_cuda_kernelERKNSE_10TensorBaseESI_lENKUlvE_clEvENKUlvE2_clEvEUlS7_S7_E_S7_EEDaPvRmT3_T4_T5_mT6_P12ihipStream_tbENKUlT_T0_E_clISt17integral_constantIbLb0EESY_IbLb1EEEEDaSU_SV_EUlSU_E0_NS1_11comp_targetILNS1_3genE4ELNS1_11target_archE910ELNS1_3gpuE8ELNS1_3repE0EEENS1_30default_config_static_selectorELNS0_4arch9wavefront6targetE1EEEvT1_ ; -- Begin function _ZN7rocprim17ROCPRIM_400000_NS6detail17trampoline_kernelINS0_14default_configENS1_20scan_config_selectorIN3c107complexIfEEEEZZNS1_9scan_implILNS1_25lookback_scan_determinismE0ELb0ELb0ES3_PKS7_PS7_S7_ZZZN2at6native31launch_logcumsumexp_cuda_kernelERKNSE_10TensorBaseESI_lENKUlvE_clEvENKUlvE2_clEvEUlS7_S7_E_S7_EEDaPvRmT3_T4_T5_mT6_P12ihipStream_tbENKUlT_T0_E_clISt17integral_constantIbLb0EESY_IbLb1EEEEDaSU_SV_EUlSU_E0_NS1_11comp_targetILNS1_3genE4ELNS1_11target_archE910ELNS1_3gpuE8ELNS1_3repE0EEENS1_30default_config_static_selectorELNS0_4arch9wavefront6targetE1EEEvT1_
	.p2align	8
	.type	_ZN7rocprim17ROCPRIM_400000_NS6detail17trampoline_kernelINS0_14default_configENS1_20scan_config_selectorIN3c107complexIfEEEEZZNS1_9scan_implILNS1_25lookback_scan_determinismE0ELb0ELb0ES3_PKS7_PS7_S7_ZZZN2at6native31launch_logcumsumexp_cuda_kernelERKNSE_10TensorBaseESI_lENKUlvE_clEvENKUlvE2_clEvEUlS7_S7_E_S7_EEDaPvRmT3_T4_T5_mT6_P12ihipStream_tbENKUlT_T0_E_clISt17integral_constantIbLb0EESY_IbLb1EEEEDaSU_SV_EUlSU_E0_NS1_11comp_targetILNS1_3genE4ELNS1_11target_archE910ELNS1_3gpuE8ELNS1_3repE0EEENS1_30default_config_static_selectorELNS0_4arch9wavefront6targetE1EEEvT1_,@function
_ZN7rocprim17ROCPRIM_400000_NS6detail17trampoline_kernelINS0_14default_configENS1_20scan_config_selectorIN3c107complexIfEEEEZZNS1_9scan_implILNS1_25lookback_scan_determinismE0ELb0ELb0ES3_PKS7_PS7_S7_ZZZN2at6native31launch_logcumsumexp_cuda_kernelERKNSE_10TensorBaseESI_lENKUlvE_clEvENKUlvE2_clEvEUlS7_S7_E_S7_EEDaPvRmT3_T4_T5_mT6_P12ihipStream_tbENKUlT_T0_E_clISt17integral_constantIbLb0EESY_IbLb1EEEEDaSU_SV_EUlSU_E0_NS1_11comp_targetILNS1_3genE4ELNS1_11target_archE910ELNS1_3gpuE8ELNS1_3repE0EEENS1_30default_config_static_selectorELNS0_4arch9wavefront6targetE1EEEvT1_: ; @_ZN7rocprim17ROCPRIM_400000_NS6detail17trampoline_kernelINS0_14default_configENS1_20scan_config_selectorIN3c107complexIfEEEEZZNS1_9scan_implILNS1_25lookback_scan_determinismE0ELb0ELb0ES3_PKS7_PS7_S7_ZZZN2at6native31launch_logcumsumexp_cuda_kernelERKNSE_10TensorBaseESI_lENKUlvE_clEvENKUlvE2_clEvEUlS7_S7_E_S7_EEDaPvRmT3_T4_T5_mT6_P12ihipStream_tbENKUlT_T0_E_clISt17integral_constantIbLb0EESY_IbLb1EEEEDaSU_SV_EUlSU_E0_NS1_11comp_targetILNS1_3genE4ELNS1_11target_archE910ELNS1_3gpuE8ELNS1_3repE0EEENS1_30default_config_static_selectorELNS0_4arch9wavefront6targetE1EEEvT1_
; %bb.0:
	.section	.rodata,"a",@progbits
	.p2align	6, 0x0
	.amdhsa_kernel _ZN7rocprim17ROCPRIM_400000_NS6detail17trampoline_kernelINS0_14default_configENS1_20scan_config_selectorIN3c107complexIfEEEEZZNS1_9scan_implILNS1_25lookback_scan_determinismE0ELb0ELb0ES3_PKS7_PS7_S7_ZZZN2at6native31launch_logcumsumexp_cuda_kernelERKNSE_10TensorBaseESI_lENKUlvE_clEvENKUlvE2_clEvEUlS7_S7_E_S7_EEDaPvRmT3_T4_T5_mT6_P12ihipStream_tbENKUlT_T0_E_clISt17integral_constantIbLb0EESY_IbLb1EEEEDaSU_SV_EUlSU_E0_NS1_11comp_targetILNS1_3genE4ELNS1_11target_archE910ELNS1_3gpuE8ELNS1_3repE0EEENS1_30default_config_static_selectorELNS0_4arch9wavefront6targetE1EEEvT1_
		.amdhsa_group_segment_fixed_size 0
		.amdhsa_private_segment_fixed_size 0
		.amdhsa_kernarg_size 40
		.amdhsa_user_sgpr_count 6
		.amdhsa_user_sgpr_private_segment_buffer 1
		.amdhsa_user_sgpr_dispatch_ptr 0
		.amdhsa_user_sgpr_queue_ptr 0
		.amdhsa_user_sgpr_kernarg_segment_ptr 1
		.amdhsa_user_sgpr_dispatch_id 0
		.amdhsa_user_sgpr_flat_scratch_init 0
		.amdhsa_user_sgpr_private_segment_size 0
		.amdhsa_uses_dynamic_stack 0
		.amdhsa_system_sgpr_private_segment_wavefront_offset 0
		.amdhsa_system_sgpr_workgroup_id_x 1
		.amdhsa_system_sgpr_workgroup_id_y 0
		.amdhsa_system_sgpr_workgroup_id_z 0
		.amdhsa_system_sgpr_workgroup_info 0
		.amdhsa_system_vgpr_workitem_id 0
		.amdhsa_next_free_vgpr 1
		.amdhsa_next_free_sgpr 0
		.amdhsa_reserve_vcc 0
		.amdhsa_reserve_flat_scratch 0
		.amdhsa_float_round_mode_32 0
		.amdhsa_float_round_mode_16_64 0
		.amdhsa_float_denorm_mode_32 3
		.amdhsa_float_denorm_mode_16_64 3
		.amdhsa_dx10_clamp 1
		.amdhsa_ieee_mode 1
		.amdhsa_fp16_overflow 0
		.amdhsa_exception_fp_ieee_invalid_op 0
		.amdhsa_exception_fp_denorm_src 0
		.amdhsa_exception_fp_ieee_div_zero 0
		.amdhsa_exception_fp_ieee_overflow 0
		.amdhsa_exception_fp_ieee_underflow 0
		.amdhsa_exception_fp_ieee_inexact 0
		.amdhsa_exception_int_div_zero 0
	.end_amdhsa_kernel
	.section	.text._ZN7rocprim17ROCPRIM_400000_NS6detail17trampoline_kernelINS0_14default_configENS1_20scan_config_selectorIN3c107complexIfEEEEZZNS1_9scan_implILNS1_25lookback_scan_determinismE0ELb0ELb0ES3_PKS7_PS7_S7_ZZZN2at6native31launch_logcumsumexp_cuda_kernelERKNSE_10TensorBaseESI_lENKUlvE_clEvENKUlvE2_clEvEUlS7_S7_E_S7_EEDaPvRmT3_T4_T5_mT6_P12ihipStream_tbENKUlT_T0_E_clISt17integral_constantIbLb0EESY_IbLb1EEEEDaSU_SV_EUlSU_E0_NS1_11comp_targetILNS1_3genE4ELNS1_11target_archE910ELNS1_3gpuE8ELNS1_3repE0EEENS1_30default_config_static_selectorELNS0_4arch9wavefront6targetE1EEEvT1_,"axG",@progbits,_ZN7rocprim17ROCPRIM_400000_NS6detail17trampoline_kernelINS0_14default_configENS1_20scan_config_selectorIN3c107complexIfEEEEZZNS1_9scan_implILNS1_25lookback_scan_determinismE0ELb0ELb0ES3_PKS7_PS7_S7_ZZZN2at6native31launch_logcumsumexp_cuda_kernelERKNSE_10TensorBaseESI_lENKUlvE_clEvENKUlvE2_clEvEUlS7_S7_E_S7_EEDaPvRmT3_T4_T5_mT6_P12ihipStream_tbENKUlT_T0_E_clISt17integral_constantIbLb0EESY_IbLb1EEEEDaSU_SV_EUlSU_E0_NS1_11comp_targetILNS1_3genE4ELNS1_11target_archE910ELNS1_3gpuE8ELNS1_3repE0EEENS1_30default_config_static_selectorELNS0_4arch9wavefront6targetE1EEEvT1_,comdat
.Lfunc_end340:
	.size	_ZN7rocprim17ROCPRIM_400000_NS6detail17trampoline_kernelINS0_14default_configENS1_20scan_config_selectorIN3c107complexIfEEEEZZNS1_9scan_implILNS1_25lookback_scan_determinismE0ELb0ELb0ES3_PKS7_PS7_S7_ZZZN2at6native31launch_logcumsumexp_cuda_kernelERKNSE_10TensorBaseESI_lENKUlvE_clEvENKUlvE2_clEvEUlS7_S7_E_S7_EEDaPvRmT3_T4_T5_mT6_P12ihipStream_tbENKUlT_T0_E_clISt17integral_constantIbLb0EESY_IbLb1EEEEDaSU_SV_EUlSU_E0_NS1_11comp_targetILNS1_3genE4ELNS1_11target_archE910ELNS1_3gpuE8ELNS1_3repE0EEENS1_30default_config_static_selectorELNS0_4arch9wavefront6targetE1EEEvT1_, .Lfunc_end340-_ZN7rocprim17ROCPRIM_400000_NS6detail17trampoline_kernelINS0_14default_configENS1_20scan_config_selectorIN3c107complexIfEEEEZZNS1_9scan_implILNS1_25lookback_scan_determinismE0ELb0ELb0ES3_PKS7_PS7_S7_ZZZN2at6native31launch_logcumsumexp_cuda_kernelERKNSE_10TensorBaseESI_lENKUlvE_clEvENKUlvE2_clEvEUlS7_S7_E_S7_EEDaPvRmT3_T4_T5_mT6_P12ihipStream_tbENKUlT_T0_E_clISt17integral_constantIbLb0EESY_IbLb1EEEEDaSU_SV_EUlSU_E0_NS1_11comp_targetILNS1_3genE4ELNS1_11target_archE910ELNS1_3gpuE8ELNS1_3repE0EEENS1_30default_config_static_selectorELNS0_4arch9wavefront6targetE1EEEvT1_
                                        ; -- End function
	.set _ZN7rocprim17ROCPRIM_400000_NS6detail17trampoline_kernelINS0_14default_configENS1_20scan_config_selectorIN3c107complexIfEEEEZZNS1_9scan_implILNS1_25lookback_scan_determinismE0ELb0ELb0ES3_PKS7_PS7_S7_ZZZN2at6native31launch_logcumsumexp_cuda_kernelERKNSE_10TensorBaseESI_lENKUlvE_clEvENKUlvE2_clEvEUlS7_S7_E_S7_EEDaPvRmT3_T4_T5_mT6_P12ihipStream_tbENKUlT_T0_E_clISt17integral_constantIbLb0EESY_IbLb1EEEEDaSU_SV_EUlSU_E0_NS1_11comp_targetILNS1_3genE4ELNS1_11target_archE910ELNS1_3gpuE8ELNS1_3repE0EEENS1_30default_config_static_selectorELNS0_4arch9wavefront6targetE1EEEvT1_.num_vgpr, 0
	.set _ZN7rocprim17ROCPRIM_400000_NS6detail17trampoline_kernelINS0_14default_configENS1_20scan_config_selectorIN3c107complexIfEEEEZZNS1_9scan_implILNS1_25lookback_scan_determinismE0ELb0ELb0ES3_PKS7_PS7_S7_ZZZN2at6native31launch_logcumsumexp_cuda_kernelERKNSE_10TensorBaseESI_lENKUlvE_clEvENKUlvE2_clEvEUlS7_S7_E_S7_EEDaPvRmT3_T4_T5_mT6_P12ihipStream_tbENKUlT_T0_E_clISt17integral_constantIbLb0EESY_IbLb1EEEEDaSU_SV_EUlSU_E0_NS1_11comp_targetILNS1_3genE4ELNS1_11target_archE910ELNS1_3gpuE8ELNS1_3repE0EEENS1_30default_config_static_selectorELNS0_4arch9wavefront6targetE1EEEvT1_.num_agpr, 0
	.set _ZN7rocprim17ROCPRIM_400000_NS6detail17trampoline_kernelINS0_14default_configENS1_20scan_config_selectorIN3c107complexIfEEEEZZNS1_9scan_implILNS1_25lookback_scan_determinismE0ELb0ELb0ES3_PKS7_PS7_S7_ZZZN2at6native31launch_logcumsumexp_cuda_kernelERKNSE_10TensorBaseESI_lENKUlvE_clEvENKUlvE2_clEvEUlS7_S7_E_S7_EEDaPvRmT3_T4_T5_mT6_P12ihipStream_tbENKUlT_T0_E_clISt17integral_constantIbLb0EESY_IbLb1EEEEDaSU_SV_EUlSU_E0_NS1_11comp_targetILNS1_3genE4ELNS1_11target_archE910ELNS1_3gpuE8ELNS1_3repE0EEENS1_30default_config_static_selectorELNS0_4arch9wavefront6targetE1EEEvT1_.numbered_sgpr, 0
	.set _ZN7rocprim17ROCPRIM_400000_NS6detail17trampoline_kernelINS0_14default_configENS1_20scan_config_selectorIN3c107complexIfEEEEZZNS1_9scan_implILNS1_25lookback_scan_determinismE0ELb0ELb0ES3_PKS7_PS7_S7_ZZZN2at6native31launch_logcumsumexp_cuda_kernelERKNSE_10TensorBaseESI_lENKUlvE_clEvENKUlvE2_clEvEUlS7_S7_E_S7_EEDaPvRmT3_T4_T5_mT6_P12ihipStream_tbENKUlT_T0_E_clISt17integral_constantIbLb0EESY_IbLb1EEEEDaSU_SV_EUlSU_E0_NS1_11comp_targetILNS1_3genE4ELNS1_11target_archE910ELNS1_3gpuE8ELNS1_3repE0EEENS1_30default_config_static_selectorELNS0_4arch9wavefront6targetE1EEEvT1_.num_named_barrier, 0
	.set _ZN7rocprim17ROCPRIM_400000_NS6detail17trampoline_kernelINS0_14default_configENS1_20scan_config_selectorIN3c107complexIfEEEEZZNS1_9scan_implILNS1_25lookback_scan_determinismE0ELb0ELb0ES3_PKS7_PS7_S7_ZZZN2at6native31launch_logcumsumexp_cuda_kernelERKNSE_10TensorBaseESI_lENKUlvE_clEvENKUlvE2_clEvEUlS7_S7_E_S7_EEDaPvRmT3_T4_T5_mT6_P12ihipStream_tbENKUlT_T0_E_clISt17integral_constantIbLb0EESY_IbLb1EEEEDaSU_SV_EUlSU_E0_NS1_11comp_targetILNS1_3genE4ELNS1_11target_archE910ELNS1_3gpuE8ELNS1_3repE0EEENS1_30default_config_static_selectorELNS0_4arch9wavefront6targetE1EEEvT1_.private_seg_size, 0
	.set _ZN7rocprim17ROCPRIM_400000_NS6detail17trampoline_kernelINS0_14default_configENS1_20scan_config_selectorIN3c107complexIfEEEEZZNS1_9scan_implILNS1_25lookback_scan_determinismE0ELb0ELb0ES3_PKS7_PS7_S7_ZZZN2at6native31launch_logcumsumexp_cuda_kernelERKNSE_10TensorBaseESI_lENKUlvE_clEvENKUlvE2_clEvEUlS7_S7_E_S7_EEDaPvRmT3_T4_T5_mT6_P12ihipStream_tbENKUlT_T0_E_clISt17integral_constantIbLb0EESY_IbLb1EEEEDaSU_SV_EUlSU_E0_NS1_11comp_targetILNS1_3genE4ELNS1_11target_archE910ELNS1_3gpuE8ELNS1_3repE0EEENS1_30default_config_static_selectorELNS0_4arch9wavefront6targetE1EEEvT1_.uses_vcc, 0
	.set _ZN7rocprim17ROCPRIM_400000_NS6detail17trampoline_kernelINS0_14default_configENS1_20scan_config_selectorIN3c107complexIfEEEEZZNS1_9scan_implILNS1_25lookback_scan_determinismE0ELb0ELb0ES3_PKS7_PS7_S7_ZZZN2at6native31launch_logcumsumexp_cuda_kernelERKNSE_10TensorBaseESI_lENKUlvE_clEvENKUlvE2_clEvEUlS7_S7_E_S7_EEDaPvRmT3_T4_T5_mT6_P12ihipStream_tbENKUlT_T0_E_clISt17integral_constantIbLb0EESY_IbLb1EEEEDaSU_SV_EUlSU_E0_NS1_11comp_targetILNS1_3genE4ELNS1_11target_archE910ELNS1_3gpuE8ELNS1_3repE0EEENS1_30default_config_static_selectorELNS0_4arch9wavefront6targetE1EEEvT1_.uses_flat_scratch, 0
	.set _ZN7rocprim17ROCPRIM_400000_NS6detail17trampoline_kernelINS0_14default_configENS1_20scan_config_selectorIN3c107complexIfEEEEZZNS1_9scan_implILNS1_25lookback_scan_determinismE0ELb0ELb0ES3_PKS7_PS7_S7_ZZZN2at6native31launch_logcumsumexp_cuda_kernelERKNSE_10TensorBaseESI_lENKUlvE_clEvENKUlvE2_clEvEUlS7_S7_E_S7_EEDaPvRmT3_T4_T5_mT6_P12ihipStream_tbENKUlT_T0_E_clISt17integral_constantIbLb0EESY_IbLb1EEEEDaSU_SV_EUlSU_E0_NS1_11comp_targetILNS1_3genE4ELNS1_11target_archE910ELNS1_3gpuE8ELNS1_3repE0EEENS1_30default_config_static_selectorELNS0_4arch9wavefront6targetE1EEEvT1_.has_dyn_sized_stack, 0
	.set _ZN7rocprim17ROCPRIM_400000_NS6detail17trampoline_kernelINS0_14default_configENS1_20scan_config_selectorIN3c107complexIfEEEEZZNS1_9scan_implILNS1_25lookback_scan_determinismE0ELb0ELb0ES3_PKS7_PS7_S7_ZZZN2at6native31launch_logcumsumexp_cuda_kernelERKNSE_10TensorBaseESI_lENKUlvE_clEvENKUlvE2_clEvEUlS7_S7_E_S7_EEDaPvRmT3_T4_T5_mT6_P12ihipStream_tbENKUlT_T0_E_clISt17integral_constantIbLb0EESY_IbLb1EEEEDaSU_SV_EUlSU_E0_NS1_11comp_targetILNS1_3genE4ELNS1_11target_archE910ELNS1_3gpuE8ELNS1_3repE0EEENS1_30default_config_static_selectorELNS0_4arch9wavefront6targetE1EEEvT1_.has_recursion, 0
	.set _ZN7rocprim17ROCPRIM_400000_NS6detail17trampoline_kernelINS0_14default_configENS1_20scan_config_selectorIN3c107complexIfEEEEZZNS1_9scan_implILNS1_25lookback_scan_determinismE0ELb0ELb0ES3_PKS7_PS7_S7_ZZZN2at6native31launch_logcumsumexp_cuda_kernelERKNSE_10TensorBaseESI_lENKUlvE_clEvENKUlvE2_clEvEUlS7_S7_E_S7_EEDaPvRmT3_T4_T5_mT6_P12ihipStream_tbENKUlT_T0_E_clISt17integral_constantIbLb0EESY_IbLb1EEEEDaSU_SV_EUlSU_E0_NS1_11comp_targetILNS1_3genE4ELNS1_11target_archE910ELNS1_3gpuE8ELNS1_3repE0EEENS1_30default_config_static_selectorELNS0_4arch9wavefront6targetE1EEEvT1_.has_indirect_call, 0
	.section	.AMDGPU.csdata,"",@progbits
; Kernel info:
; codeLenInByte = 0
; TotalNumSgprs: 4
; NumVgprs: 0
; ScratchSize: 0
; MemoryBound: 0
; FloatMode: 240
; IeeeMode: 1
; LDSByteSize: 0 bytes/workgroup (compile time only)
; SGPRBlocks: 0
; VGPRBlocks: 0
; NumSGPRsForWavesPerEU: 4
; NumVGPRsForWavesPerEU: 1
; Occupancy: 10
; WaveLimiterHint : 0
; COMPUTE_PGM_RSRC2:SCRATCH_EN: 0
; COMPUTE_PGM_RSRC2:USER_SGPR: 6
; COMPUTE_PGM_RSRC2:TRAP_HANDLER: 0
; COMPUTE_PGM_RSRC2:TGID_X_EN: 1
; COMPUTE_PGM_RSRC2:TGID_Y_EN: 0
; COMPUTE_PGM_RSRC2:TGID_Z_EN: 0
; COMPUTE_PGM_RSRC2:TIDIG_COMP_CNT: 0
	.section	.text._ZN7rocprim17ROCPRIM_400000_NS6detail17trampoline_kernelINS0_14default_configENS1_20scan_config_selectorIN3c107complexIfEEEEZZNS1_9scan_implILNS1_25lookback_scan_determinismE0ELb0ELb0ES3_PKS7_PS7_S7_ZZZN2at6native31launch_logcumsumexp_cuda_kernelERKNSE_10TensorBaseESI_lENKUlvE_clEvENKUlvE2_clEvEUlS7_S7_E_S7_EEDaPvRmT3_T4_T5_mT6_P12ihipStream_tbENKUlT_T0_E_clISt17integral_constantIbLb0EESY_IbLb1EEEEDaSU_SV_EUlSU_E0_NS1_11comp_targetILNS1_3genE3ELNS1_11target_archE908ELNS1_3gpuE7ELNS1_3repE0EEENS1_30default_config_static_selectorELNS0_4arch9wavefront6targetE1EEEvT1_,"axG",@progbits,_ZN7rocprim17ROCPRIM_400000_NS6detail17trampoline_kernelINS0_14default_configENS1_20scan_config_selectorIN3c107complexIfEEEEZZNS1_9scan_implILNS1_25lookback_scan_determinismE0ELb0ELb0ES3_PKS7_PS7_S7_ZZZN2at6native31launch_logcumsumexp_cuda_kernelERKNSE_10TensorBaseESI_lENKUlvE_clEvENKUlvE2_clEvEUlS7_S7_E_S7_EEDaPvRmT3_T4_T5_mT6_P12ihipStream_tbENKUlT_T0_E_clISt17integral_constantIbLb0EESY_IbLb1EEEEDaSU_SV_EUlSU_E0_NS1_11comp_targetILNS1_3genE3ELNS1_11target_archE908ELNS1_3gpuE7ELNS1_3repE0EEENS1_30default_config_static_selectorELNS0_4arch9wavefront6targetE1EEEvT1_,comdat
	.globl	_ZN7rocprim17ROCPRIM_400000_NS6detail17trampoline_kernelINS0_14default_configENS1_20scan_config_selectorIN3c107complexIfEEEEZZNS1_9scan_implILNS1_25lookback_scan_determinismE0ELb0ELb0ES3_PKS7_PS7_S7_ZZZN2at6native31launch_logcumsumexp_cuda_kernelERKNSE_10TensorBaseESI_lENKUlvE_clEvENKUlvE2_clEvEUlS7_S7_E_S7_EEDaPvRmT3_T4_T5_mT6_P12ihipStream_tbENKUlT_T0_E_clISt17integral_constantIbLb0EESY_IbLb1EEEEDaSU_SV_EUlSU_E0_NS1_11comp_targetILNS1_3genE3ELNS1_11target_archE908ELNS1_3gpuE7ELNS1_3repE0EEENS1_30default_config_static_selectorELNS0_4arch9wavefront6targetE1EEEvT1_ ; -- Begin function _ZN7rocprim17ROCPRIM_400000_NS6detail17trampoline_kernelINS0_14default_configENS1_20scan_config_selectorIN3c107complexIfEEEEZZNS1_9scan_implILNS1_25lookback_scan_determinismE0ELb0ELb0ES3_PKS7_PS7_S7_ZZZN2at6native31launch_logcumsumexp_cuda_kernelERKNSE_10TensorBaseESI_lENKUlvE_clEvENKUlvE2_clEvEUlS7_S7_E_S7_EEDaPvRmT3_T4_T5_mT6_P12ihipStream_tbENKUlT_T0_E_clISt17integral_constantIbLb0EESY_IbLb1EEEEDaSU_SV_EUlSU_E0_NS1_11comp_targetILNS1_3genE3ELNS1_11target_archE908ELNS1_3gpuE7ELNS1_3repE0EEENS1_30default_config_static_selectorELNS0_4arch9wavefront6targetE1EEEvT1_
	.p2align	8
	.type	_ZN7rocprim17ROCPRIM_400000_NS6detail17trampoline_kernelINS0_14default_configENS1_20scan_config_selectorIN3c107complexIfEEEEZZNS1_9scan_implILNS1_25lookback_scan_determinismE0ELb0ELb0ES3_PKS7_PS7_S7_ZZZN2at6native31launch_logcumsumexp_cuda_kernelERKNSE_10TensorBaseESI_lENKUlvE_clEvENKUlvE2_clEvEUlS7_S7_E_S7_EEDaPvRmT3_T4_T5_mT6_P12ihipStream_tbENKUlT_T0_E_clISt17integral_constantIbLb0EESY_IbLb1EEEEDaSU_SV_EUlSU_E0_NS1_11comp_targetILNS1_3genE3ELNS1_11target_archE908ELNS1_3gpuE7ELNS1_3repE0EEENS1_30default_config_static_selectorELNS0_4arch9wavefront6targetE1EEEvT1_,@function
_ZN7rocprim17ROCPRIM_400000_NS6detail17trampoline_kernelINS0_14default_configENS1_20scan_config_selectorIN3c107complexIfEEEEZZNS1_9scan_implILNS1_25lookback_scan_determinismE0ELb0ELb0ES3_PKS7_PS7_S7_ZZZN2at6native31launch_logcumsumexp_cuda_kernelERKNSE_10TensorBaseESI_lENKUlvE_clEvENKUlvE2_clEvEUlS7_S7_E_S7_EEDaPvRmT3_T4_T5_mT6_P12ihipStream_tbENKUlT_T0_E_clISt17integral_constantIbLb0EESY_IbLb1EEEEDaSU_SV_EUlSU_E0_NS1_11comp_targetILNS1_3genE3ELNS1_11target_archE908ELNS1_3gpuE7ELNS1_3repE0EEENS1_30default_config_static_selectorELNS0_4arch9wavefront6targetE1EEEvT1_: ; @_ZN7rocprim17ROCPRIM_400000_NS6detail17trampoline_kernelINS0_14default_configENS1_20scan_config_selectorIN3c107complexIfEEEEZZNS1_9scan_implILNS1_25lookback_scan_determinismE0ELb0ELb0ES3_PKS7_PS7_S7_ZZZN2at6native31launch_logcumsumexp_cuda_kernelERKNSE_10TensorBaseESI_lENKUlvE_clEvENKUlvE2_clEvEUlS7_S7_E_S7_EEDaPvRmT3_T4_T5_mT6_P12ihipStream_tbENKUlT_T0_E_clISt17integral_constantIbLb0EESY_IbLb1EEEEDaSU_SV_EUlSU_E0_NS1_11comp_targetILNS1_3genE3ELNS1_11target_archE908ELNS1_3gpuE7ELNS1_3repE0EEENS1_30default_config_static_selectorELNS0_4arch9wavefront6targetE1EEEvT1_
; %bb.0:
	.section	.rodata,"a",@progbits
	.p2align	6, 0x0
	.amdhsa_kernel _ZN7rocprim17ROCPRIM_400000_NS6detail17trampoline_kernelINS0_14default_configENS1_20scan_config_selectorIN3c107complexIfEEEEZZNS1_9scan_implILNS1_25lookback_scan_determinismE0ELb0ELb0ES3_PKS7_PS7_S7_ZZZN2at6native31launch_logcumsumexp_cuda_kernelERKNSE_10TensorBaseESI_lENKUlvE_clEvENKUlvE2_clEvEUlS7_S7_E_S7_EEDaPvRmT3_T4_T5_mT6_P12ihipStream_tbENKUlT_T0_E_clISt17integral_constantIbLb0EESY_IbLb1EEEEDaSU_SV_EUlSU_E0_NS1_11comp_targetILNS1_3genE3ELNS1_11target_archE908ELNS1_3gpuE7ELNS1_3repE0EEENS1_30default_config_static_selectorELNS0_4arch9wavefront6targetE1EEEvT1_
		.amdhsa_group_segment_fixed_size 0
		.amdhsa_private_segment_fixed_size 0
		.amdhsa_kernarg_size 40
		.amdhsa_user_sgpr_count 6
		.amdhsa_user_sgpr_private_segment_buffer 1
		.amdhsa_user_sgpr_dispatch_ptr 0
		.amdhsa_user_sgpr_queue_ptr 0
		.amdhsa_user_sgpr_kernarg_segment_ptr 1
		.amdhsa_user_sgpr_dispatch_id 0
		.amdhsa_user_sgpr_flat_scratch_init 0
		.amdhsa_user_sgpr_private_segment_size 0
		.amdhsa_uses_dynamic_stack 0
		.amdhsa_system_sgpr_private_segment_wavefront_offset 0
		.amdhsa_system_sgpr_workgroup_id_x 1
		.amdhsa_system_sgpr_workgroup_id_y 0
		.amdhsa_system_sgpr_workgroup_id_z 0
		.amdhsa_system_sgpr_workgroup_info 0
		.amdhsa_system_vgpr_workitem_id 0
		.amdhsa_next_free_vgpr 1
		.amdhsa_next_free_sgpr 0
		.amdhsa_reserve_vcc 0
		.amdhsa_reserve_flat_scratch 0
		.amdhsa_float_round_mode_32 0
		.amdhsa_float_round_mode_16_64 0
		.amdhsa_float_denorm_mode_32 3
		.amdhsa_float_denorm_mode_16_64 3
		.amdhsa_dx10_clamp 1
		.amdhsa_ieee_mode 1
		.amdhsa_fp16_overflow 0
		.amdhsa_exception_fp_ieee_invalid_op 0
		.amdhsa_exception_fp_denorm_src 0
		.amdhsa_exception_fp_ieee_div_zero 0
		.amdhsa_exception_fp_ieee_overflow 0
		.amdhsa_exception_fp_ieee_underflow 0
		.amdhsa_exception_fp_ieee_inexact 0
		.amdhsa_exception_int_div_zero 0
	.end_amdhsa_kernel
	.section	.text._ZN7rocprim17ROCPRIM_400000_NS6detail17trampoline_kernelINS0_14default_configENS1_20scan_config_selectorIN3c107complexIfEEEEZZNS1_9scan_implILNS1_25lookback_scan_determinismE0ELb0ELb0ES3_PKS7_PS7_S7_ZZZN2at6native31launch_logcumsumexp_cuda_kernelERKNSE_10TensorBaseESI_lENKUlvE_clEvENKUlvE2_clEvEUlS7_S7_E_S7_EEDaPvRmT3_T4_T5_mT6_P12ihipStream_tbENKUlT_T0_E_clISt17integral_constantIbLb0EESY_IbLb1EEEEDaSU_SV_EUlSU_E0_NS1_11comp_targetILNS1_3genE3ELNS1_11target_archE908ELNS1_3gpuE7ELNS1_3repE0EEENS1_30default_config_static_selectorELNS0_4arch9wavefront6targetE1EEEvT1_,"axG",@progbits,_ZN7rocprim17ROCPRIM_400000_NS6detail17trampoline_kernelINS0_14default_configENS1_20scan_config_selectorIN3c107complexIfEEEEZZNS1_9scan_implILNS1_25lookback_scan_determinismE0ELb0ELb0ES3_PKS7_PS7_S7_ZZZN2at6native31launch_logcumsumexp_cuda_kernelERKNSE_10TensorBaseESI_lENKUlvE_clEvENKUlvE2_clEvEUlS7_S7_E_S7_EEDaPvRmT3_T4_T5_mT6_P12ihipStream_tbENKUlT_T0_E_clISt17integral_constantIbLb0EESY_IbLb1EEEEDaSU_SV_EUlSU_E0_NS1_11comp_targetILNS1_3genE3ELNS1_11target_archE908ELNS1_3gpuE7ELNS1_3repE0EEENS1_30default_config_static_selectorELNS0_4arch9wavefront6targetE1EEEvT1_,comdat
.Lfunc_end341:
	.size	_ZN7rocprim17ROCPRIM_400000_NS6detail17trampoline_kernelINS0_14default_configENS1_20scan_config_selectorIN3c107complexIfEEEEZZNS1_9scan_implILNS1_25lookback_scan_determinismE0ELb0ELb0ES3_PKS7_PS7_S7_ZZZN2at6native31launch_logcumsumexp_cuda_kernelERKNSE_10TensorBaseESI_lENKUlvE_clEvENKUlvE2_clEvEUlS7_S7_E_S7_EEDaPvRmT3_T4_T5_mT6_P12ihipStream_tbENKUlT_T0_E_clISt17integral_constantIbLb0EESY_IbLb1EEEEDaSU_SV_EUlSU_E0_NS1_11comp_targetILNS1_3genE3ELNS1_11target_archE908ELNS1_3gpuE7ELNS1_3repE0EEENS1_30default_config_static_selectorELNS0_4arch9wavefront6targetE1EEEvT1_, .Lfunc_end341-_ZN7rocprim17ROCPRIM_400000_NS6detail17trampoline_kernelINS0_14default_configENS1_20scan_config_selectorIN3c107complexIfEEEEZZNS1_9scan_implILNS1_25lookback_scan_determinismE0ELb0ELb0ES3_PKS7_PS7_S7_ZZZN2at6native31launch_logcumsumexp_cuda_kernelERKNSE_10TensorBaseESI_lENKUlvE_clEvENKUlvE2_clEvEUlS7_S7_E_S7_EEDaPvRmT3_T4_T5_mT6_P12ihipStream_tbENKUlT_T0_E_clISt17integral_constantIbLb0EESY_IbLb1EEEEDaSU_SV_EUlSU_E0_NS1_11comp_targetILNS1_3genE3ELNS1_11target_archE908ELNS1_3gpuE7ELNS1_3repE0EEENS1_30default_config_static_selectorELNS0_4arch9wavefront6targetE1EEEvT1_
                                        ; -- End function
	.set _ZN7rocprim17ROCPRIM_400000_NS6detail17trampoline_kernelINS0_14default_configENS1_20scan_config_selectorIN3c107complexIfEEEEZZNS1_9scan_implILNS1_25lookback_scan_determinismE0ELb0ELb0ES3_PKS7_PS7_S7_ZZZN2at6native31launch_logcumsumexp_cuda_kernelERKNSE_10TensorBaseESI_lENKUlvE_clEvENKUlvE2_clEvEUlS7_S7_E_S7_EEDaPvRmT3_T4_T5_mT6_P12ihipStream_tbENKUlT_T0_E_clISt17integral_constantIbLb0EESY_IbLb1EEEEDaSU_SV_EUlSU_E0_NS1_11comp_targetILNS1_3genE3ELNS1_11target_archE908ELNS1_3gpuE7ELNS1_3repE0EEENS1_30default_config_static_selectorELNS0_4arch9wavefront6targetE1EEEvT1_.num_vgpr, 0
	.set _ZN7rocprim17ROCPRIM_400000_NS6detail17trampoline_kernelINS0_14default_configENS1_20scan_config_selectorIN3c107complexIfEEEEZZNS1_9scan_implILNS1_25lookback_scan_determinismE0ELb0ELb0ES3_PKS7_PS7_S7_ZZZN2at6native31launch_logcumsumexp_cuda_kernelERKNSE_10TensorBaseESI_lENKUlvE_clEvENKUlvE2_clEvEUlS7_S7_E_S7_EEDaPvRmT3_T4_T5_mT6_P12ihipStream_tbENKUlT_T0_E_clISt17integral_constantIbLb0EESY_IbLb1EEEEDaSU_SV_EUlSU_E0_NS1_11comp_targetILNS1_3genE3ELNS1_11target_archE908ELNS1_3gpuE7ELNS1_3repE0EEENS1_30default_config_static_selectorELNS0_4arch9wavefront6targetE1EEEvT1_.num_agpr, 0
	.set _ZN7rocprim17ROCPRIM_400000_NS6detail17trampoline_kernelINS0_14default_configENS1_20scan_config_selectorIN3c107complexIfEEEEZZNS1_9scan_implILNS1_25lookback_scan_determinismE0ELb0ELb0ES3_PKS7_PS7_S7_ZZZN2at6native31launch_logcumsumexp_cuda_kernelERKNSE_10TensorBaseESI_lENKUlvE_clEvENKUlvE2_clEvEUlS7_S7_E_S7_EEDaPvRmT3_T4_T5_mT6_P12ihipStream_tbENKUlT_T0_E_clISt17integral_constantIbLb0EESY_IbLb1EEEEDaSU_SV_EUlSU_E0_NS1_11comp_targetILNS1_3genE3ELNS1_11target_archE908ELNS1_3gpuE7ELNS1_3repE0EEENS1_30default_config_static_selectorELNS0_4arch9wavefront6targetE1EEEvT1_.numbered_sgpr, 0
	.set _ZN7rocprim17ROCPRIM_400000_NS6detail17trampoline_kernelINS0_14default_configENS1_20scan_config_selectorIN3c107complexIfEEEEZZNS1_9scan_implILNS1_25lookback_scan_determinismE0ELb0ELb0ES3_PKS7_PS7_S7_ZZZN2at6native31launch_logcumsumexp_cuda_kernelERKNSE_10TensorBaseESI_lENKUlvE_clEvENKUlvE2_clEvEUlS7_S7_E_S7_EEDaPvRmT3_T4_T5_mT6_P12ihipStream_tbENKUlT_T0_E_clISt17integral_constantIbLb0EESY_IbLb1EEEEDaSU_SV_EUlSU_E0_NS1_11comp_targetILNS1_3genE3ELNS1_11target_archE908ELNS1_3gpuE7ELNS1_3repE0EEENS1_30default_config_static_selectorELNS0_4arch9wavefront6targetE1EEEvT1_.num_named_barrier, 0
	.set _ZN7rocprim17ROCPRIM_400000_NS6detail17trampoline_kernelINS0_14default_configENS1_20scan_config_selectorIN3c107complexIfEEEEZZNS1_9scan_implILNS1_25lookback_scan_determinismE0ELb0ELb0ES3_PKS7_PS7_S7_ZZZN2at6native31launch_logcumsumexp_cuda_kernelERKNSE_10TensorBaseESI_lENKUlvE_clEvENKUlvE2_clEvEUlS7_S7_E_S7_EEDaPvRmT3_T4_T5_mT6_P12ihipStream_tbENKUlT_T0_E_clISt17integral_constantIbLb0EESY_IbLb1EEEEDaSU_SV_EUlSU_E0_NS1_11comp_targetILNS1_3genE3ELNS1_11target_archE908ELNS1_3gpuE7ELNS1_3repE0EEENS1_30default_config_static_selectorELNS0_4arch9wavefront6targetE1EEEvT1_.private_seg_size, 0
	.set _ZN7rocprim17ROCPRIM_400000_NS6detail17trampoline_kernelINS0_14default_configENS1_20scan_config_selectorIN3c107complexIfEEEEZZNS1_9scan_implILNS1_25lookback_scan_determinismE0ELb0ELb0ES3_PKS7_PS7_S7_ZZZN2at6native31launch_logcumsumexp_cuda_kernelERKNSE_10TensorBaseESI_lENKUlvE_clEvENKUlvE2_clEvEUlS7_S7_E_S7_EEDaPvRmT3_T4_T5_mT6_P12ihipStream_tbENKUlT_T0_E_clISt17integral_constantIbLb0EESY_IbLb1EEEEDaSU_SV_EUlSU_E0_NS1_11comp_targetILNS1_3genE3ELNS1_11target_archE908ELNS1_3gpuE7ELNS1_3repE0EEENS1_30default_config_static_selectorELNS0_4arch9wavefront6targetE1EEEvT1_.uses_vcc, 0
	.set _ZN7rocprim17ROCPRIM_400000_NS6detail17trampoline_kernelINS0_14default_configENS1_20scan_config_selectorIN3c107complexIfEEEEZZNS1_9scan_implILNS1_25lookback_scan_determinismE0ELb0ELb0ES3_PKS7_PS7_S7_ZZZN2at6native31launch_logcumsumexp_cuda_kernelERKNSE_10TensorBaseESI_lENKUlvE_clEvENKUlvE2_clEvEUlS7_S7_E_S7_EEDaPvRmT3_T4_T5_mT6_P12ihipStream_tbENKUlT_T0_E_clISt17integral_constantIbLb0EESY_IbLb1EEEEDaSU_SV_EUlSU_E0_NS1_11comp_targetILNS1_3genE3ELNS1_11target_archE908ELNS1_3gpuE7ELNS1_3repE0EEENS1_30default_config_static_selectorELNS0_4arch9wavefront6targetE1EEEvT1_.uses_flat_scratch, 0
	.set _ZN7rocprim17ROCPRIM_400000_NS6detail17trampoline_kernelINS0_14default_configENS1_20scan_config_selectorIN3c107complexIfEEEEZZNS1_9scan_implILNS1_25lookback_scan_determinismE0ELb0ELb0ES3_PKS7_PS7_S7_ZZZN2at6native31launch_logcumsumexp_cuda_kernelERKNSE_10TensorBaseESI_lENKUlvE_clEvENKUlvE2_clEvEUlS7_S7_E_S7_EEDaPvRmT3_T4_T5_mT6_P12ihipStream_tbENKUlT_T0_E_clISt17integral_constantIbLb0EESY_IbLb1EEEEDaSU_SV_EUlSU_E0_NS1_11comp_targetILNS1_3genE3ELNS1_11target_archE908ELNS1_3gpuE7ELNS1_3repE0EEENS1_30default_config_static_selectorELNS0_4arch9wavefront6targetE1EEEvT1_.has_dyn_sized_stack, 0
	.set _ZN7rocprim17ROCPRIM_400000_NS6detail17trampoline_kernelINS0_14default_configENS1_20scan_config_selectorIN3c107complexIfEEEEZZNS1_9scan_implILNS1_25lookback_scan_determinismE0ELb0ELb0ES3_PKS7_PS7_S7_ZZZN2at6native31launch_logcumsumexp_cuda_kernelERKNSE_10TensorBaseESI_lENKUlvE_clEvENKUlvE2_clEvEUlS7_S7_E_S7_EEDaPvRmT3_T4_T5_mT6_P12ihipStream_tbENKUlT_T0_E_clISt17integral_constantIbLb0EESY_IbLb1EEEEDaSU_SV_EUlSU_E0_NS1_11comp_targetILNS1_3genE3ELNS1_11target_archE908ELNS1_3gpuE7ELNS1_3repE0EEENS1_30default_config_static_selectorELNS0_4arch9wavefront6targetE1EEEvT1_.has_recursion, 0
	.set _ZN7rocprim17ROCPRIM_400000_NS6detail17trampoline_kernelINS0_14default_configENS1_20scan_config_selectorIN3c107complexIfEEEEZZNS1_9scan_implILNS1_25lookback_scan_determinismE0ELb0ELb0ES3_PKS7_PS7_S7_ZZZN2at6native31launch_logcumsumexp_cuda_kernelERKNSE_10TensorBaseESI_lENKUlvE_clEvENKUlvE2_clEvEUlS7_S7_E_S7_EEDaPvRmT3_T4_T5_mT6_P12ihipStream_tbENKUlT_T0_E_clISt17integral_constantIbLb0EESY_IbLb1EEEEDaSU_SV_EUlSU_E0_NS1_11comp_targetILNS1_3genE3ELNS1_11target_archE908ELNS1_3gpuE7ELNS1_3repE0EEENS1_30default_config_static_selectorELNS0_4arch9wavefront6targetE1EEEvT1_.has_indirect_call, 0
	.section	.AMDGPU.csdata,"",@progbits
; Kernel info:
; codeLenInByte = 0
; TotalNumSgprs: 4
; NumVgprs: 0
; ScratchSize: 0
; MemoryBound: 0
; FloatMode: 240
; IeeeMode: 1
; LDSByteSize: 0 bytes/workgroup (compile time only)
; SGPRBlocks: 0
; VGPRBlocks: 0
; NumSGPRsForWavesPerEU: 4
; NumVGPRsForWavesPerEU: 1
; Occupancy: 10
; WaveLimiterHint : 0
; COMPUTE_PGM_RSRC2:SCRATCH_EN: 0
; COMPUTE_PGM_RSRC2:USER_SGPR: 6
; COMPUTE_PGM_RSRC2:TRAP_HANDLER: 0
; COMPUTE_PGM_RSRC2:TGID_X_EN: 1
; COMPUTE_PGM_RSRC2:TGID_Y_EN: 0
; COMPUTE_PGM_RSRC2:TGID_Z_EN: 0
; COMPUTE_PGM_RSRC2:TIDIG_COMP_CNT: 0
	.section	.text._ZN7rocprim17ROCPRIM_400000_NS6detail17trampoline_kernelINS0_14default_configENS1_20scan_config_selectorIN3c107complexIfEEEEZZNS1_9scan_implILNS1_25lookback_scan_determinismE0ELb0ELb0ES3_PKS7_PS7_S7_ZZZN2at6native31launch_logcumsumexp_cuda_kernelERKNSE_10TensorBaseESI_lENKUlvE_clEvENKUlvE2_clEvEUlS7_S7_E_S7_EEDaPvRmT3_T4_T5_mT6_P12ihipStream_tbENKUlT_T0_E_clISt17integral_constantIbLb0EESY_IbLb1EEEEDaSU_SV_EUlSU_E0_NS1_11comp_targetILNS1_3genE2ELNS1_11target_archE906ELNS1_3gpuE6ELNS1_3repE0EEENS1_30default_config_static_selectorELNS0_4arch9wavefront6targetE1EEEvT1_,"axG",@progbits,_ZN7rocprim17ROCPRIM_400000_NS6detail17trampoline_kernelINS0_14default_configENS1_20scan_config_selectorIN3c107complexIfEEEEZZNS1_9scan_implILNS1_25lookback_scan_determinismE0ELb0ELb0ES3_PKS7_PS7_S7_ZZZN2at6native31launch_logcumsumexp_cuda_kernelERKNSE_10TensorBaseESI_lENKUlvE_clEvENKUlvE2_clEvEUlS7_S7_E_S7_EEDaPvRmT3_T4_T5_mT6_P12ihipStream_tbENKUlT_T0_E_clISt17integral_constantIbLb0EESY_IbLb1EEEEDaSU_SV_EUlSU_E0_NS1_11comp_targetILNS1_3genE2ELNS1_11target_archE906ELNS1_3gpuE6ELNS1_3repE0EEENS1_30default_config_static_selectorELNS0_4arch9wavefront6targetE1EEEvT1_,comdat
	.globl	_ZN7rocprim17ROCPRIM_400000_NS6detail17trampoline_kernelINS0_14default_configENS1_20scan_config_selectorIN3c107complexIfEEEEZZNS1_9scan_implILNS1_25lookback_scan_determinismE0ELb0ELb0ES3_PKS7_PS7_S7_ZZZN2at6native31launch_logcumsumexp_cuda_kernelERKNSE_10TensorBaseESI_lENKUlvE_clEvENKUlvE2_clEvEUlS7_S7_E_S7_EEDaPvRmT3_T4_T5_mT6_P12ihipStream_tbENKUlT_T0_E_clISt17integral_constantIbLb0EESY_IbLb1EEEEDaSU_SV_EUlSU_E0_NS1_11comp_targetILNS1_3genE2ELNS1_11target_archE906ELNS1_3gpuE6ELNS1_3repE0EEENS1_30default_config_static_selectorELNS0_4arch9wavefront6targetE1EEEvT1_ ; -- Begin function _ZN7rocprim17ROCPRIM_400000_NS6detail17trampoline_kernelINS0_14default_configENS1_20scan_config_selectorIN3c107complexIfEEEEZZNS1_9scan_implILNS1_25lookback_scan_determinismE0ELb0ELb0ES3_PKS7_PS7_S7_ZZZN2at6native31launch_logcumsumexp_cuda_kernelERKNSE_10TensorBaseESI_lENKUlvE_clEvENKUlvE2_clEvEUlS7_S7_E_S7_EEDaPvRmT3_T4_T5_mT6_P12ihipStream_tbENKUlT_T0_E_clISt17integral_constantIbLb0EESY_IbLb1EEEEDaSU_SV_EUlSU_E0_NS1_11comp_targetILNS1_3genE2ELNS1_11target_archE906ELNS1_3gpuE6ELNS1_3repE0EEENS1_30default_config_static_selectorELNS0_4arch9wavefront6targetE1EEEvT1_
	.p2align	8
	.type	_ZN7rocprim17ROCPRIM_400000_NS6detail17trampoline_kernelINS0_14default_configENS1_20scan_config_selectorIN3c107complexIfEEEEZZNS1_9scan_implILNS1_25lookback_scan_determinismE0ELb0ELb0ES3_PKS7_PS7_S7_ZZZN2at6native31launch_logcumsumexp_cuda_kernelERKNSE_10TensorBaseESI_lENKUlvE_clEvENKUlvE2_clEvEUlS7_S7_E_S7_EEDaPvRmT3_T4_T5_mT6_P12ihipStream_tbENKUlT_T0_E_clISt17integral_constantIbLb0EESY_IbLb1EEEEDaSU_SV_EUlSU_E0_NS1_11comp_targetILNS1_3genE2ELNS1_11target_archE906ELNS1_3gpuE6ELNS1_3repE0EEENS1_30default_config_static_selectorELNS0_4arch9wavefront6targetE1EEEvT1_,@function
_ZN7rocprim17ROCPRIM_400000_NS6detail17trampoline_kernelINS0_14default_configENS1_20scan_config_selectorIN3c107complexIfEEEEZZNS1_9scan_implILNS1_25lookback_scan_determinismE0ELb0ELb0ES3_PKS7_PS7_S7_ZZZN2at6native31launch_logcumsumexp_cuda_kernelERKNSE_10TensorBaseESI_lENKUlvE_clEvENKUlvE2_clEvEUlS7_S7_E_S7_EEDaPvRmT3_T4_T5_mT6_P12ihipStream_tbENKUlT_T0_E_clISt17integral_constantIbLb0EESY_IbLb1EEEEDaSU_SV_EUlSU_E0_NS1_11comp_targetILNS1_3genE2ELNS1_11target_archE906ELNS1_3gpuE6ELNS1_3repE0EEENS1_30default_config_static_selectorELNS0_4arch9wavefront6targetE1EEEvT1_: ; @_ZN7rocprim17ROCPRIM_400000_NS6detail17trampoline_kernelINS0_14default_configENS1_20scan_config_selectorIN3c107complexIfEEEEZZNS1_9scan_implILNS1_25lookback_scan_determinismE0ELb0ELb0ES3_PKS7_PS7_S7_ZZZN2at6native31launch_logcumsumexp_cuda_kernelERKNSE_10TensorBaseESI_lENKUlvE_clEvENKUlvE2_clEvEUlS7_S7_E_S7_EEDaPvRmT3_T4_T5_mT6_P12ihipStream_tbENKUlT_T0_E_clISt17integral_constantIbLb0EESY_IbLb1EEEEDaSU_SV_EUlSU_E0_NS1_11comp_targetILNS1_3genE2ELNS1_11target_archE906ELNS1_3gpuE6ELNS1_3repE0EEENS1_30default_config_static_selectorELNS0_4arch9wavefront6targetE1EEEvT1_
; %bb.0:
	s_mov_b64 s[52:53], s[4:5]
	s_add_u32 s0, s0, s7
	s_load_dwordx4 s[4:7], s[52:53], 0x0
	v_mov_b32_e32 v74, v0
	s_addc_u32 s1, s1, 0
	v_lshlrev_b32_e32 v77, 3, v74
	s_mov_b32 s32, 0
	s_waitcnt lgkmcnt(0)
	s_load_dwordx2 s[8:9], s[4:5], 0x0
	v_cmp_gt_u32_e64 s[20:21], s6, v74
	s_waitcnt lgkmcnt(0)
	v_mov_b32_e32 v1, s9
	v_mov_b32_e32 v0, s8
	s_and_saveexec_b64 s[10:11], s[20:21]
	s_cbranch_execz .LBB342_2
; %bb.1:
	global_load_dwordx2 v[0:1], v77, s[4:5]
.LBB342_2:
	s_or_b64 exec, exec, s[10:11]
	v_or_b32_e32 v2, 64, v74
	v_cmp_gt_u32_e64 s[22:23], s6, v2
	v_mov_b32_e32 v3, s9
	v_mov_b32_e32 v2, s8
	s_and_saveexec_b64 s[10:11], s[22:23]
	s_cbranch_execz .LBB342_4
; %bb.3:
	global_load_dwordx2 v[2:3], v77, s[4:5] offset:512
.LBB342_4:
	s_or_b64 exec, exec, s[10:11]
	v_or_b32_e32 v4, 0x80, v74
	v_cmp_gt_u32_e64 s[24:25], s6, v4
	v_mov_b32_e32 v5, s9
	v_mov_b32_e32 v4, s8
	s_and_saveexec_b64 s[10:11], s[24:25]
	s_cbranch_execz .LBB342_6
; %bb.5:
	global_load_dwordx2 v[4:5], v77, s[4:5] offset:1024
.LBB342_6:
	;; [unrolled: 10-line block ×7, first 2 shown]
	s_or_b64 exec, exec, s[10:11]
	v_or_b32_e32 v18, 0x200, v74
	v_cmp_gt_u32_e64 s[40:41], s6, v18
	v_mov_b32_e32 v17, s9
	v_mov_b32_e32 v16, s8
	s_and_saveexec_b64 s[10:11], s[40:41]
	s_cbranch_execz .LBB342_18
; %bb.17:
	v_lshlrev_b32_e32 v16, 3, v18
	global_load_dwordx2 v[16:17], v16, s[4:5]
.LBB342_18:
	s_or_b64 exec, exec, s[10:11]
	v_or_b32_e32 v20, 0x240, v74
	v_cmp_gt_u32_e64 s[42:43], s6, v20
	v_mov_b32_e32 v19, s9
	v_mov_b32_e32 v18, s8
	s_and_saveexec_b64 s[10:11], s[42:43]
	s_cbranch_execz .LBB342_20
; %bb.19:
	v_lshlrev_b32_e32 v18, 3, v20
	global_load_dwordx2 v[18:19], v18, s[4:5]
.LBB342_20:
	;; [unrolled: 11-line block ×6, first 2 shown]
	s_or_b64 exec, exec, s[6:7]
	s_movk_i32 s4, 0x68
	s_waitcnt vmcnt(0)
	ds_write2st64_b64 v77, v[0:1], v[2:3] offset1:1
	ds_write2st64_b64 v77, v[4:5], v[6:7] offset0:2 offset1:3
	ds_write2st64_b64 v77, v[8:9], v[10:11] offset0:4 offset1:5
	;; [unrolled: 1-line block ×6, first 2 shown]
	v_mad_u32_u24 v0, v74, s4, v77
	s_waitcnt lgkmcnt(0)
	; wave barrier
	ds_read_b128 v[22:25], v0
	ds_read_b128 v[58:61], v0 offset:16
	ds_read_b128 v[54:57], v0 offset:32
	;; [unrolled: 1-line block ×6, first 2 shown]
	s_getpc_b64 s[54:55]
	s_add_u32 s54, s54, _ZZZZN2at6native31launch_logcumsumexp_cuda_kernelERKNS_10TensorBaseES3_lENKUlvE_clEvENKUlvE2_clEvENKUlN3c107complexIfEES8_E_clES8_S8_@rel32@lo+4
	s_addc_u32 s55, s55, _ZZZZN2at6native31launch_logcumsumexp_cuda_kernelERKNS_10TensorBaseES3_lENKUlvE_clEvENKUlvE2_clEvENKUlN3c107complexIfEES8_E_clES8_S8_@rel32@hi+12
	s_waitcnt lgkmcnt(6)
	v_mov_b32_e32 v0, v22
	v_mov_b32_e32 v1, v23
	;; [unrolled: 1-line block ×4, first 2 shown]
	s_waitcnt lgkmcnt(0)
	; wave barrier
	s_swappc_b64 s[30:31], s[54:55]
	v_mov_b32_e32 v2, v58
	v_mov_b32_e32 v3, v59
	v_mov_b32_e32 v75, v0
	v_mov_b32_e32 v76, v1
	s_swappc_b64 s[30:31], s[54:55]
	v_mov_b32_e32 v2, v60
	v_mov_b32_e32 v3, v61
	v_mov_b32_e32 v26, v0
	v_mov_b32_e32 v27, v1
	;; [unrolled: 5-line block ×12, first 2 shown]
	s_swappc_b64 s[30:31], s[54:55]
	v_mov_b32_e32 v72, v0
	v_mbcnt_lo_u32_b32 v0, -1, 0
	v_mbcnt_hi_u32_b32 v78, -1, v0
	v_mov_b32_e32 v73, v1
	v_and_b32_e32 v79, 15, v78
	v_mov_b32_dpp v0, v72 row_shr:1 row_mask:0xf bank_mask:0xf
	v_mov_b32_dpp v1, v73 row_shr:1 row_mask:0xf bank_mask:0xf
	v_cmp_ne_u32_e32 vcc, 0, v79
	v_mov_b32_e32 v5, v73
	v_mov_b32_e32 v4, v72
	;; [unrolled: 1-line block ×4, first 2 shown]
	s_and_saveexec_b64 s[56:57], vcc
	s_cbranch_execz .LBB342_30
; %bb.29:
	v_mov_b32_e32 v2, v72
	v_mov_b32_e32 v3, v73
	s_swappc_b64 s[30:31], s[54:55]
	v_mov_b32_e32 v4, v0
	v_mov_b32_e32 v5, v1
	;; [unrolled: 1-line block ×4, first 2 shown]
.LBB342_30:
	s_or_b64 exec, exec, s[56:57]
	v_mov_b32_dpp v0, v4 row_shr:2 row_mask:0xf bank_mask:0xf
	v_mov_b32_dpp v1, v5 row_shr:2 row_mask:0xf bank_mask:0xf
	v_cmp_lt_u32_e32 vcc, 1, v79
	s_and_saveexec_b64 s[54:55], vcc
	s_cbranch_execz .LBB342_32
; %bb.31:
	s_getpc_b64 s[4:5]
	s_add_u32 s4, s4, _ZZZZN2at6native31launch_logcumsumexp_cuda_kernelERKNS_10TensorBaseES3_lENKUlvE_clEvENKUlvE2_clEvENKUlN3c107complexIfEES8_E_clES8_S8_@rel32@lo+4
	s_addc_u32 s5, s5, _ZZZZN2at6native31launch_logcumsumexp_cuda_kernelERKNS_10TensorBaseES3_lENKUlvE_clEvENKUlvE2_clEvENKUlN3c107complexIfEES8_E_clES8_S8_@rel32@hi+12
	s_swappc_b64 s[30:31], s[4:5]
	v_mov_b32_e32 v4, v0
	v_mov_b32_e32 v5, v1
.LBB342_32:
	s_or_b64 exec, exec, s[54:55]
	v_mov_b32_dpp v0, v4 row_shr:4 row_mask:0xf bank_mask:0xf
	v_mov_b32_dpp v1, v5 row_shr:4 row_mask:0xf bank_mask:0xf
	v_cmp_lt_u32_e32 vcc, 3, v79
	s_and_saveexec_b64 s[54:55], vcc
	s_cbranch_execz .LBB342_34
; %bb.33:
	s_getpc_b64 s[4:5]
	s_add_u32 s4, s4, _ZZZZN2at6native31launch_logcumsumexp_cuda_kernelERKNS_10TensorBaseES3_lENKUlvE_clEvENKUlvE2_clEvENKUlN3c107complexIfEES8_E_clES8_S8_@rel32@lo+4
	s_addc_u32 s5, s5, _ZZZZN2at6native31launch_logcumsumexp_cuda_kernelERKNS_10TensorBaseES3_lENKUlvE_clEvENKUlvE2_clEvENKUlN3c107complexIfEES8_E_clES8_S8_@rel32@hi+12
	v_mov_b32_e32 v2, v4
	v_mov_b32_e32 v3, v5
	s_swappc_b64 s[30:31], s[4:5]
	v_mov_b32_e32 v4, v0
	v_mov_b32_e32 v5, v1
.LBB342_34:
	s_or_b64 exec, exec, s[54:55]
	v_mov_b32_dpp v0, v4 row_shr:8 row_mask:0xf bank_mask:0xf
	v_mov_b32_dpp v1, v5 row_shr:8 row_mask:0xf bank_mask:0xf
	v_cmp_lt_u32_e32 vcc, 7, v79
	s_and_saveexec_b64 s[54:55], vcc
	s_cbranch_execz .LBB342_36
; %bb.35:
	s_getpc_b64 s[4:5]
	s_add_u32 s4, s4, _ZZZZN2at6native31launch_logcumsumexp_cuda_kernelERKNS_10TensorBaseES3_lENKUlvE_clEvENKUlvE2_clEvENKUlN3c107complexIfEES8_E_clES8_S8_@rel32@lo+4
	s_addc_u32 s5, s5, _ZZZZN2at6native31launch_logcumsumexp_cuda_kernelERKNS_10TensorBaseES3_lENKUlvE_clEvENKUlvE2_clEvENKUlN3c107complexIfEES8_E_clES8_S8_@rel32@hi+12
	v_mov_b32_e32 v2, v4
	v_mov_b32_e32 v3, v5
	s_swappc_b64 s[30:31], s[4:5]
	v_mov_b32_e32 v4, v0
	v_mov_b32_e32 v5, v1
.LBB342_36:
	s_or_b64 exec, exec, s[54:55]
	v_and_b32_e32 v2, 16, v78
	v_mov_b32_dpp v0, v4 row_bcast:15 row_mask:0xf bank_mask:0xf
	v_mov_b32_dpp v1, v5 row_bcast:15 row_mask:0xf bank_mask:0xf
	v_cmp_ne_u32_e32 vcc, 0, v2
	s_and_saveexec_b64 s[54:55], vcc
	s_cbranch_execz .LBB342_38
; %bb.37:
	s_getpc_b64 s[4:5]
	s_add_u32 s4, s4, _ZZZZN2at6native31launch_logcumsumexp_cuda_kernelERKNS_10TensorBaseES3_lENKUlvE_clEvENKUlvE2_clEvENKUlN3c107complexIfEES8_E_clES8_S8_@rel32@lo+4
	s_addc_u32 s5, s5, _ZZZZN2at6native31launch_logcumsumexp_cuda_kernelERKNS_10TensorBaseES3_lENKUlvE_clEvENKUlvE2_clEvENKUlN3c107complexIfEES8_E_clES8_S8_@rel32@hi+12
	v_mov_b32_e32 v2, v4
	v_mov_b32_e32 v3, v5
	s_swappc_b64 s[30:31], s[4:5]
	v_mov_b32_e32 v4, v0
	v_mov_b32_e32 v5, v1
.LBB342_38:
	s_or_b64 exec, exec, s[54:55]
	v_mov_b32_dpp v0, v4 row_bcast:31 row_mask:0xf bank_mask:0xf
	v_mov_b32_dpp v1, v5 row_bcast:31 row_mask:0xf bank_mask:0xf
	v_cmp_lt_u32_e32 vcc, 31, v78
	s_and_saveexec_b64 s[54:55], vcc
	s_cbranch_execz .LBB342_40
; %bb.39:
	s_getpc_b64 s[4:5]
	s_add_u32 s4, s4, _ZZZZN2at6native31launch_logcumsumexp_cuda_kernelERKNS_10TensorBaseES3_lENKUlvE_clEvENKUlvE2_clEvENKUlN3c107complexIfEES8_E_clES8_S8_@rel32@lo+4
	s_addc_u32 s5, s5, _ZZZZN2at6native31launch_logcumsumexp_cuda_kernelERKNS_10TensorBaseES3_lENKUlvE_clEvENKUlvE2_clEvENKUlN3c107complexIfEES8_E_clES8_S8_@rel32@hi+12
	v_mov_b32_e32 v2, v4
	v_mov_b32_e32 v3, v5
	s_swappc_b64 s[30:31], s[4:5]
	v_mov_b32_e32 v4, v0
	v_mov_b32_e32 v5, v1
.LBB342_40:
	s_or_b64 exec, exec, s[54:55]
	s_load_dwordx2 s[52:53], s[52:53], 0x20
	v_cmp_eq_u32_e32 vcc, 63, v74
	s_and_saveexec_b64 s[4:5], vcc
; %bb.41:
	v_mov_b32_e32 v0, 0
	ds_write_b64 v0, v[4:5]
; %bb.42:
	s_or_b64 exec, exec, s[4:5]
	v_add_u32_e32 v0, -1, v78
	v_and_b32_e32 v1, 64, v78
	v_cmp_lt_i32_e32 vcc, v0, v1
	v_cndmask_b32_e32 v0, v0, v78, vcc
	v_lshlrev_b32_e32 v1, 2, v0
	ds_bpermute_b32 v0, v1, v4
	ds_bpermute_b32 v1, v1, v5
	v_mul_u32_u24_e32 v78, 0x68, v74
	v_cmp_ne_u32_e32 vcc, 0, v74
	s_waitcnt lgkmcnt(0)
	; wave barrier
	s_and_saveexec_b64 s[54:55], vcc
	s_cbranch_execz .LBB342_44
; %bb.43:
	s_getpc_b64 s[56:57]
	s_add_u32 s56, s56, _ZZZZN2at6native31launch_logcumsumexp_cuda_kernelERKNS_10TensorBaseES3_lENKUlvE_clEvENKUlvE2_clEvENKUlN3c107complexIfEES8_E_clES8_S8_@rel32@lo+4
	s_addc_u32 s57, s57, _ZZZZN2at6native31launch_logcumsumexp_cuda_kernelERKNS_10TensorBaseES3_lENKUlvE_clEvENKUlvE2_clEvENKUlN3c107complexIfEES8_E_clES8_S8_@rel32@hi+12
	v_mov_b32_e32 v2, v22
	v_mov_b32_e32 v3, v23
	s_swappc_b64 s[30:31], s[56:57]
	v_mov_b32_e32 v2, v24
	v_mov_b32_e32 v3, v25
	;; [unrolled: 1-line block ×4, first 2 shown]
	;;#ASMSTART
	;;#ASMEND
	s_swappc_b64 s[30:31], s[56:57]
	v_mov_b32_e32 v2, v58
	v_mov_b32_e32 v3, v59
	v_mov_b32_e32 v75, v0
	v_mov_b32_e32 v76, v1
	s_swappc_b64 s[30:31], s[56:57]
	v_mov_b32_e32 v2, v60
	v_mov_b32_e32 v3, v61
	v_mov_b32_e32 v26, v0
	v_mov_b32_e32 v27, v1
	;; [unrolled: 5-line block ×12, first 2 shown]
	s_swappc_b64 s[30:31], s[56:57]
	v_mov_b32_e32 v72, v0
	v_mov_b32_e32 v73, v1
.LBB342_44:
	s_or_b64 exec, exec, s[54:55]
	v_add_u32_e32 v0, v77, v78
	v_mov_b32_e32 v24, v75
	v_mov_b32_e32 v25, v76
	; wave barrier
	ds_write_b128 v0, v[22:25]
	ds_write_b128 v0, v[26:29] offset:16
	ds_write_b128 v0, v[38:41] offset:32
	ds_write_b128 v0, v[50:53] offset:48
	ds_write_b128 v0, v[62:65] offset:64
	ds_write_b128 v0, v[66:69] offset:80
	ds_write_b128 v0, v[70:73] offset:96
	s_waitcnt lgkmcnt(0)
	; wave barrier
	ds_read2st64_b64 v[20:23], v77 offset0:1 offset1:2
	ds_read2st64_b64 v[16:19], v77 offset0:3 offset1:4
	;; [unrolled: 1-line block ×6, first 2 shown]
	ds_read_b64 v[24:25], v77 offset:6656
	v_mov_b32_e32 v27, s53
	v_add_co_u32_e32 v26, vcc, s52, v77
	v_addc_co_u32_e32 v27, vcc, 0, v27, vcc
	s_and_saveexec_b64 s[4:5], s[20:21]
	s_cbranch_execnz .LBB342_59
; %bb.45:
	s_or_b64 exec, exec, s[4:5]
	s_and_saveexec_b64 s[4:5], s[22:23]
	s_cbranch_execnz .LBB342_60
.LBB342_46:
	s_or_b64 exec, exec, s[4:5]
	s_and_saveexec_b64 s[4:5], s[24:25]
	s_cbranch_execnz .LBB342_61
.LBB342_47:
	s_or_b64 exec, exec, s[4:5]
	s_and_saveexec_b64 s[4:5], s[26:27]
	s_cbranch_execnz .LBB342_62
.LBB342_48:
	s_or_b64 exec, exec, s[4:5]
	s_and_saveexec_b64 s[4:5], s[28:29]
	s_cbranch_execnz .LBB342_63
.LBB342_49:
	s_or_b64 exec, exec, s[4:5]
	s_and_saveexec_b64 s[4:5], s[34:35]
	s_cbranch_execnz .LBB342_64
.LBB342_50:
	s_or_b64 exec, exec, s[4:5]
	s_and_saveexec_b64 s[4:5], s[36:37]
	s_cbranch_execnz .LBB342_65
.LBB342_51:
	s_or_b64 exec, exec, s[4:5]
	s_and_saveexec_b64 s[4:5], s[38:39]
	s_cbranch_execnz .LBB342_66
.LBB342_52:
	s_or_b64 exec, exec, s[4:5]
	s_and_saveexec_b64 s[4:5], s[40:41]
	s_cbranch_execnz .LBB342_67
.LBB342_53:
	s_or_b64 exec, exec, s[4:5]
	s_and_saveexec_b64 s[4:5], s[42:43]
	s_cbranch_execnz .LBB342_68
.LBB342_54:
	s_or_b64 exec, exec, s[4:5]
	s_and_saveexec_b64 s[4:5], s[44:45]
	s_cbranch_execnz .LBB342_69
.LBB342_55:
	s_or_b64 exec, exec, s[4:5]
	s_and_saveexec_b64 s[4:5], s[46:47]
	s_cbranch_execnz .LBB342_70
.LBB342_56:
	s_or_b64 exec, exec, s[4:5]
	s_and_saveexec_b64 s[4:5], s[48:49]
	s_cbranch_execnz .LBB342_71
.LBB342_57:
	s_or_b64 exec, exec, s[4:5]
	s_and_saveexec_b64 s[4:5], s[50:51]
	s_cbranch_execnz .LBB342_72
.LBB342_58:
	s_endpgm
.LBB342_59:
	ds_read_b64 v[28:29], v77
	s_waitcnt lgkmcnt(0)
	global_store_dwordx2 v[26:27], v[28:29], off
	s_or_b64 exec, exec, s[4:5]
	s_and_saveexec_b64 s[4:5], s[22:23]
	s_cbranch_execz .LBB342_46
.LBB342_60:
	s_waitcnt lgkmcnt(6)
	global_store_dwordx2 v[26:27], v[20:21], off offset:512
	s_or_b64 exec, exec, s[4:5]
	s_and_saveexec_b64 s[4:5], s[24:25]
	s_cbranch_execz .LBB342_47
.LBB342_61:
	s_waitcnt lgkmcnt(6)
	global_store_dwordx2 v[26:27], v[22:23], off offset:1024
	s_or_b64 exec, exec, s[4:5]
	s_and_saveexec_b64 s[4:5], s[26:27]
	s_cbranch_execz .LBB342_48
.LBB342_62:
	s_waitcnt lgkmcnt(5)
	global_store_dwordx2 v[26:27], v[16:17], off offset:1536
	s_or_b64 exec, exec, s[4:5]
	s_and_saveexec_b64 s[4:5], s[28:29]
	s_cbranch_execz .LBB342_49
.LBB342_63:
	s_waitcnt lgkmcnt(5)
	global_store_dwordx2 v[26:27], v[18:19], off offset:2048
	s_or_b64 exec, exec, s[4:5]
	s_and_saveexec_b64 s[4:5], s[34:35]
	s_cbranch_execz .LBB342_50
.LBB342_64:
	s_waitcnt lgkmcnt(4)
	global_store_dwordx2 v[26:27], v[12:13], off offset:2560
	s_or_b64 exec, exec, s[4:5]
	s_and_saveexec_b64 s[4:5], s[36:37]
	s_cbranch_execz .LBB342_51
.LBB342_65:
	s_waitcnt lgkmcnt(4)
	global_store_dwordx2 v[26:27], v[14:15], off offset:3072
	s_or_b64 exec, exec, s[4:5]
	s_and_saveexec_b64 s[4:5], s[38:39]
	s_cbranch_execz .LBB342_52
.LBB342_66:
	s_waitcnt lgkmcnt(3)
	global_store_dwordx2 v[26:27], v[8:9], off offset:3584
	s_or_b64 exec, exec, s[4:5]
	s_and_saveexec_b64 s[4:5], s[40:41]
	s_cbranch_execz .LBB342_53
.LBB342_67:
	s_waitcnt lgkmcnt(3)
	v_add_co_u32_e32 v8, vcc, 0x1000, v26
	v_addc_co_u32_e32 v9, vcc, 0, v27, vcc
	global_store_dwordx2 v[8:9], v[10:11], off
	s_or_b64 exec, exec, s[4:5]
	s_and_saveexec_b64 s[4:5], s[42:43]
	s_cbranch_execz .LBB342_54
.LBB342_68:
	s_waitcnt lgkmcnt(3)
	v_add_co_u32_e32 v8, vcc, 0x1000, v26
	v_addc_co_u32_e32 v9, vcc, 0, v27, vcc
	s_waitcnt lgkmcnt(2)
	global_store_dwordx2 v[8:9], v[4:5], off offset:512
	s_or_b64 exec, exec, s[4:5]
	s_and_saveexec_b64 s[4:5], s[44:45]
	s_cbranch_execz .LBB342_55
.LBB342_69:
	s_waitcnt lgkmcnt(2)
	v_add_co_u32_e32 v4, vcc, 0x1000, v26
	v_addc_co_u32_e32 v5, vcc, 0, v27, vcc
	global_store_dwordx2 v[4:5], v[6:7], off offset:1024
	s_or_b64 exec, exec, s[4:5]
	s_and_saveexec_b64 s[4:5], s[46:47]
	s_cbranch_execz .LBB342_56
.LBB342_70:
	s_waitcnt lgkmcnt(2)
	v_add_co_u32_e32 v4, vcc, 0x1000, v26
	v_addc_co_u32_e32 v5, vcc, 0, v27, vcc
	s_waitcnt lgkmcnt(1)
	global_store_dwordx2 v[4:5], v[0:1], off offset:1536
	s_or_b64 exec, exec, s[4:5]
	s_and_saveexec_b64 s[4:5], s[48:49]
	s_cbranch_execz .LBB342_57
.LBB342_71:
	s_waitcnt lgkmcnt(1)
	v_add_co_u32_e32 v0, vcc, 0x1000, v26
	v_addc_co_u32_e32 v1, vcc, 0, v27, vcc
	global_store_dwordx2 v[0:1], v[2:3], off offset:2048
	s_or_b64 exec, exec, s[4:5]
	s_and_saveexec_b64 s[4:5], s[50:51]
	s_cbranch_execz .LBB342_58
.LBB342_72:
	s_waitcnt lgkmcnt(1)
	v_add_co_u32_e32 v0, vcc, 0x1000, v26
	v_addc_co_u32_e32 v1, vcc, 0, v27, vcc
	s_waitcnt lgkmcnt(0)
	global_store_dwordx2 v[0:1], v[24:25], off offset:2560
	s_endpgm
	.section	.rodata,"a",@progbits
	.p2align	6, 0x0
	.amdhsa_kernel _ZN7rocprim17ROCPRIM_400000_NS6detail17trampoline_kernelINS0_14default_configENS1_20scan_config_selectorIN3c107complexIfEEEEZZNS1_9scan_implILNS1_25lookback_scan_determinismE0ELb0ELb0ES3_PKS7_PS7_S7_ZZZN2at6native31launch_logcumsumexp_cuda_kernelERKNSE_10TensorBaseESI_lENKUlvE_clEvENKUlvE2_clEvEUlS7_S7_E_S7_EEDaPvRmT3_T4_T5_mT6_P12ihipStream_tbENKUlT_T0_E_clISt17integral_constantIbLb0EESY_IbLb1EEEEDaSU_SV_EUlSU_E0_NS1_11comp_targetILNS1_3genE2ELNS1_11target_archE906ELNS1_3gpuE6ELNS1_3repE0EEENS1_30default_config_static_selectorELNS0_4arch9wavefront6targetE1EEEvT1_
		.amdhsa_group_segment_fixed_size 7168
		.amdhsa_private_segment_fixed_size 0
		.amdhsa_kernarg_size 40
		.amdhsa_user_sgpr_count 6
		.amdhsa_user_sgpr_private_segment_buffer 1
		.amdhsa_user_sgpr_dispatch_ptr 0
		.amdhsa_user_sgpr_queue_ptr 0
		.amdhsa_user_sgpr_kernarg_segment_ptr 1
		.amdhsa_user_sgpr_dispatch_id 0
		.amdhsa_user_sgpr_flat_scratch_init 0
		.amdhsa_user_sgpr_private_segment_size 0
		.amdhsa_uses_dynamic_stack 0
		.amdhsa_system_sgpr_private_segment_wavefront_offset 0
		.amdhsa_system_sgpr_workgroup_id_x 1
		.amdhsa_system_sgpr_workgroup_id_y 0
		.amdhsa_system_sgpr_workgroup_id_z 0
		.amdhsa_system_sgpr_workgroup_info 0
		.amdhsa_system_vgpr_workitem_id 0
		.amdhsa_next_free_vgpr 80
		.amdhsa_next_free_sgpr 98
		.amdhsa_reserve_vcc 1
		.amdhsa_reserve_flat_scratch 0
		.amdhsa_float_round_mode_32 0
		.amdhsa_float_round_mode_16_64 0
		.amdhsa_float_denorm_mode_32 3
		.amdhsa_float_denorm_mode_16_64 3
		.amdhsa_dx10_clamp 1
		.amdhsa_ieee_mode 1
		.amdhsa_fp16_overflow 0
		.amdhsa_exception_fp_ieee_invalid_op 0
		.amdhsa_exception_fp_denorm_src 0
		.amdhsa_exception_fp_ieee_div_zero 0
		.amdhsa_exception_fp_ieee_overflow 0
		.amdhsa_exception_fp_ieee_underflow 0
		.amdhsa_exception_fp_ieee_inexact 0
		.amdhsa_exception_int_div_zero 0
	.end_amdhsa_kernel
	.section	.text._ZN7rocprim17ROCPRIM_400000_NS6detail17trampoline_kernelINS0_14default_configENS1_20scan_config_selectorIN3c107complexIfEEEEZZNS1_9scan_implILNS1_25lookback_scan_determinismE0ELb0ELb0ES3_PKS7_PS7_S7_ZZZN2at6native31launch_logcumsumexp_cuda_kernelERKNSE_10TensorBaseESI_lENKUlvE_clEvENKUlvE2_clEvEUlS7_S7_E_S7_EEDaPvRmT3_T4_T5_mT6_P12ihipStream_tbENKUlT_T0_E_clISt17integral_constantIbLb0EESY_IbLb1EEEEDaSU_SV_EUlSU_E0_NS1_11comp_targetILNS1_3genE2ELNS1_11target_archE906ELNS1_3gpuE6ELNS1_3repE0EEENS1_30default_config_static_selectorELNS0_4arch9wavefront6targetE1EEEvT1_,"axG",@progbits,_ZN7rocprim17ROCPRIM_400000_NS6detail17trampoline_kernelINS0_14default_configENS1_20scan_config_selectorIN3c107complexIfEEEEZZNS1_9scan_implILNS1_25lookback_scan_determinismE0ELb0ELb0ES3_PKS7_PS7_S7_ZZZN2at6native31launch_logcumsumexp_cuda_kernelERKNSE_10TensorBaseESI_lENKUlvE_clEvENKUlvE2_clEvEUlS7_S7_E_S7_EEDaPvRmT3_T4_T5_mT6_P12ihipStream_tbENKUlT_T0_E_clISt17integral_constantIbLb0EESY_IbLb1EEEEDaSU_SV_EUlSU_E0_NS1_11comp_targetILNS1_3genE2ELNS1_11target_archE906ELNS1_3gpuE6ELNS1_3repE0EEENS1_30default_config_static_selectorELNS0_4arch9wavefront6targetE1EEEvT1_,comdat
.Lfunc_end342:
	.size	_ZN7rocprim17ROCPRIM_400000_NS6detail17trampoline_kernelINS0_14default_configENS1_20scan_config_selectorIN3c107complexIfEEEEZZNS1_9scan_implILNS1_25lookback_scan_determinismE0ELb0ELb0ES3_PKS7_PS7_S7_ZZZN2at6native31launch_logcumsumexp_cuda_kernelERKNSE_10TensorBaseESI_lENKUlvE_clEvENKUlvE2_clEvEUlS7_S7_E_S7_EEDaPvRmT3_T4_T5_mT6_P12ihipStream_tbENKUlT_T0_E_clISt17integral_constantIbLb0EESY_IbLb1EEEEDaSU_SV_EUlSU_E0_NS1_11comp_targetILNS1_3genE2ELNS1_11target_archE906ELNS1_3gpuE6ELNS1_3repE0EEENS1_30default_config_static_selectorELNS0_4arch9wavefront6targetE1EEEvT1_, .Lfunc_end342-_ZN7rocprim17ROCPRIM_400000_NS6detail17trampoline_kernelINS0_14default_configENS1_20scan_config_selectorIN3c107complexIfEEEEZZNS1_9scan_implILNS1_25lookback_scan_determinismE0ELb0ELb0ES3_PKS7_PS7_S7_ZZZN2at6native31launch_logcumsumexp_cuda_kernelERKNSE_10TensorBaseESI_lENKUlvE_clEvENKUlvE2_clEvEUlS7_S7_E_S7_EEDaPvRmT3_T4_T5_mT6_P12ihipStream_tbENKUlT_T0_E_clISt17integral_constantIbLb0EESY_IbLb1EEEEDaSU_SV_EUlSU_E0_NS1_11comp_targetILNS1_3genE2ELNS1_11target_archE906ELNS1_3gpuE6ELNS1_3repE0EEENS1_30default_config_static_selectorELNS0_4arch9wavefront6targetE1EEEvT1_
                                        ; -- End function
	.set _ZN7rocprim17ROCPRIM_400000_NS6detail17trampoline_kernelINS0_14default_configENS1_20scan_config_selectorIN3c107complexIfEEEEZZNS1_9scan_implILNS1_25lookback_scan_determinismE0ELb0ELb0ES3_PKS7_PS7_S7_ZZZN2at6native31launch_logcumsumexp_cuda_kernelERKNSE_10TensorBaseESI_lENKUlvE_clEvENKUlvE2_clEvEUlS7_S7_E_S7_EEDaPvRmT3_T4_T5_mT6_P12ihipStream_tbENKUlT_T0_E_clISt17integral_constantIbLb0EESY_IbLb1EEEEDaSU_SV_EUlSU_E0_NS1_11comp_targetILNS1_3genE2ELNS1_11target_archE906ELNS1_3gpuE6ELNS1_3repE0EEENS1_30default_config_static_selectorELNS0_4arch9wavefront6targetE1EEEvT1_.num_vgpr, max(80, .L_ZZZZN2at6native31launch_logcumsumexp_cuda_kernelERKNS_10TensorBaseES3_lENKUlvE_clEvENKUlvE2_clEvENKUlN3c107complexIfEES8_E_clES8_S8_.num_vgpr)
	.set _ZN7rocprim17ROCPRIM_400000_NS6detail17trampoline_kernelINS0_14default_configENS1_20scan_config_selectorIN3c107complexIfEEEEZZNS1_9scan_implILNS1_25lookback_scan_determinismE0ELb0ELb0ES3_PKS7_PS7_S7_ZZZN2at6native31launch_logcumsumexp_cuda_kernelERKNSE_10TensorBaseESI_lENKUlvE_clEvENKUlvE2_clEvEUlS7_S7_E_S7_EEDaPvRmT3_T4_T5_mT6_P12ihipStream_tbENKUlT_T0_E_clISt17integral_constantIbLb0EESY_IbLb1EEEEDaSU_SV_EUlSU_E0_NS1_11comp_targetILNS1_3genE2ELNS1_11target_archE906ELNS1_3gpuE6ELNS1_3repE0EEENS1_30default_config_static_selectorELNS0_4arch9wavefront6targetE1EEEvT1_.num_agpr, max(0, .L_ZZZZN2at6native31launch_logcumsumexp_cuda_kernelERKNS_10TensorBaseES3_lENKUlvE_clEvENKUlvE2_clEvENKUlN3c107complexIfEES8_E_clES8_S8_.num_agpr)
	.set _ZN7rocprim17ROCPRIM_400000_NS6detail17trampoline_kernelINS0_14default_configENS1_20scan_config_selectorIN3c107complexIfEEEEZZNS1_9scan_implILNS1_25lookback_scan_determinismE0ELb0ELb0ES3_PKS7_PS7_S7_ZZZN2at6native31launch_logcumsumexp_cuda_kernelERKNSE_10TensorBaseESI_lENKUlvE_clEvENKUlvE2_clEvEUlS7_S7_E_S7_EEDaPvRmT3_T4_T5_mT6_P12ihipStream_tbENKUlT_T0_E_clISt17integral_constantIbLb0EESY_IbLb1EEEEDaSU_SV_EUlSU_E0_NS1_11comp_targetILNS1_3genE2ELNS1_11target_archE906ELNS1_3gpuE6ELNS1_3repE0EEENS1_30default_config_static_selectorELNS0_4arch9wavefront6targetE1EEEvT1_.numbered_sgpr, max(58, .L_ZZZZN2at6native31launch_logcumsumexp_cuda_kernelERKNS_10TensorBaseES3_lENKUlvE_clEvENKUlvE2_clEvENKUlN3c107complexIfEES8_E_clES8_S8_.numbered_sgpr)
	.set _ZN7rocprim17ROCPRIM_400000_NS6detail17trampoline_kernelINS0_14default_configENS1_20scan_config_selectorIN3c107complexIfEEEEZZNS1_9scan_implILNS1_25lookback_scan_determinismE0ELb0ELb0ES3_PKS7_PS7_S7_ZZZN2at6native31launch_logcumsumexp_cuda_kernelERKNSE_10TensorBaseESI_lENKUlvE_clEvENKUlvE2_clEvEUlS7_S7_E_S7_EEDaPvRmT3_T4_T5_mT6_P12ihipStream_tbENKUlT_T0_E_clISt17integral_constantIbLb0EESY_IbLb1EEEEDaSU_SV_EUlSU_E0_NS1_11comp_targetILNS1_3genE2ELNS1_11target_archE906ELNS1_3gpuE6ELNS1_3repE0EEENS1_30default_config_static_selectorELNS0_4arch9wavefront6targetE1EEEvT1_.num_named_barrier, max(0, .L_ZZZZN2at6native31launch_logcumsumexp_cuda_kernelERKNS_10TensorBaseES3_lENKUlvE_clEvENKUlvE2_clEvENKUlN3c107complexIfEES8_E_clES8_S8_.num_named_barrier)
	.set _ZN7rocprim17ROCPRIM_400000_NS6detail17trampoline_kernelINS0_14default_configENS1_20scan_config_selectorIN3c107complexIfEEEEZZNS1_9scan_implILNS1_25lookback_scan_determinismE0ELb0ELb0ES3_PKS7_PS7_S7_ZZZN2at6native31launch_logcumsumexp_cuda_kernelERKNSE_10TensorBaseESI_lENKUlvE_clEvENKUlvE2_clEvEUlS7_S7_E_S7_EEDaPvRmT3_T4_T5_mT6_P12ihipStream_tbENKUlT_T0_E_clISt17integral_constantIbLb0EESY_IbLb1EEEEDaSU_SV_EUlSU_E0_NS1_11comp_targetILNS1_3genE2ELNS1_11target_archE906ELNS1_3gpuE6ELNS1_3repE0EEENS1_30default_config_static_selectorELNS0_4arch9wavefront6targetE1EEEvT1_.private_seg_size, 0+max(.L_ZZZZN2at6native31launch_logcumsumexp_cuda_kernelERKNS_10TensorBaseES3_lENKUlvE_clEvENKUlvE2_clEvENKUlN3c107complexIfEES8_E_clES8_S8_.private_seg_size)
	.set _ZN7rocprim17ROCPRIM_400000_NS6detail17trampoline_kernelINS0_14default_configENS1_20scan_config_selectorIN3c107complexIfEEEEZZNS1_9scan_implILNS1_25lookback_scan_determinismE0ELb0ELb0ES3_PKS7_PS7_S7_ZZZN2at6native31launch_logcumsumexp_cuda_kernelERKNSE_10TensorBaseESI_lENKUlvE_clEvENKUlvE2_clEvEUlS7_S7_E_S7_EEDaPvRmT3_T4_T5_mT6_P12ihipStream_tbENKUlT_T0_E_clISt17integral_constantIbLb0EESY_IbLb1EEEEDaSU_SV_EUlSU_E0_NS1_11comp_targetILNS1_3genE2ELNS1_11target_archE906ELNS1_3gpuE6ELNS1_3repE0EEENS1_30default_config_static_selectorELNS0_4arch9wavefront6targetE1EEEvT1_.uses_vcc, or(1, .L_ZZZZN2at6native31launch_logcumsumexp_cuda_kernelERKNS_10TensorBaseES3_lENKUlvE_clEvENKUlvE2_clEvENKUlN3c107complexIfEES8_E_clES8_S8_.uses_vcc)
	.set _ZN7rocprim17ROCPRIM_400000_NS6detail17trampoline_kernelINS0_14default_configENS1_20scan_config_selectorIN3c107complexIfEEEEZZNS1_9scan_implILNS1_25lookback_scan_determinismE0ELb0ELb0ES3_PKS7_PS7_S7_ZZZN2at6native31launch_logcumsumexp_cuda_kernelERKNSE_10TensorBaseESI_lENKUlvE_clEvENKUlvE2_clEvEUlS7_S7_E_S7_EEDaPvRmT3_T4_T5_mT6_P12ihipStream_tbENKUlT_T0_E_clISt17integral_constantIbLb0EESY_IbLb1EEEEDaSU_SV_EUlSU_E0_NS1_11comp_targetILNS1_3genE2ELNS1_11target_archE906ELNS1_3gpuE6ELNS1_3repE0EEENS1_30default_config_static_selectorELNS0_4arch9wavefront6targetE1EEEvT1_.uses_flat_scratch, or(0, .L_ZZZZN2at6native31launch_logcumsumexp_cuda_kernelERKNS_10TensorBaseES3_lENKUlvE_clEvENKUlvE2_clEvENKUlN3c107complexIfEES8_E_clES8_S8_.uses_flat_scratch)
	.set _ZN7rocprim17ROCPRIM_400000_NS6detail17trampoline_kernelINS0_14default_configENS1_20scan_config_selectorIN3c107complexIfEEEEZZNS1_9scan_implILNS1_25lookback_scan_determinismE0ELb0ELb0ES3_PKS7_PS7_S7_ZZZN2at6native31launch_logcumsumexp_cuda_kernelERKNSE_10TensorBaseESI_lENKUlvE_clEvENKUlvE2_clEvEUlS7_S7_E_S7_EEDaPvRmT3_T4_T5_mT6_P12ihipStream_tbENKUlT_T0_E_clISt17integral_constantIbLb0EESY_IbLb1EEEEDaSU_SV_EUlSU_E0_NS1_11comp_targetILNS1_3genE2ELNS1_11target_archE906ELNS1_3gpuE6ELNS1_3repE0EEENS1_30default_config_static_selectorELNS0_4arch9wavefront6targetE1EEEvT1_.has_dyn_sized_stack, or(0, .L_ZZZZN2at6native31launch_logcumsumexp_cuda_kernelERKNS_10TensorBaseES3_lENKUlvE_clEvENKUlvE2_clEvENKUlN3c107complexIfEES8_E_clES8_S8_.has_dyn_sized_stack)
	.set _ZN7rocprim17ROCPRIM_400000_NS6detail17trampoline_kernelINS0_14default_configENS1_20scan_config_selectorIN3c107complexIfEEEEZZNS1_9scan_implILNS1_25lookback_scan_determinismE0ELb0ELb0ES3_PKS7_PS7_S7_ZZZN2at6native31launch_logcumsumexp_cuda_kernelERKNSE_10TensorBaseESI_lENKUlvE_clEvENKUlvE2_clEvEUlS7_S7_E_S7_EEDaPvRmT3_T4_T5_mT6_P12ihipStream_tbENKUlT_T0_E_clISt17integral_constantIbLb0EESY_IbLb1EEEEDaSU_SV_EUlSU_E0_NS1_11comp_targetILNS1_3genE2ELNS1_11target_archE906ELNS1_3gpuE6ELNS1_3repE0EEENS1_30default_config_static_selectorELNS0_4arch9wavefront6targetE1EEEvT1_.has_recursion, or(0, .L_ZZZZN2at6native31launch_logcumsumexp_cuda_kernelERKNS_10TensorBaseES3_lENKUlvE_clEvENKUlvE2_clEvENKUlN3c107complexIfEES8_E_clES8_S8_.has_recursion)
	.set _ZN7rocprim17ROCPRIM_400000_NS6detail17trampoline_kernelINS0_14default_configENS1_20scan_config_selectorIN3c107complexIfEEEEZZNS1_9scan_implILNS1_25lookback_scan_determinismE0ELb0ELb0ES3_PKS7_PS7_S7_ZZZN2at6native31launch_logcumsumexp_cuda_kernelERKNSE_10TensorBaseESI_lENKUlvE_clEvENKUlvE2_clEvEUlS7_S7_E_S7_EEDaPvRmT3_T4_T5_mT6_P12ihipStream_tbENKUlT_T0_E_clISt17integral_constantIbLb0EESY_IbLb1EEEEDaSU_SV_EUlSU_E0_NS1_11comp_targetILNS1_3genE2ELNS1_11target_archE906ELNS1_3gpuE6ELNS1_3repE0EEENS1_30default_config_static_selectorELNS0_4arch9wavefront6targetE1EEEvT1_.has_indirect_call, or(0, .L_ZZZZN2at6native31launch_logcumsumexp_cuda_kernelERKNS_10TensorBaseES3_lENKUlvE_clEvENKUlvE2_clEvENKUlN3c107complexIfEES8_E_clES8_S8_.has_indirect_call)
	.section	.AMDGPU.csdata,"",@progbits
; Kernel info:
; codeLenInByte = 2680
; TotalNumSgprs: 62
; NumVgprs: 80
; ScratchSize: 0
; MemoryBound: 0
; FloatMode: 240
; IeeeMode: 1
; LDSByteSize: 7168 bytes/workgroup (compile time only)
; SGPRBlocks: 12
; VGPRBlocks: 19
; NumSGPRsForWavesPerEU: 102
; NumVGPRsForWavesPerEU: 80
; Occupancy: 3
; WaveLimiterHint : 0
; COMPUTE_PGM_RSRC2:SCRATCH_EN: 0
; COMPUTE_PGM_RSRC2:USER_SGPR: 6
; COMPUTE_PGM_RSRC2:TRAP_HANDLER: 0
; COMPUTE_PGM_RSRC2:TGID_X_EN: 1
; COMPUTE_PGM_RSRC2:TGID_Y_EN: 0
; COMPUTE_PGM_RSRC2:TGID_Z_EN: 0
; COMPUTE_PGM_RSRC2:TIDIG_COMP_CNT: 0
	.section	.text._ZN7rocprim17ROCPRIM_400000_NS6detail17trampoline_kernelINS0_14default_configENS1_20scan_config_selectorIN3c107complexIfEEEEZZNS1_9scan_implILNS1_25lookback_scan_determinismE0ELb0ELb0ES3_PKS7_PS7_S7_ZZZN2at6native31launch_logcumsumexp_cuda_kernelERKNSE_10TensorBaseESI_lENKUlvE_clEvENKUlvE2_clEvEUlS7_S7_E_S7_EEDaPvRmT3_T4_T5_mT6_P12ihipStream_tbENKUlT_T0_E_clISt17integral_constantIbLb0EESY_IbLb1EEEEDaSU_SV_EUlSU_E0_NS1_11comp_targetILNS1_3genE10ELNS1_11target_archE1201ELNS1_3gpuE5ELNS1_3repE0EEENS1_30default_config_static_selectorELNS0_4arch9wavefront6targetE1EEEvT1_,"axG",@progbits,_ZN7rocprim17ROCPRIM_400000_NS6detail17trampoline_kernelINS0_14default_configENS1_20scan_config_selectorIN3c107complexIfEEEEZZNS1_9scan_implILNS1_25lookback_scan_determinismE0ELb0ELb0ES3_PKS7_PS7_S7_ZZZN2at6native31launch_logcumsumexp_cuda_kernelERKNSE_10TensorBaseESI_lENKUlvE_clEvENKUlvE2_clEvEUlS7_S7_E_S7_EEDaPvRmT3_T4_T5_mT6_P12ihipStream_tbENKUlT_T0_E_clISt17integral_constantIbLb0EESY_IbLb1EEEEDaSU_SV_EUlSU_E0_NS1_11comp_targetILNS1_3genE10ELNS1_11target_archE1201ELNS1_3gpuE5ELNS1_3repE0EEENS1_30default_config_static_selectorELNS0_4arch9wavefront6targetE1EEEvT1_,comdat
	.globl	_ZN7rocprim17ROCPRIM_400000_NS6detail17trampoline_kernelINS0_14default_configENS1_20scan_config_selectorIN3c107complexIfEEEEZZNS1_9scan_implILNS1_25lookback_scan_determinismE0ELb0ELb0ES3_PKS7_PS7_S7_ZZZN2at6native31launch_logcumsumexp_cuda_kernelERKNSE_10TensorBaseESI_lENKUlvE_clEvENKUlvE2_clEvEUlS7_S7_E_S7_EEDaPvRmT3_T4_T5_mT6_P12ihipStream_tbENKUlT_T0_E_clISt17integral_constantIbLb0EESY_IbLb1EEEEDaSU_SV_EUlSU_E0_NS1_11comp_targetILNS1_3genE10ELNS1_11target_archE1201ELNS1_3gpuE5ELNS1_3repE0EEENS1_30default_config_static_selectorELNS0_4arch9wavefront6targetE1EEEvT1_ ; -- Begin function _ZN7rocprim17ROCPRIM_400000_NS6detail17trampoline_kernelINS0_14default_configENS1_20scan_config_selectorIN3c107complexIfEEEEZZNS1_9scan_implILNS1_25lookback_scan_determinismE0ELb0ELb0ES3_PKS7_PS7_S7_ZZZN2at6native31launch_logcumsumexp_cuda_kernelERKNSE_10TensorBaseESI_lENKUlvE_clEvENKUlvE2_clEvEUlS7_S7_E_S7_EEDaPvRmT3_T4_T5_mT6_P12ihipStream_tbENKUlT_T0_E_clISt17integral_constantIbLb0EESY_IbLb1EEEEDaSU_SV_EUlSU_E0_NS1_11comp_targetILNS1_3genE10ELNS1_11target_archE1201ELNS1_3gpuE5ELNS1_3repE0EEENS1_30default_config_static_selectorELNS0_4arch9wavefront6targetE1EEEvT1_
	.p2align	8
	.type	_ZN7rocprim17ROCPRIM_400000_NS6detail17trampoline_kernelINS0_14default_configENS1_20scan_config_selectorIN3c107complexIfEEEEZZNS1_9scan_implILNS1_25lookback_scan_determinismE0ELb0ELb0ES3_PKS7_PS7_S7_ZZZN2at6native31launch_logcumsumexp_cuda_kernelERKNSE_10TensorBaseESI_lENKUlvE_clEvENKUlvE2_clEvEUlS7_S7_E_S7_EEDaPvRmT3_T4_T5_mT6_P12ihipStream_tbENKUlT_T0_E_clISt17integral_constantIbLb0EESY_IbLb1EEEEDaSU_SV_EUlSU_E0_NS1_11comp_targetILNS1_3genE10ELNS1_11target_archE1201ELNS1_3gpuE5ELNS1_3repE0EEENS1_30default_config_static_selectorELNS0_4arch9wavefront6targetE1EEEvT1_,@function
_ZN7rocprim17ROCPRIM_400000_NS6detail17trampoline_kernelINS0_14default_configENS1_20scan_config_selectorIN3c107complexIfEEEEZZNS1_9scan_implILNS1_25lookback_scan_determinismE0ELb0ELb0ES3_PKS7_PS7_S7_ZZZN2at6native31launch_logcumsumexp_cuda_kernelERKNSE_10TensorBaseESI_lENKUlvE_clEvENKUlvE2_clEvEUlS7_S7_E_S7_EEDaPvRmT3_T4_T5_mT6_P12ihipStream_tbENKUlT_T0_E_clISt17integral_constantIbLb0EESY_IbLb1EEEEDaSU_SV_EUlSU_E0_NS1_11comp_targetILNS1_3genE10ELNS1_11target_archE1201ELNS1_3gpuE5ELNS1_3repE0EEENS1_30default_config_static_selectorELNS0_4arch9wavefront6targetE1EEEvT1_: ; @_ZN7rocprim17ROCPRIM_400000_NS6detail17trampoline_kernelINS0_14default_configENS1_20scan_config_selectorIN3c107complexIfEEEEZZNS1_9scan_implILNS1_25lookback_scan_determinismE0ELb0ELb0ES3_PKS7_PS7_S7_ZZZN2at6native31launch_logcumsumexp_cuda_kernelERKNSE_10TensorBaseESI_lENKUlvE_clEvENKUlvE2_clEvEUlS7_S7_E_S7_EEDaPvRmT3_T4_T5_mT6_P12ihipStream_tbENKUlT_T0_E_clISt17integral_constantIbLb0EESY_IbLb1EEEEDaSU_SV_EUlSU_E0_NS1_11comp_targetILNS1_3genE10ELNS1_11target_archE1201ELNS1_3gpuE5ELNS1_3repE0EEENS1_30default_config_static_selectorELNS0_4arch9wavefront6targetE1EEEvT1_
; %bb.0:
	.section	.rodata,"a",@progbits
	.p2align	6, 0x0
	.amdhsa_kernel _ZN7rocprim17ROCPRIM_400000_NS6detail17trampoline_kernelINS0_14default_configENS1_20scan_config_selectorIN3c107complexIfEEEEZZNS1_9scan_implILNS1_25lookback_scan_determinismE0ELb0ELb0ES3_PKS7_PS7_S7_ZZZN2at6native31launch_logcumsumexp_cuda_kernelERKNSE_10TensorBaseESI_lENKUlvE_clEvENKUlvE2_clEvEUlS7_S7_E_S7_EEDaPvRmT3_T4_T5_mT6_P12ihipStream_tbENKUlT_T0_E_clISt17integral_constantIbLb0EESY_IbLb1EEEEDaSU_SV_EUlSU_E0_NS1_11comp_targetILNS1_3genE10ELNS1_11target_archE1201ELNS1_3gpuE5ELNS1_3repE0EEENS1_30default_config_static_selectorELNS0_4arch9wavefront6targetE1EEEvT1_
		.amdhsa_group_segment_fixed_size 0
		.amdhsa_private_segment_fixed_size 0
		.amdhsa_kernarg_size 40
		.amdhsa_user_sgpr_count 6
		.amdhsa_user_sgpr_private_segment_buffer 1
		.amdhsa_user_sgpr_dispatch_ptr 0
		.amdhsa_user_sgpr_queue_ptr 0
		.amdhsa_user_sgpr_kernarg_segment_ptr 1
		.amdhsa_user_sgpr_dispatch_id 0
		.amdhsa_user_sgpr_flat_scratch_init 0
		.amdhsa_user_sgpr_private_segment_size 0
		.amdhsa_uses_dynamic_stack 0
		.amdhsa_system_sgpr_private_segment_wavefront_offset 0
		.amdhsa_system_sgpr_workgroup_id_x 1
		.amdhsa_system_sgpr_workgroup_id_y 0
		.amdhsa_system_sgpr_workgroup_id_z 0
		.amdhsa_system_sgpr_workgroup_info 0
		.amdhsa_system_vgpr_workitem_id 0
		.amdhsa_next_free_vgpr 1
		.amdhsa_next_free_sgpr 0
		.amdhsa_reserve_vcc 0
		.amdhsa_reserve_flat_scratch 0
		.amdhsa_float_round_mode_32 0
		.amdhsa_float_round_mode_16_64 0
		.amdhsa_float_denorm_mode_32 3
		.amdhsa_float_denorm_mode_16_64 3
		.amdhsa_dx10_clamp 1
		.amdhsa_ieee_mode 1
		.amdhsa_fp16_overflow 0
		.amdhsa_exception_fp_ieee_invalid_op 0
		.amdhsa_exception_fp_denorm_src 0
		.amdhsa_exception_fp_ieee_div_zero 0
		.amdhsa_exception_fp_ieee_overflow 0
		.amdhsa_exception_fp_ieee_underflow 0
		.amdhsa_exception_fp_ieee_inexact 0
		.amdhsa_exception_int_div_zero 0
	.end_amdhsa_kernel
	.section	.text._ZN7rocprim17ROCPRIM_400000_NS6detail17trampoline_kernelINS0_14default_configENS1_20scan_config_selectorIN3c107complexIfEEEEZZNS1_9scan_implILNS1_25lookback_scan_determinismE0ELb0ELb0ES3_PKS7_PS7_S7_ZZZN2at6native31launch_logcumsumexp_cuda_kernelERKNSE_10TensorBaseESI_lENKUlvE_clEvENKUlvE2_clEvEUlS7_S7_E_S7_EEDaPvRmT3_T4_T5_mT6_P12ihipStream_tbENKUlT_T0_E_clISt17integral_constantIbLb0EESY_IbLb1EEEEDaSU_SV_EUlSU_E0_NS1_11comp_targetILNS1_3genE10ELNS1_11target_archE1201ELNS1_3gpuE5ELNS1_3repE0EEENS1_30default_config_static_selectorELNS0_4arch9wavefront6targetE1EEEvT1_,"axG",@progbits,_ZN7rocprim17ROCPRIM_400000_NS6detail17trampoline_kernelINS0_14default_configENS1_20scan_config_selectorIN3c107complexIfEEEEZZNS1_9scan_implILNS1_25lookback_scan_determinismE0ELb0ELb0ES3_PKS7_PS7_S7_ZZZN2at6native31launch_logcumsumexp_cuda_kernelERKNSE_10TensorBaseESI_lENKUlvE_clEvENKUlvE2_clEvEUlS7_S7_E_S7_EEDaPvRmT3_T4_T5_mT6_P12ihipStream_tbENKUlT_T0_E_clISt17integral_constantIbLb0EESY_IbLb1EEEEDaSU_SV_EUlSU_E0_NS1_11comp_targetILNS1_3genE10ELNS1_11target_archE1201ELNS1_3gpuE5ELNS1_3repE0EEENS1_30default_config_static_selectorELNS0_4arch9wavefront6targetE1EEEvT1_,comdat
.Lfunc_end343:
	.size	_ZN7rocprim17ROCPRIM_400000_NS6detail17trampoline_kernelINS0_14default_configENS1_20scan_config_selectorIN3c107complexIfEEEEZZNS1_9scan_implILNS1_25lookback_scan_determinismE0ELb0ELb0ES3_PKS7_PS7_S7_ZZZN2at6native31launch_logcumsumexp_cuda_kernelERKNSE_10TensorBaseESI_lENKUlvE_clEvENKUlvE2_clEvEUlS7_S7_E_S7_EEDaPvRmT3_T4_T5_mT6_P12ihipStream_tbENKUlT_T0_E_clISt17integral_constantIbLb0EESY_IbLb1EEEEDaSU_SV_EUlSU_E0_NS1_11comp_targetILNS1_3genE10ELNS1_11target_archE1201ELNS1_3gpuE5ELNS1_3repE0EEENS1_30default_config_static_selectorELNS0_4arch9wavefront6targetE1EEEvT1_, .Lfunc_end343-_ZN7rocprim17ROCPRIM_400000_NS6detail17trampoline_kernelINS0_14default_configENS1_20scan_config_selectorIN3c107complexIfEEEEZZNS1_9scan_implILNS1_25lookback_scan_determinismE0ELb0ELb0ES3_PKS7_PS7_S7_ZZZN2at6native31launch_logcumsumexp_cuda_kernelERKNSE_10TensorBaseESI_lENKUlvE_clEvENKUlvE2_clEvEUlS7_S7_E_S7_EEDaPvRmT3_T4_T5_mT6_P12ihipStream_tbENKUlT_T0_E_clISt17integral_constantIbLb0EESY_IbLb1EEEEDaSU_SV_EUlSU_E0_NS1_11comp_targetILNS1_3genE10ELNS1_11target_archE1201ELNS1_3gpuE5ELNS1_3repE0EEENS1_30default_config_static_selectorELNS0_4arch9wavefront6targetE1EEEvT1_
                                        ; -- End function
	.set _ZN7rocprim17ROCPRIM_400000_NS6detail17trampoline_kernelINS0_14default_configENS1_20scan_config_selectorIN3c107complexIfEEEEZZNS1_9scan_implILNS1_25lookback_scan_determinismE0ELb0ELb0ES3_PKS7_PS7_S7_ZZZN2at6native31launch_logcumsumexp_cuda_kernelERKNSE_10TensorBaseESI_lENKUlvE_clEvENKUlvE2_clEvEUlS7_S7_E_S7_EEDaPvRmT3_T4_T5_mT6_P12ihipStream_tbENKUlT_T0_E_clISt17integral_constantIbLb0EESY_IbLb1EEEEDaSU_SV_EUlSU_E0_NS1_11comp_targetILNS1_3genE10ELNS1_11target_archE1201ELNS1_3gpuE5ELNS1_3repE0EEENS1_30default_config_static_selectorELNS0_4arch9wavefront6targetE1EEEvT1_.num_vgpr, 0
	.set _ZN7rocprim17ROCPRIM_400000_NS6detail17trampoline_kernelINS0_14default_configENS1_20scan_config_selectorIN3c107complexIfEEEEZZNS1_9scan_implILNS1_25lookback_scan_determinismE0ELb0ELb0ES3_PKS7_PS7_S7_ZZZN2at6native31launch_logcumsumexp_cuda_kernelERKNSE_10TensorBaseESI_lENKUlvE_clEvENKUlvE2_clEvEUlS7_S7_E_S7_EEDaPvRmT3_T4_T5_mT6_P12ihipStream_tbENKUlT_T0_E_clISt17integral_constantIbLb0EESY_IbLb1EEEEDaSU_SV_EUlSU_E0_NS1_11comp_targetILNS1_3genE10ELNS1_11target_archE1201ELNS1_3gpuE5ELNS1_3repE0EEENS1_30default_config_static_selectorELNS0_4arch9wavefront6targetE1EEEvT1_.num_agpr, 0
	.set _ZN7rocprim17ROCPRIM_400000_NS6detail17trampoline_kernelINS0_14default_configENS1_20scan_config_selectorIN3c107complexIfEEEEZZNS1_9scan_implILNS1_25lookback_scan_determinismE0ELb0ELb0ES3_PKS7_PS7_S7_ZZZN2at6native31launch_logcumsumexp_cuda_kernelERKNSE_10TensorBaseESI_lENKUlvE_clEvENKUlvE2_clEvEUlS7_S7_E_S7_EEDaPvRmT3_T4_T5_mT6_P12ihipStream_tbENKUlT_T0_E_clISt17integral_constantIbLb0EESY_IbLb1EEEEDaSU_SV_EUlSU_E0_NS1_11comp_targetILNS1_3genE10ELNS1_11target_archE1201ELNS1_3gpuE5ELNS1_3repE0EEENS1_30default_config_static_selectorELNS0_4arch9wavefront6targetE1EEEvT1_.numbered_sgpr, 0
	.set _ZN7rocprim17ROCPRIM_400000_NS6detail17trampoline_kernelINS0_14default_configENS1_20scan_config_selectorIN3c107complexIfEEEEZZNS1_9scan_implILNS1_25lookback_scan_determinismE0ELb0ELb0ES3_PKS7_PS7_S7_ZZZN2at6native31launch_logcumsumexp_cuda_kernelERKNSE_10TensorBaseESI_lENKUlvE_clEvENKUlvE2_clEvEUlS7_S7_E_S7_EEDaPvRmT3_T4_T5_mT6_P12ihipStream_tbENKUlT_T0_E_clISt17integral_constantIbLb0EESY_IbLb1EEEEDaSU_SV_EUlSU_E0_NS1_11comp_targetILNS1_3genE10ELNS1_11target_archE1201ELNS1_3gpuE5ELNS1_3repE0EEENS1_30default_config_static_selectorELNS0_4arch9wavefront6targetE1EEEvT1_.num_named_barrier, 0
	.set _ZN7rocprim17ROCPRIM_400000_NS6detail17trampoline_kernelINS0_14default_configENS1_20scan_config_selectorIN3c107complexIfEEEEZZNS1_9scan_implILNS1_25lookback_scan_determinismE0ELb0ELb0ES3_PKS7_PS7_S7_ZZZN2at6native31launch_logcumsumexp_cuda_kernelERKNSE_10TensorBaseESI_lENKUlvE_clEvENKUlvE2_clEvEUlS7_S7_E_S7_EEDaPvRmT3_T4_T5_mT6_P12ihipStream_tbENKUlT_T0_E_clISt17integral_constantIbLb0EESY_IbLb1EEEEDaSU_SV_EUlSU_E0_NS1_11comp_targetILNS1_3genE10ELNS1_11target_archE1201ELNS1_3gpuE5ELNS1_3repE0EEENS1_30default_config_static_selectorELNS0_4arch9wavefront6targetE1EEEvT1_.private_seg_size, 0
	.set _ZN7rocprim17ROCPRIM_400000_NS6detail17trampoline_kernelINS0_14default_configENS1_20scan_config_selectorIN3c107complexIfEEEEZZNS1_9scan_implILNS1_25lookback_scan_determinismE0ELb0ELb0ES3_PKS7_PS7_S7_ZZZN2at6native31launch_logcumsumexp_cuda_kernelERKNSE_10TensorBaseESI_lENKUlvE_clEvENKUlvE2_clEvEUlS7_S7_E_S7_EEDaPvRmT3_T4_T5_mT6_P12ihipStream_tbENKUlT_T0_E_clISt17integral_constantIbLb0EESY_IbLb1EEEEDaSU_SV_EUlSU_E0_NS1_11comp_targetILNS1_3genE10ELNS1_11target_archE1201ELNS1_3gpuE5ELNS1_3repE0EEENS1_30default_config_static_selectorELNS0_4arch9wavefront6targetE1EEEvT1_.uses_vcc, 0
	.set _ZN7rocprim17ROCPRIM_400000_NS6detail17trampoline_kernelINS0_14default_configENS1_20scan_config_selectorIN3c107complexIfEEEEZZNS1_9scan_implILNS1_25lookback_scan_determinismE0ELb0ELb0ES3_PKS7_PS7_S7_ZZZN2at6native31launch_logcumsumexp_cuda_kernelERKNSE_10TensorBaseESI_lENKUlvE_clEvENKUlvE2_clEvEUlS7_S7_E_S7_EEDaPvRmT3_T4_T5_mT6_P12ihipStream_tbENKUlT_T0_E_clISt17integral_constantIbLb0EESY_IbLb1EEEEDaSU_SV_EUlSU_E0_NS1_11comp_targetILNS1_3genE10ELNS1_11target_archE1201ELNS1_3gpuE5ELNS1_3repE0EEENS1_30default_config_static_selectorELNS0_4arch9wavefront6targetE1EEEvT1_.uses_flat_scratch, 0
	.set _ZN7rocprim17ROCPRIM_400000_NS6detail17trampoline_kernelINS0_14default_configENS1_20scan_config_selectorIN3c107complexIfEEEEZZNS1_9scan_implILNS1_25lookback_scan_determinismE0ELb0ELb0ES3_PKS7_PS7_S7_ZZZN2at6native31launch_logcumsumexp_cuda_kernelERKNSE_10TensorBaseESI_lENKUlvE_clEvENKUlvE2_clEvEUlS7_S7_E_S7_EEDaPvRmT3_T4_T5_mT6_P12ihipStream_tbENKUlT_T0_E_clISt17integral_constantIbLb0EESY_IbLb1EEEEDaSU_SV_EUlSU_E0_NS1_11comp_targetILNS1_3genE10ELNS1_11target_archE1201ELNS1_3gpuE5ELNS1_3repE0EEENS1_30default_config_static_selectorELNS0_4arch9wavefront6targetE1EEEvT1_.has_dyn_sized_stack, 0
	.set _ZN7rocprim17ROCPRIM_400000_NS6detail17trampoline_kernelINS0_14default_configENS1_20scan_config_selectorIN3c107complexIfEEEEZZNS1_9scan_implILNS1_25lookback_scan_determinismE0ELb0ELb0ES3_PKS7_PS7_S7_ZZZN2at6native31launch_logcumsumexp_cuda_kernelERKNSE_10TensorBaseESI_lENKUlvE_clEvENKUlvE2_clEvEUlS7_S7_E_S7_EEDaPvRmT3_T4_T5_mT6_P12ihipStream_tbENKUlT_T0_E_clISt17integral_constantIbLb0EESY_IbLb1EEEEDaSU_SV_EUlSU_E0_NS1_11comp_targetILNS1_3genE10ELNS1_11target_archE1201ELNS1_3gpuE5ELNS1_3repE0EEENS1_30default_config_static_selectorELNS0_4arch9wavefront6targetE1EEEvT1_.has_recursion, 0
	.set _ZN7rocprim17ROCPRIM_400000_NS6detail17trampoline_kernelINS0_14default_configENS1_20scan_config_selectorIN3c107complexIfEEEEZZNS1_9scan_implILNS1_25lookback_scan_determinismE0ELb0ELb0ES3_PKS7_PS7_S7_ZZZN2at6native31launch_logcumsumexp_cuda_kernelERKNSE_10TensorBaseESI_lENKUlvE_clEvENKUlvE2_clEvEUlS7_S7_E_S7_EEDaPvRmT3_T4_T5_mT6_P12ihipStream_tbENKUlT_T0_E_clISt17integral_constantIbLb0EESY_IbLb1EEEEDaSU_SV_EUlSU_E0_NS1_11comp_targetILNS1_3genE10ELNS1_11target_archE1201ELNS1_3gpuE5ELNS1_3repE0EEENS1_30default_config_static_selectorELNS0_4arch9wavefront6targetE1EEEvT1_.has_indirect_call, 0
	.section	.AMDGPU.csdata,"",@progbits
; Kernel info:
; codeLenInByte = 0
; TotalNumSgprs: 4
; NumVgprs: 0
; ScratchSize: 0
; MemoryBound: 0
; FloatMode: 240
; IeeeMode: 1
; LDSByteSize: 0 bytes/workgroup (compile time only)
; SGPRBlocks: 0
; VGPRBlocks: 0
; NumSGPRsForWavesPerEU: 4
; NumVGPRsForWavesPerEU: 1
; Occupancy: 10
; WaveLimiterHint : 0
; COMPUTE_PGM_RSRC2:SCRATCH_EN: 0
; COMPUTE_PGM_RSRC2:USER_SGPR: 6
; COMPUTE_PGM_RSRC2:TRAP_HANDLER: 0
; COMPUTE_PGM_RSRC2:TGID_X_EN: 1
; COMPUTE_PGM_RSRC2:TGID_Y_EN: 0
; COMPUTE_PGM_RSRC2:TGID_Z_EN: 0
; COMPUTE_PGM_RSRC2:TIDIG_COMP_CNT: 0
	.section	.text._ZN7rocprim17ROCPRIM_400000_NS6detail17trampoline_kernelINS0_14default_configENS1_20scan_config_selectorIN3c107complexIfEEEEZZNS1_9scan_implILNS1_25lookback_scan_determinismE0ELb0ELb0ES3_PKS7_PS7_S7_ZZZN2at6native31launch_logcumsumexp_cuda_kernelERKNSE_10TensorBaseESI_lENKUlvE_clEvENKUlvE2_clEvEUlS7_S7_E_S7_EEDaPvRmT3_T4_T5_mT6_P12ihipStream_tbENKUlT_T0_E_clISt17integral_constantIbLb0EESY_IbLb1EEEEDaSU_SV_EUlSU_E0_NS1_11comp_targetILNS1_3genE10ELNS1_11target_archE1200ELNS1_3gpuE4ELNS1_3repE0EEENS1_30default_config_static_selectorELNS0_4arch9wavefront6targetE1EEEvT1_,"axG",@progbits,_ZN7rocprim17ROCPRIM_400000_NS6detail17trampoline_kernelINS0_14default_configENS1_20scan_config_selectorIN3c107complexIfEEEEZZNS1_9scan_implILNS1_25lookback_scan_determinismE0ELb0ELb0ES3_PKS7_PS7_S7_ZZZN2at6native31launch_logcumsumexp_cuda_kernelERKNSE_10TensorBaseESI_lENKUlvE_clEvENKUlvE2_clEvEUlS7_S7_E_S7_EEDaPvRmT3_T4_T5_mT6_P12ihipStream_tbENKUlT_T0_E_clISt17integral_constantIbLb0EESY_IbLb1EEEEDaSU_SV_EUlSU_E0_NS1_11comp_targetILNS1_3genE10ELNS1_11target_archE1200ELNS1_3gpuE4ELNS1_3repE0EEENS1_30default_config_static_selectorELNS0_4arch9wavefront6targetE1EEEvT1_,comdat
	.globl	_ZN7rocprim17ROCPRIM_400000_NS6detail17trampoline_kernelINS0_14default_configENS1_20scan_config_selectorIN3c107complexIfEEEEZZNS1_9scan_implILNS1_25lookback_scan_determinismE0ELb0ELb0ES3_PKS7_PS7_S7_ZZZN2at6native31launch_logcumsumexp_cuda_kernelERKNSE_10TensorBaseESI_lENKUlvE_clEvENKUlvE2_clEvEUlS7_S7_E_S7_EEDaPvRmT3_T4_T5_mT6_P12ihipStream_tbENKUlT_T0_E_clISt17integral_constantIbLb0EESY_IbLb1EEEEDaSU_SV_EUlSU_E0_NS1_11comp_targetILNS1_3genE10ELNS1_11target_archE1200ELNS1_3gpuE4ELNS1_3repE0EEENS1_30default_config_static_selectorELNS0_4arch9wavefront6targetE1EEEvT1_ ; -- Begin function _ZN7rocprim17ROCPRIM_400000_NS6detail17trampoline_kernelINS0_14default_configENS1_20scan_config_selectorIN3c107complexIfEEEEZZNS1_9scan_implILNS1_25lookback_scan_determinismE0ELb0ELb0ES3_PKS7_PS7_S7_ZZZN2at6native31launch_logcumsumexp_cuda_kernelERKNSE_10TensorBaseESI_lENKUlvE_clEvENKUlvE2_clEvEUlS7_S7_E_S7_EEDaPvRmT3_T4_T5_mT6_P12ihipStream_tbENKUlT_T0_E_clISt17integral_constantIbLb0EESY_IbLb1EEEEDaSU_SV_EUlSU_E0_NS1_11comp_targetILNS1_3genE10ELNS1_11target_archE1200ELNS1_3gpuE4ELNS1_3repE0EEENS1_30default_config_static_selectorELNS0_4arch9wavefront6targetE1EEEvT1_
	.p2align	8
	.type	_ZN7rocprim17ROCPRIM_400000_NS6detail17trampoline_kernelINS0_14default_configENS1_20scan_config_selectorIN3c107complexIfEEEEZZNS1_9scan_implILNS1_25lookback_scan_determinismE0ELb0ELb0ES3_PKS7_PS7_S7_ZZZN2at6native31launch_logcumsumexp_cuda_kernelERKNSE_10TensorBaseESI_lENKUlvE_clEvENKUlvE2_clEvEUlS7_S7_E_S7_EEDaPvRmT3_T4_T5_mT6_P12ihipStream_tbENKUlT_T0_E_clISt17integral_constantIbLb0EESY_IbLb1EEEEDaSU_SV_EUlSU_E0_NS1_11comp_targetILNS1_3genE10ELNS1_11target_archE1200ELNS1_3gpuE4ELNS1_3repE0EEENS1_30default_config_static_selectorELNS0_4arch9wavefront6targetE1EEEvT1_,@function
_ZN7rocprim17ROCPRIM_400000_NS6detail17trampoline_kernelINS0_14default_configENS1_20scan_config_selectorIN3c107complexIfEEEEZZNS1_9scan_implILNS1_25lookback_scan_determinismE0ELb0ELb0ES3_PKS7_PS7_S7_ZZZN2at6native31launch_logcumsumexp_cuda_kernelERKNSE_10TensorBaseESI_lENKUlvE_clEvENKUlvE2_clEvEUlS7_S7_E_S7_EEDaPvRmT3_T4_T5_mT6_P12ihipStream_tbENKUlT_T0_E_clISt17integral_constantIbLb0EESY_IbLb1EEEEDaSU_SV_EUlSU_E0_NS1_11comp_targetILNS1_3genE10ELNS1_11target_archE1200ELNS1_3gpuE4ELNS1_3repE0EEENS1_30default_config_static_selectorELNS0_4arch9wavefront6targetE1EEEvT1_: ; @_ZN7rocprim17ROCPRIM_400000_NS6detail17trampoline_kernelINS0_14default_configENS1_20scan_config_selectorIN3c107complexIfEEEEZZNS1_9scan_implILNS1_25lookback_scan_determinismE0ELb0ELb0ES3_PKS7_PS7_S7_ZZZN2at6native31launch_logcumsumexp_cuda_kernelERKNSE_10TensorBaseESI_lENKUlvE_clEvENKUlvE2_clEvEUlS7_S7_E_S7_EEDaPvRmT3_T4_T5_mT6_P12ihipStream_tbENKUlT_T0_E_clISt17integral_constantIbLb0EESY_IbLb1EEEEDaSU_SV_EUlSU_E0_NS1_11comp_targetILNS1_3genE10ELNS1_11target_archE1200ELNS1_3gpuE4ELNS1_3repE0EEENS1_30default_config_static_selectorELNS0_4arch9wavefront6targetE1EEEvT1_
; %bb.0:
	.section	.rodata,"a",@progbits
	.p2align	6, 0x0
	.amdhsa_kernel _ZN7rocprim17ROCPRIM_400000_NS6detail17trampoline_kernelINS0_14default_configENS1_20scan_config_selectorIN3c107complexIfEEEEZZNS1_9scan_implILNS1_25lookback_scan_determinismE0ELb0ELb0ES3_PKS7_PS7_S7_ZZZN2at6native31launch_logcumsumexp_cuda_kernelERKNSE_10TensorBaseESI_lENKUlvE_clEvENKUlvE2_clEvEUlS7_S7_E_S7_EEDaPvRmT3_T4_T5_mT6_P12ihipStream_tbENKUlT_T0_E_clISt17integral_constantIbLb0EESY_IbLb1EEEEDaSU_SV_EUlSU_E0_NS1_11comp_targetILNS1_3genE10ELNS1_11target_archE1200ELNS1_3gpuE4ELNS1_3repE0EEENS1_30default_config_static_selectorELNS0_4arch9wavefront6targetE1EEEvT1_
		.amdhsa_group_segment_fixed_size 0
		.amdhsa_private_segment_fixed_size 0
		.amdhsa_kernarg_size 40
		.amdhsa_user_sgpr_count 6
		.amdhsa_user_sgpr_private_segment_buffer 1
		.amdhsa_user_sgpr_dispatch_ptr 0
		.amdhsa_user_sgpr_queue_ptr 0
		.amdhsa_user_sgpr_kernarg_segment_ptr 1
		.amdhsa_user_sgpr_dispatch_id 0
		.amdhsa_user_sgpr_flat_scratch_init 0
		.amdhsa_user_sgpr_private_segment_size 0
		.amdhsa_uses_dynamic_stack 0
		.amdhsa_system_sgpr_private_segment_wavefront_offset 0
		.amdhsa_system_sgpr_workgroup_id_x 1
		.amdhsa_system_sgpr_workgroup_id_y 0
		.amdhsa_system_sgpr_workgroup_id_z 0
		.amdhsa_system_sgpr_workgroup_info 0
		.amdhsa_system_vgpr_workitem_id 0
		.amdhsa_next_free_vgpr 1
		.amdhsa_next_free_sgpr 0
		.amdhsa_reserve_vcc 0
		.amdhsa_reserve_flat_scratch 0
		.amdhsa_float_round_mode_32 0
		.amdhsa_float_round_mode_16_64 0
		.amdhsa_float_denorm_mode_32 3
		.amdhsa_float_denorm_mode_16_64 3
		.amdhsa_dx10_clamp 1
		.amdhsa_ieee_mode 1
		.amdhsa_fp16_overflow 0
		.amdhsa_exception_fp_ieee_invalid_op 0
		.amdhsa_exception_fp_denorm_src 0
		.amdhsa_exception_fp_ieee_div_zero 0
		.amdhsa_exception_fp_ieee_overflow 0
		.amdhsa_exception_fp_ieee_underflow 0
		.amdhsa_exception_fp_ieee_inexact 0
		.amdhsa_exception_int_div_zero 0
	.end_amdhsa_kernel
	.section	.text._ZN7rocprim17ROCPRIM_400000_NS6detail17trampoline_kernelINS0_14default_configENS1_20scan_config_selectorIN3c107complexIfEEEEZZNS1_9scan_implILNS1_25lookback_scan_determinismE0ELb0ELb0ES3_PKS7_PS7_S7_ZZZN2at6native31launch_logcumsumexp_cuda_kernelERKNSE_10TensorBaseESI_lENKUlvE_clEvENKUlvE2_clEvEUlS7_S7_E_S7_EEDaPvRmT3_T4_T5_mT6_P12ihipStream_tbENKUlT_T0_E_clISt17integral_constantIbLb0EESY_IbLb1EEEEDaSU_SV_EUlSU_E0_NS1_11comp_targetILNS1_3genE10ELNS1_11target_archE1200ELNS1_3gpuE4ELNS1_3repE0EEENS1_30default_config_static_selectorELNS0_4arch9wavefront6targetE1EEEvT1_,"axG",@progbits,_ZN7rocprim17ROCPRIM_400000_NS6detail17trampoline_kernelINS0_14default_configENS1_20scan_config_selectorIN3c107complexIfEEEEZZNS1_9scan_implILNS1_25lookback_scan_determinismE0ELb0ELb0ES3_PKS7_PS7_S7_ZZZN2at6native31launch_logcumsumexp_cuda_kernelERKNSE_10TensorBaseESI_lENKUlvE_clEvENKUlvE2_clEvEUlS7_S7_E_S7_EEDaPvRmT3_T4_T5_mT6_P12ihipStream_tbENKUlT_T0_E_clISt17integral_constantIbLb0EESY_IbLb1EEEEDaSU_SV_EUlSU_E0_NS1_11comp_targetILNS1_3genE10ELNS1_11target_archE1200ELNS1_3gpuE4ELNS1_3repE0EEENS1_30default_config_static_selectorELNS0_4arch9wavefront6targetE1EEEvT1_,comdat
.Lfunc_end344:
	.size	_ZN7rocprim17ROCPRIM_400000_NS6detail17trampoline_kernelINS0_14default_configENS1_20scan_config_selectorIN3c107complexIfEEEEZZNS1_9scan_implILNS1_25lookback_scan_determinismE0ELb0ELb0ES3_PKS7_PS7_S7_ZZZN2at6native31launch_logcumsumexp_cuda_kernelERKNSE_10TensorBaseESI_lENKUlvE_clEvENKUlvE2_clEvEUlS7_S7_E_S7_EEDaPvRmT3_T4_T5_mT6_P12ihipStream_tbENKUlT_T0_E_clISt17integral_constantIbLb0EESY_IbLb1EEEEDaSU_SV_EUlSU_E0_NS1_11comp_targetILNS1_3genE10ELNS1_11target_archE1200ELNS1_3gpuE4ELNS1_3repE0EEENS1_30default_config_static_selectorELNS0_4arch9wavefront6targetE1EEEvT1_, .Lfunc_end344-_ZN7rocprim17ROCPRIM_400000_NS6detail17trampoline_kernelINS0_14default_configENS1_20scan_config_selectorIN3c107complexIfEEEEZZNS1_9scan_implILNS1_25lookback_scan_determinismE0ELb0ELb0ES3_PKS7_PS7_S7_ZZZN2at6native31launch_logcumsumexp_cuda_kernelERKNSE_10TensorBaseESI_lENKUlvE_clEvENKUlvE2_clEvEUlS7_S7_E_S7_EEDaPvRmT3_T4_T5_mT6_P12ihipStream_tbENKUlT_T0_E_clISt17integral_constantIbLb0EESY_IbLb1EEEEDaSU_SV_EUlSU_E0_NS1_11comp_targetILNS1_3genE10ELNS1_11target_archE1200ELNS1_3gpuE4ELNS1_3repE0EEENS1_30default_config_static_selectorELNS0_4arch9wavefront6targetE1EEEvT1_
                                        ; -- End function
	.set _ZN7rocprim17ROCPRIM_400000_NS6detail17trampoline_kernelINS0_14default_configENS1_20scan_config_selectorIN3c107complexIfEEEEZZNS1_9scan_implILNS1_25lookback_scan_determinismE0ELb0ELb0ES3_PKS7_PS7_S7_ZZZN2at6native31launch_logcumsumexp_cuda_kernelERKNSE_10TensorBaseESI_lENKUlvE_clEvENKUlvE2_clEvEUlS7_S7_E_S7_EEDaPvRmT3_T4_T5_mT6_P12ihipStream_tbENKUlT_T0_E_clISt17integral_constantIbLb0EESY_IbLb1EEEEDaSU_SV_EUlSU_E0_NS1_11comp_targetILNS1_3genE10ELNS1_11target_archE1200ELNS1_3gpuE4ELNS1_3repE0EEENS1_30default_config_static_selectorELNS0_4arch9wavefront6targetE1EEEvT1_.num_vgpr, 0
	.set _ZN7rocprim17ROCPRIM_400000_NS6detail17trampoline_kernelINS0_14default_configENS1_20scan_config_selectorIN3c107complexIfEEEEZZNS1_9scan_implILNS1_25lookback_scan_determinismE0ELb0ELb0ES3_PKS7_PS7_S7_ZZZN2at6native31launch_logcumsumexp_cuda_kernelERKNSE_10TensorBaseESI_lENKUlvE_clEvENKUlvE2_clEvEUlS7_S7_E_S7_EEDaPvRmT3_T4_T5_mT6_P12ihipStream_tbENKUlT_T0_E_clISt17integral_constantIbLb0EESY_IbLb1EEEEDaSU_SV_EUlSU_E0_NS1_11comp_targetILNS1_3genE10ELNS1_11target_archE1200ELNS1_3gpuE4ELNS1_3repE0EEENS1_30default_config_static_selectorELNS0_4arch9wavefront6targetE1EEEvT1_.num_agpr, 0
	.set _ZN7rocprim17ROCPRIM_400000_NS6detail17trampoline_kernelINS0_14default_configENS1_20scan_config_selectorIN3c107complexIfEEEEZZNS1_9scan_implILNS1_25lookback_scan_determinismE0ELb0ELb0ES3_PKS7_PS7_S7_ZZZN2at6native31launch_logcumsumexp_cuda_kernelERKNSE_10TensorBaseESI_lENKUlvE_clEvENKUlvE2_clEvEUlS7_S7_E_S7_EEDaPvRmT3_T4_T5_mT6_P12ihipStream_tbENKUlT_T0_E_clISt17integral_constantIbLb0EESY_IbLb1EEEEDaSU_SV_EUlSU_E0_NS1_11comp_targetILNS1_3genE10ELNS1_11target_archE1200ELNS1_3gpuE4ELNS1_3repE0EEENS1_30default_config_static_selectorELNS0_4arch9wavefront6targetE1EEEvT1_.numbered_sgpr, 0
	.set _ZN7rocprim17ROCPRIM_400000_NS6detail17trampoline_kernelINS0_14default_configENS1_20scan_config_selectorIN3c107complexIfEEEEZZNS1_9scan_implILNS1_25lookback_scan_determinismE0ELb0ELb0ES3_PKS7_PS7_S7_ZZZN2at6native31launch_logcumsumexp_cuda_kernelERKNSE_10TensorBaseESI_lENKUlvE_clEvENKUlvE2_clEvEUlS7_S7_E_S7_EEDaPvRmT3_T4_T5_mT6_P12ihipStream_tbENKUlT_T0_E_clISt17integral_constantIbLb0EESY_IbLb1EEEEDaSU_SV_EUlSU_E0_NS1_11comp_targetILNS1_3genE10ELNS1_11target_archE1200ELNS1_3gpuE4ELNS1_3repE0EEENS1_30default_config_static_selectorELNS0_4arch9wavefront6targetE1EEEvT1_.num_named_barrier, 0
	.set _ZN7rocprim17ROCPRIM_400000_NS6detail17trampoline_kernelINS0_14default_configENS1_20scan_config_selectorIN3c107complexIfEEEEZZNS1_9scan_implILNS1_25lookback_scan_determinismE0ELb0ELb0ES3_PKS7_PS7_S7_ZZZN2at6native31launch_logcumsumexp_cuda_kernelERKNSE_10TensorBaseESI_lENKUlvE_clEvENKUlvE2_clEvEUlS7_S7_E_S7_EEDaPvRmT3_T4_T5_mT6_P12ihipStream_tbENKUlT_T0_E_clISt17integral_constantIbLb0EESY_IbLb1EEEEDaSU_SV_EUlSU_E0_NS1_11comp_targetILNS1_3genE10ELNS1_11target_archE1200ELNS1_3gpuE4ELNS1_3repE0EEENS1_30default_config_static_selectorELNS0_4arch9wavefront6targetE1EEEvT1_.private_seg_size, 0
	.set _ZN7rocprim17ROCPRIM_400000_NS6detail17trampoline_kernelINS0_14default_configENS1_20scan_config_selectorIN3c107complexIfEEEEZZNS1_9scan_implILNS1_25lookback_scan_determinismE0ELb0ELb0ES3_PKS7_PS7_S7_ZZZN2at6native31launch_logcumsumexp_cuda_kernelERKNSE_10TensorBaseESI_lENKUlvE_clEvENKUlvE2_clEvEUlS7_S7_E_S7_EEDaPvRmT3_T4_T5_mT6_P12ihipStream_tbENKUlT_T0_E_clISt17integral_constantIbLb0EESY_IbLb1EEEEDaSU_SV_EUlSU_E0_NS1_11comp_targetILNS1_3genE10ELNS1_11target_archE1200ELNS1_3gpuE4ELNS1_3repE0EEENS1_30default_config_static_selectorELNS0_4arch9wavefront6targetE1EEEvT1_.uses_vcc, 0
	.set _ZN7rocprim17ROCPRIM_400000_NS6detail17trampoline_kernelINS0_14default_configENS1_20scan_config_selectorIN3c107complexIfEEEEZZNS1_9scan_implILNS1_25lookback_scan_determinismE0ELb0ELb0ES3_PKS7_PS7_S7_ZZZN2at6native31launch_logcumsumexp_cuda_kernelERKNSE_10TensorBaseESI_lENKUlvE_clEvENKUlvE2_clEvEUlS7_S7_E_S7_EEDaPvRmT3_T4_T5_mT6_P12ihipStream_tbENKUlT_T0_E_clISt17integral_constantIbLb0EESY_IbLb1EEEEDaSU_SV_EUlSU_E0_NS1_11comp_targetILNS1_3genE10ELNS1_11target_archE1200ELNS1_3gpuE4ELNS1_3repE0EEENS1_30default_config_static_selectorELNS0_4arch9wavefront6targetE1EEEvT1_.uses_flat_scratch, 0
	.set _ZN7rocprim17ROCPRIM_400000_NS6detail17trampoline_kernelINS0_14default_configENS1_20scan_config_selectorIN3c107complexIfEEEEZZNS1_9scan_implILNS1_25lookback_scan_determinismE0ELb0ELb0ES3_PKS7_PS7_S7_ZZZN2at6native31launch_logcumsumexp_cuda_kernelERKNSE_10TensorBaseESI_lENKUlvE_clEvENKUlvE2_clEvEUlS7_S7_E_S7_EEDaPvRmT3_T4_T5_mT6_P12ihipStream_tbENKUlT_T0_E_clISt17integral_constantIbLb0EESY_IbLb1EEEEDaSU_SV_EUlSU_E0_NS1_11comp_targetILNS1_3genE10ELNS1_11target_archE1200ELNS1_3gpuE4ELNS1_3repE0EEENS1_30default_config_static_selectorELNS0_4arch9wavefront6targetE1EEEvT1_.has_dyn_sized_stack, 0
	.set _ZN7rocprim17ROCPRIM_400000_NS6detail17trampoline_kernelINS0_14default_configENS1_20scan_config_selectorIN3c107complexIfEEEEZZNS1_9scan_implILNS1_25lookback_scan_determinismE0ELb0ELb0ES3_PKS7_PS7_S7_ZZZN2at6native31launch_logcumsumexp_cuda_kernelERKNSE_10TensorBaseESI_lENKUlvE_clEvENKUlvE2_clEvEUlS7_S7_E_S7_EEDaPvRmT3_T4_T5_mT6_P12ihipStream_tbENKUlT_T0_E_clISt17integral_constantIbLb0EESY_IbLb1EEEEDaSU_SV_EUlSU_E0_NS1_11comp_targetILNS1_3genE10ELNS1_11target_archE1200ELNS1_3gpuE4ELNS1_3repE0EEENS1_30default_config_static_selectorELNS0_4arch9wavefront6targetE1EEEvT1_.has_recursion, 0
	.set _ZN7rocprim17ROCPRIM_400000_NS6detail17trampoline_kernelINS0_14default_configENS1_20scan_config_selectorIN3c107complexIfEEEEZZNS1_9scan_implILNS1_25lookback_scan_determinismE0ELb0ELb0ES3_PKS7_PS7_S7_ZZZN2at6native31launch_logcumsumexp_cuda_kernelERKNSE_10TensorBaseESI_lENKUlvE_clEvENKUlvE2_clEvEUlS7_S7_E_S7_EEDaPvRmT3_T4_T5_mT6_P12ihipStream_tbENKUlT_T0_E_clISt17integral_constantIbLb0EESY_IbLb1EEEEDaSU_SV_EUlSU_E0_NS1_11comp_targetILNS1_3genE10ELNS1_11target_archE1200ELNS1_3gpuE4ELNS1_3repE0EEENS1_30default_config_static_selectorELNS0_4arch9wavefront6targetE1EEEvT1_.has_indirect_call, 0
	.section	.AMDGPU.csdata,"",@progbits
; Kernel info:
; codeLenInByte = 0
; TotalNumSgprs: 4
; NumVgprs: 0
; ScratchSize: 0
; MemoryBound: 0
; FloatMode: 240
; IeeeMode: 1
; LDSByteSize: 0 bytes/workgroup (compile time only)
; SGPRBlocks: 0
; VGPRBlocks: 0
; NumSGPRsForWavesPerEU: 4
; NumVGPRsForWavesPerEU: 1
; Occupancy: 10
; WaveLimiterHint : 0
; COMPUTE_PGM_RSRC2:SCRATCH_EN: 0
; COMPUTE_PGM_RSRC2:USER_SGPR: 6
; COMPUTE_PGM_RSRC2:TRAP_HANDLER: 0
; COMPUTE_PGM_RSRC2:TGID_X_EN: 1
; COMPUTE_PGM_RSRC2:TGID_Y_EN: 0
; COMPUTE_PGM_RSRC2:TGID_Z_EN: 0
; COMPUTE_PGM_RSRC2:TIDIG_COMP_CNT: 0
	.section	.text._ZN7rocprim17ROCPRIM_400000_NS6detail17trampoline_kernelINS0_14default_configENS1_20scan_config_selectorIN3c107complexIfEEEEZZNS1_9scan_implILNS1_25lookback_scan_determinismE0ELb0ELb0ES3_PKS7_PS7_S7_ZZZN2at6native31launch_logcumsumexp_cuda_kernelERKNSE_10TensorBaseESI_lENKUlvE_clEvENKUlvE2_clEvEUlS7_S7_E_S7_EEDaPvRmT3_T4_T5_mT6_P12ihipStream_tbENKUlT_T0_E_clISt17integral_constantIbLb0EESY_IbLb1EEEEDaSU_SV_EUlSU_E0_NS1_11comp_targetILNS1_3genE9ELNS1_11target_archE1100ELNS1_3gpuE3ELNS1_3repE0EEENS1_30default_config_static_selectorELNS0_4arch9wavefront6targetE1EEEvT1_,"axG",@progbits,_ZN7rocprim17ROCPRIM_400000_NS6detail17trampoline_kernelINS0_14default_configENS1_20scan_config_selectorIN3c107complexIfEEEEZZNS1_9scan_implILNS1_25lookback_scan_determinismE0ELb0ELb0ES3_PKS7_PS7_S7_ZZZN2at6native31launch_logcumsumexp_cuda_kernelERKNSE_10TensorBaseESI_lENKUlvE_clEvENKUlvE2_clEvEUlS7_S7_E_S7_EEDaPvRmT3_T4_T5_mT6_P12ihipStream_tbENKUlT_T0_E_clISt17integral_constantIbLb0EESY_IbLb1EEEEDaSU_SV_EUlSU_E0_NS1_11comp_targetILNS1_3genE9ELNS1_11target_archE1100ELNS1_3gpuE3ELNS1_3repE0EEENS1_30default_config_static_selectorELNS0_4arch9wavefront6targetE1EEEvT1_,comdat
	.globl	_ZN7rocprim17ROCPRIM_400000_NS6detail17trampoline_kernelINS0_14default_configENS1_20scan_config_selectorIN3c107complexIfEEEEZZNS1_9scan_implILNS1_25lookback_scan_determinismE0ELb0ELb0ES3_PKS7_PS7_S7_ZZZN2at6native31launch_logcumsumexp_cuda_kernelERKNSE_10TensorBaseESI_lENKUlvE_clEvENKUlvE2_clEvEUlS7_S7_E_S7_EEDaPvRmT3_T4_T5_mT6_P12ihipStream_tbENKUlT_T0_E_clISt17integral_constantIbLb0EESY_IbLb1EEEEDaSU_SV_EUlSU_E0_NS1_11comp_targetILNS1_3genE9ELNS1_11target_archE1100ELNS1_3gpuE3ELNS1_3repE0EEENS1_30default_config_static_selectorELNS0_4arch9wavefront6targetE1EEEvT1_ ; -- Begin function _ZN7rocprim17ROCPRIM_400000_NS6detail17trampoline_kernelINS0_14default_configENS1_20scan_config_selectorIN3c107complexIfEEEEZZNS1_9scan_implILNS1_25lookback_scan_determinismE0ELb0ELb0ES3_PKS7_PS7_S7_ZZZN2at6native31launch_logcumsumexp_cuda_kernelERKNSE_10TensorBaseESI_lENKUlvE_clEvENKUlvE2_clEvEUlS7_S7_E_S7_EEDaPvRmT3_T4_T5_mT6_P12ihipStream_tbENKUlT_T0_E_clISt17integral_constantIbLb0EESY_IbLb1EEEEDaSU_SV_EUlSU_E0_NS1_11comp_targetILNS1_3genE9ELNS1_11target_archE1100ELNS1_3gpuE3ELNS1_3repE0EEENS1_30default_config_static_selectorELNS0_4arch9wavefront6targetE1EEEvT1_
	.p2align	8
	.type	_ZN7rocprim17ROCPRIM_400000_NS6detail17trampoline_kernelINS0_14default_configENS1_20scan_config_selectorIN3c107complexIfEEEEZZNS1_9scan_implILNS1_25lookback_scan_determinismE0ELb0ELb0ES3_PKS7_PS7_S7_ZZZN2at6native31launch_logcumsumexp_cuda_kernelERKNSE_10TensorBaseESI_lENKUlvE_clEvENKUlvE2_clEvEUlS7_S7_E_S7_EEDaPvRmT3_T4_T5_mT6_P12ihipStream_tbENKUlT_T0_E_clISt17integral_constantIbLb0EESY_IbLb1EEEEDaSU_SV_EUlSU_E0_NS1_11comp_targetILNS1_3genE9ELNS1_11target_archE1100ELNS1_3gpuE3ELNS1_3repE0EEENS1_30default_config_static_selectorELNS0_4arch9wavefront6targetE1EEEvT1_,@function
_ZN7rocprim17ROCPRIM_400000_NS6detail17trampoline_kernelINS0_14default_configENS1_20scan_config_selectorIN3c107complexIfEEEEZZNS1_9scan_implILNS1_25lookback_scan_determinismE0ELb0ELb0ES3_PKS7_PS7_S7_ZZZN2at6native31launch_logcumsumexp_cuda_kernelERKNSE_10TensorBaseESI_lENKUlvE_clEvENKUlvE2_clEvEUlS7_S7_E_S7_EEDaPvRmT3_T4_T5_mT6_P12ihipStream_tbENKUlT_T0_E_clISt17integral_constantIbLb0EESY_IbLb1EEEEDaSU_SV_EUlSU_E0_NS1_11comp_targetILNS1_3genE9ELNS1_11target_archE1100ELNS1_3gpuE3ELNS1_3repE0EEENS1_30default_config_static_selectorELNS0_4arch9wavefront6targetE1EEEvT1_: ; @_ZN7rocprim17ROCPRIM_400000_NS6detail17trampoline_kernelINS0_14default_configENS1_20scan_config_selectorIN3c107complexIfEEEEZZNS1_9scan_implILNS1_25lookback_scan_determinismE0ELb0ELb0ES3_PKS7_PS7_S7_ZZZN2at6native31launch_logcumsumexp_cuda_kernelERKNSE_10TensorBaseESI_lENKUlvE_clEvENKUlvE2_clEvEUlS7_S7_E_S7_EEDaPvRmT3_T4_T5_mT6_P12ihipStream_tbENKUlT_T0_E_clISt17integral_constantIbLb0EESY_IbLb1EEEEDaSU_SV_EUlSU_E0_NS1_11comp_targetILNS1_3genE9ELNS1_11target_archE1100ELNS1_3gpuE3ELNS1_3repE0EEENS1_30default_config_static_selectorELNS0_4arch9wavefront6targetE1EEEvT1_
; %bb.0:
	.section	.rodata,"a",@progbits
	.p2align	6, 0x0
	.amdhsa_kernel _ZN7rocprim17ROCPRIM_400000_NS6detail17trampoline_kernelINS0_14default_configENS1_20scan_config_selectorIN3c107complexIfEEEEZZNS1_9scan_implILNS1_25lookback_scan_determinismE0ELb0ELb0ES3_PKS7_PS7_S7_ZZZN2at6native31launch_logcumsumexp_cuda_kernelERKNSE_10TensorBaseESI_lENKUlvE_clEvENKUlvE2_clEvEUlS7_S7_E_S7_EEDaPvRmT3_T4_T5_mT6_P12ihipStream_tbENKUlT_T0_E_clISt17integral_constantIbLb0EESY_IbLb1EEEEDaSU_SV_EUlSU_E0_NS1_11comp_targetILNS1_3genE9ELNS1_11target_archE1100ELNS1_3gpuE3ELNS1_3repE0EEENS1_30default_config_static_selectorELNS0_4arch9wavefront6targetE1EEEvT1_
		.amdhsa_group_segment_fixed_size 0
		.amdhsa_private_segment_fixed_size 0
		.amdhsa_kernarg_size 40
		.amdhsa_user_sgpr_count 6
		.amdhsa_user_sgpr_private_segment_buffer 1
		.amdhsa_user_sgpr_dispatch_ptr 0
		.amdhsa_user_sgpr_queue_ptr 0
		.amdhsa_user_sgpr_kernarg_segment_ptr 1
		.amdhsa_user_sgpr_dispatch_id 0
		.amdhsa_user_sgpr_flat_scratch_init 0
		.amdhsa_user_sgpr_private_segment_size 0
		.amdhsa_uses_dynamic_stack 0
		.amdhsa_system_sgpr_private_segment_wavefront_offset 0
		.amdhsa_system_sgpr_workgroup_id_x 1
		.amdhsa_system_sgpr_workgroup_id_y 0
		.amdhsa_system_sgpr_workgroup_id_z 0
		.amdhsa_system_sgpr_workgroup_info 0
		.amdhsa_system_vgpr_workitem_id 0
		.amdhsa_next_free_vgpr 1
		.amdhsa_next_free_sgpr 0
		.amdhsa_reserve_vcc 0
		.amdhsa_reserve_flat_scratch 0
		.amdhsa_float_round_mode_32 0
		.amdhsa_float_round_mode_16_64 0
		.amdhsa_float_denorm_mode_32 3
		.amdhsa_float_denorm_mode_16_64 3
		.amdhsa_dx10_clamp 1
		.amdhsa_ieee_mode 1
		.amdhsa_fp16_overflow 0
		.amdhsa_exception_fp_ieee_invalid_op 0
		.amdhsa_exception_fp_denorm_src 0
		.amdhsa_exception_fp_ieee_div_zero 0
		.amdhsa_exception_fp_ieee_overflow 0
		.amdhsa_exception_fp_ieee_underflow 0
		.amdhsa_exception_fp_ieee_inexact 0
		.amdhsa_exception_int_div_zero 0
	.end_amdhsa_kernel
	.section	.text._ZN7rocprim17ROCPRIM_400000_NS6detail17trampoline_kernelINS0_14default_configENS1_20scan_config_selectorIN3c107complexIfEEEEZZNS1_9scan_implILNS1_25lookback_scan_determinismE0ELb0ELb0ES3_PKS7_PS7_S7_ZZZN2at6native31launch_logcumsumexp_cuda_kernelERKNSE_10TensorBaseESI_lENKUlvE_clEvENKUlvE2_clEvEUlS7_S7_E_S7_EEDaPvRmT3_T4_T5_mT6_P12ihipStream_tbENKUlT_T0_E_clISt17integral_constantIbLb0EESY_IbLb1EEEEDaSU_SV_EUlSU_E0_NS1_11comp_targetILNS1_3genE9ELNS1_11target_archE1100ELNS1_3gpuE3ELNS1_3repE0EEENS1_30default_config_static_selectorELNS0_4arch9wavefront6targetE1EEEvT1_,"axG",@progbits,_ZN7rocprim17ROCPRIM_400000_NS6detail17trampoline_kernelINS0_14default_configENS1_20scan_config_selectorIN3c107complexIfEEEEZZNS1_9scan_implILNS1_25lookback_scan_determinismE0ELb0ELb0ES3_PKS7_PS7_S7_ZZZN2at6native31launch_logcumsumexp_cuda_kernelERKNSE_10TensorBaseESI_lENKUlvE_clEvENKUlvE2_clEvEUlS7_S7_E_S7_EEDaPvRmT3_T4_T5_mT6_P12ihipStream_tbENKUlT_T0_E_clISt17integral_constantIbLb0EESY_IbLb1EEEEDaSU_SV_EUlSU_E0_NS1_11comp_targetILNS1_3genE9ELNS1_11target_archE1100ELNS1_3gpuE3ELNS1_3repE0EEENS1_30default_config_static_selectorELNS0_4arch9wavefront6targetE1EEEvT1_,comdat
.Lfunc_end345:
	.size	_ZN7rocprim17ROCPRIM_400000_NS6detail17trampoline_kernelINS0_14default_configENS1_20scan_config_selectorIN3c107complexIfEEEEZZNS1_9scan_implILNS1_25lookback_scan_determinismE0ELb0ELb0ES3_PKS7_PS7_S7_ZZZN2at6native31launch_logcumsumexp_cuda_kernelERKNSE_10TensorBaseESI_lENKUlvE_clEvENKUlvE2_clEvEUlS7_S7_E_S7_EEDaPvRmT3_T4_T5_mT6_P12ihipStream_tbENKUlT_T0_E_clISt17integral_constantIbLb0EESY_IbLb1EEEEDaSU_SV_EUlSU_E0_NS1_11comp_targetILNS1_3genE9ELNS1_11target_archE1100ELNS1_3gpuE3ELNS1_3repE0EEENS1_30default_config_static_selectorELNS0_4arch9wavefront6targetE1EEEvT1_, .Lfunc_end345-_ZN7rocprim17ROCPRIM_400000_NS6detail17trampoline_kernelINS0_14default_configENS1_20scan_config_selectorIN3c107complexIfEEEEZZNS1_9scan_implILNS1_25lookback_scan_determinismE0ELb0ELb0ES3_PKS7_PS7_S7_ZZZN2at6native31launch_logcumsumexp_cuda_kernelERKNSE_10TensorBaseESI_lENKUlvE_clEvENKUlvE2_clEvEUlS7_S7_E_S7_EEDaPvRmT3_T4_T5_mT6_P12ihipStream_tbENKUlT_T0_E_clISt17integral_constantIbLb0EESY_IbLb1EEEEDaSU_SV_EUlSU_E0_NS1_11comp_targetILNS1_3genE9ELNS1_11target_archE1100ELNS1_3gpuE3ELNS1_3repE0EEENS1_30default_config_static_selectorELNS0_4arch9wavefront6targetE1EEEvT1_
                                        ; -- End function
	.set _ZN7rocprim17ROCPRIM_400000_NS6detail17trampoline_kernelINS0_14default_configENS1_20scan_config_selectorIN3c107complexIfEEEEZZNS1_9scan_implILNS1_25lookback_scan_determinismE0ELb0ELb0ES3_PKS7_PS7_S7_ZZZN2at6native31launch_logcumsumexp_cuda_kernelERKNSE_10TensorBaseESI_lENKUlvE_clEvENKUlvE2_clEvEUlS7_S7_E_S7_EEDaPvRmT3_T4_T5_mT6_P12ihipStream_tbENKUlT_T0_E_clISt17integral_constantIbLb0EESY_IbLb1EEEEDaSU_SV_EUlSU_E0_NS1_11comp_targetILNS1_3genE9ELNS1_11target_archE1100ELNS1_3gpuE3ELNS1_3repE0EEENS1_30default_config_static_selectorELNS0_4arch9wavefront6targetE1EEEvT1_.num_vgpr, 0
	.set _ZN7rocprim17ROCPRIM_400000_NS6detail17trampoline_kernelINS0_14default_configENS1_20scan_config_selectorIN3c107complexIfEEEEZZNS1_9scan_implILNS1_25lookback_scan_determinismE0ELb0ELb0ES3_PKS7_PS7_S7_ZZZN2at6native31launch_logcumsumexp_cuda_kernelERKNSE_10TensorBaseESI_lENKUlvE_clEvENKUlvE2_clEvEUlS7_S7_E_S7_EEDaPvRmT3_T4_T5_mT6_P12ihipStream_tbENKUlT_T0_E_clISt17integral_constantIbLb0EESY_IbLb1EEEEDaSU_SV_EUlSU_E0_NS1_11comp_targetILNS1_3genE9ELNS1_11target_archE1100ELNS1_3gpuE3ELNS1_3repE0EEENS1_30default_config_static_selectorELNS0_4arch9wavefront6targetE1EEEvT1_.num_agpr, 0
	.set _ZN7rocprim17ROCPRIM_400000_NS6detail17trampoline_kernelINS0_14default_configENS1_20scan_config_selectorIN3c107complexIfEEEEZZNS1_9scan_implILNS1_25lookback_scan_determinismE0ELb0ELb0ES3_PKS7_PS7_S7_ZZZN2at6native31launch_logcumsumexp_cuda_kernelERKNSE_10TensorBaseESI_lENKUlvE_clEvENKUlvE2_clEvEUlS7_S7_E_S7_EEDaPvRmT3_T4_T5_mT6_P12ihipStream_tbENKUlT_T0_E_clISt17integral_constantIbLb0EESY_IbLb1EEEEDaSU_SV_EUlSU_E0_NS1_11comp_targetILNS1_3genE9ELNS1_11target_archE1100ELNS1_3gpuE3ELNS1_3repE0EEENS1_30default_config_static_selectorELNS0_4arch9wavefront6targetE1EEEvT1_.numbered_sgpr, 0
	.set _ZN7rocprim17ROCPRIM_400000_NS6detail17trampoline_kernelINS0_14default_configENS1_20scan_config_selectorIN3c107complexIfEEEEZZNS1_9scan_implILNS1_25lookback_scan_determinismE0ELb0ELb0ES3_PKS7_PS7_S7_ZZZN2at6native31launch_logcumsumexp_cuda_kernelERKNSE_10TensorBaseESI_lENKUlvE_clEvENKUlvE2_clEvEUlS7_S7_E_S7_EEDaPvRmT3_T4_T5_mT6_P12ihipStream_tbENKUlT_T0_E_clISt17integral_constantIbLb0EESY_IbLb1EEEEDaSU_SV_EUlSU_E0_NS1_11comp_targetILNS1_3genE9ELNS1_11target_archE1100ELNS1_3gpuE3ELNS1_3repE0EEENS1_30default_config_static_selectorELNS0_4arch9wavefront6targetE1EEEvT1_.num_named_barrier, 0
	.set _ZN7rocprim17ROCPRIM_400000_NS6detail17trampoline_kernelINS0_14default_configENS1_20scan_config_selectorIN3c107complexIfEEEEZZNS1_9scan_implILNS1_25lookback_scan_determinismE0ELb0ELb0ES3_PKS7_PS7_S7_ZZZN2at6native31launch_logcumsumexp_cuda_kernelERKNSE_10TensorBaseESI_lENKUlvE_clEvENKUlvE2_clEvEUlS7_S7_E_S7_EEDaPvRmT3_T4_T5_mT6_P12ihipStream_tbENKUlT_T0_E_clISt17integral_constantIbLb0EESY_IbLb1EEEEDaSU_SV_EUlSU_E0_NS1_11comp_targetILNS1_3genE9ELNS1_11target_archE1100ELNS1_3gpuE3ELNS1_3repE0EEENS1_30default_config_static_selectorELNS0_4arch9wavefront6targetE1EEEvT1_.private_seg_size, 0
	.set _ZN7rocprim17ROCPRIM_400000_NS6detail17trampoline_kernelINS0_14default_configENS1_20scan_config_selectorIN3c107complexIfEEEEZZNS1_9scan_implILNS1_25lookback_scan_determinismE0ELb0ELb0ES3_PKS7_PS7_S7_ZZZN2at6native31launch_logcumsumexp_cuda_kernelERKNSE_10TensorBaseESI_lENKUlvE_clEvENKUlvE2_clEvEUlS7_S7_E_S7_EEDaPvRmT3_T4_T5_mT6_P12ihipStream_tbENKUlT_T0_E_clISt17integral_constantIbLb0EESY_IbLb1EEEEDaSU_SV_EUlSU_E0_NS1_11comp_targetILNS1_3genE9ELNS1_11target_archE1100ELNS1_3gpuE3ELNS1_3repE0EEENS1_30default_config_static_selectorELNS0_4arch9wavefront6targetE1EEEvT1_.uses_vcc, 0
	.set _ZN7rocprim17ROCPRIM_400000_NS6detail17trampoline_kernelINS0_14default_configENS1_20scan_config_selectorIN3c107complexIfEEEEZZNS1_9scan_implILNS1_25lookback_scan_determinismE0ELb0ELb0ES3_PKS7_PS7_S7_ZZZN2at6native31launch_logcumsumexp_cuda_kernelERKNSE_10TensorBaseESI_lENKUlvE_clEvENKUlvE2_clEvEUlS7_S7_E_S7_EEDaPvRmT3_T4_T5_mT6_P12ihipStream_tbENKUlT_T0_E_clISt17integral_constantIbLb0EESY_IbLb1EEEEDaSU_SV_EUlSU_E0_NS1_11comp_targetILNS1_3genE9ELNS1_11target_archE1100ELNS1_3gpuE3ELNS1_3repE0EEENS1_30default_config_static_selectorELNS0_4arch9wavefront6targetE1EEEvT1_.uses_flat_scratch, 0
	.set _ZN7rocprim17ROCPRIM_400000_NS6detail17trampoline_kernelINS0_14default_configENS1_20scan_config_selectorIN3c107complexIfEEEEZZNS1_9scan_implILNS1_25lookback_scan_determinismE0ELb0ELb0ES3_PKS7_PS7_S7_ZZZN2at6native31launch_logcumsumexp_cuda_kernelERKNSE_10TensorBaseESI_lENKUlvE_clEvENKUlvE2_clEvEUlS7_S7_E_S7_EEDaPvRmT3_T4_T5_mT6_P12ihipStream_tbENKUlT_T0_E_clISt17integral_constantIbLb0EESY_IbLb1EEEEDaSU_SV_EUlSU_E0_NS1_11comp_targetILNS1_3genE9ELNS1_11target_archE1100ELNS1_3gpuE3ELNS1_3repE0EEENS1_30default_config_static_selectorELNS0_4arch9wavefront6targetE1EEEvT1_.has_dyn_sized_stack, 0
	.set _ZN7rocprim17ROCPRIM_400000_NS6detail17trampoline_kernelINS0_14default_configENS1_20scan_config_selectorIN3c107complexIfEEEEZZNS1_9scan_implILNS1_25lookback_scan_determinismE0ELb0ELb0ES3_PKS7_PS7_S7_ZZZN2at6native31launch_logcumsumexp_cuda_kernelERKNSE_10TensorBaseESI_lENKUlvE_clEvENKUlvE2_clEvEUlS7_S7_E_S7_EEDaPvRmT3_T4_T5_mT6_P12ihipStream_tbENKUlT_T0_E_clISt17integral_constantIbLb0EESY_IbLb1EEEEDaSU_SV_EUlSU_E0_NS1_11comp_targetILNS1_3genE9ELNS1_11target_archE1100ELNS1_3gpuE3ELNS1_3repE0EEENS1_30default_config_static_selectorELNS0_4arch9wavefront6targetE1EEEvT1_.has_recursion, 0
	.set _ZN7rocprim17ROCPRIM_400000_NS6detail17trampoline_kernelINS0_14default_configENS1_20scan_config_selectorIN3c107complexIfEEEEZZNS1_9scan_implILNS1_25lookback_scan_determinismE0ELb0ELb0ES3_PKS7_PS7_S7_ZZZN2at6native31launch_logcumsumexp_cuda_kernelERKNSE_10TensorBaseESI_lENKUlvE_clEvENKUlvE2_clEvEUlS7_S7_E_S7_EEDaPvRmT3_T4_T5_mT6_P12ihipStream_tbENKUlT_T0_E_clISt17integral_constantIbLb0EESY_IbLb1EEEEDaSU_SV_EUlSU_E0_NS1_11comp_targetILNS1_3genE9ELNS1_11target_archE1100ELNS1_3gpuE3ELNS1_3repE0EEENS1_30default_config_static_selectorELNS0_4arch9wavefront6targetE1EEEvT1_.has_indirect_call, 0
	.section	.AMDGPU.csdata,"",@progbits
; Kernel info:
; codeLenInByte = 0
; TotalNumSgprs: 4
; NumVgprs: 0
; ScratchSize: 0
; MemoryBound: 0
; FloatMode: 240
; IeeeMode: 1
; LDSByteSize: 0 bytes/workgroup (compile time only)
; SGPRBlocks: 0
; VGPRBlocks: 0
; NumSGPRsForWavesPerEU: 4
; NumVGPRsForWavesPerEU: 1
; Occupancy: 10
; WaveLimiterHint : 0
; COMPUTE_PGM_RSRC2:SCRATCH_EN: 0
; COMPUTE_PGM_RSRC2:USER_SGPR: 6
; COMPUTE_PGM_RSRC2:TRAP_HANDLER: 0
; COMPUTE_PGM_RSRC2:TGID_X_EN: 1
; COMPUTE_PGM_RSRC2:TGID_Y_EN: 0
; COMPUTE_PGM_RSRC2:TGID_Z_EN: 0
; COMPUTE_PGM_RSRC2:TIDIG_COMP_CNT: 0
	.section	.text._ZN7rocprim17ROCPRIM_400000_NS6detail17trampoline_kernelINS0_14default_configENS1_20scan_config_selectorIN3c107complexIfEEEEZZNS1_9scan_implILNS1_25lookback_scan_determinismE0ELb0ELb0ES3_PKS7_PS7_S7_ZZZN2at6native31launch_logcumsumexp_cuda_kernelERKNSE_10TensorBaseESI_lENKUlvE_clEvENKUlvE2_clEvEUlS7_S7_E_S7_EEDaPvRmT3_T4_T5_mT6_P12ihipStream_tbENKUlT_T0_E_clISt17integral_constantIbLb0EESY_IbLb1EEEEDaSU_SV_EUlSU_E0_NS1_11comp_targetILNS1_3genE8ELNS1_11target_archE1030ELNS1_3gpuE2ELNS1_3repE0EEENS1_30default_config_static_selectorELNS0_4arch9wavefront6targetE1EEEvT1_,"axG",@progbits,_ZN7rocprim17ROCPRIM_400000_NS6detail17trampoline_kernelINS0_14default_configENS1_20scan_config_selectorIN3c107complexIfEEEEZZNS1_9scan_implILNS1_25lookback_scan_determinismE0ELb0ELb0ES3_PKS7_PS7_S7_ZZZN2at6native31launch_logcumsumexp_cuda_kernelERKNSE_10TensorBaseESI_lENKUlvE_clEvENKUlvE2_clEvEUlS7_S7_E_S7_EEDaPvRmT3_T4_T5_mT6_P12ihipStream_tbENKUlT_T0_E_clISt17integral_constantIbLb0EESY_IbLb1EEEEDaSU_SV_EUlSU_E0_NS1_11comp_targetILNS1_3genE8ELNS1_11target_archE1030ELNS1_3gpuE2ELNS1_3repE0EEENS1_30default_config_static_selectorELNS0_4arch9wavefront6targetE1EEEvT1_,comdat
	.globl	_ZN7rocprim17ROCPRIM_400000_NS6detail17trampoline_kernelINS0_14default_configENS1_20scan_config_selectorIN3c107complexIfEEEEZZNS1_9scan_implILNS1_25lookback_scan_determinismE0ELb0ELb0ES3_PKS7_PS7_S7_ZZZN2at6native31launch_logcumsumexp_cuda_kernelERKNSE_10TensorBaseESI_lENKUlvE_clEvENKUlvE2_clEvEUlS7_S7_E_S7_EEDaPvRmT3_T4_T5_mT6_P12ihipStream_tbENKUlT_T0_E_clISt17integral_constantIbLb0EESY_IbLb1EEEEDaSU_SV_EUlSU_E0_NS1_11comp_targetILNS1_3genE8ELNS1_11target_archE1030ELNS1_3gpuE2ELNS1_3repE0EEENS1_30default_config_static_selectorELNS0_4arch9wavefront6targetE1EEEvT1_ ; -- Begin function _ZN7rocprim17ROCPRIM_400000_NS6detail17trampoline_kernelINS0_14default_configENS1_20scan_config_selectorIN3c107complexIfEEEEZZNS1_9scan_implILNS1_25lookback_scan_determinismE0ELb0ELb0ES3_PKS7_PS7_S7_ZZZN2at6native31launch_logcumsumexp_cuda_kernelERKNSE_10TensorBaseESI_lENKUlvE_clEvENKUlvE2_clEvEUlS7_S7_E_S7_EEDaPvRmT3_T4_T5_mT6_P12ihipStream_tbENKUlT_T0_E_clISt17integral_constantIbLb0EESY_IbLb1EEEEDaSU_SV_EUlSU_E0_NS1_11comp_targetILNS1_3genE8ELNS1_11target_archE1030ELNS1_3gpuE2ELNS1_3repE0EEENS1_30default_config_static_selectorELNS0_4arch9wavefront6targetE1EEEvT1_
	.p2align	8
	.type	_ZN7rocprim17ROCPRIM_400000_NS6detail17trampoline_kernelINS0_14default_configENS1_20scan_config_selectorIN3c107complexIfEEEEZZNS1_9scan_implILNS1_25lookback_scan_determinismE0ELb0ELb0ES3_PKS7_PS7_S7_ZZZN2at6native31launch_logcumsumexp_cuda_kernelERKNSE_10TensorBaseESI_lENKUlvE_clEvENKUlvE2_clEvEUlS7_S7_E_S7_EEDaPvRmT3_T4_T5_mT6_P12ihipStream_tbENKUlT_T0_E_clISt17integral_constantIbLb0EESY_IbLb1EEEEDaSU_SV_EUlSU_E0_NS1_11comp_targetILNS1_3genE8ELNS1_11target_archE1030ELNS1_3gpuE2ELNS1_3repE0EEENS1_30default_config_static_selectorELNS0_4arch9wavefront6targetE1EEEvT1_,@function
_ZN7rocprim17ROCPRIM_400000_NS6detail17trampoline_kernelINS0_14default_configENS1_20scan_config_selectorIN3c107complexIfEEEEZZNS1_9scan_implILNS1_25lookback_scan_determinismE0ELb0ELb0ES3_PKS7_PS7_S7_ZZZN2at6native31launch_logcumsumexp_cuda_kernelERKNSE_10TensorBaseESI_lENKUlvE_clEvENKUlvE2_clEvEUlS7_S7_E_S7_EEDaPvRmT3_T4_T5_mT6_P12ihipStream_tbENKUlT_T0_E_clISt17integral_constantIbLb0EESY_IbLb1EEEEDaSU_SV_EUlSU_E0_NS1_11comp_targetILNS1_3genE8ELNS1_11target_archE1030ELNS1_3gpuE2ELNS1_3repE0EEENS1_30default_config_static_selectorELNS0_4arch9wavefront6targetE1EEEvT1_: ; @_ZN7rocprim17ROCPRIM_400000_NS6detail17trampoline_kernelINS0_14default_configENS1_20scan_config_selectorIN3c107complexIfEEEEZZNS1_9scan_implILNS1_25lookback_scan_determinismE0ELb0ELb0ES3_PKS7_PS7_S7_ZZZN2at6native31launch_logcumsumexp_cuda_kernelERKNSE_10TensorBaseESI_lENKUlvE_clEvENKUlvE2_clEvEUlS7_S7_E_S7_EEDaPvRmT3_T4_T5_mT6_P12ihipStream_tbENKUlT_T0_E_clISt17integral_constantIbLb0EESY_IbLb1EEEEDaSU_SV_EUlSU_E0_NS1_11comp_targetILNS1_3genE8ELNS1_11target_archE1030ELNS1_3gpuE2ELNS1_3repE0EEENS1_30default_config_static_selectorELNS0_4arch9wavefront6targetE1EEEvT1_
; %bb.0:
	.section	.rodata,"a",@progbits
	.p2align	6, 0x0
	.amdhsa_kernel _ZN7rocprim17ROCPRIM_400000_NS6detail17trampoline_kernelINS0_14default_configENS1_20scan_config_selectorIN3c107complexIfEEEEZZNS1_9scan_implILNS1_25lookback_scan_determinismE0ELb0ELb0ES3_PKS7_PS7_S7_ZZZN2at6native31launch_logcumsumexp_cuda_kernelERKNSE_10TensorBaseESI_lENKUlvE_clEvENKUlvE2_clEvEUlS7_S7_E_S7_EEDaPvRmT3_T4_T5_mT6_P12ihipStream_tbENKUlT_T0_E_clISt17integral_constantIbLb0EESY_IbLb1EEEEDaSU_SV_EUlSU_E0_NS1_11comp_targetILNS1_3genE8ELNS1_11target_archE1030ELNS1_3gpuE2ELNS1_3repE0EEENS1_30default_config_static_selectorELNS0_4arch9wavefront6targetE1EEEvT1_
		.amdhsa_group_segment_fixed_size 0
		.amdhsa_private_segment_fixed_size 0
		.amdhsa_kernarg_size 40
		.amdhsa_user_sgpr_count 6
		.amdhsa_user_sgpr_private_segment_buffer 1
		.amdhsa_user_sgpr_dispatch_ptr 0
		.amdhsa_user_sgpr_queue_ptr 0
		.amdhsa_user_sgpr_kernarg_segment_ptr 1
		.amdhsa_user_sgpr_dispatch_id 0
		.amdhsa_user_sgpr_flat_scratch_init 0
		.amdhsa_user_sgpr_private_segment_size 0
		.amdhsa_uses_dynamic_stack 0
		.amdhsa_system_sgpr_private_segment_wavefront_offset 0
		.amdhsa_system_sgpr_workgroup_id_x 1
		.amdhsa_system_sgpr_workgroup_id_y 0
		.amdhsa_system_sgpr_workgroup_id_z 0
		.amdhsa_system_sgpr_workgroup_info 0
		.amdhsa_system_vgpr_workitem_id 0
		.amdhsa_next_free_vgpr 1
		.amdhsa_next_free_sgpr 0
		.amdhsa_reserve_vcc 0
		.amdhsa_reserve_flat_scratch 0
		.amdhsa_float_round_mode_32 0
		.amdhsa_float_round_mode_16_64 0
		.amdhsa_float_denorm_mode_32 3
		.amdhsa_float_denorm_mode_16_64 3
		.amdhsa_dx10_clamp 1
		.amdhsa_ieee_mode 1
		.amdhsa_fp16_overflow 0
		.amdhsa_exception_fp_ieee_invalid_op 0
		.amdhsa_exception_fp_denorm_src 0
		.amdhsa_exception_fp_ieee_div_zero 0
		.amdhsa_exception_fp_ieee_overflow 0
		.amdhsa_exception_fp_ieee_underflow 0
		.amdhsa_exception_fp_ieee_inexact 0
		.amdhsa_exception_int_div_zero 0
	.end_amdhsa_kernel
	.section	.text._ZN7rocprim17ROCPRIM_400000_NS6detail17trampoline_kernelINS0_14default_configENS1_20scan_config_selectorIN3c107complexIfEEEEZZNS1_9scan_implILNS1_25lookback_scan_determinismE0ELb0ELb0ES3_PKS7_PS7_S7_ZZZN2at6native31launch_logcumsumexp_cuda_kernelERKNSE_10TensorBaseESI_lENKUlvE_clEvENKUlvE2_clEvEUlS7_S7_E_S7_EEDaPvRmT3_T4_T5_mT6_P12ihipStream_tbENKUlT_T0_E_clISt17integral_constantIbLb0EESY_IbLb1EEEEDaSU_SV_EUlSU_E0_NS1_11comp_targetILNS1_3genE8ELNS1_11target_archE1030ELNS1_3gpuE2ELNS1_3repE0EEENS1_30default_config_static_selectorELNS0_4arch9wavefront6targetE1EEEvT1_,"axG",@progbits,_ZN7rocprim17ROCPRIM_400000_NS6detail17trampoline_kernelINS0_14default_configENS1_20scan_config_selectorIN3c107complexIfEEEEZZNS1_9scan_implILNS1_25lookback_scan_determinismE0ELb0ELb0ES3_PKS7_PS7_S7_ZZZN2at6native31launch_logcumsumexp_cuda_kernelERKNSE_10TensorBaseESI_lENKUlvE_clEvENKUlvE2_clEvEUlS7_S7_E_S7_EEDaPvRmT3_T4_T5_mT6_P12ihipStream_tbENKUlT_T0_E_clISt17integral_constantIbLb0EESY_IbLb1EEEEDaSU_SV_EUlSU_E0_NS1_11comp_targetILNS1_3genE8ELNS1_11target_archE1030ELNS1_3gpuE2ELNS1_3repE0EEENS1_30default_config_static_selectorELNS0_4arch9wavefront6targetE1EEEvT1_,comdat
.Lfunc_end346:
	.size	_ZN7rocprim17ROCPRIM_400000_NS6detail17trampoline_kernelINS0_14default_configENS1_20scan_config_selectorIN3c107complexIfEEEEZZNS1_9scan_implILNS1_25lookback_scan_determinismE0ELb0ELb0ES3_PKS7_PS7_S7_ZZZN2at6native31launch_logcumsumexp_cuda_kernelERKNSE_10TensorBaseESI_lENKUlvE_clEvENKUlvE2_clEvEUlS7_S7_E_S7_EEDaPvRmT3_T4_T5_mT6_P12ihipStream_tbENKUlT_T0_E_clISt17integral_constantIbLb0EESY_IbLb1EEEEDaSU_SV_EUlSU_E0_NS1_11comp_targetILNS1_3genE8ELNS1_11target_archE1030ELNS1_3gpuE2ELNS1_3repE0EEENS1_30default_config_static_selectorELNS0_4arch9wavefront6targetE1EEEvT1_, .Lfunc_end346-_ZN7rocprim17ROCPRIM_400000_NS6detail17trampoline_kernelINS0_14default_configENS1_20scan_config_selectorIN3c107complexIfEEEEZZNS1_9scan_implILNS1_25lookback_scan_determinismE0ELb0ELb0ES3_PKS7_PS7_S7_ZZZN2at6native31launch_logcumsumexp_cuda_kernelERKNSE_10TensorBaseESI_lENKUlvE_clEvENKUlvE2_clEvEUlS7_S7_E_S7_EEDaPvRmT3_T4_T5_mT6_P12ihipStream_tbENKUlT_T0_E_clISt17integral_constantIbLb0EESY_IbLb1EEEEDaSU_SV_EUlSU_E0_NS1_11comp_targetILNS1_3genE8ELNS1_11target_archE1030ELNS1_3gpuE2ELNS1_3repE0EEENS1_30default_config_static_selectorELNS0_4arch9wavefront6targetE1EEEvT1_
                                        ; -- End function
	.set _ZN7rocprim17ROCPRIM_400000_NS6detail17trampoline_kernelINS0_14default_configENS1_20scan_config_selectorIN3c107complexIfEEEEZZNS1_9scan_implILNS1_25lookback_scan_determinismE0ELb0ELb0ES3_PKS7_PS7_S7_ZZZN2at6native31launch_logcumsumexp_cuda_kernelERKNSE_10TensorBaseESI_lENKUlvE_clEvENKUlvE2_clEvEUlS7_S7_E_S7_EEDaPvRmT3_T4_T5_mT6_P12ihipStream_tbENKUlT_T0_E_clISt17integral_constantIbLb0EESY_IbLb1EEEEDaSU_SV_EUlSU_E0_NS1_11comp_targetILNS1_3genE8ELNS1_11target_archE1030ELNS1_3gpuE2ELNS1_3repE0EEENS1_30default_config_static_selectorELNS0_4arch9wavefront6targetE1EEEvT1_.num_vgpr, 0
	.set _ZN7rocprim17ROCPRIM_400000_NS6detail17trampoline_kernelINS0_14default_configENS1_20scan_config_selectorIN3c107complexIfEEEEZZNS1_9scan_implILNS1_25lookback_scan_determinismE0ELb0ELb0ES3_PKS7_PS7_S7_ZZZN2at6native31launch_logcumsumexp_cuda_kernelERKNSE_10TensorBaseESI_lENKUlvE_clEvENKUlvE2_clEvEUlS7_S7_E_S7_EEDaPvRmT3_T4_T5_mT6_P12ihipStream_tbENKUlT_T0_E_clISt17integral_constantIbLb0EESY_IbLb1EEEEDaSU_SV_EUlSU_E0_NS1_11comp_targetILNS1_3genE8ELNS1_11target_archE1030ELNS1_3gpuE2ELNS1_3repE0EEENS1_30default_config_static_selectorELNS0_4arch9wavefront6targetE1EEEvT1_.num_agpr, 0
	.set _ZN7rocprim17ROCPRIM_400000_NS6detail17trampoline_kernelINS0_14default_configENS1_20scan_config_selectorIN3c107complexIfEEEEZZNS1_9scan_implILNS1_25lookback_scan_determinismE0ELb0ELb0ES3_PKS7_PS7_S7_ZZZN2at6native31launch_logcumsumexp_cuda_kernelERKNSE_10TensorBaseESI_lENKUlvE_clEvENKUlvE2_clEvEUlS7_S7_E_S7_EEDaPvRmT3_T4_T5_mT6_P12ihipStream_tbENKUlT_T0_E_clISt17integral_constantIbLb0EESY_IbLb1EEEEDaSU_SV_EUlSU_E0_NS1_11comp_targetILNS1_3genE8ELNS1_11target_archE1030ELNS1_3gpuE2ELNS1_3repE0EEENS1_30default_config_static_selectorELNS0_4arch9wavefront6targetE1EEEvT1_.numbered_sgpr, 0
	.set _ZN7rocprim17ROCPRIM_400000_NS6detail17trampoline_kernelINS0_14default_configENS1_20scan_config_selectorIN3c107complexIfEEEEZZNS1_9scan_implILNS1_25lookback_scan_determinismE0ELb0ELb0ES3_PKS7_PS7_S7_ZZZN2at6native31launch_logcumsumexp_cuda_kernelERKNSE_10TensorBaseESI_lENKUlvE_clEvENKUlvE2_clEvEUlS7_S7_E_S7_EEDaPvRmT3_T4_T5_mT6_P12ihipStream_tbENKUlT_T0_E_clISt17integral_constantIbLb0EESY_IbLb1EEEEDaSU_SV_EUlSU_E0_NS1_11comp_targetILNS1_3genE8ELNS1_11target_archE1030ELNS1_3gpuE2ELNS1_3repE0EEENS1_30default_config_static_selectorELNS0_4arch9wavefront6targetE1EEEvT1_.num_named_barrier, 0
	.set _ZN7rocprim17ROCPRIM_400000_NS6detail17trampoline_kernelINS0_14default_configENS1_20scan_config_selectorIN3c107complexIfEEEEZZNS1_9scan_implILNS1_25lookback_scan_determinismE0ELb0ELb0ES3_PKS7_PS7_S7_ZZZN2at6native31launch_logcumsumexp_cuda_kernelERKNSE_10TensorBaseESI_lENKUlvE_clEvENKUlvE2_clEvEUlS7_S7_E_S7_EEDaPvRmT3_T4_T5_mT6_P12ihipStream_tbENKUlT_T0_E_clISt17integral_constantIbLb0EESY_IbLb1EEEEDaSU_SV_EUlSU_E0_NS1_11comp_targetILNS1_3genE8ELNS1_11target_archE1030ELNS1_3gpuE2ELNS1_3repE0EEENS1_30default_config_static_selectorELNS0_4arch9wavefront6targetE1EEEvT1_.private_seg_size, 0
	.set _ZN7rocprim17ROCPRIM_400000_NS6detail17trampoline_kernelINS0_14default_configENS1_20scan_config_selectorIN3c107complexIfEEEEZZNS1_9scan_implILNS1_25lookback_scan_determinismE0ELb0ELb0ES3_PKS7_PS7_S7_ZZZN2at6native31launch_logcumsumexp_cuda_kernelERKNSE_10TensorBaseESI_lENKUlvE_clEvENKUlvE2_clEvEUlS7_S7_E_S7_EEDaPvRmT3_T4_T5_mT6_P12ihipStream_tbENKUlT_T0_E_clISt17integral_constantIbLb0EESY_IbLb1EEEEDaSU_SV_EUlSU_E0_NS1_11comp_targetILNS1_3genE8ELNS1_11target_archE1030ELNS1_3gpuE2ELNS1_3repE0EEENS1_30default_config_static_selectorELNS0_4arch9wavefront6targetE1EEEvT1_.uses_vcc, 0
	.set _ZN7rocprim17ROCPRIM_400000_NS6detail17trampoline_kernelINS0_14default_configENS1_20scan_config_selectorIN3c107complexIfEEEEZZNS1_9scan_implILNS1_25lookback_scan_determinismE0ELb0ELb0ES3_PKS7_PS7_S7_ZZZN2at6native31launch_logcumsumexp_cuda_kernelERKNSE_10TensorBaseESI_lENKUlvE_clEvENKUlvE2_clEvEUlS7_S7_E_S7_EEDaPvRmT3_T4_T5_mT6_P12ihipStream_tbENKUlT_T0_E_clISt17integral_constantIbLb0EESY_IbLb1EEEEDaSU_SV_EUlSU_E0_NS1_11comp_targetILNS1_3genE8ELNS1_11target_archE1030ELNS1_3gpuE2ELNS1_3repE0EEENS1_30default_config_static_selectorELNS0_4arch9wavefront6targetE1EEEvT1_.uses_flat_scratch, 0
	.set _ZN7rocprim17ROCPRIM_400000_NS6detail17trampoline_kernelINS0_14default_configENS1_20scan_config_selectorIN3c107complexIfEEEEZZNS1_9scan_implILNS1_25lookback_scan_determinismE0ELb0ELb0ES3_PKS7_PS7_S7_ZZZN2at6native31launch_logcumsumexp_cuda_kernelERKNSE_10TensorBaseESI_lENKUlvE_clEvENKUlvE2_clEvEUlS7_S7_E_S7_EEDaPvRmT3_T4_T5_mT6_P12ihipStream_tbENKUlT_T0_E_clISt17integral_constantIbLb0EESY_IbLb1EEEEDaSU_SV_EUlSU_E0_NS1_11comp_targetILNS1_3genE8ELNS1_11target_archE1030ELNS1_3gpuE2ELNS1_3repE0EEENS1_30default_config_static_selectorELNS0_4arch9wavefront6targetE1EEEvT1_.has_dyn_sized_stack, 0
	.set _ZN7rocprim17ROCPRIM_400000_NS6detail17trampoline_kernelINS0_14default_configENS1_20scan_config_selectorIN3c107complexIfEEEEZZNS1_9scan_implILNS1_25lookback_scan_determinismE0ELb0ELb0ES3_PKS7_PS7_S7_ZZZN2at6native31launch_logcumsumexp_cuda_kernelERKNSE_10TensorBaseESI_lENKUlvE_clEvENKUlvE2_clEvEUlS7_S7_E_S7_EEDaPvRmT3_T4_T5_mT6_P12ihipStream_tbENKUlT_T0_E_clISt17integral_constantIbLb0EESY_IbLb1EEEEDaSU_SV_EUlSU_E0_NS1_11comp_targetILNS1_3genE8ELNS1_11target_archE1030ELNS1_3gpuE2ELNS1_3repE0EEENS1_30default_config_static_selectorELNS0_4arch9wavefront6targetE1EEEvT1_.has_recursion, 0
	.set _ZN7rocprim17ROCPRIM_400000_NS6detail17trampoline_kernelINS0_14default_configENS1_20scan_config_selectorIN3c107complexIfEEEEZZNS1_9scan_implILNS1_25lookback_scan_determinismE0ELb0ELb0ES3_PKS7_PS7_S7_ZZZN2at6native31launch_logcumsumexp_cuda_kernelERKNSE_10TensorBaseESI_lENKUlvE_clEvENKUlvE2_clEvEUlS7_S7_E_S7_EEDaPvRmT3_T4_T5_mT6_P12ihipStream_tbENKUlT_T0_E_clISt17integral_constantIbLb0EESY_IbLb1EEEEDaSU_SV_EUlSU_E0_NS1_11comp_targetILNS1_3genE8ELNS1_11target_archE1030ELNS1_3gpuE2ELNS1_3repE0EEENS1_30default_config_static_selectorELNS0_4arch9wavefront6targetE1EEEvT1_.has_indirect_call, 0
	.section	.AMDGPU.csdata,"",@progbits
; Kernel info:
; codeLenInByte = 0
; TotalNumSgprs: 4
; NumVgprs: 0
; ScratchSize: 0
; MemoryBound: 0
; FloatMode: 240
; IeeeMode: 1
; LDSByteSize: 0 bytes/workgroup (compile time only)
; SGPRBlocks: 0
; VGPRBlocks: 0
; NumSGPRsForWavesPerEU: 4
; NumVGPRsForWavesPerEU: 1
; Occupancy: 10
; WaveLimiterHint : 0
; COMPUTE_PGM_RSRC2:SCRATCH_EN: 0
; COMPUTE_PGM_RSRC2:USER_SGPR: 6
; COMPUTE_PGM_RSRC2:TRAP_HANDLER: 0
; COMPUTE_PGM_RSRC2:TGID_X_EN: 1
; COMPUTE_PGM_RSRC2:TGID_Y_EN: 0
; COMPUTE_PGM_RSRC2:TGID_Z_EN: 0
; COMPUTE_PGM_RSRC2:TIDIG_COMP_CNT: 0
	.section	.text._ZN2at6native32tensor_kernel_scan_innermost_dimIN3c107complexIfEEZZZNS0_31launch_logcumsumexp_cuda_kernelERKNS_10TensorBaseES7_lENKUlvE_clEvENKUlvE2_clEvEUlS4_S4_E_EEvPT_PKSB_jjjSB_T0_,"axG",@progbits,_ZN2at6native32tensor_kernel_scan_innermost_dimIN3c107complexIfEEZZZNS0_31launch_logcumsumexp_cuda_kernelERKNS_10TensorBaseES7_lENKUlvE_clEvENKUlvE2_clEvEUlS4_S4_E_EEvPT_PKSB_jjjSB_T0_,comdat
	.globl	_ZN2at6native32tensor_kernel_scan_innermost_dimIN3c107complexIfEEZZZNS0_31launch_logcumsumexp_cuda_kernelERKNS_10TensorBaseES7_lENKUlvE_clEvENKUlvE2_clEvEUlS4_S4_E_EEvPT_PKSB_jjjSB_T0_ ; -- Begin function _ZN2at6native32tensor_kernel_scan_innermost_dimIN3c107complexIfEEZZZNS0_31launch_logcumsumexp_cuda_kernelERKNS_10TensorBaseES7_lENKUlvE_clEvENKUlvE2_clEvEUlS4_S4_E_EEvPT_PKSB_jjjSB_T0_
	.p2align	8
	.type	_ZN2at6native32tensor_kernel_scan_innermost_dimIN3c107complexIfEEZZZNS0_31launch_logcumsumexp_cuda_kernelERKNS_10TensorBaseES7_lENKUlvE_clEvENKUlvE2_clEvEUlS4_S4_E_EEvPT_PKSB_jjjSB_T0_,@function
_ZN2at6native32tensor_kernel_scan_innermost_dimIN3c107complexIfEEZZZNS0_31launch_logcumsumexp_cuda_kernelERKNS_10TensorBaseES7_lENKUlvE_clEvENKUlvE2_clEvEUlS4_S4_E_EEvPT_PKSB_jjjSB_T0_: ; @_ZN2at6native32tensor_kernel_scan_innermost_dimIN3c107complexIfEEZZZNS0_31launch_logcumsumexp_cuda_kernelERKNS_10TensorBaseES7_lENKUlvE_clEvENKUlvE2_clEvEUlS4_S4_E_EEvPT_PKSB_jjjSB_T0_
; %bb.0:
	s_load_dwordx8 s[20:27], s[4:5], 0x0
	v_mov_b32_e32 v2, v1
	s_load_dwordx2 s[18:19], s[4:5], 0x20
	s_waitcnt lgkmcnt(0)
	s_lshl_b32 s7, 2, s26
	v_mul_lo_u32 v1, s7, v2
	s_mul_hi_u32 s0, s24, s25
	s_cmp_lg_u32 s0, 0
	s_mov_b64 s[0:1], -1
	v_lshl_add_u32 v13, v1, 3, 0
	s_cbranch_scc1 .LBB347_126
; %bb.1:
	s_load_dword s2, s[4:5], 0x3c
	s_add_u32 s0, s4, 48
	s_addc_u32 s1, s5, 0
	s_waitcnt lgkmcnt(0)
	s_lshr_b32 s2, s2, 16
	s_mul_i32 s27, s6, s2
	s_cmp_ge_u32 s27, s24
	s_cbranch_scc1 .LBB347_125
; %bb.2:
	s_load_dword s44, s[0:1], 0x0
	s_lshl_b32 s33, 1, s26
	s_cmp_lg_u32 s25, 0
	s_cselect_b64 s[8:9], -1, 0
	v_lshl_add_u32 v1, v0, 3, v13
	s_lshl_b32 s3, s7, 3
	v_cndmask_b32_e64 v3, 0, 1, s[8:9]
	v_lshl_add_u32 v14, s33, 3, v1
	v_cmp_eq_u32_e64 s[0:1], 0, v0
	v_add3_u32 v15, v13, s3, -8
	s_waitcnt lgkmcnt(0)
	s_mul_i32 s44, s44, s2
	s_add_i32 s45, s26, 1
	v_cmp_ne_u32_e64 s[2:3], 1, v3
	s_movk_i32 s46, 0x1f8
	s_brev_b32 s47, -2
	s_brev_b32 s48, 18
	s_mov_b32 s49, 0x800000
	s_mov_b32 s50, 0xfe5163ab
	;; [unrolled: 1-line block ×15, first 2 shown]
	v_mov_b32_e32 v16, 0x3d2aabf7
	v_mov_b32_e32 v17, 0xbf000004
	;; [unrolled: 1-line block ×3, first 2 shown]
	s_mov_b32 s64, 0x3f317217
	s_mov_b32 s65, 0x3f2aaaab
	v_mov_b32_e32 v19, 0x3f2aaada
	s_mov_b32 s66, 0x3f317218
	s_mov_b32 s67, 0x33800000
	s_movk_i32 s68, 0x204
	v_mov_b32_e32 v20, 0x3d29fb3f
	v_mov_b32_e32 v21, 0xbd97d4d7
	;; [unrolled: 1-line block ×6, first 2 shown]
	v_not_b32_e32 v26, 63
	v_not_b32_e32 v27, 31
	v_mov_b32_e32 v28, 0x7f800000
	v_mov_b32_e32 v29, 0x7fc00000
	;; [unrolled: 1-line block ×8, first 2 shown]
	s_branch .LBB347_4
.LBB347_3:                              ;   in Loop: Header=BB347_4 Depth=1
	s_add_i32 s27, s27, s44
	s_cmp_ge_u32 s27, s24
	s_cbranch_scc1 .LBB347_125
.LBB347_4:                              ; =>This Loop Header: Depth=1
                                        ;     Child Loop BB347_7 Depth 2
                                        ;       Child Loop BB347_73 Depth 3
	s_and_b64 vcc, exec, s[2:3]
	s_cbranch_vccnz .LBB347_3
; %bb.5:                                ;   in Loop: Header=BB347_4 Depth=1
	v_add_u32_e32 v7, s27, v2
	v_mul_lo_u32 v3, v7, s25
	v_mov_b32_e32 v8, s23
	v_cmp_le_u32_e64 s[10:11], s24, v7
	s_mov_b32 s69, 0
	v_lshlrev_b64 v[5:6], 3, v[3:4]
	v_mov_b32_e32 v3, s21
	v_add_co_u32_e32 v35, vcc, s22, v5
	v_addc_co_u32_e32 v36, vcc, v8, v6, vcc
	v_add_co_u32_e32 v37, vcc, s20, v5
	v_addc_co_u32_e32 v38, vcc, v3, v6, vcc
	v_cmp_gt_u32_e32 vcc, s24, v7
	v_mov_b32_e32 v10, s19
	v_mov_b32_e32 v9, s18
	s_branch .LBB347_7
.LBB347_6:                              ;   in Loop: Header=BB347_7 Depth=2
	s_or_b64 exec, exec, s[12:13]
	ds_read_b64 v[9:10], v15
	s_add_i32 s69, s69, s7
	s_cmp_ge_u32 s69, s25
	s_waitcnt vmcnt(0) lgkmcnt(0)
	s_barrier
	s_cbranch_scc1 .LBB347_3
.LBB347_7:                              ;   Parent Loop BB347_4 Depth=1
                                        ; =>  This Loop Header: Depth=2
                                        ;       Child Loop BB347_73 Depth 3
	v_add_u32_e32 v7, s69, v0
	v_add_u32_e32 v5, s33, v7
	s_and_saveexec_b64 s[28:29], vcc
	s_cbranch_execz .LBB347_66
; %bb.8:                                ;   in Loop: Header=BB347_7 Depth=2
	v_cmp_le_u32_e64 s[8:9], s25, v7
	s_and_saveexec_b64 s[12:13], s[8:9]
	s_xor_b64 s[8:9], exec, s[12:13]
; %bb.9:                                ;   in Loop: Header=BB347_7 Depth=2
	v_mov_b32_e32 v11, s18
	v_mov_b32_e32 v12, s19
	ds_write_b64 v1, v[11:12]
; %bb.10:                               ;   in Loop: Header=BB347_7 Depth=2
	s_andn2_saveexec_b64 s[12:13], s[8:9]
	s_cbranch_execz .LBB347_12
; %bb.11:                               ;   in Loop: Header=BB347_7 Depth=2
	v_mov_b32_e32 v8, v4
	v_lshlrev_b64 v[11:12], 3, v[7:8]
	v_add_co_u32_e64 v11, s[8:9], v35, v11
	v_addc_co_u32_e64 v12, s[8:9], v36, v12, s[8:9]
	global_load_dwordx2 v[11:12], v[11:12], off
	s_waitcnt vmcnt(0)
	ds_write_b64 v1, v[11:12]
.LBB347_12:                             ;   in Loop: Header=BB347_7 Depth=2
	s_or_b64 exec, exec, s[12:13]
	v_cmp_le_u32_e64 s[8:9], s25, v5
	s_and_saveexec_b64 s[12:13], s[8:9]
	s_xor_b64 s[8:9], exec, s[12:13]
	s_cbranch_execz .LBB347_15
; %bb.13:                               ;   in Loop: Header=BB347_7 Depth=2
	v_mov_b32_e32 v11, s18
	v_mov_b32_e32 v12, s19
	ds_write_b64 v14, v[11:12]
	s_andn2_saveexec_b64 s[12:13], s[8:9]
	s_cbranch_execnz .LBB347_16
.LBB347_14:                             ;   in Loop: Header=BB347_7 Depth=2
	s_or_b64 exec, exec, s[12:13]
	s_and_b64 exec, exec, s[0:1]
	s_cbranch_execnz .LBB347_17
	s_branch .LBB347_66
.LBB347_15:                             ;   in Loop: Header=BB347_7 Depth=2
	s_andn2_saveexec_b64 s[12:13], s[8:9]
	s_cbranch_execz .LBB347_14
.LBB347_16:                             ;   in Loop: Header=BB347_7 Depth=2
	v_mov_b32_e32 v6, v4
	v_lshlrev_b64 v[11:12], 3, v[5:6]
	v_add_co_u32_e64 v11, s[8:9], v35, v11
	v_addc_co_u32_e64 v12, s[8:9], v36, v12, s[8:9]
	global_load_dwordx2 v[11:12], v[11:12], off
	s_waitcnt vmcnt(0)
	ds_write_b64 v14, v[11:12]
	s_or_b64 exec, exec, s[12:13]
	s_and_b64 exec, exec, s[0:1]
	s_cbranch_execz .LBB347_66
.LBB347_17:                             ;   in Loop: Header=BB347_7 Depth=2
	ds_read_b64 v[11:12], v13
	v_cmp_o_f32_e64 s[8:9], v9, v10
	v_mov_b32_e32 v6, v10
	v_mov_b32_e32 v39, v9
	;; [unrolled: 1-line block ×3, first 2 shown]
	s_and_saveexec_b64 s[16:17], s[8:9]
	s_cbranch_execz .LBB347_19
; %bb.18:                               ;   in Loop: Header=BB347_7 Depth=2
	s_waitcnt lgkmcnt(0)
	v_cmp_u_f32_e64 s[12:13], v11, v12
	v_cmp_lt_f32_e64 s[14:15], v11, v9
	s_or_b64 s[12:13], s[14:15], s[12:13]
	v_cndmask_b32_e64 v6, v10, v12, s[12:13]
	v_cndmask_b32_e64 v39, v9, v11, s[12:13]
	v_mov_b32_e32 v8, v6
.LBB347_19:                             ;   in Loop: Header=BB347_7 Depth=2
	s_or_b64 exec, exec, s[16:17]
	s_and_saveexec_b64 s[14:15], s[8:9]
	s_cbranch_execz .LBB347_21
; %bb.20:                               ;   in Loop: Header=BB347_7 Depth=2
	s_waitcnt lgkmcnt(0)
	v_cmp_u_f32_e64 s[8:9], v11, v12
	v_cmp_ge_f32_e64 s[12:13], v11, v9
	s_or_b64 s[8:9], s[12:13], s[8:9]
	v_cndmask_b32_e64 v10, v10, v12, s[8:9]
	v_cndmask_b32_e64 v9, v9, v11, s[8:9]
.LBB347_21:                             ;   in Loop: Header=BB347_7 Depth=2
	s_or_b64 exec, exec, s[14:15]
	v_cmp_o_f32_e64 s[8:9], v39, v6
	s_waitcnt lgkmcnt(0)
	v_mov_b32_e32 v11, 0x7fc00000
	v_mov_b32_e32 v12, 0x7fc00000
	s_and_saveexec_b64 s[30:31], s[8:9]
	s_cbranch_execz .LBB347_65
; %bb.22:                               ;   in Loop: Header=BB347_7 Depth=2
	v_cmp_class_f32_e64 s[12:13], v39, s46
	v_cmp_neq_f32_e64 s[8:9], v9, v39
	s_or_b64 s[8:9], s[12:13], s[8:9]
	s_and_saveexec_b64 s[12:13], s[8:9]
	s_xor_b64 s[34:35], exec, s[12:13]
	s_cbranch_execz .LBB347_38
; %bb.23:                               ;   in Loop: Header=BB347_7 Depth=2
	v_sub_f32_e32 v6, v6, v10
	v_and_b32_e32 v8, 0x7fffffff, v6
	v_lshrrev_b32_e32 v3, 23, v8
	v_and_b32_e32 v11, 0x7fffff, v8
	v_cmp_nlt_f32_e64 s[36:37], |v6|, s48
	v_add_u32_e32 v41, 0xffffff88, v3
	v_or_b32_e32 v40, 0x800000, v11
                                        ; implicit-def: $vgpr12
                                        ; implicit-def: $vgpr11
	s_and_saveexec_b64 s[8:9], s[36:37]
	s_xor_b64 s[38:39], exec, s[8:9]
	s_cbranch_execz .LBB347_25
; %bb.24:                               ;   in Loop: Header=BB347_7 Depth=2
	v_mad_u64_u32 v[11:12], s[8:9], v40, s50, 0
	v_mov_b32_e32 v3, v12
	v_mad_u64_u32 v[42:43], s[8:9], v40, s51, v[3:4]
	v_mov_b32_e32 v3, v43
	;; [unrolled: 2-line block ×3, first 2 shown]
	v_mad_u64_u32 v[44:45], s[8:9], v40, s53, v[3:4]
	v_cmp_lt_u32_e64 s[8:9], 63, v41
	v_cndmask_b32_e64 v3, 0, v26, s[8:9]
	v_add_u32_e32 v12, v3, v41
	v_mov_b32_e32 v3, v45
	v_mad_u64_u32 v[45:46], s[12:13], v40, s54, v[3:4]
	v_cmp_lt_u32_e64 s[12:13], 31, v12
	v_cndmask_b32_e64 v3, 0, v27, s[12:13]
	v_add_u32_e32 v12, v3, v12
	v_mov_b32_e32 v3, v46
	;; [unrolled: 5-line block ×3, first 2 shown]
	v_mad_u64_u32 v[47:48], s[16:17], v40, s56, v[3:4]
	v_cndmask_b32_e64 v3, v45, v43, s[8:9]
	v_cndmask_b32_e64 v49, v46, v44, s[8:9]
	;; [unrolled: 1-line block ×10, first 2 shown]
	v_sub_u32_e32 v47, 32, v12
	v_cndmask_b32_e64 v3, v3, v42, s[12:13]
	v_alignbit_b32 v48, v45, v46, v47
	v_cmp_eq_u32_e64 s[16:17], 0, v12
	v_cndmask_b32_e64 v44, v50, v3, s[14:15]
	v_cndmask_b32_e64 v12, v48, v45, s[16:17]
	v_alignbit_b32 v45, v46, v44, v47
	v_cndmask_b32_e64 v11, v43, v11, s[8:9]
	v_cndmask_b32_e64 v45, v45, v46, s[16:17]
	v_bfe_u32 v49, v12, 29, 1
	v_cndmask_b32_e64 v11, v42, v11, s[12:13]
	v_alignbit_b32 v46, v12, v45, 30
	v_sub_u32_e32 v50, 0, v49
	v_cndmask_b32_e64 v3, v3, v11, s[14:15]
	v_xor_b32_e32 v46, v46, v50
	v_alignbit_b32 v11, v44, v3, v47
	v_cndmask_b32_e64 v11, v11, v44, s[16:17]
	v_ffbh_u32_e32 v43, v46
	v_alignbit_b32 v42, v45, v11, 30
	v_min_u32_e32 v43, 32, v43
	v_alignbit_b32 v3, v11, v3, 30
	v_xor_b32_e32 v42, v42, v50
	v_sub_u32_e32 v44, 31, v43
	v_xor_b32_e32 v3, v3, v50
	v_alignbit_b32 v45, v46, v42, v44
	v_alignbit_b32 v3, v42, v3, v44
	;; [unrolled: 1-line block ×3, first 2 shown]
	v_ffbh_u32_e32 v42, v11
	v_min_u32_e32 v42, 32, v42
	v_lshrrev_b32_e32 v48, 29, v12
	v_not_b32_e32 v44, v42
	v_alignbit_b32 v3, v11, v3, v44
	v_lshlrev_b32_e32 v11, 31, v48
	v_or_b32_e32 v44, 0x33000000, v11
	v_add_lshl_u32 v42, v42, v43, 23
	v_lshrrev_b32_e32 v3, 9, v3
	v_sub_u32_e32 v42, v44, v42
	v_or_b32_e32 v11, 0.5, v11
	v_lshlrev_b32_e32 v43, 23, v43
	v_or_b32_e32 v3, v42, v3
	v_lshrrev_b32_e32 v42, 9, v45
	v_sub_u32_e32 v11, v11, v43
	v_or_b32_e32 v11, v42, v11
	v_mul_f32_e32 v42, 0x3fc90fda, v11
	v_fma_f32 v43, v11, s57, -v42
	v_fmac_f32_e32 v43, 0x33a22168, v11
	v_fmac_f32_e32 v43, 0x3fc90fda, v3
	v_lshrrev_b32_e32 v3, 30, v12
	v_add_f32_e32 v11, v42, v43
	v_add_u32_e32 v12, v49, v3
.LBB347_25:                             ;   in Loop: Header=BB347_7 Depth=2
	s_or_saveexec_b64 s[8:9], s[38:39]
	v_mul_f32_e64 v3, |v6|, s58
	v_rndne_f32_e32 v43, v3
	s_xor_b64 exec, exec, s[8:9]
; %bb.26:                               ;   in Loop: Header=BB347_7 Depth=2
	v_cvt_i32_f32_e32 v12, v43
	v_fma_f32 v11, v43, s59, |v6|
	v_fmac_f32_e32 v11, 0xb3a22168, v43
	v_fmac_f32_e32 v11, 0xa7c234c4, v43
; %bb.27:                               ;   in Loop: Header=BB347_7 Depth=2
	s_or_b64 exec, exec, s[8:9]
                                        ; implicit-def: $vgpr3
                                        ; implicit-def: $vgpr42
	s_and_saveexec_b64 s[8:9], s[36:37]
	s_xor_b64 s[36:37], exec, s[8:9]
	s_cbranch_execz .LBB347_29
; %bb.28:                               ;   in Loop: Header=BB347_7 Depth=2
	v_mad_u64_u32 v[42:43], s[8:9], v40, s50, 0
	v_mov_b32_e32 v3, v43
	v_mad_u64_u32 v[43:44], s[8:9], v40, s51, v[3:4]
	v_mov_b32_e32 v3, v44
	;; [unrolled: 2-line block ×3, first 2 shown]
	v_mad_u64_u32 v[45:46], s[8:9], v40, s53, v[3:4]
	v_cmp_lt_u32_e64 s[8:9], 63, v41
	v_cndmask_b32_e64 v3, 0, v26, s[8:9]
	v_add_u32_e32 v41, v3, v41
	v_mov_b32_e32 v3, v46
	v_mad_u64_u32 v[46:47], s[12:13], v40, s54, v[3:4]
	v_cmp_lt_u32_e64 s[12:13], 31, v41
	v_cndmask_b32_e64 v3, 0, v27, s[12:13]
	v_add_u32_e32 v41, v3, v41
	v_mov_b32_e32 v3, v47
	;; [unrolled: 5-line block ×3, first 2 shown]
	v_mad_u64_u32 v[40:41], s[16:17], v40, s56, v[3:4]
	v_cndmask_b32_e64 v3, v46, v44, s[8:9]
	v_cndmask_b32_e64 v48, v47, v45, s[8:9]
	;; [unrolled: 1-line block ×10, first 2 shown]
	v_sub_u32_e32 v46, 32, v49
	v_cndmask_b32_e64 v3, v3, v43, s[12:13]
	v_alignbit_b32 v47, v40, v41, v46
	v_cmp_eq_u32_e64 s[16:17], 0, v49
	v_cndmask_b32_e64 v45, v50, v3, s[14:15]
	v_cndmask_b32_e64 v40, v47, v40, s[16:17]
	v_alignbit_b32 v47, v41, v45, v46
	v_cndmask_b32_e64 v42, v44, v42, s[8:9]
	v_cndmask_b32_e64 v41, v47, v41, s[16:17]
	v_bfe_u32 v49, v40, 29, 1
	v_cndmask_b32_e64 v42, v43, v42, s[12:13]
	v_alignbit_b32 v47, v40, v41, 30
	v_sub_u32_e32 v50, 0, v49
	v_cndmask_b32_e64 v3, v3, v42, s[14:15]
	v_xor_b32_e32 v47, v47, v50
	v_alignbit_b32 v42, v45, v3, v46
	v_cndmask_b32_e64 v42, v42, v45, s[16:17]
	v_ffbh_u32_e32 v43, v47
	v_alignbit_b32 v41, v41, v42, 30
	v_min_u32_e32 v43, 32, v43
	v_alignbit_b32 v3, v42, v3, 30
	v_xor_b32_e32 v41, v41, v50
	v_sub_u32_e32 v44, 31, v43
	v_xor_b32_e32 v3, v3, v50
	v_alignbit_b32 v45, v47, v41, v44
	v_alignbit_b32 v3, v41, v3, v44
	;; [unrolled: 1-line block ×3, first 2 shown]
	v_ffbh_u32_e32 v42, v41
	v_min_u32_e32 v42, 32, v42
	v_lshrrev_b32_e32 v48, 29, v40
	v_not_b32_e32 v44, v42
	v_alignbit_b32 v3, v41, v3, v44
	v_lshlrev_b32_e32 v41, 31, v48
	v_or_b32_e32 v44, 0x33000000, v41
	v_add_lshl_u32 v42, v42, v43, 23
	v_lshrrev_b32_e32 v3, 9, v3
	v_sub_u32_e32 v42, v44, v42
	v_or_b32_e32 v41, 0.5, v41
	v_lshlrev_b32_e32 v43, 23, v43
	v_or_b32_e32 v3, v42, v3
	v_lshrrev_b32_e32 v42, 9, v45
	v_sub_u32_e32 v41, v41, v43
	v_or_b32_e32 v41, v42, v41
	v_mul_f32_e32 v42, 0x3fc90fda, v41
	v_fma_f32 v43, v41, s57, -v42
	v_fmac_f32_e32 v43, 0x33a22168, v41
	v_fmac_f32_e32 v43, 0x3fc90fda, v3
	v_lshrrev_b32_e32 v3, 30, v40
	v_add_f32_e32 v42, v42, v43
	v_add_u32_e32 v3, v49, v3
                                        ; implicit-def: $vgpr43
	s_andn2_saveexec_b64 s[8:9], s[36:37]
	s_cbranch_execnz .LBB347_30
	s_branch .LBB347_31
.LBB347_29:                             ;   in Loop: Header=BB347_7 Depth=2
	s_andn2_saveexec_b64 s[8:9], s[36:37]
.LBB347_30:                             ;   in Loop: Header=BB347_7 Depth=2
	v_cvt_i32_f32_e32 v3, v43
	v_fma_f32 v42, v43, s59, |v6|
	v_fmac_f32_e32 v42, 0xb3a22168, v43
	v_fmac_f32_e32 v42, 0xa7c234c4, v43
.LBB347_31:                             ;   in Loop: Header=BB347_7 Depth=2
	s_or_b64 exec, exec, s[8:9]
	v_sub_f32_e32 v39, v39, v9
	v_mul_f32_e32 v40, 0x3fb8aa3b, v39
	v_fma_f32 v41, v39, s60, -v40
	v_rndne_f32_e32 v43, v40
	v_fmac_f32_e32 v41, 0x32a5705f, v39
	v_sub_f32_e32 v40, v40, v43
	v_add_f32_e32 v40, v40, v41
	v_cvt_i32_f32_e32 v41, v43
	v_exp_f32_e32 v40, v40
	v_cmp_ngt_f32_e64 s[8:9], s61, v39
	v_mov_b32_e32 v43, 0xbab64f3b
	v_mov_b32_e32 v44, 0x3c0881c4
	v_ldexp_f32 v40, v40, v41
	v_cndmask_b32_e64 v40, 0, v40, s[8:9]
	v_cmp_nlt_f32_e64 s[8:9], s62, v39
	v_cndmask_b32_e64 v41, v28, v40, s[8:9]
	v_mul_f32_e32 v40, v11, v11
	v_fmac_f32_e32 v43, 0x37d75334, v40
	v_fma_f32 v43, v40, v43, v16
	v_fmac_f32_e32 v44, 0xb94c1982, v40
	v_fma_f32 v43, v40, v43, v17
	v_fma_f32 v44, v40, v44, v18
	v_lshlrev_b32_e32 v39, 30, v12
	v_and_b32_e32 v12, 1, v12
	v_fma_f32 v43, v40, v43, 1.0
	v_mul_f32_e32 v40, v40, v44
	v_fmac_f32_e32 v11, v11, v40
	v_cmp_eq_u32_e64 s[8:9], 0, v12
	v_and_b32_e32 v39, 0x80000000, v39
	v_cndmask_b32_e64 v11, -v11, v43, s[8:9]
	v_xor_b32_e32 v11, v39, v11
	v_mul_f32_e32 v39, v42, v42
	v_mov_b32_e32 v40, 0x3c0881c4
	v_fmac_f32_e32 v40, 0xb94c1982, v39
	v_fma_f32 v40, v39, v40, v18
	v_mul_f32_e32 v40, v39, v40
	v_fmac_f32_e32 v42, v42, v40
	v_mov_b32_e32 v40, 0xbab64f3b
	v_fmac_f32_e32 v40, 0x37d75334, v39
	v_fma_f32 v40, v39, v40, v16
	v_fma_f32 v40, v39, v40, v17
	v_fma_f32 v39, v39, v40, 1.0
	v_and_b32_e32 v40, 1, v3
	v_lshlrev_b32_e32 v3, 30, v3
	v_cmp_class_f32_e64 s[8:9], v6, s46
	v_cmp_eq_u32_e64 s[12:13], 0, v40
	v_and_b32_e32 v3, 0x80000000, v3
	v_xor_b32_e32 v6, v8, v6
	v_cndmask_b32_e64 v39, v39, v42, s[12:13]
	v_xor_b32_e32 v3, v6, v3
	v_xor_b32_e32 v3, v3, v39
	v_cndmask_b32_e64 v11, v29, v11, s[8:9]
	v_cndmask_b32_e64 v3, v29, v3, s[8:9]
	v_mul_f32_e32 v12, v41, v11
	v_mul_f32_e32 v3, v41, v3
	v_max_f32_e64 v6, |v12|, |v3|
	v_cvt_f64_f32_e32 v[39:40], v6
	v_cmp_eq_f32_e64 s[8:9], s63, v6
	v_fma_f32 v6, v41, v11, 1.0
	v_frexp_exp_i32_f64_e32 v8, v[39:40]
	v_sub_u32_e32 v39, 0, v8
	v_ldexp_f32 v40, |v12|, v39
	v_ldexp_f32 v39, |v3|, v39
	v_mul_f32_e32 v39, v39, v39
	v_fmac_f32_e32 v39, v40, v40
	v_sqrt_f32_e32 v39, v39
	v_ldexp_f32 v39, v39, v8
	v_cmp_ngt_f32_e64 s[12:13], 0.5, v39
	v_max_f32_e64 v8, |v6|, |v3|
	s_or_b64 s[8:9], s[8:9], s[12:13]
	s_and_saveexec_b64 s[12:13], s[8:9]
	s_xor_b64 s[14:15], exec, s[12:13]
	s_cbranch_execz .LBB347_33
; %bb.32:                               ;   in Loop: Header=BB347_7 Depth=2
	v_cvt_f64_f32_e32 v[11:12], v8
	v_cmp_neq_f32_e64 s[8:9], s63, v8
	v_frexp_exp_i32_f64_e32 v11, v[11:12]
	v_sub_u32_e32 v12, 0, v11
	v_ldexp_f32 v39, |v6|, v12
	v_ldexp_f32 v12, |v3|, v12
	v_mul_f32_e32 v12, v12, v12
	v_fmac_f32_e32 v12, v39, v39
	v_sqrt_f32_e32 v12, v12
	v_ldexp_f32 v11, v12, v11
	v_cndmask_b32_e64 v11, v28, v11, s[8:9]
	v_cmp_gt_f32_e64 s[8:9], s49, v11
	v_cndmask_b32_e64 v12, 0, 32, s[8:9]
	v_ldexp_f32 v11, v11, v12
	v_log_f32_e32 v11, v11
	v_mul_f32_e32 v12, 0x3f317217, v11
	v_fma_f32 v12, v11, s64, -v12
	v_fmac_f32_e32 v12, 0x3377d1cf, v11
	v_fmac_f32_e32 v12, 0x3f317217, v11
	v_cmp_lt_f32_e64 s[12:13], |v11|, s63
	v_cndmask_b32_e64 v11, v11, v12, s[12:13]
	v_cndmask_b32_e64 v12, 0, v30, s[8:9]
	v_sub_f32_e32 v12, v11, v12
.LBB347_33:                             ;   in Loop: Header=BB347_7 Depth=2
	s_andn2_saveexec_b64 s[12:13], s[14:15]
	s_cbranch_execz .LBB347_37
; %bb.34:                               ;   in Loop: Header=BB347_7 Depth=2
	v_add_f32_e32 v39, 2.0, v12
	v_mul_f32_e32 v11, v3, v3
	v_fmac_f32_e32 v11, v12, v39
	v_cmp_neq_f32_e64 s[8:9], 0, v11
	s_and_saveexec_b64 s[14:15], s[8:9]
	s_cbranch_execz .LBB347_36
; %bb.35:                               ;   in Loop: Header=BB347_7 Depth=2
	v_add_f32_e32 v12, 1.0, v11
	v_cvt_f64_f32_e32 v[39:40], v12
	v_add_f32_e32 v41, -1.0, v12
	v_sub_f32_e32 v42, v41, v12
	v_sub_f32_e32 v41, v11, v41
	v_frexp_exp_i32_f64_e32 v39, v[39:40]
	v_frexp_mant_f32_e32 v40, v12
	v_cmp_gt_f32_e64 s[8:9], s65, v40
	v_add_f32_e32 v42, 1.0, v42
	v_add_f32_e32 v41, v41, v42
	v_subbrev_co_u32_e64 v39, s[8:9], 0, v39, s[8:9]
	v_sub_u32_e32 v40, 0, v39
	v_ldexp_f32 v12, v12, v40
	v_ldexp_f32 v40, v41, v40
	v_add_f32_e32 v41, -1.0, v12
	v_add_f32_e32 v42, 1.0, v12
	v_add_f32_e32 v43, 1.0, v41
	v_add_f32_e32 v45, -1.0, v42
	v_sub_f32_e32 v43, v12, v43
	v_sub_f32_e32 v12, v12, v45
	v_add_f32_e32 v12, v40, v12
	v_add_f32_e32 v43, v40, v43
	;; [unrolled: 1-line block ×3, first 2 shown]
	v_rcp_f32_e32 v45, v40
	v_add_f32_e32 v44, v41, v43
	v_sub_f32_e32 v42, v40, v42
	v_sub_f32_e32 v41, v44, v41
	;; [unrolled: 1-line block ×3, first 2 shown]
	v_mul_f32_e32 v42, v44, v45
	v_sub_f32_e32 v41, v43, v41
	v_mul_f32_e32 v43, v40, v42
	v_fma_f32 v46, v42, v40, -v43
	v_fmac_f32_e32 v46, v42, v12
	v_add_f32_e32 v47, v43, v46
	v_sub_f32_e32 v48, v44, v47
	v_sub_f32_e32 v44, v44, v48
	v_sub_f32_e32 v43, v47, v43
	v_sub_f32_e32 v44, v44, v47
	v_add_f32_e32 v41, v41, v44
	v_sub_f32_e32 v43, v43, v46
	v_add_f32_e32 v41, v43, v41
	v_add_f32_e32 v43, v48, v41
	v_mul_f32_e32 v44, v45, v43
	v_mul_f32_e32 v46, v40, v44
	v_fma_f32 v40, v44, v40, -v46
	v_fmac_f32_e32 v40, v44, v12
	v_sub_f32_e32 v12, v48, v43
	v_add_f32_e32 v12, v41, v12
	v_add_f32_e32 v41, v46, v40
	v_sub_f32_e32 v47, v43, v41
	v_sub_f32_e32 v43, v43, v47
	;; [unrolled: 1-line block ×4, first 2 shown]
	v_add_f32_e32 v12, v12, v41
	v_sub_f32_e32 v40, v46, v40
	v_cvt_f32_i32_e32 v39, v39
	v_add_f32_e32 v12, v40, v12
	v_add_f32_e32 v40, v42, v44
	;; [unrolled: 1-line block ×3, first 2 shown]
	v_sub_f32_e32 v41, v40, v42
	v_mul_f32_e32 v12, v45, v12
	v_sub_f32_e32 v41, v44, v41
	v_add_f32_e32 v12, v41, v12
	v_mul_f32_e32 v44, 0x3f317218, v39
	v_add_f32_e32 v41, v40, v12
	v_fma_f32 v45, v39, s66, -v44
	v_mul_f32_e32 v42, v41, v41
	v_mov_b32_e32 v43, 0x3ecc95a3
	v_fmac_f32_e32 v45, 0xb102e308, v39
	v_sub_f32_e32 v39, v41, v40
	v_fmac_f32_e32 v43, 0x3e9b6dac, v42
	v_sub_f32_e32 v12, v12, v39
	v_add_f32_e32 v39, v44, v45
	v_fma_f32 v43, v42, v43, v19
	v_sub_f32_e32 v40, v39, v44
	v_ldexp_f32 v44, v41, 1
	v_mul_f32_e32 v41, v41, v42
	v_mul_f32_e32 v41, v41, v43
	v_add_f32_e32 v42, v44, v41
	v_sub_f32_e32 v43, v42, v44
	v_ldexp_f32 v12, v12, 1
	v_sub_f32_e32 v41, v41, v43
	v_add_f32_e32 v12, v12, v41
	v_add_f32_e32 v41, v42, v12
	v_sub_f32_e32 v42, v41, v42
	v_sub_f32_e32 v12, v12, v42
	v_add_f32_e32 v42, v39, v41
	v_sub_f32_e32 v43, v42, v39
	v_sub_f32_e32 v44, v42, v43
	;; [unrolled: 1-line block ×5, first 2 shown]
	v_add_f32_e32 v39, v41, v39
	v_add_f32_e32 v41, v40, v12
	v_sub_f32_e32 v43, v41, v40
	v_sub_f32_e32 v44, v41, v43
	;; [unrolled: 1-line block ×4, first 2 shown]
	v_add_f32_e32 v39, v41, v39
	v_add_f32_e32 v12, v12, v40
	;; [unrolled: 1-line block ×3, first 2 shown]
	v_sub_f32_e32 v41, v40, v42
	v_sub_f32_e32 v39, v39, v41
	v_add_f32_e32 v12, v12, v39
	v_add_f32_e32 v12, v40, v12
	v_cmp_neq_f32_e64 s[8:9], s63, v11
	v_cndmask_b32_e64 v12, v28, v12, s[8:9]
	v_cmp_ngt_f32_e64 s[8:9], -1.0, v11
	v_cndmask_b32_e64 v12, v29, v12, s[8:9]
	v_cmp_neq_f32_e64 s[8:9], -1.0, v11
	v_cndmask_b32_e64 v12, v31, v12, s[8:9]
	v_cmp_lt_f32_e64 s[8:9], |v11|, s67
	v_cndmask_b32_e64 v11, v12, v11, s[8:9]
	v_mul_f32_e32 v12, 0.5, v11
.LBB347_36:                             ;   in Loop: Header=BB347_7 Depth=2
	s_or_b64 exec, exec, s[14:15]
.LBB347_37:                             ;   in Loop: Header=BB347_7 Depth=2
	s_or_b64 exec, exec, s[12:13]
	v_max_f32_e64 v40, |v3|, |v3|
	v_max_f32_e64 v41, |v6|, |v6|
	v_min_f32_e32 v40, v41, v40
	v_frexp_mant_f32_e32 v41, v8
	v_rcp_f32_e32 v41, v41
	v_frexp_exp_i32_f32_e32 v8, v8
	v_frexp_exp_i32_f32_e32 v42, v40
	v_frexp_mant_f32_e32 v40, v40
	v_mul_f32_e32 v40, v40, v41
	v_sub_u32_e32 v8, v42, v8
	v_ldexp_f32 v8, v40, v8
	v_mul_f32_e32 v40, v8, v8
	v_mov_b32_e32 v41, 0xbc7a590c
	v_fmac_f32_e32 v41, 0x3b2d2a58, v40
	v_fma_f32 v41, v40, v41, v20
	v_fma_f32 v41, v40, v41, v21
	v_fma_f32 v41, v40, v41, v22
	v_fma_f32 v41, v40, v41, v23
	v_fma_f32 v41, v40, v41, v24
	v_fma_f32 v41, v40, v41, v25
	v_mul_f32_e32 v40, v40, v41
	v_cmp_gt_i32_e64 s[12:13], 0, v6
	v_fmac_f32_e32 v8, v8, v40
	v_cndmask_b32_e64 v39, 0, v34, s[12:13]
	v_sub_f32_e32 v40, 0x3fc90fdb, v8
	v_cmp_gt_f32_e64 s[12:13], |v3|, |v6|
	v_cndmask_b32_e64 v8, v8, v40, s[12:13]
	v_cmp_gt_f32_e64 s[8:9], 0, v6
	v_sub_f32_e32 v40, 0x40490fdb, v8
	v_cmp_class_f32_e64 s[14:15], v3, s68
	v_cmp_class_f32_e64 s[16:17], v6, s68
	v_cndmask_b32_e64 v11, v32, v33, s[8:9]
	v_cndmask_b32_e64 v8, v8, v40, s[8:9]
	v_cmp_eq_f32_e64 s[8:9], 0, v3
	v_cndmask_b32_e64 v8, v8, v39, s[8:9]
	s_and_b64 s[8:9], s[16:17], s[14:15]
	v_cndmask_b32_e64 v8, v8, v11, s[8:9]
	v_cmp_o_f32_e64 s[8:9], v6, v3
	v_cndmask_b32_e64 v6, v29, v8, s[8:9]
	v_bfi_b32 v3, s47, v6, v3
	v_add_f32_e32 v39, v9, v12
	v_add_f32_e32 v6, v10, v3
                                        ; implicit-def: $vgpr8
                                        ; implicit-def: $vgpr10
.LBB347_38:                             ;   in Loop: Header=BB347_7 Depth=2
	s_andn2_saveexec_b64 s[34:35], s[34:35]
	s_cbranch_execz .LBB347_64
; %bb.39:                               ;   in Loop: Header=BB347_7 Depth=2
	v_cmp_ngt_f32_e64 s[8:9], 0, v39
	s_and_saveexec_b64 s[36:37], s[8:9]
	s_cbranch_execz .LBB347_63
; %bb.40:                               ;   in Loop: Header=BB347_7 Depth=2
	v_and_b32_e32 v9, 0x7fffffff, v6
	v_lshrrev_b32_e32 v3, 23, v9
	v_and_b32_e32 v11, 0x7fffff, v9
	v_cmp_nlt_f32_e64 s[38:39], |v6|, s48
	v_add_u32_e32 v42, 0xffffff88, v3
	v_or_b32_e32 v41, 0x800000, v11
                                        ; implicit-def: $vgpr12
                                        ; implicit-def: $vgpr11
	s_and_saveexec_b64 s[8:9], s[38:39]
	s_xor_b64 s[40:41], exec, s[8:9]
	s_cbranch_execz .LBB347_42
; %bb.41:                               ;   in Loop: Header=BB347_7 Depth=2
	v_mad_u64_u32 v[11:12], s[8:9], v41, s50, 0
	v_mov_b32_e32 v3, v12
	v_mad_u64_u32 v[39:40], s[8:9], v41, s51, v[3:4]
	v_mov_b32_e32 v3, v40
	;; [unrolled: 2-line block ×3, first 2 shown]
	v_mad_u64_u32 v[44:45], s[8:9], v41, s53, v[3:4]
	v_cmp_lt_u32_e64 s[8:9], 63, v42
	v_cndmask_b32_e64 v3, 0, v26, s[8:9]
	v_add_u32_e32 v12, v3, v42
	v_mov_b32_e32 v3, v45
	v_mad_u64_u32 v[45:46], s[12:13], v41, s54, v[3:4]
	v_cmp_lt_u32_e64 s[12:13], 31, v12
	v_cndmask_b32_e64 v3, 0, v27, s[12:13]
	v_add_u32_e32 v12, v3, v12
	v_mov_b32_e32 v3, v46
	;; [unrolled: 5-line block ×3, first 2 shown]
	v_mad_u64_u32 v[47:48], s[16:17], v41, s56, v[3:4]
	v_cndmask_b32_e64 v3, v45, v43, s[8:9]
	v_cndmask_b32_e64 v40, v46, v44, s[8:9]
	;; [unrolled: 1-line block ×10, first 2 shown]
	v_sub_u32_e32 v46, 32, v12
	v_cndmask_b32_e64 v3, v3, v39, s[12:13]
	v_alignbit_b32 v47, v45, v40, v46
	v_cmp_eq_u32_e64 s[16:17], 0, v12
	v_cndmask_b32_e64 v44, v49, v3, s[14:15]
	v_cndmask_b32_e64 v11, v43, v11, s[8:9]
	;; [unrolled: 1-line block ×3, first 2 shown]
	v_alignbit_b32 v45, v40, v44, v46
	v_cndmask_b32_e64 v11, v39, v11, s[12:13]
	v_cndmask_b32_e64 v40, v45, v40, s[16:17]
	v_bfe_u32 v48, v12, 29, 1
	v_cndmask_b32_e64 v3, v3, v11, s[14:15]
	v_alignbit_b32 v45, v12, v40, 30
	v_sub_u32_e32 v49, 0, v48
	v_alignbit_b32 v11, v44, v3, v46
	v_xor_b32_e32 v45, v45, v49
	v_cndmask_b32_e64 v11, v11, v44, s[16:17]
	v_alignbit_b32 v39, v40, v11, 30
	v_ffbh_u32_e32 v40, v45
	v_min_u32_e32 v40, 32, v40
	v_alignbit_b32 v3, v11, v3, 30
	v_xor_b32_e32 v39, v39, v49
	v_sub_u32_e32 v43, 31, v40
	v_xor_b32_e32 v3, v3, v49
	v_alignbit_b32 v44, v45, v39, v43
	v_alignbit_b32 v3, v39, v3, v43
	;; [unrolled: 1-line block ×3, first 2 shown]
	v_ffbh_u32_e32 v39, v11
	v_min_u32_e32 v39, 32, v39
	v_lshrrev_b32_e32 v47, 29, v12
	v_not_b32_e32 v43, v39
	v_alignbit_b32 v3, v11, v3, v43
	v_lshlrev_b32_e32 v11, 31, v47
	v_or_b32_e32 v43, 0x33000000, v11
	v_add_lshl_u32 v39, v39, v40, 23
	v_lshrrev_b32_e32 v3, 9, v3
	v_sub_u32_e32 v39, v43, v39
	v_or_b32_e32 v11, 0.5, v11
	v_lshlrev_b32_e32 v40, 23, v40
	v_or_b32_e32 v3, v39, v3
	v_lshrrev_b32_e32 v39, 9, v44
	v_sub_u32_e32 v11, v11, v40
	v_or_b32_e32 v11, v39, v11
	v_mul_f32_e32 v39, 0x3fc90fda, v11
	v_fma_f32 v40, v11, s57, -v39
	v_fmac_f32_e32 v40, 0x33a22168, v11
	v_fmac_f32_e32 v40, 0x3fc90fda, v3
	v_lshrrev_b32_e32 v3, 30, v12
	v_add_f32_e32 v11, v39, v40
	v_add_u32_e32 v12, v48, v3
.LBB347_42:                             ;   in Loop: Header=BB347_7 Depth=2
	s_or_saveexec_b64 s[8:9], s[40:41]
	v_mul_f32_e64 v3, |v6|, s58
	v_rndne_f32_e32 v3, v3
	s_xor_b64 exec, exec, s[8:9]
; %bb.43:                               ;   in Loop: Header=BB347_7 Depth=2
	v_cvt_i32_f32_e32 v12, v3
	v_fma_f32 v11, v3, s59, |v6|
	v_fmac_f32_e32 v11, 0xb3a22168, v3
	v_fmac_f32_e32 v11, 0xa7c234c4, v3
; %bb.44:                               ;   in Loop: Header=BB347_7 Depth=2
	s_or_b64 exec, exec, s[8:9]
                                        ; implicit-def: $vgpr39
                                        ; implicit-def: $vgpr40
	s_and_saveexec_b64 s[8:9], s[38:39]
	s_xor_b64 s[38:39], exec, s[8:9]
	s_cbranch_execz .LBB347_46
; %bb.45:                               ;   in Loop: Header=BB347_7 Depth=2
	v_mad_u64_u32 v[39:40], s[8:9], v41, s50, 0
	v_mov_b32_e32 v3, v40
	v_mad_u64_u32 v[43:44], s[8:9], v41, s51, v[3:4]
	v_mov_b32_e32 v3, v44
	;; [unrolled: 2-line block ×3, first 2 shown]
	v_mad_u64_u32 v[45:46], s[8:9], v41, s53, v[3:4]
	v_cmp_lt_u32_e64 s[8:9], 63, v42
	v_cndmask_b32_e64 v3, 0, v26, s[8:9]
	v_add_u32_e32 v40, v3, v42
	v_mov_b32_e32 v3, v46
	v_mad_u64_u32 v[46:47], s[12:13], v41, s54, v[3:4]
	v_cmp_lt_u32_e64 s[12:13], 31, v40
	v_cndmask_b32_e64 v3, 0, v27, s[12:13]
	v_add_u32_e32 v40, v3, v40
	v_mov_b32_e32 v3, v47
	;; [unrolled: 5-line block ×3, first 2 shown]
	v_mad_u64_u32 v[40:41], s[16:17], v41, s56, v[3:4]
	v_cndmask_b32_e64 v3, v46, v44, s[8:9]
	v_cndmask_b32_e64 v48, v47, v45, s[8:9]
	;; [unrolled: 1-line block ×9, first 2 shown]
	v_sub_u32_e32 v46, 32, v42
	v_alignbit_b32 v47, v40, v41, v46
	v_cmp_eq_u32_e64 s[16:17], 0, v42
	v_cndmask_b32_e64 v42, v47, v40, s[16:17]
	v_cndmask_b32_e64 v40, v45, v43, s[8:9]
	;; [unrolled: 1-line block ×5, first 2 shown]
	v_alignbit_b32 v45, v41, v43, v46
	v_cndmask_b32_e64 v39, v40, v39, s[12:13]
	v_cndmask_b32_e64 v41, v45, v41, s[16:17]
	v_bfe_u32 v48, v42, 29, 1
	v_cndmask_b32_e64 v3, v3, v39, s[14:15]
	v_alignbit_b32 v45, v42, v41, 30
	v_sub_u32_e32 v49, 0, v48
	v_alignbit_b32 v39, v43, v3, v46
	v_xor_b32_e32 v45, v45, v49
	v_cndmask_b32_e64 v39, v39, v43, s[16:17]
	v_alignbit_b32 v40, v41, v39, 30
	v_ffbh_u32_e32 v41, v45
	v_min_u32_e32 v41, 32, v41
	v_alignbit_b32 v3, v39, v3, 30
	v_xor_b32_e32 v40, v40, v49
	v_sub_u32_e32 v43, 31, v41
	v_xor_b32_e32 v3, v3, v49
	v_alignbit_b32 v44, v45, v40, v43
	v_alignbit_b32 v3, v40, v3, v43
	;; [unrolled: 1-line block ×3, first 2 shown]
	v_ffbh_u32_e32 v40, v39
	v_min_u32_e32 v40, 32, v40
	v_lshrrev_b32_e32 v47, 29, v42
	v_not_b32_e32 v43, v40
	v_alignbit_b32 v3, v39, v3, v43
	v_lshlrev_b32_e32 v39, 31, v47
	v_or_b32_e32 v43, 0x33000000, v39
	v_add_lshl_u32 v40, v40, v41, 23
	v_lshrrev_b32_e32 v3, 9, v3
	v_sub_u32_e32 v40, v43, v40
	v_or_b32_e32 v39, 0.5, v39
	v_lshlrev_b32_e32 v41, 23, v41
	v_or_b32_e32 v3, v40, v3
	v_lshrrev_b32_e32 v40, 9, v44
	v_sub_u32_e32 v39, v39, v41
	v_or_b32_e32 v39, v40, v39
	v_mul_f32_e32 v40, 0x3fc90fda, v39
	v_fma_f32 v41, v39, s57, -v40
	v_fmac_f32_e32 v41, 0x33a22168, v39
	v_fmac_f32_e32 v41, 0x3fc90fda, v3
	v_lshrrev_b32_e32 v3, 30, v42
	v_add_f32_e32 v40, v40, v41
	v_add_u32_e32 v39, v48, v3
                                        ; implicit-def: $vgpr3
	s_andn2_saveexec_b64 s[8:9], s[38:39]
	s_cbranch_execnz .LBB347_47
	s_branch .LBB347_48
.LBB347_46:                             ;   in Loop: Header=BB347_7 Depth=2
	s_andn2_saveexec_b64 s[8:9], s[38:39]
.LBB347_47:                             ;   in Loop: Header=BB347_7 Depth=2
	v_cvt_i32_f32_e32 v39, v3
	v_fma_f32 v40, v3, s59, |v6|
	v_fmac_f32_e32 v40, 0xb3a22168, v3
	v_fmac_f32_e32 v40, 0xa7c234c4, v3
.LBB347_48:                             ;   in Loop: Header=BB347_7 Depth=2
	s_or_b64 exec, exec, s[8:9]
	v_and_b32_e32 v41, 0x7fffffff, v10
	v_lshrrev_b32_e32 v3, 23, v41
	v_and_b32_e32 v42, 0x7fffff, v41
	v_cmp_nlt_f32_e64 s[38:39], |v10|, s48
	v_add_u32_e32 v45, 0xffffff88, v3
	v_or_b32_e32 v44, 0x800000, v42
                                        ; implicit-def: $vgpr43
                                        ; implicit-def: $vgpr42
	s_and_saveexec_b64 s[8:9], s[38:39]
	s_xor_b64 s[40:41], exec, s[8:9]
	s_cbranch_execz .LBB347_50
; %bb.49:                               ;   in Loop: Header=BB347_7 Depth=2
	v_mad_u64_u32 v[42:43], s[8:9], v44, s50, 0
	v_mov_b32_e32 v3, v43
	v_mad_u64_u32 v[46:47], s[8:9], v44, s51, v[3:4]
	v_mov_b32_e32 v3, v47
	;; [unrolled: 2-line block ×3, first 2 shown]
	v_mad_u64_u32 v[48:49], s[8:9], v44, s53, v[3:4]
	v_cmp_lt_u32_e64 s[8:9], 63, v45
	v_cndmask_b32_e64 v3, 0, v26, s[8:9]
	v_add_u32_e32 v43, v3, v45
	v_mov_b32_e32 v3, v49
	v_mad_u64_u32 v[49:50], s[12:13], v44, s54, v[3:4]
	v_cmp_lt_u32_e64 s[12:13], 31, v43
	v_cndmask_b32_e64 v3, 0, v27, s[12:13]
	v_add_u32_e32 v43, v3, v43
	v_mov_b32_e32 v3, v50
	;; [unrolled: 5-line block ×3, first 2 shown]
	v_mad_u64_u32 v[51:52], s[16:17], v44, s56, v[3:4]
	v_cndmask_b32_e64 v3, v49, v47, s[8:9]
	v_cndmask_b32_e64 v53, v50, v48, s[8:9]
	;; [unrolled: 1-line block ×10, first 2 shown]
	v_sub_u32_e32 v51, 32, v43
	v_cndmask_b32_e64 v3, v3, v46, s[12:13]
	v_alignbit_b32 v52, v49, v50, v51
	v_cmp_eq_u32_e64 s[16:17], 0, v43
	v_cndmask_b32_e64 v48, v54, v3, s[14:15]
	v_cndmask_b32_e64 v43, v52, v49, s[16:17]
	v_alignbit_b32 v49, v50, v48, v51
	v_cndmask_b32_e64 v42, v47, v42, s[8:9]
	v_cndmask_b32_e64 v49, v49, v50, s[16:17]
	v_bfe_u32 v53, v43, 29, 1
	v_cndmask_b32_e64 v42, v46, v42, s[12:13]
	v_alignbit_b32 v50, v43, v49, 30
	v_sub_u32_e32 v54, 0, v53
	v_cndmask_b32_e64 v3, v3, v42, s[14:15]
	v_xor_b32_e32 v50, v50, v54
	v_alignbit_b32 v42, v48, v3, v51
	v_cndmask_b32_e64 v42, v42, v48, s[16:17]
	v_ffbh_u32_e32 v47, v50
	v_alignbit_b32 v46, v49, v42, 30
	v_min_u32_e32 v47, 32, v47
	v_alignbit_b32 v3, v42, v3, 30
	v_xor_b32_e32 v46, v46, v54
	v_sub_u32_e32 v48, 31, v47
	v_xor_b32_e32 v3, v3, v54
	v_alignbit_b32 v49, v50, v46, v48
	v_alignbit_b32 v3, v46, v3, v48
	;; [unrolled: 1-line block ×3, first 2 shown]
	v_ffbh_u32_e32 v46, v42
	v_min_u32_e32 v46, 32, v46
	v_lshrrev_b32_e32 v52, 29, v43
	v_not_b32_e32 v48, v46
	v_alignbit_b32 v3, v42, v3, v48
	v_lshlrev_b32_e32 v42, 31, v52
	v_or_b32_e32 v48, 0x33000000, v42
	v_add_lshl_u32 v46, v46, v47, 23
	v_lshrrev_b32_e32 v3, 9, v3
	v_sub_u32_e32 v46, v48, v46
	v_or_b32_e32 v42, 0.5, v42
	v_lshlrev_b32_e32 v47, 23, v47
	v_or_b32_e32 v3, v46, v3
	v_lshrrev_b32_e32 v46, 9, v49
	v_sub_u32_e32 v42, v42, v47
	v_or_b32_e32 v42, v46, v42
	v_mul_f32_e32 v46, 0x3fc90fda, v42
	v_fma_f32 v47, v42, s57, -v46
	v_fmac_f32_e32 v47, 0x33a22168, v42
	v_fmac_f32_e32 v47, 0x3fc90fda, v3
	v_lshrrev_b32_e32 v3, 30, v43
	v_add_f32_e32 v42, v46, v47
	v_add_u32_e32 v43, v53, v3
.LBB347_50:                             ;   in Loop: Header=BB347_7 Depth=2
	s_or_saveexec_b64 s[8:9], s[40:41]
	v_mul_f32_e64 v3, |v10|, s58
	v_rndne_f32_e32 v47, v3
	s_xor_b64 exec, exec, s[8:9]
; %bb.51:                               ;   in Loop: Header=BB347_7 Depth=2
	v_cvt_i32_f32_e32 v43, v47
	v_fma_f32 v42, v47, s59, |v10|
	v_fmac_f32_e32 v42, 0xb3a22168, v47
	v_fmac_f32_e32 v42, 0xa7c234c4, v47
; %bb.52:                               ;   in Loop: Header=BB347_7 Depth=2
	s_or_b64 exec, exec, s[8:9]
                                        ; implicit-def: $vgpr3
                                        ; implicit-def: $vgpr46
	s_and_saveexec_b64 s[8:9], s[38:39]
	s_xor_b64 s[38:39], exec, s[8:9]
	s_cbranch_execz .LBB347_54
; %bb.53:                               ;   in Loop: Header=BB347_7 Depth=2
	v_mad_u64_u32 v[46:47], s[8:9], v44, s50, 0
	v_mov_b32_e32 v3, v47
	v_mad_u64_u32 v[47:48], s[8:9], v44, s51, v[3:4]
	v_mov_b32_e32 v3, v48
	;; [unrolled: 2-line block ×3, first 2 shown]
	v_mad_u64_u32 v[49:50], s[8:9], v44, s53, v[3:4]
	v_cmp_lt_u32_e64 s[8:9], 63, v45
	v_cndmask_b32_e64 v3, 0, v26, s[8:9]
	v_add_u32_e32 v45, v3, v45
	v_mov_b32_e32 v3, v50
	v_mad_u64_u32 v[50:51], s[12:13], v44, s54, v[3:4]
	v_cmp_lt_u32_e64 s[12:13], 31, v45
	v_cndmask_b32_e64 v3, 0, v27, s[12:13]
	v_add_u32_e32 v45, v3, v45
	v_mov_b32_e32 v3, v51
	;; [unrolled: 5-line block ×3, first 2 shown]
	v_mad_u64_u32 v[44:45], s[16:17], v44, s56, v[3:4]
	v_cndmask_b32_e64 v3, v50, v48, s[8:9]
	v_cndmask_b32_e64 v52, v51, v49, s[8:9]
	;; [unrolled: 1-line block ×10, first 2 shown]
	v_sub_u32_e32 v50, 32, v53
	v_cndmask_b32_e64 v3, v3, v47, s[12:13]
	v_alignbit_b32 v51, v44, v45, v50
	v_cmp_eq_u32_e64 s[16:17], 0, v53
	v_cndmask_b32_e64 v49, v54, v3, s[14:15]
	v_cndmask_b32_e64 v44, v51, v44, s[16:17]
	v_alignbit_b32 v51, v45, v49, v50
	v_cndmask_b32_e64 v46, v48, v46, s[8:9]
	v_cndmask_b32_e64 v45, v51, v45, s[16:17]
	v_bfe_u32 v53, v44, 29, 1
	v_cndmask_b32_e64 v46, v47, v46, s[12:13]
	v_alignbit_b32 v51, v44, v45, 30
	v_sub_u32_e32 v54, 0, v53
	v_cndmask_b32_e64 v3, v3, v46, s[14:15]
	v_xor_b32_e32 v51, v51, v54
	v_alignbit_b32 v46, v49, v3, v50
	v_cndmask_b32_e64 v46, v46, v49, s[16:17]
	v_ffbh_u32_e32 v47, v51
	v_alignbit_b32 v45, v45, v46, 30
	v_min_u32_e32 v47, 32, v47
	v_alignbit_b32 v3, v46, v3, 30
	v_xor_b32_e32 v45, v45, v54
	v_sub_u32_e32 v48, 31, v47
	v_xor_b32_e32 v3, v3, v54
	v_alignbit_b32 v49, v51, v45, v48
	v_alignbit_b32 v3, v45, v3, v48
	;; [unrolled: 1-line block ×3, first 2 shown]
	v_ffbh_u32_e32 v46, v45
	v_min_u32_e32 v46, 32, v46
	v_lshrrev_b32_e32 v52, 29, v44
	v_not_b32_e32 v48, v46
	v_alignbit_b32 v3, v45, v3, v48
	v_lshlrev_b32_e32 v45, 31, v52
	v_or_b32_e32 v48, 0x33000000, v45
	v_add_lshl_u32 v46, v46, v47, 23
	v_lshrrev_b32_e32 v3, 9, v3
	v_sub_u32_e32 v46, v48, v46
	v_or_b32_e32 v45, 0.5, v45
	v_lshlrev_b32_e32 v47, 23, v47
	v_or_b32_e32 v3, v46, v3
	v_lshrrev_b32_e32 v46, 9, v49
	v_sub_u32_e32 v45, v45, v47
	v_or_b32_e32 v45, v46, v45
	v_mul_f32_e32 v46, 0x3fc90fda, v45
	v_fma_f32 v47, v45, s57, -v46
	v_fmac_f32_e32 v47, 0x33a22168, v45
	v_fmac_f32_e32 v47, 0x3fc90fda, v3
	v_lshrrev_b32_e32 v3, 30, v44
	v_add_f32_e32 v46, v46, v47
	v_add_u32_e32 v3, v53, v3
                                        ; implicit-def: $vgpr47
	s_andn2_saveexec_b64 s[8:9], s[38:39]
	s_cbranch_execnz .LBB347_55
	s_branch .LBB347_56
.LBB347_54:                             ;   in Loop: Header=BB347_7 Depth=2
	s_andn2_saveexec_b64 s[8:9], s[38:39]
.LBB347_55:                             ;   in Loop: Header=BB347_7 Depth=2
	v_cvt_i32_f32_e32 v3, v47
	v_fma_f32 v46, v47, s59, |v10|
	v_fmac_f32_e32 v46, 0xb3a22168, v47
	v_fmac_f32_e32 v46, 0xa7c234c4, v47
.LBB347_56:                             ;   in Loop: Header=BB347_7 Depth=2
	s_or_b64 exec, exec, s[8:9]
	v_mul_f32_e32 v45, v11, v11
	v_mov_b32_e32 v47, 0x3c0881c4
	v_fmac_f32_e32 v47, 0xb94c1982, v45
	v_fma_f32 v47, v45, v47, v18
	v_mul_f32_e32 v47, v45, v47
	v_fmac_f32_e32 v11, v11, v47
	v_mov_b32_e32 v47, 0xbab64f3b
	v_fmac_f32_e32 v47, 0x37d75334, v45
	v_fma_f32 v47, v45, v47, v16
	v_lshlrev_b32_e32 v44, 30, v12
	v_and_b32_e32 v12, 1, v12
	v_fma_f32 v47, v45, v47, v17
	v_and_b32_e32 v44, 0x80000000, v44
	v_fma_f32 v45, v45, v47, 1.0
	v_cmp_eq_u32_e64 s[8:9], 0, v12
	v_xor_b32_e32 v8, v9, v8
	v_cndmask_b32_e64 v11, v45, v11, s[8:9]
	v_xor_b32_e32 v8, v8, v44
	v_xor_b32_e32 v8, v8, v11
	v_cmp_class_f32_e64 s[8:9], v6, s46
	v_cndmask_b32_e64 v6, v29, v8, s[8:9]
	v_mul_f32_e32 v8, v40, v40
	v_mov_b32_e32 v9, 0x3c0881c4
	v_fmac_f32_e32 v9, 0xb94c1982, v8
	v_fma_f32 v9, v8, v9, v18
	v_mul_f32_e32 v9, v8, v9
	v_fmac_f32_e32 v40, v40, v9
	v_mov_b32_e32 v9, 0xbab64f3b
	v_fmac_f32_e32 v9, 0x37d75334, v8
	v_fma_f32 v9, v8, v9, v16
	v_fma_f32 v9, v8, v9, v17
	v_fma_f32 v8, v8, v9, 1.0
	v_and_b32_e32 v9, 1, v39
	v_cmp_eq_u32_e64 s[12:13], 0, v9
	v_lshlrev_b32_e32 v9, 30, v39
	v_mul_f32_e32 v12, v42, v42
	v_mov_b32_e32 v39, 0x3c0881c4
	v_fmac_f32_e32 v39, 0xb94c1982, v12
	v_fma_f32 v39, v12, v39, v18
	v_cndmask_b32_e64 v8, -v40, v8, s[12:13]
	v_and_b32_e32 v9, 0x80000000, v9
	v_mul_f32_e32 v39, v12, v39
	v_xor_b32_e32 v8, v9, v8
	v_fmac_f32_e32 v42, v42, v39
	v_mov_b32_e32 v39, 0xbab64f3b
	v_cndmask_b32_e64 v8, v29, v8, s[8:9]
	v_fmac_f32_e32 v39, 0x37d75334, v12
	v_mul_f32_e32 v9, 0x7f800000, v8
	v_cmp_neq_f32_e64 s[8:9], 0, v8
	v_fma_f32 v39, v12, v39, v16
	v_cndmask_b32_e64 v8, 0, v9, s[8:9]
	v_mul_f32_e32 v9, 0x7f800000, v6
	v_cmp_neq_f32_e64 s[8:9], 0, v6
	v_and_b32_e32 v11, 1, v43
	v_fma_f32 v39, v12, v39, v17
	v_cndmask_b32_e64 v6, 0, v9, s[8:9]
	v_lshlrev_b32_e32 v9, 30, v43
	v_fma_f32 v12, v12, v39, 1.0
	v_cmp_eq_u32_e64 s[8:9], 0, v11
	v_and_b32_e32 v9, 0x80000000, v9
	v_cndmask_b32_e64 v11, v12, v42, s[8:9]
	v_xor_b32_e32 v12, v41, v10
	v_xor_b32_e32 v9, v12, v9
	;; [unrolled: 1-line block ×3, first 2 shown]
	v_cmp_class_f32_e64 s[8:9], v10, s46
	v_mul_f32_e32 v10, v46, v46
	v_mov_b32_e32 v11, 0x3c0881c4
	v_fmac_f32_e32 v11, 0xb94c1982, v10
	v_fma_f32 v11, v10, v11, v18
	v_mul_f32_e32 v11, v10, v11
	v_fmac_f32_e32 v46, v46, v11
	v_mov_b32_e32 v11, 0xbab64f3b
	v_fmac_f32_e32 v11, 0x37d75334, v10
	v_fma_f32 v11, v10, v11, v16
	v_fma_f32 v11, v10, v11, v17
	v_fma_f32 v10, v10, v11, 1.0
	v_and_b32_e32 v11, 1, v3
	v_cmp_eq_u32_e64 s[12:13], 0, v11
	v_lshlrev_b32_e32 v3, 30, v3
	v_cndmask_b32_e64 v10, -v46, v10, s[12:13]
	v_and_b32_e32 v3, 0x80000000, v3
	v_xor_b32_e32 v3, v3, v10
	v_cndmask_b32_e64 v3, v29, v3, s[8:9]
	v_cndmask_b32_e64 v9, v29, v9, s[8:9]
	v_mul_f32_e32 v10, 0x7f800000, v3
	v_cmp_neq_f32_e64 s[8:9], 0, v3
	v_cndmask_b32_e64 v3, 0, v10, s[8:9]
	v_mul_f32_e32 v10, 0x7f800000, v9
	v_cmp_neq_f32_e64 s[8:9], 0, v9
	v_cndmask_b32_e64 v9, 0, v10, s[8:9]
	v_add_f32_e32 v8, v8, v3
	v_add_f32_e32 v3, v6, v9
	v_add_f32_e32 v39, -1.0, v8
	v_max_f32_e64 v6, |v39|, |v3|
	v_cvt_f64_f32_e32 v[8:9], v6
	v_cmp_eq_f32_e64 s[8:9], s63, v6
	v_add_f32_e32 v6, 1.0, v39
	v_frexp_exp_i32_f64_e32 v8, v[8:9]
	v_sub_u32_e32 v9, 0, v8
	v_ldexp_f32 v10, |v39|, v9
	v_ldexp_f32 v9, |v3|, v9
	v_mul_f32_e32 v9, v9, v9
	v_fmac_f32_e32 v9, v10, v10
	v_sqrt_f32_e32 v9, v9
	v_ldexp_f32 v9, v9, v8
	v_cmp_ngt_f32_e64 s[12:13], 0.5, v9
	v_max_f32_e64 v8, |v6|, |v3|
	s_or_b64 s[8:9], s[8:9], s[12:13]
	s_and_saveexec_b64 s[12:13], s[8:9]
	s_xor_b64 s[14:15], exec, s[12:13]
	s_cbranch_execz .LBB347_58
; %bb.57:                               ;   in Loop: Header=BB347_7 Depth=2
	v_cvt_f64_f32_e32 v[9:10], v8
	v_cmp_neq_f32_e64 s[8:9], s63, v8
	v_frexp_exp_i32_f64_e32 v9, v[9:10]
	v_sub_u32_e32 v10, 0, v9
	v_ldexp_f32 v11, |v6|, v10
	v_ldexp_f32 v10, |v3|, v10
	v_mul_f32_e32 v10, v10, v10
	v_fmac_f32_e32 v10, v11, v11
	v_sqrt_f32_e32 v10, v10
	v_ldexp_f32 v9, v10, v9
	v_cndmask_b32_e64 v9, v28, v9, s[8:9]
	v_cmp_gt_f32_e64 s[8:9], s49, v9
	v_cndmask_b32_e64 v10, 0, 32, s[8:9]
	v_ldexp_f32 v9, v9, v10
	v_log_f32_e32 v9, v9
	v_mul_f32_e32 v10, 0x3f317217, v9
	v_fma_f32 v10, v9, s64, -v10
	v_fmac_f32_e32 v10, 0x3377d1cf, v9
	v_fmac_f32_e32 v10, 0x3f317217, v9
	v_cmp_lt_f32_e64 s[12:13], |v9|, s63
	v_cndmask_b32_e64 v9, v9, v10, s[12:13]
	v_cndmask_b32_e64 v10, 0, v30, s[8:9]
	v_sub_f32_e32 v39, v9, v10
.LBB347_58:                             ;   in Loop: Header=BB347_7 Depth=2
	s_andn2_saveexec_b64 s[12:13], s[14:15]
	s_cbranch_execz .LBB347_62
; %bb.59:                               ;   in Loop: Header=BB347_7 Depth=2
	v_add_f32_e32 v9, 2.0, v39
	v_mul_f32_e32 v9, v39, v9
	v_fmac_f32_e32 v9, v3, v3
	v_cmp_neq_f32_e64 s[8:9], 0, v9
	s_and_saveexec_b64 s[14:15], s[8:9]
	s_cbranch_execz .LBB347_61
; %bb.60:                               ;   in Loop: Header=BB347_7 Depth=2
	v_add_f32_e32 v12, 1.0, v9
	v_cvt_f64_f32_e32 v[10:11], v12
	v_add_f32_e32 v39, -1.0, v12
	v_sub_f32_e32 v40, v39, v12
	v_sub_f32_e32 v39, v9, v39
	v_frexp_exp_i32_f64_e32 v10, v[10:11]
	v_frexp_mant_f32_e32 v11, v12
	v_cmp_gt_f32_e64 s[8:9], s65, v11
	v_add_f32_e32 v40, 1.0, v40
	v_add_f32_e32 v39, v39, v40
	v_subbrev_co_u32_e64 v10, s[8:9], 0, v10, s[8:9]
	v_sub_u32_e32 v11, 0, v10
	v_ldexp_f32 v12, v12, v11
	v_ldexp_f32 v11, v39, v11
	v_add_f32_e32 v39, -1.0, v12
	v_add_f32_e32 v40, 1.0, v12
	v_add_f32_e32 v41, 1.0, v39
	v_add_f32_e32 v43, -1.0, v40
	v_sub_f32_e32 v41, v12, v41
	v_sub_f32_e32 v12, v12, v43
	v_add_f32_e32 v41, v11, v41
	v_add_f32_e32 v11, v11, v12
	;; [unrolled: 1-line block ×3, first 2 shown]
	v_rcp_f32_e32 v43, v12
	v_add_f32_e32 v42, v39, v41
	v_sub_f32_e32 v40, v12, v40
	v_sub_f32_e32 v39, v42, v39
	;; [unrolled: 1-line block ×3, first 2 shown]
	v_mul_f32_e32 v40, v42, v43
	v_sub_f32_e32 v39, v41, v39
	v_mul_f32_e32 v41, v12, v40
	v_fma_f32 v44, v40, v12, -v41
	v_fmac_f32_e32 v44, v40, v11
	v_add_f32_e32 v45, v41, v44
	v_sub_f32_e32 v46, v42, v45
	v_sub_f32_e32 v42, v42, v46
	;; [unrolled: 1-line block ×4, first 2 shown]
	v_add_f32_e32 v39, v39, v42
	v_sub_f32_e32 v41, v41, v44
	v_add_f32_e32 v39, v41, v39
	v_add_f32_e32 v41, v46, v39
	v_mul_f32_e32 v42, v43, v41
	v_mul_f32_e32 v44, v12, v42
	v_fma_f32 v12, v42, v12, -v44
	v_fmac_f32_e32 v12, v42, v11
	v_sub_f32_e32 v11, v46, v41
	v_add_f32_e32 v11, v39, v11
	v_add_f32_e32 v39, v44, v12
	v_sub_f32_e32 v45, v41, v39
	v_sub_f32_e32 v41, v41, v45
	;; [unrolled: 1-line block ×4, first 2 shown]
	v_add_f32_e32 v11, v11, v39
	v_sub_f32_e32 v12, v44, v12
	v_cvt_f32_i32_e32 v10, v10
	v_add_f32_e32 v11, v12, v11
	v_add_f32_e32 v12, v40, v42
	v_add_f32_e32 v11, v45, v11
	v_sub_f32_e32 v39, v12, v40
	v_mul_f32_e32 v11, v43, v11
	v_sub_f32_e32 v39, v42, v39
	v_add_f32_e32 v11, v39, v11
	v_mul_f32_e32 v42, 0x3f317218, v10
	v_add_f32_e32 v39, v12, v11
	v_fma_f32 v43, v10, s66, -v42
	v_mul_f32_e32 v40, v39, v39
	v_mov_b32_e32 v41, 0x3ecc95a3
	v_fmac_f32_e32 v43, 0xb102e308, v10
	v_sub_f32_e32 v10, v39, v12
	v_fmac_f32_e32 v41, 0x3e9b6dac, v40
	v_sub_f32_e32 v10, v11, v10
	v_add_f32_e32 v11, v42, v43
	v_fma_f32 v41, v40, v41, v19
	v_sub_f32_e32 v12, v11, v42
	v_ldexp_f32 v42, v39, 1
	v_mul_f32_e32 v39, v39, v40
	v_mul_f32_e32 v39, v39, v41
	v_add_f32_e32 v40, v42, v39
	v_sub_f32_e32 v41, v40, v42
	v_ldexp_f32 v10, v10, 1
	v_sub_f32_e32 v39, v39, v41
	v_add_f32_e32 v10, v10, v39
	v_add_f32_e32 v39, v40, v10
	v_sub_f32_e32 v40, v39, v40
	v_sub_f32_e32 v10, v10, v40
	v_add_f32_e32 v40, v11, v39
	v_sub_f32_e32 v41, v40, v11
	v_sub_f32_e32 v42, v40, v41
	;; [unrolled: 1-line block ×5, first 2 shown]
	v_add_f32_e32 v11, v39, v11
	v_add_f32_e32 v39, v12, v10
	v_sub_f32_e32 v41, v39, v12
	v_sub_f32_e32 v42, v39, v41
	v_sub_f32_e32 v12, v12, v42
	v_sub_f32_e32 v10, v10, v41
	v_add_f32_e32 v11, v39, v11
	v_add_f32_e32 v10, v10, v12
	;; [unrolled: 1-line block ×3, first 2 shown]
	v_sub_f32_e32 v39, v12, v40
	v_sub_f32_e32 v11, v11, v39
	v_add_f32_e32 v10, v10, v11
	v_add_f32_e32 v10, v12, v10
	v_cmp_neq_f32_e64 s[8:9], s63, v9
	v_cndmask_b32_e64 v10, v28, v10, s[8:9]
	v_cmp_ngt_f32_e64 s[8:9], -1.0, v9
	v_cndmask_b32_e64 v10, v29, v10, s[8:9]
	v_cmp_neq_f32_e64 s[8:9], -1.0, v9
	v_cndmask_b32_e64 v10, v31, v10, s[8:9]
	v_cmp_lt_f32_e64 s[8:9], |v9|, s67
	v_cndmask_b32_e64 v9, v10, v9, s[8:9]
	v_mul_f32_e32 v39, 0.5, v9
.LBB347_61:                             ;   in Loop: Header=BB347_7 Depth=2
	s_or_b64 exec, exec, s[14:15]
.LBB347_62:                             ;   in Loop: Header=BB347_7 Depth=2
	s_or_b64 exec, exec, s[12:13]
	v_max_f32_e64 v11, |v3|, |v3|
	v_max_f32_e64 v12, |v6|, |v6|
	v_min_f32_e32 v11, v12, v11
	v_frexp_mant_f32_e32 v12, v8
	v_rcp_f32_e32 v12, v12
	v_frexp_exp_i32_f32_e32 v8, v8
	v_frexp_exp_i32_f32_e32 v40, v11
	v_frexp_mant_f32_e32 v11, v11
	v_mul_f32_e32 v11, v11, v12
	v_sub_u32_e32 v8, v40, v8
	v_ldexp_f32 v8, v11, v8
	v_mul_f32_e32 v11, v8, v8
	v_mov_b32_e32 v12, 0xbc7a590c
	v_fmac_f32_e32 v12, 0x3b2d2a58, v11
	v_fma_f32 v12, v11, v12, v20
	v_fma_f32 v12, v11, v12, v21
	v_fma_f32 v12, v11, v12, v22
	v_fma_f32 v12, v11, v12, v23
	v_fma_f32 v12, v11, v12, v24
	v_fma_f32 v12, v11, v12, v25
	v_mul_f32_e32 v11, v11, v12
	v_cmp_gt_i32_e64 s[12:13], 0, v6
	v_fmac_f32_e32 v8, v8, v11
	v_cndmask_b32_e64 v10, 0, v34, s[12:13]
	v_sub_f32_e32 v11, 0x3fc90fdb, v8
	v_cmp_gt_f32_e64 s[12:13], |v3|, |v6|
	v_cndmask_b32_e64 v8, v8, v11, s[12:13]
	v_cmp_gt_f32_e64 s[8:9], 0, v6
	v_sub_f32_e32 v11, 0x40490fdb, v8
	v_cmp_class_f32_e64 s[14:15], v3, s68
	v_cmp_class_f32_e64 s[16:17], v6, s68
	v_cndmask_b32_e64 v9, v32, v33, s[8:9]
	v_cndmask_b32_e64 v8, v8, v11, s[8:9]
	v_cmp_eq_f32_e64 s[8:9], 0, v3
	v_cndmask_b32_e64 v8, v8, v10, s[8:9]
	s_and_b64 s[8:9], s[14:15], s[16:17]
	v_cndmask_b32_e64 v8, v8, v9, s[8:9]
	v_cmp_o_f32_e64 s[8:9], v6, v3
	v_cndmask_b32_e64 v6, v29, v8, s[8:9]
	v_bfi_b32 v6, s47, v6, v3
.LBB347_63:                             ;   in Loop: Header=BB347_7 Depth=2
	s_or_b64 exec, exec, s[36:37]
.LBB347_64:                             ;   in Loop: Header=BB347_7 Depth=2
	s_or_b64 exec, exec, s[34:35]
	v_mov_b32_e32 v11, v39
	v_mov_b32_e32 v12, v6
.LBB347_65:                             ;   in Loop: Header=BB347_7 Depth=2
	s_or_b64 exec, exec, s[30:31]
	ds_write_b64 v13, v[11:12]
.LBB347_66:                             ;   in Loop: Header=BB347_7 Depth=2
	s_or_b64 exec, exec, s[28:29]
	v_mov_b32_e32 v3, 0
	s_mov_b64 s[28:29], 0
	s_waitcnt lgkmcnt(0)
	s_barrier
	s_branch .LBB347_73
.LBB347_67:                             ;   in Loop: Header=BB347_73 Depth=3
	s_or_b64 exec, exec, s[14:15]
.LBB347_68:                             ;   in Loop: Header=BB347_73 Depth=3
	s_or_b64 exec, exec, s[12:13]
	v_max_f32_e64 v39, |v3|, |v3|
	v_max_f32_e64 v40, |v8|, |v8|
	v_min_f32_e32 v39, v40, v39
	v_frexp_mant_f32_e32 v40, v9
	v_rcp_f32_e32 v40, v40
	v_frexp_exp_i32_f32_e32 v9, v9
	v_frexp_exp_i32_f32_e32 v42, v39
	v_frexp_mant_f32_e32 v39, v39
	v_mul_f32_e32 v39, v39, v40
	v_sub_u32_e32 v9, v42, v9
	v_ldexp_f32 v9, v39, v9
	v_mul_f32_e32 v39, v9, v9
	v_mov_b32_e32 v40, 0xbc7a590c
	v_fmac_f32_e32 v40, 0x3b2d2a58, v39
	v_fma_f32 v40, v39, v40, v20
	v_fma_f32 v40, v39, v40, v21
	;; [unrolled: 1-line block ×6, first 2 shown]
	v_mul_f32_e32 v39, v39, v40
	v_cmp_gt_i32_e64 s[12:13], 0, v8
	v_fmac_f32_e32 v9, v9, v39
	v_cndmask_b32_e64 v11, 0, v34, s[12:13]
	v_sub_f32_e32 v39, 0x3fc90fdb, v9
	v_cmp_gt_f32_e64 s[12:13], |v3|, |v8|
	v_cndmask_b32_e64 v9, v9, v39, s[12:13]
	v_cmp_gt_f32_e64 s[8:9], 0, v8
	v_sub_f32_e32 v39, 0x40490fdb, v9
	v_cmp_class_f32_e64 s[14:15], v3, s68
	v_cmp_class_f32_e64 s[16:17], v8, s68
	v_cndmask_b32_e64 v10, v32, v33, s[8:9]
	v_cndmask_b32_e64 v9, v9, v39, s[8:9]
	v_cmp_eq_f32_e64 s[8:9], 0, v3
	v_cndmask_b32_e64 v9, v9, v11, s[8:9]
	s_and_b64 s[8:9], s[14:15], s[16:17]
	v_cndmask_b32_e64 v9, v9, v10, s[8:9]
	v_cmp_o_f32_e64 s[8:9], v8, v3
	v_cndmask_b32_e64 v8, v29, v9, s[8:9]
	v_bfi_b32 v39, s47, v8, v3
.LBB347_69:                             ;   in Loop: Header=BB347_73 Depth=3
	s_or_b64 exec, exec, s[38:39]
.LBB347_70:                             ;   in Loop: Header=BB347_73 Depth=3
	s_or_b64 exec, exec, s[36:37]
	v_mov_b32_e32 v10, v41
	v_mov_b32_e32 v11, v39
.LBB347_71:                             ;   in Loop: Header=BB347_73 Depth=3
	s_or_b64 exec, exec, s[34:35]
	ds_write_b64 v12, v[10:11]
.LBB347_72:                             ;   in Loop: Header=BB347_73 Depth=3
	s_or_b64 exec, exec, s[30:31]
	v_cmp_eq_u32_e64 s[8:9], s45, v6
	s_or_b64 s[28:29], s[8:9], s[28:29]
	v_mov_b32_e32 v3, v6
	s_waitcnt lgkmcnt(0)
	s_barrier
	s_andn2_b64 exec, exec, s[28:29]
	s_cbranch_execz .LBB347_120
.LBB347_73:                             ;   Parent Loop BB347_4 Depth=1
                                        ;     Parent Loop BB347_7 Depth=2
                                        ; =>    This Inner Loop Header: Depth=3
	v_add_u32_e32 v6, 1, v3
	s_and_saveexec_b64 s[8:9], s[10:11]
	s_xor_b64 s[8:9], exec, s[8:9]
; %bb.74:                               ;   in Loop: Header=BB347_73 Depth=3
	v_add_u32_e32 v6, 1, v3
                                        ; implicit-def: $vgpr3
; %bb.75:                               ;   in Loop: Header=BB347_73 Depth=3
	s_andn2_saveexec_b64 s[30:31], s[8:9]
	s_cbranch_execz .LBB347_72
; %bb.76:                               ;   in Loop: Header=BB347_73 Depth=3
	v_lshlrev_b32_e64 v8, v3, 1
	v_lshrrev_b32_e32 v9, v3, v0
	v_lshl_or_b32 v8, v9, v6, v8
	v_lshl_add_u32 v10, v8, 3, v13
	v_bfm_b32 v3, v3, 0
	v_add_u32_e32 v8, -8, v10
	v_and_b32_e32 v3, v3, v0
	ds_read_b64 v[8:9], v8
	v_lshl_add_u32 v12, v3, 3, v10
	ds_read_b64 v[10:11], v12
	s_waitcnt lgkmcnt(1)
	v_cmp_o_f32_e64 s[8:9], v8, v9
	v_mov_b32_e32 v39, v9
	v_mov_b32_e32 v41, v8
	;; [unrolled: 1-line block ×3, first 2 shown]
	s_and_saveexec_b64 s[16:17], s[8:9]
	s_cbranch_execz .LBB347_78
; %bb.77:                               ;   in Loop: Header=BB347_73 Depth=3
	s_waitcnt lgkmcnt(0)
	v_cmp_u_f32_e64 s[12:13], v10, v11
	v_cmp_lt_f32_e64 s[14:15], v10, v8
	s_or_b64 s[12:13], s[12:13], s[14:15]
	v_cndmask_b32_e64 v39, v9, v11, s[12:13]
	v_cndmask_b32_e64 v41, v8, v10, s[12:13]
	v_mov_b32_e32 v40, v39
.LBB347_78:                             ;   in Loop: Header=BB347_73 Depth=3
	s_or_b64 exec, exec, s[16:17]
	s_and_saveexec_b64 s[14:15], s[8:9]
	s_cbranch_execz .LBB347_80
; %bb.79:                               ;   in Loop: Header=BB347_73 Depth=3
	s_waitcnt lgkmcnt(0)
	v_cmp_u_f32_e64 s[8:9], v10, v11
	v_cmp_ge_f32_e64 s[12:13], v10, v8
	s_or_b64 s[8:9], s[8:9], s[12:13]
	v_cndmask_b32_e64 v9, v9, v11, s[8:9]
	v_cndmask_b32_e64 v8, v8, v10, s[8:9]
.LBB347_80:                             ;   in Loop: Header=BB347_73 Depth=3
	s_or_b64 exec, exec, s[14:15]
	v_cmp_o_f32_e64 s[8:9], v41, v39
	s_waitcnt lgkmcnt(0)
	v_mov_b32_e32 v10, 0x7fc00000
	v_mov_b32_e32 v11, 0x7fc00000
	s_and_saveexec_b64 s[34:35], s[8:9]
	s_cbranch_execz .LBB347_71
; %bb.81:                               ;   in Loop: Header=BB347_73 Depth=3
	v_cmp_class_f32_e64 s[12:13], v41, s46
	v_cmp_neq_f32_e64 s[8:9], v8, v41
	s_or_b64 s[8:9], s[12:13], s[8:9]
	s_and_saveexec_b64 s[12:13], s[8:9]
	s_xor_b64 s[36:37], exec, s[12:13]
	s_cbranch_execz .LBB347_97
; %bb.82:                               ;   in Loop: Header=BB347_73 Depth=3
	v_sub_f32_e32 v10, v39, v9
	v_and_b32_e32 v11, 0x7fffffff, v10
	v_lshrrev_b32_e32 v3, 23, v11
	v_and_b32_e32 v39, 0x7fffff, v11
	v_cmp_nlt_f32_e64 s[38:39], |v10|, s48
	v_add_u32_e32 v43, 0xffffff88, v3
	v_or_b32_e32 v42, 0x800000, v39
                                        ; implicit-def: $vgpr40
                                        ; implicit-def: $vgpr39
	s_and_saveexec_b64 s[8:9], s[38:39]
	s_xor_b64 s[40:41], exec, s[8:9]
	s_cbranch_execz .LBB347_84
; %bb.83:                               ;   in Loop: Header=BB347_73 Depth=3
	v_mad_u64_u32 v[39:40], s[8:9], v42, s50, 0
	v_mov_b32_e32 v3, v40
	v_mad_u64_u32 v[44:45], s[8:9], v42, s51, v[3:4]
	v_mov_b32_e32 v3, v45
	;; [unrolled: 2-line block ×3, first 2 shown]
	v_mad_u64_u32 v[46:47], s[8:9], v42, s53, v[3:4]
	v_cmp_lt_u32_e64 s[8:9], 63, v43
	v_cndmask_b32_e64 v3, 0, v26, s[8:9]
	v_add_u32_e32 v40, v3, v43
	v_mov_b32_e32 v3, v47
	v_mad_u64_u32 v[47:48], s[12:13], v42, s54, v[3:4]
	v_cmp_lt_u32_e64 s[12:13], 31, v40
	v_cndmask_b32_e64 v3, 0, v27, s[12:13]
	v_add_u32_e32 v40, v3, v40
	v_mov_b32_e32 v3, v48
	;; [unrolled: 5-line block ×3, first 2 shown]
	v_mad_u64_u32 v[49:50], s[16:17], v42, s56, v[3:4]
	v_cndmask_b32_e64 v3, v47, v45, s[8:9]
	v_cndmask_b32_e64 v51, v48, v46, s[8:9]
	;; [unrolled: 1-line block ×10, first 2 shown]
	v_sub_u32_e32 v49, 32, v40
	v_cndmask_b32_e64 v3, v3, v44, s[12:13]
	v_alignbit_b32 v50, v47, v48, v49
	v_cmp_eq_u32_e64 s[16:17], 0, v40
	v_cndmask_b32_e64 v46, v52, v3, s[14:15]
	v_cndmask_b32_e64 v40, v50, v47, s[16:17]
	v_alignbit_b32 v47, v48, v46, v49
	v_cndmask_b32_e64 v39, v45, v39, s[8:9]
	v_cndmask_b32_e64 v47, v47, v48, s[16:17]
	v_bfe_u32 v51, v40, 29, 1
	v_cndmask_b32_e64 v39, v44, v39, s[12:13]
	v_alignbit_b32 v48, v40, v47, 30
	v_sub_u32_e32 v52, 0, v51
	v_cndmask_b32_e64 v3, v3, v39, s[14:15]
	v_xor_b32_e32 v48, v48, v52
	v_alignbit_b32 v39, v46, v3, v49
	v_cndmask_b32_e64 v39, v39, v46, s[16:17]
	v_ffbh_u32_e32 v45, v48
	v_alignbit_b32 v44, v47, v39, 30
	v_min_u32_e32 v45, 32, v45
	v_alignbit_b32 v3, v39, v3, 30
	v_xor_b32_e32 v44, v44, v52
	v_sub_u32_e32 v46, 31, v45
	v_xor_b32_e32 v3, v3, v52
	v_alignbit_b32 v47, v48, v44, v46
	v_alignbit_b32 v3, v44, v3, v46
	;; [unrolled: 1-line block ×3, first 2 shown]
	v_ffbh_u32_e32 v44, v39
	v_min_u32_e32 v44, 32, v44
	v_lshrrev_b32_e32 v50, 29, v40
	v_not_b32_e32 v46, v44
	v_alignbit_b32 v3, v39, v3, v46
	v_lshlrev_b32_e32 v39, 31, v50
	v_or_b32_e32 v46, 0x33000000, v39
	v_add_lshl_u32 v44, v44, v45, 23
	v_lshrrev_b32_e32 v3, 9, v3
	v_sub_u32_e32 v44, v46, v44
	v_or_b32_e32 v39, 0.5, v39
	v_lshlrev_b32_e32 v45, 23, v45
	v_or_b32_e32 v3, v44, v3
	v_lshrrev_b32_e32 v44, 9, v47
	v_sub_u32_e32 v39, v39, v45
	v_or_b32_e32 v39, v44, v39
	v_mul_f32_e32 v44, 0x3fc90fda, v39
	v_fma_f32 v45, v39, s57, -v44
	v_fmac_f32_e32 v45, 0x33a22168, v39
	v_fmac_f32_e32 v45, 0x3fc90fda, v3
	v_lshrrev_b32_e32 v3, 30, v40
	v_add_f32_e32 v39, v44, v45
	v_add_u32_e32 v40, v51, v3
.LBB347_84:                             ;   in Loop: Header=BB347_73 Depth=3
	s_or_saveexec_b64 s[8:9], s[40:41]
	v_mul_f32_e64 v3, |v10|, s58
	v_rndne_f32_e32 v45, v3
	s_xor_b64 exec, exec, s[8:9]
; %bb.85:                               ;   in Loop: Header=BB347_73 Depth=3
	v_cvt_i32_f32_e32 v40, v45
	v_fma_f32 v39, v45, s59, |v10|
	v_fmac_f32_e32 v39, 0xb3a22168, v45
	v_fmac_f32_e32 v39, 0xa7c234c4, v45
; %bb.86:                               ;   in Loop: Header=BB347_73 Depth=3
	s_or_b64 exec, exec, s[8:9]
                                        ; implicit-def: $vgpr3
                                        ; implicit-def: $vgpr44
	s_and_saveexec_b64 s[8:9], s[38:39]
	s_xor_b64 s[38:39], exec, s[8:9]
	s_cbranch_execz .LBB347_88
; %bb.87:                               ;   in Loop: Header=BB347_73 Depth=3
	v_mad_u64_u32 v[44:45], s[8:9], v42, s50, 0
	v_mov_b32_e32 v3, v45
	v_mad_u64_u32 v[45:46], s[8:9], v42, s51, v[3:4]
	v_mov_b32_e32 v3, v46
	;; [unrolled: 2-line block ×3, first 2 shown]
	v_mad_u64_u32 v[47:48], s[8:9], v42, s53, v[3:4]
	v_cmp_lt_u32_e64 s[8:9], 63, v43
	v_cndmask_b32_e64 v3, 0, v26, s[8:9]
	v_add_u32_e32 v43, v3, v43
	v_mov_b32_e32 v3, v48
	v_mad_u64_u32 v[48:49], s[12:13], v42, s54, v[3:4]
	v_cmp_lt_u32_e64 s[12:13], 31, v43
	v_cndmask_b32_e64 v3, 0, v27, s[12:13]
	v_add_u32_e32 v43, v3, v43
	v_mov_b32_e32 v3, v49
	;; [unrolled: 5-line block ×3, first 2 shown]
	v_mad_u64_u32 v[42:43], s[16:17], v42, s56, v[3:4]
	v_cndmask_b32_e64 v3, v48, v46, s[8:9]
	v_cndmask_b32_e64 v50, v49, v47, s[8:9]
	;; [unrolled: 1-line block ×10, first 2 shown]
	v_sub_u32_e32 v48, 32, v51
	v_cndmask_b32_e64 v3, v3, v45, s[12:13]
	v_alignbit_b32 v49, v42, v43, v48
	v_cmp_eq_u32_e64 s[16:17], 0, v51
	v_cndmask_b32_e64 v47, v52, v3, s[14:15]
	v_cndmask_b32_e64 v42, v49, v42, s[16:17]
	v_alignbit_b32 v49, v43, v47, v48
	v_cndmask_b32_e64 v44, v46, v44, s[8:9]
	v_cndmask_b32_e64 v43, v49, v43, s[16:17]
	v_bfe_u32 v51, v42, 29, 1
	v_cndmask_b32_e64 v44, v45, v44, s[12:13]
	v_alignbit_b32 v49, v42, v43, 30
	v_sub_u32_e32 v52, 0, v51
	v_cndmask_b32_e64 v3, v3, v44, s[14:15]
	v_xor_b32_e32 v49, v49, v52
	v_alignbit_b32 v44, v47, v3, v48
	v_cndmask_b32_e64 v44, v44, v47, s[16:17]
	v_ffbh_u32_e32 v45, v49
	v_alignbit_b32 v43, v43, v44, 30
	v_min_u32_e32 v45, 32, v45
	v_alignbit_b32 v3, v44, v3, 30
	v_xor_b32_e32 v43, v43, v52
	v_sub_u32_e32 v46, 31, v45
	v_xor_b32_e32 v3, v3, v52
	v_alignbit_b32 v47, v49, v43, v46
	v_alignbit_b32 v3, v43, v3, v46
	;; [unrolled: 1-line block ×3, first 2 shown]
	v_ffbh_u32_e32 v44, v43
	v_min_u32_e32 v44, 32, v44
	v_lshrrev_b32_e32 v50, 29, v42
	v_not_b32_e32 v46, v44
	v_alignbit_b32 v3, v43, v3, v46
	v_lshlrev_b32_e32 v43, 31, v50
	v_or_b32_e32 v46, 0x33000000, v43
	v_add_lshl_u32 v44, v44, v45, 23
	v_lshrrev_b32_e32 v3, 9, v3
	v_sub_u32_e32 v44, v46, v44
	v_or_b32_e32 v43, 0.5, v43
	v_lshlrev_b32_e32 v45, 23, v45
	v_or_b32_e32 v3, v44, v3
	v_lshrrev_b32_e32 v44, 9, v47
	v_sub_u32_e32 v43, v43, v45
	v_or_b32_e32 v43, v44, v43
	v_mul_f32_e32 v44, 0x3fc90fda, v43
	v_fma_f32 v45, v43, s57, -v44
	v_fmac_f32_e32 v45, 0x33a22168, v43
	v_fmac_f32_e32 v45, 0x3fc90fda, v3
	v_lshrrev_b32_e32 v3, 30, v42
	v_add_f32_e32 v44, v44, v45
	v_add_u32_e32 v3, v51, v3
                                        ; implicit-def: $vgpr45
	s_andn2_saveexec_b64 s[8:9], s[38:39]
	s_cbranch_execnz .LBB347_89
	s_branch .LBB347_90
.LBB347_88:                             ;   in Loop: Header=BB347_73 Depth=3
	s_andn2_saveexec_b64 s[8:9], s[38:39]
.LBB347_89:                             ;   in Loop: Header=BB347_73 Depth=3
	v_cvt_i32_f32_e32 v3, v45
	v_fma_f32 v44, v45, s59, |v10|
	v_fmac_f32_e32 v44, 0xb3a22168, v45
	v_fmac_f32_e32 v44, 0xa7c234c4, v45
.LBB347_90:                             ;   in Loop: Header=BB347_73 Depth=3
	s_or_b64 exec, exec, s[8:9]
	v_sub_f32_e32 v41, v41, v8
	v_mul_f32_e32 v42, 0x3fb8aa3b, v41
	v_fma_f32 v43, v41, s60, -v42
	v_rndne_f32_e32 v45, v42
	v_fmac_f32_e32 v43, 0x32a5705f, v41
	v_sub_f32_e32 v42, v42, v45
	v_add_f32_e32 v42, v42, v43
	v_cvt_i32_f32_e32 v43, v45
	v_exp_f32_e32 v42, v42
	v_mov_b32_e32 v45, 0xbab64f3b
	v_mov_b32_e32 v46, 0x3c0881c4
	v_cmp_ngt_f32_e64 s[8:9], s61, v41
	v_ldexp_f32 v42, v42, v43
	v_mul_f32_e32 v43, v39, v39
	v_fmac_f32_e32 v45, 0x37d75334, v43
	v_fma_f32 v45, v43, v45, v16
	v_fmac_f32_e32 v46, 0xb94c1982, v43
	v_cndmask_b32_e64 v42, 0, v42, s[8:9]
	v_cmp_nlt_f32_e64 s[8:9], s62, v41
	v_fma_f32 v45, v43, v45, v17
	v_fma_f32 v46, v43, v46, v18
	v_cndmask_b32_e64 v41, v28, v42, s[8:9]
	v_lshlrev_b32_e32 v42, 30, v40
	v_and_b32_e32 v40, 1, v40
	v_fma_f32 v45, v43, v45, 1.0
	v_mul_f32_e32 v43, v43, v46
	v_fmac_f32_e32 v39, v39, v43
	v_cmp_eq_u32_e64 s[8:9], 0, v40
	v_and_b32_e32 v42, 0x80000000, v42
	v_cndmask_b32_e64 v39, -v39, v45, s[8:9]
	v_xor_b32_e32 v39, v42, v39
	v_mul_f32_e32 v42, v44, v44
	v_mov_b32_e32 v43, 0x3c0881c4
	v_fmac_f32_e32 v43, 0xb94c1982, v42
	v_fma_f32 v43, v42, v43, v18
	v_mul_f32_e32 v43, v42, v43
	v_fmac_f32_e32 v44, v44, v43
	v_mov_b32_e32 v43, 0xbab64f3b
	v_fmac_f32_e32 v43, 0x37d75334, v42
	v_fma_f32 v43, v42, v43, v16
	v_fma_f32 v43, v42, v43, v17
	v_fma_f32 v42, v42, v43, 1.0
	v_and_b32_e32 v43, 1, v3
	v_lshlrev_b32_e32 v3, 30, v3
	v_cmp_class_f32_e64 s[8:9], v10, s46
	v_cmp_eq_u32_e64 s[12:13], 0, v43
	v_and_b32_e32 v3, 0x80000000, v3
	v_xor_b32_e32 v10, v11, v10
	v_cndmask_b32_e64 v42, v42, v44, s[12:13]
	v_xor_b32_e32 v3, v10, v3
	v_xor_b32_e32 v3, v3, v42
	v_cndmask_b32_e64 v39, v29, v39, s[8:9]
	v_cndmask_b32_e64 v3, v29, v3, s[8:9]
	v_mul_f32_e32 v40, v41, v39
	v_mul_f32_e32 v3, v41, v3
	v_max_f32_e64 v42, |v40|, |v3|
	v_cvt_f64_f32_e32 v[10:11], v42
	v_cmp_eq_f32_e64 s[8:9], s63, v42
	v_frexp_exp_i32_f64_e32 v10, v[10:11]
	v_sub_u32_e32 v11, 0, v10
	v_ldexp_f32 v43, |v40|, v11
	v_ldexp_f32 v11, |v3|, v11
	v_mul_f32_e32 v11, v11, v11
	v_fmac_f32_e32 v11, v43, v43
	v_sqrt_f32_e32 v11, v11
	v_ldexp_f32 v43, v11, v10
	v_fma_f32 v10, v41, v39, 1.0
	v_cmp_ngt_f32_e64 s[12:13], 0.5, v43
	v_max_f32_e64 v11, |v10|, |v3|
	s_or_b64 s[8:9], s[8:9], s[12:13]
	s_and_saveexec_b64 s[12:13], s[8:9]
	s_xor_b64 s[14:15], exec, s[12:13]
	s_cbranch_execz .LBB347_92
; %bb.91:                               ;   in Loop: Header=BB347_73 Depth=3
	v_cvt_f64_f32_e32 v[39:40], v11
	v_cmp_neq_f32_e64 s[8:9], s63, v11
	v_frexp_exp_i32_f64_e32 v39, v[39:40]
	v_sub_u32_e32 v40, 0, v39
	v_ldexp_f32 v41, |v10|, v40
	v_ldexp_f32 v40, |v3|, v40
	v_mul_f32_e32 v40, v40, v40
	v_fmac_f32_e32 v40, v41, v41
	v_sqrt_f32_e32 v40, v40
	v_ldexp_f32 v39, v40, v39
	v_cndmask_b32_e64 v39, v28, v39, s[8:9]
	v_cmp_gt_f32_e64 s[8:9], s49, v39
	v_cndmask_b32_e64 v40, 0, 32, s[8:9]
	v_ldexp_f32 v39, v39, v40
	v_log_f32_e32 v39, v39
	v_mul_f32_e32 v40, 0x3f317217, v39
	v_fma_f32 v40, v39, s64, -v40
	v_fmac_f32_e32 v40, 0x3377d1cf, v39
	v_fmac_f32_e32 v40, 0x3f317217, v39
	v_cmp_lt_f32_e64 s[12:13], |v39|, s63
	v_cndmask_b32_e64 v39, v39, v40, s[12:13]
	v_cndmask_b32_e64 v40, 0, v30, s[8:9]
	v_sub_f32_e32 v40, v39, v40
.LBB347_92:                             ;   in Loop: Header=BB347_73 Depth=3
	s_andn2_saveexec_b64 s[12:13], s[14:15]
	s_cbranch_execz .LBB347_96
; %bb.93:                               ;   in Loop: Header=BB347_73 Depth=3
	v_add_f32_e32 v41, 2.0, v40
	v_mul_f32_e32 v39, v3, v3
	v_fmac_f32_e32 v39, v40, v41
	v_cmp_neq_f32_e64 s[8:9], 0, v39
	s_and_saveexec_b64 s[14:15], s[8:9]
	s_cbranch_execz .LBB347_95
; %bb.94:                               ;   in Loop: Header=BB347_73 Depth=3
	v_add_f32_e32 v42, 1.0, v39
	v_cvt_f64_f32_e32 v[40:41], v42
	v_add_f32_e32 v43, -1.0, v42
	v_sub_f32_e32 v44, v43, v42
	v_sub_f32_e32 v43, v39, v43
	v_frexp_exp_i32_f64_e32 v40, v[40:41]
	v_frexp_mant_f32_e32 v41, v42
	v_cmp_gt_f32_e64 s[8:9], s65, v41
	v_add_f32_e32 v44, 1.0, v44
	v_add_f32_e32 v43, v43, v44
	v_subbrev_co_u32_e64 v40, s[8:9], 0, v40, s[8:9]
	v_sub_u32_e32 v41, 0, v40
	v_ldexp_f32 v42, v42, v41
	v_ldexp_f32 v41, v43, v41
	v_add_f32_e32 v43, -1.0, v42
	v_add_f32_e32 v44, 1.0, v42
	v_add_f32_e32 v45, 1.0, v43
	v_add_f32_e32 v47, -1.0, v44
	v_sub_f32_e32 v45, v42, v45
	v_sub_f32_e32 v42, v42, v47
	v_add_f32_e32 v45, v41, v45
	v_add_f32_e32 v41, v41, v42
	;; [unrolled: 1-line block ×3, first 2 shown]
	v_rcp_f32_e32 v47, v42
	v_add_f32_e32 v46, v43, v45
	v_sub_f32_e32 v44, v42, v44
	v_sub_f32_e32 v43, v46, v43
	;; [unrolled: 1-line block ×3, first 2 shown]
	v_mul_f32_e32 v44, v46, v47
	v_sub_f32_e32 v43, v45, v43
	v_mul_f32_e32 v45, v42, v44
	v_fma_f32 v48, v44, v42, -v45
	v_fmac_f32_e32 v48, v44, v41
	v_add_f32_e32 v49, v45, v48
	v_sub_f32_e32 v50, v46, v49
	v_sub_f32_e32 v46, v46, v50
	;; [unrolled: 1-line block ×4, first 2 shown]
	v_add_f32_e32 v43, v43, v46
	v_sub_f32_e32 v45, v45, v48
	v_add_f32_e32 v43, v45, v43
	v_add_f32_e32 v45, v50, v43
	v_mul_f32_e32 v46, v47, v45
	v_mul_f32_e32 v48, v42, v46
	v_fma_f32 v42, v46, v42, -v48
	v_fmac_f32_e32 v42, v46, v41
	v_sub_f32_e32 v41, v50, v45
	v_add_f32_e32 v41, v43, v41
	v_add_f32_e32 v43, v48, v42
	v_sub_f32_e32 v49, v45, v43
	v_sub_f32_e32 v45, v45, v49
	;; [unrolled: 1-line block ×4, first 2 shown]
	v_add_f32_e32 v41, v41, v43
	v_sub_f32_e32 v42, v48, v42
	v_cvt_f32_i32_e32 v40, v40
	v_add_f32_e32 v41, v42, v41
	v_add_f32_e32 v42, v44, v46
	;; [unrolled: 1-line block ×3, first 2 shown]
	v_sub_f32_e32 v43, v42, v44
	v_mul_f32_e32 v41, v47, v41
	v_sub_f32_e32 v43, v46, v43
	v_add_f32_e32 v41, v43, v41
	v_mul_f32_e32 v46, 0x3f317218, v40
	v_add_f32_e32 v43, v42, v41
	v_fma_f32 v47, v40, s66, -v46
	v_mul_f32_e32 v44, v43, v43
	v_mov_b32_e32 v45, 0x3ecc95a3
	v_fmac_f32_e32 v47, 0xb102e308, v40
	v_sub_f32_e32 v40, v43, v42
	v_fmac_f32_e32 v45, 0x3e9b6dac, v44
	v_sub_f32_e32 v40, v41, v40
	v_add_f32_e32 v41, v46, v47
	v_fma_f32 v45, v44, v45, v19
	v_sub_f32_e32 v42, v41, v46
	v_ldexp_f32 v46, v43, 1
	v_mul_f32_e32 v43, v43, v44
	v_mul_f32_e32 v43, v43, v45
	v_add_f32_e32 v44, v46, v43
	v_sub_f32_e32 v45, v44, v46
	v_ldexp_f32 v40, v40, 1
	v_sub_f32_e32 v43, v43, v45
	v_add_f32_e32 v40, v40, v43
	v_add_f32_e32 v43, v44, v40
	v_sub_f32_e32 v44, v43, v44
	v_sub_f32_e32 v40, v40, v44
	v_add_f32_e32 v44, v41, v43
	v_sub_f32_e32 v45, v44, v41
	v_sub_f32_e32 v46, v44, v45
	;; [unrolled: 1-line block ×5, first 2 shown]
	v_add_f32_e32 v41, v43, v41
	v_add_f32_e32 v43, v42, v40
	v_sub_f32_e32 v45, v43, v42
	v_sub_f32_e32 v46, v43, v45
	;; [unrolled: 1-line block ×4, first 2 shown]
	v_add_f32_e32 v41, v43, v41
	v_add_f32_e32 v40, v40, v42
	;; [unrolled: 1-line block ×3, first 2 shown]
	v_sub_f32_e32 v43, v42, v44
	v_sub_f32_e32 v41, v41, v43
	v_add_f32_e32 v40, v40, v41
	v_add_f32_e32 v40, v42, v40
	v_cmp_neq_f32_e64 s[8:9], s63, v39
	v_cndmask_b32_e64 v40, v28, v40, s[8:9]
	v_cmp_ngt_f32_e64 s[8:9], -1.0, v39
	v_cndmask_b32_e64 v40, v29, v40, s[8:9]
	v_cmp_neq_f32_e64 s[8:9], -1.0, v39
	v_cndmask_b32_e64 v40, v31, v40, s[8:9]
	v_cmp_lt_f32_e64 s[8:9], |v39|, s67
	v_cndmask_b32_e64 v39, v40, v39, s[8:9]
	v_mul_f32_e32 v40, 0.5, v39
.LBB347_95:                             ;   in Loop: Header=BB347_73 Depth=3
	s_or_b64 exec, exec, s[14:15]
.LBB347_96:                             ;   in Loop: Header=BB347_73 Depth=3
	s_or_b64 exec, exec, s[12:13]
	v_max_f32_e64 v42, |v3|, |v3|
	v_max_f32_e64 v43, |v10|, |v10|
	v_min_f32_e32 v42, v43, v42
	v_frexp_mant_f32_e32 v43, v11
	v_rcp_f32_e32 v43, v43
	v_frexp_exp_i32_f32_e32 v11, v11
	v_frexp_exp_i32_f32_e32 v44, v42
	v_frexp_mant_f32_e32 v42, v42
	v_mul_f32_e32 v42, v42, v43
	v_sub_u32_e32 v11, v44, v11
	v_ldexp_f32 v11, v42, v11
	v_mul_f32_e32 v42, v11, v11
	v_mov_b32_e32 v43, 0xbc7a590c
	v_fmac_f32_e32 v43, 0x3b2d2a58, v42
	v_fma_f32 v43, v42, v43, v20
	v_fma_f32 v43, v42, v43, v21
	;; [unrolled: 1-line block ×6, first 2 shown]
	v_mul_f32_e32 v42, v42, v43
	v_cmp_gt_i32_e64 s[12:13], 0, v10
	v_fmac_f32_e32 v11, v11, v42
	v_cndmask_b32_e64 v41, 0, v34, s[12:13]
	v_sub_f32_e32 v42, 0x3fc90fdb, v11
	v_cmp_gt_f32_e64 s[12:13], |v3|, |v10|
	v_cndmask_b32_e64 v11, v11, v42, s[12:13]
	v_cmp_gt_f32_e64 s[8:9], 0, v10
	v_sub_f32_e32 v42, 0x40490fdb, v11
	v_cmp_class_f32_e64 s[14:15], v3, s68
	v_cmp_class_f32_e64 s[16:17], v10, s68
	v_cndmask_b32_e64 v39, v32, v33, s[8:9]
	v_cndmask_b32_e64 v11, v11, v42, s[8:9]
	v_cmp_eq_f32_e64 s[8:9], 0, v3
	v_cndmask_b32_e64 v11, v11, v41, s[8:9]
	s_and_b64 s[8:9], s[16:17], s[14:15]
	v_cndmask_b32_e64 v11, v11, v39, s[8:9]
	v_cmp_o_f32_e64 s[8:9], v10, v3
	v_cndmask_b32_e64 v10, v29, v11, s[8:9]
	v_bfi_b32 v3, s47, v10, v3
	v_add_f32_e32 v41, v8, v40
	v_add_f32_e32 v39, v9, v3
                                        ; implicit-def: $vgpr40
                                        ; implicit-def: $vgpr9
.LBB347_97:                             ;   in Loop: Header=BB347_73 Depth=3
	s_andn2_saveexec_b64 s[36:37], s[36:37]
	s_cbranch_execz .LBB347_70
; %bb.98:                               ;   in Loop: Header=BB347_73 Depth=3
	v_cmp_ngt_f32_e64 s[8:9], 0, v41
	s_and_saveexec_b64 s[38:39], s[8:9]
	s_cbranch_execz .LBB347_69
; %bb.99:                               ;   in Loop: Header=BB347_73 Depth=3
	v_and_b32_e32 v8, 0x7fffffff, v39
	v_lshrrev_b32_e32 v3, 23, v8
	v_and_b32_e32 v10, 0x7fffff, v8
	v_cmp_nlt_f32_e64 s[40:41], |v39|, s48
	v_add_u32_e32 v44, 0xffffff88, v3
	v_or_b32_e32 v43, 0x800000, v10
                                        ; implicit-def: $vgpr11
                                        ; implicit-def: $vgpr10
	s_and_saveexec_b64 s[8:9], s[40:41]
	s_xor_b64 s[42:43], exec, s[8:9]
	s_cbranch_execz .LBB347_101
; %bb.100:                              ;   in Loop: Header=BB347_73 Depth=3
	v_mad_u64_u32 v[10:11], s[8:9], v43, s50, 0
	v_mov_b32_e32 v3, v11
	v_mad_u64_u32 v[41:42], s[8:9], v43, s51, v[3:4]
	v_mov_b32_e32 v3, v42
	;; [unrolled: 2-line block ×3, first 2 shown]
	v_mad_u64_u32 v[46:47], s[8:9], v43, s53, v[3:4]
	v_cmp_lt_u32_e64 s[8:9], 63, v44
	v_cndmask_b32_e64 v3, 0, v26, s[8:9]
	v_add_u32_e32 v11, v3, v44
	v_mov_b32_e32 v3, v47
	v_mad_u64_u32 v[47:48], s[12:13], v43, s54, v[3:4]
	v_cmp_lt_u32_e64 s[12:13], 31, v11
	v_cndmask_b32_e64 v3, 0, v27, s[12:13]
	v_add_u32_e32 v11, v3, v11
	v_mov_b32_e32 v3, v48
	;; [unrolled: 5-line block ×3, first 2 shown]
	v_mad_u64_u32 v[49:50], s[16:17], v43, s56, v[3:4]
	v_cndmask_b32_e64 v3, v47, v45, s[8:9]
	v_cndmask_b32_e64 v42, v48, v46, s[8:9]
	;; [unrolled: 1-line block ×10, first 2 shown]
	v_sub_u32_e32 v48, 32, v11
	v_cndmask_b32_e64 v3, v3, v41, s[12:13]
	v_alignbit_b32 v49, v47, v42, v48
	v_cmp_eq_u32_e64 s[16:17], 0, v11
	v_cndmask_b32_e64 v46, v51, v3, s[14:15]
	v_cndmask_b32_e64 v10, v45, v10, s[8:9]
	;; [unrolled: 1-line block ×3, first 2 shown]
	v_alignbit_b32 v47, v42, v46, v48
	v_cndmask_b32_e64 v10, v41, v10, s[12:13]
	v_cndmask_b32_e64 v42, v47, v42, s[16:17]
	v_bfe_u32 v50, v11, 29, 1
	v_cndmask_b32_e64 v3, v3, v10, s[14:15]
	v_alignbit_b32 v47, v11, v42, 30
	v_sub_u32_e32 v51, 0, v50
	v_alignbit_b32 v10, v46, v3, v48
	v_xor_b32_e32 v47, v47, v51
	v_cndmask_b32_e64 v10, v10, v46, s[16:17]
	v_alignbit_b32 v41, v42, v10, 30
	v_ffbh_u32_e32 v42, v47
	v_min_u32_e32 v42, 32, v42
	v_alignbit_b32 v3, v10, v3, 30
	v_xor_b32_e32 v41, v41, v51
	v_sub_u32_e32 v45, 31, v42
	v_xor_b32_e32 v3, v3, v51
	v_alignbit_b32 v46, v47, v41, v45
	v_alignbit_b32 v3, v41, v3, v45
	;; [unrolled: 1-line block ×3, first 2 shown]
	v_ffbh_u32_e32 v41, v10
	v_min_u32_e32 v41, 32, v41
	v_lshrrev_b32_e32 v49, 29, v11
	v_not_b32_e32 v45, v41
	v_alignbit_b32 v3, v10, v3, v45
	v_lshlrev_b32_e32 v10, 31, v49
	v_or_b32_e32 v45, 0x33000000, v10
	v_add_lshl_u32 v41, v41, v42, 23
	v_lshrrev_b32_e32 v3, 9, v3
	v_sub_u32_e32 v41, v45, v41
	v_or_b32_e32 v10, 0.5, v10
	v_lshlrev_b32_e32 v42, 23, v42
	v_or_b32_e32 v3, v41, v3
	v_lshrrev_b32_e32 v41, 9, v46
	v_sub_u32_e32 v10, v10, v42
	v_or_b32_e32 v10, v41, v10
	v_mul_f32_e32 v41, 0x3fc90fda, v10
	v_fma_f32 v42, v10, s57, -v41
	v_fmac_f32_e32 v42, 0x33a22168, v10
	v_fmac_f32_e32 v42, 0x3fc90fda, v3
	v_lshrrev_b32_e32 v3, 30, v11
	v_add_f32_e32 v10, v41, v42
	v_add_u32_e32 v11, v50, v3
.LBB347_101:                            ;   in Loop: Header=BB347_73 Depth=3
	s_or_saveexec_b64 s[8:9], s[42:43]
	v_mul_f32_e64 v3, |v39|, s58
	v_rndne_f32_e32 v3, v3
	s_xor_b64 exec, exec, s[8:9]
; %bb.102:                              ;   in Loop: Header=BB347_73 Depth=3
	v_cvt_i32_f32_e32 v11, v3
	v_fma_f32 v10, v3, s59, |v39|
	v_fmac_f32_e32 v10, 0xb3a22168, v3
	v_fmac_f32_e32 v10, 0xa7c234c4, v3
; %bb.103:                              ;   in Loop: Header=BB347_73 Depth=3
	s_or_b64 exec, exec, s[8:9]
                                        ; implicit-def: $vgpr41
                                        ; implicit-def: $vgpr42
	s_and_saveexec_b64 s[8:9], s[40:41]
	s_xor_b64 s[40:41], exec, s[8:9]
	s_cbranch_execz .LBB347_105
; %bb.104:                              ;   in Loop: Header=BB347_73 Depth=3
	v_mad_u64_u32 v[41:42], s[8:9], v43, s50, 0
	v_mov_b32_e32 v3, v42
	v_mad_u64_u32 v[45:46], s[8:9], v43, s51, v[3:4]
	v_mov_b32_e32 v3, v46
	;; [unrolled: 2-line block ×3, first 2 shown]
	v_mad_u64_u32 v[47:48], s[8:9], v43, s53, v[3:4]
	v_cmp_lt_u32_e64 s[8:9], 63, v44
	v_cndmask_b32_e64 v3, 0, v26, s[8:9]
	v_add_u32_e32 v42, v3, v44
	v_mov_b32_e32 v3, v48
	v_mad_u64_u32 v[48:49], s[12:13], v43, s54, v[3:4]
	v_cmp_lt_u32_e64 s[12:13], 31, v42
	v_cndmask_b32_e64 v3, 0, v27, s[12:13]
	v_add_u32_e32 v42, v3, v42
	v_mov_b32_e32 v3, v49
	;; [unrolled: 5-line block ×3, first 2 shown]
	v_mad_u64_u32 v[42:43], s[16:17], v43, s56, v[3:4]
	v_cndmask_b32_e64 v3, v48, v46, s[8:9]
	v_cndmask_b32_e64 v50, v49, v47, s[8:9]
	;; [unrolled: 1-line block ×9, first 2 shown]
	v_sub_u32_e32 v48, 32, v44
	v_alignbit_b32 v49, v42, v43, v48
	v_cmp_eq_u32_e64 s[16:17], 0, v44
	v_cndmask_b32_e64 v44, v49, v42, s[16:17]
	v_cndmask_b32_e64 v42, v47, v45, s[8:9]
	v_cndmask_b32_e64 v3, v3, v42, s[12:13]
	v_cndmask_b32_e64 v45, v51, v3, s[14:15]
	v_cndmask_b32_e64 v41, v46, v41, s[8:9]
	v_alignbit_b32 v47, v43, v45, v48
	v_cndmask_b32_e64 v41, v42, v41, s[12:13]
	v_cndmask_b32_e64 v43, v47, v43, s[16:17]
	v_bfe_u32 v50, v44, 29, 1
	v_cndmask_b32_e64 v3, v3, v41, s[14:15]
	v_alignbit_b32 v47, v44, v43, 30
	v_sub_u32_e32 v51, 0, v50
	v_alignbit_b32 v41, v45, v3, v48
	v_xor_b32_e32 v47, v47, v51
	v_cndmask_b32_e64 v41, v41, v45, s[16:17]
	v_alignbit_b32 v42, v43, v41, 30
	v_ffbh_u32_e32 v43, v47
	v_min_u32_e32 v43, 32, v43
	v_alignbit_b32 v3, v41, v3, 30
	v_xor_b32_e32 v42, v42, v51
	v_sub_u32_e32 v45, 31, v43
	v_xor_b32_e32 v3, v3, v51
	v_alignbit_b32 v46, v47, v42, v45
	v_alignbit_b32 v3, v42, v3, v45
	;; [unrolled: 1-line block ×3, first 2 shown]
	v_ffbh_u32_e32 v42, v41
	v_min_u32_e32 v42, 32, v42
	v_lshrrev_b32_e32 v49, 29, v44
	v_not_b32_e32 v45, v42
	v_alignbit_b32 v3, v41, v3, v45
	v_lshlrev_b32_e32 v41, 31, v49
	v_or_b32_e32 v45, 0x33000000, v41
	v_add_lshl_u32 v42, v42, v43, 23
	v_lshrrev_b32_e32 v3, 9, v3
	v_sub_u32_e32 v42, v45, v42
	v_or_b32_e32 v41, 0.5, v41
	v_lshlrev_b32_e32 v43, 23, v43
	v_or_b32_e32 v3, v42, v3
	v_lshrrev_b32_e32 v42, 9, v46
	v_sub_u32_e32 v41, v41, v43
	v_or_b32_e32 v41, v42, v41
	v_mul_f32_e32 v42, 0x3fc90fda, v41
	v_fma_f32 v43, v41, s57, -v42
	v_fmac_f32_e32 v43, 0x33a22168, v41
	v_fmac_f32_e32 v43, 0x3fc90fda, v3
	v_lshrrev_b32_e32 v3, 30, v44
	v_add_f32_e32 v42, v42, v43
	v_add_u32_e32 v41, v50, v3
                                        ; implicit-def: $vgpr3
	s_andn2_saveexec_b64 s[8:9], s[40:41]
	s_cbranch_execnz .LBB347_106
	s_branch .LBB347_107
.LBB347_105:                            ;   in Loop: Header=BB347_73 Depth=3
	s_andn2_saveexec_b64 s[8:9], s[40:41]
.LBB347_106:                            ;   in Loop: Header=BB347_73 Depth=3
	v_cvt_i32_f32_e32 v41, v3
	v_fma_f32 v42, v3, s59, |v39|
	v_fmac_f32_e32 v42, 0xb3a22168, v3
	v_fmac_f32_e32 v42, 0xa7c234c4, v3
.LBB347_107:                            ;   in Loop: Header=BB347_73 Depth=3
	s_or_b64 exec, exec, s[8:9]
	v_and_b32_e32 v43, 0x7fffffff, v9
	v_lshrrev_b32_e32 v3, 23, v43
	v_and_b32_e32 v44, 0x7fffff, v43
	v_cmp_nlt_f32_e64 s[40:41], |v9|, s48
	v_add_u32_e32 v47, 0xffffff88, v3
	v_or_b32_e32 v46, 0x800000, v44
                                        ; implicit-def: $vgpr45
                                        ; implicit-def: $vgpr44
	s_and_saveexec_b64 s[8:9], s[40:41]
	s_xor_b64 s[42:43], exec, s[8:9]
	s_cbranch_execz .LBB347_109
; %bb.108:                              ;   in Loop: Header=BB347_73 Depth=3
	v_mad_u64_u32 v[44:45], s[8:9], v46, s50, 0
	v_mov_b32_e32 v3, v45
	v_mad_u64_u32 v[48:49], s[8:9], v46, s51, v[3:4]
	v_mov_b32_e32 v3, v49
	;; [unrolled: 2-line block ×3, first 2 shown]
	v_mad_u64_u32 v[50:51], s[8:9], v46, s53, v[3:4]
	v_cmp_lt_u32_e64 s[8:9], 63, v47
	v_cndmask_b32_e64 v3, 0, v26, s[8:9]
	v_add_u32_e32 v45, v3, v47
	v_mov_b32_e32 v3, v51
	v_mad_u64_u32 v[51:52], s[12:13], v46, s54, v[3:4]
	v_cmp_lt_u32_e64 s[12:13], 31, v45
	v_cndmask_b32_e64 v3, 0, v27, s[12:13]
	v_add_u32_e32 v45, v3, v45
	v_mov_b32_e32 v3, v52
	v_mad_u64_u32 v[52:53], s[14:15], v46, s55, v[3:4]
	v_cmp_lt_u32_e64 s[14:15], 31, v45
	v_cndmask_b32_e64 v3, 0, v27, s[14:15]
	v_add_u32_e32 v45, v3, v45
	v_mov_b32_e32 v3, v53
	v_mad_u64_u32 v[53:54], s[16:17], v46, s56, v[3:4]
	v_cndmask_b32_e64 v3, v51, v49, s[8:9]
	v_cndmask_b32_e64 v55, v52, v50, s[8:9]
	;; [unrolled: 1-line block ×10, first 2 shown]
	v_sub_u32_e32 v53, 32, v45
	v_cndmask_b32_e64 v3, v3, v48, s[12:13]
	v_alignbit_b32 v54, v51, v52, v53
	v_cmp_eq_u32_e64 s[16:17], 0, v45
	v_cndmask_b32_e64 v50, v56, v3, s[14:15]
	v_cndmask_b32_e64 v45, v54, v51, s[16:17]
	v_alignbit_b32 v51, v52, v50, v53
	v_cndmask_b32_e64 v44, v49, v44, s[8:9]
	v_cndmask_b32_e64 v51, v51, v52, s[16:17]
	v_bfe_u32 v55, v45, 29, 1
	v_cndmask_b32_e64 v44, v48, v44, s[12:13]
	v_alignbit_b32 v52, v45, v51, 30
	v_sub_u32_e32 v56, 0, v55
	v_cndmask_b32_e64 v3, v3, v44, s[14:15]
	v_xor_b32_e32 v52, v52, v56
	v_alignbit_b32 v44, v50, v3, v53
	v_cndmask_b32_e64 v44, v44, v50, s[16:17]
	v_ffbh_u32_e32 v49, v52
	v_alignbit_b32 v48, v51, v44, 30
	v_min_u32_e32 v49, 32, v49
	v_alignbit_b32 v3, v44, v3, 30
	v_xor_b32_e32 v48, v48, v56
	v_sub_u32_e32 v50, 31, v49
	v_xor_b32_e32 v3, v3, v56
	v_alignbit_b32 v51, v52, v48, v50
	v_alignbit_b32 v3, v48, v3, v50
	;; [unrolled: 1-line block ×3, first 2 shown]
	v_ffbh_u32_e32 v48, v44
	v_min_u32_e32 v48, 32, v48
	v_lshrrev_b32_e32 v54, 29, v45
	v_not_b32_e32 v50, v48
	v_alignbit_b32 v3, v44, v3, v50
	v_lshlrev_b32_e32 v44, 31, v54
	v_or_b32_e32 v50, 0x33000000, v44
	v_add_lshl_u32 v48, v48, v49, 23
	v_lshrrev_b32_e32 v3, 9, v3
	v_sub_u32_e32 v48, v50, v48
	v_or_b32_e32 v44, 0.5, v44
	v_lshlrev_b32_e32 v49, 23, v49
	v_or_b32_e32 v3, v48, v3
	v_lshrrev_b32_e32 v48, 9, v51
	v_sub_u32_e32 v44, v44, v49
	v_or_b32_e32 v44, v48, v44
	v_mul_f32_e32 v48, 0x3fc90fda, v44
	v_fma_f32 v49, v44, s57, -v48
	v_fmac_f32_e32 v49, 0x33a22168, v44
	v_fmac_f32_e32 v49, 0x3fc90fda, v3
	v_lshrrev_b32_e32 v3, 30, v45
	v_add_f32_e32 v44, v48, v49
	v_add_u32_e32 v45, v55, v3
.LBB347_109:                            ;   in Loop: Header=BB347_73 Depth=3
	s_or_saveexec_b64 s[8:9], s[42:43]
	v_mul_f32_e64 v3, |v9|, s58
	v_rndne_f32_e32 v49, v3
	s_xor_b64 exec, exec, s[8:9]
; %bb.110:                              ;   in Loop: Header=BB347_73 Depth=3
	v_cvt_i32_f32_e32 v45, v49
	v_fma_f32 v44, v49, s59, |v9|
	v_fmac_f32_e32 v44, 0xb3a22168, v49
	v_fmac_f32_e32 v44, 0xa7c234c4, v49
; %bb.111:                              ;   in Loop: Header=BB347_73 Depth=3
	s_or_b64 exec, exec, s[8:9]
                                        ; implicit-def: $vgpr3
                                        ; implicit-def: $vgpr48
	s_and_saveexec_b64 s[8:9], s[40:41]
	s_xor_b64 s[40:41], exec, s[8:9]
	s_cbranch_execz .LBB347_113
; %bb.112:                              ;   in Loop: Header=BB347_73 Depth=3
	v_mad_u64_u32 v[48:49], s[8:9], v46, s50, 0
	v_mov_b32_e32 v3, v49
	v_mad_u64_u32 v[49:50], s[8:9], v46, s51, v[3:4]
	v_mov_b32_e32 v3, v50
	;; [unrolled: 2-line block ×3, first 2 shown]
	v_mad_u64_u32 v[51:52], s[8:9], v46, s53, v[3:4]
	v_cmp_lt_u32_e64 s[8:9], 63, v47
	v_cndmask_b32_e64 v3, 0, v26, s[8:9]
	v_add_u32_e32 v47, v3, v47
	v_mov_b32_e32 v3, v52
	v_mad_u64_u32 v[52:53], s[12:13], v46, s54, v[3:4]
	v_cmp_lt_u32_e64 s[12:13], 31, v47
	v_cndmask_b32_e64 v3, 0, v27, s[12:13]
	v_add_u32_e32 v47, v3, v47
	v_mov_b32_e32 v3, v53
	;; [unrolled: 5-line block ×3, first 2 shown]
	v_mad_u64_u32 v[46:47], s[16:17], v46, s56, v[3:4]
	v_cndmask_b32_e64 v3, v52, v50, s[8:9]
	v_cndmask_b32_e64 v54, v53, v51, s[8:9]
	;; [unrolled: 1-line block ×10, first 2 shown]
	v_sub_u32_e32 v52, 32, v55
	v_cndmask_b32_e64 v3, v3, v49, s[12:13]
	v_alignbit_b32 v53, v46, v47, v52
	v_cmp_eq_u32_e64 s[16:17], 0, v55
	v_cndmask_b32_e64 v51, v56, v3, s[14:15]
	v_cndmask_b32_e64 v46, v53, v46, s[16:17]
	v_alignbit_b32 v53, v47, v51, v52
	v_cndmask_b32_e64 v48, v50, v48, s[8:9]
	v_cndmask_b32_e64 v47, v53, v47, s[16:17]
	v_bfe_u32 v55, v46, 29, 1
	v_cndmask_b32_e64 v48, v49, v48, s[12:13]
	v_alignbit_b32 v53, v46, v47, 30
	v_sub_u32_e32 v56, 0, v55
	v_cndmask_b32_e64 v3, v3, v48, s[14:15]
	v_xor_b32_e32 v53, v53, v56
	v_alignbit_b32 v48, v51, v3, v52
	v_cndmask_b32_e64 v48, v48, v51, s[16:17]
	v_ffbh_u32_e32 v49, v53
	v_alignbit_b32 v47, v47, v48, 30
	v_min_u32_e32 v49, 32, v49
	v_alignbit_b32 v3, v48, v3, 30
	v_xor_b32_e32 v47, v47, v56
	v_sub_u32_e32 v50, 31, v49
	v_xor_b32_e32 v3, v3, v56
	v_alignbit_b32 v51, v53, v47, v50
	v_alignbit_b32 v3, v47, v3, v50
	;; [unrolled: 1-line block ×3, first 2 shown]
	v_ffbh_u32_e32 v48, v47
	v_min_u32_e32 v48, 32, v48
	v_lshrrev_b32_e32 v54, 29, v46
	v_not_b32_e32 v50, v48
	v_alignbit_b32 v3, v47, v3, v50
	v_lshlrev_b32_e32 v47, 31, v54
	v_or_b32_e32 v50, 0x33000000, v47
	v_add_lshl_u32 v48, v48, v49, 23
	v_lshrrev_b32_e32 v3, 9, v3
	v_sub_u32_e32 v48, v50, v48
	v_or_b32_e32 v47, 0.5, v47
	v_lshlrev_b32_e32 v49, 23, v49
	v_or_b32_e32 v3, v48, v3
	v_lshrrev_b32_e32 v48, 9, v51
	v_sub_u32_e32 v47, v47, v49
	v_or_b32_e32 v47, v48, v47
	v_mul_f32_e32 v48, 0x3fc90fda, v47
	v_fma_f32 v49, v47, s57, -v48
	v_fmac_f32_e32 v49, 0x33a22168, v47
	v_fmac_f32_e32 v49, 0x3fc90fda, v3
	v_lshrrev_b32_e32 v3, 30, v46
	v_add_f32_e32 v48, v48, v49
	v_add_u32_e32 v3, v55, v3
                                        ; implicit-def: $vgpr49
	s_andn2_saveexec_b64 s[8:9], s[40:41]
	s_cbranch_execnz .LBB347_114
	s_branch .LBB347_115
.LBB347_113:                            ;   in Loop: Header=BB347_73 Depth=3
	s_andn2_saveexec_b64 s[8:9], s[40:41]
.LBB347_114:                            ;   in Loop: Header=BB347_73 Depth=3
	v_cvt_i32_f32_e32 v3, v49
	v_fma_f32 v48, v49, s59, |v9|
	v_fmac_f32_e32 v48, 0xb3a22168, v49
	v_fmac_f32_e32 v48, 0xa7c234c4, v49
.LBB347_115:                            ;   in Loop: Header=BB347_73 Depth=3
	s_or_b64 exec, exec, s[8:9]
	v_mul_f32_e32 v47, v10, v10
	v_mov_b32_e32 v49, 0x3c0881c4
	v_fmac_f32_e32 v49, 0xb94c1982, v47
	v_fma_f32 v49, v47, v49, v18
	v_mul_f32_e32 v49, v47, v49
	v_fmac_f32_e32 v10, v10, v49
	v_mov_b32_e32 v49, 0xbab64f3b
	v_fmac_f32_e32 v49, 0x37d75334, v47
	v_fma_f32 v49, v47, v49, v16
	v_lshlrev_b32_e32 v46, 30, v11
	v_and_b32_e32 v11, 1, v11
	v_fma_f32 v49, v47, v49, v17
	v_and_b32_e32 v46, 0x80000000, v46
	v_fma_f32 v47, v47, v49, 1.0
	v_cmp_eq_u32_e64 s[8:9], 0, v11
	v_xor_b32_e32 v8, v8, v40
	v_cndmask_b32_e64 v10, v47, v10, s[8:9]
	v_xor_b32_e32 v8, v8, v46
	v_xor_b32_e32 v8, v8, v10
	v_mul_f32_e32 v10, v42, v42
	v_mov_b32_e32 v11, 0x3c0881c4
	v_fmac_f32_e32 v11, 0xb94c1982, v10
	v_fma_f32 v11, v10, v11, v18
	v_mul_f32_e32 v11, v10, v11
	v_fmac_f32_e32 v42, v42, v11
	v_mov_b32_e32 v11, 0xbab64f3b
	v_fmac_f32_e32 v11, 0x37d75334, v10
	v_fma_f32 v11, v10, v11, v16
	v_fma_f32 v11, v10, v11, v17
	v_fma_f32 v10, v10, v11, 1.0
	v_and_b32_e32 v11, 1, v41
	v_cmp_eq_u32_e64 s[12:13], 0, v11
	v_lshlrev_b32_e32 v11, 30, v41
	v_mul_f32_e32 v40, v44, v44
	v_mov_b32_e32 v41, 0x3c0881c4
	v_fmac_f32_e32 v41, 0xb94c1982, v40
	v_fma_f32 v41, v40, v41, v18
	v_cndmask_b32_e64 v10, -v42, v10, s[12:13]
	v_and_b32_e32 v11, 0x80000000, v11
	v_mul_f32_e32 v41, v40, v41
	v_cmp_class_f32_e64 s[8:9], v39, s46
	v_xor_b32_e32 v10, v11, v10
	v_fmac_f32_e32 v44, v44, v41
	v_mov_b32_e32 v41, 0xbab64f3b
	v_cndmask_b32_e64 v10, v29, v10, s[8:9]
	v_fmac_f32_e32 v41, 0x37d75334, v40
	v_cndmask_b32_e64 v8, v29, v8, s[8:9]
	v_mul_f32_e32 v11, 0x7f800000, v10
	v_cmp_neq_f32_e64 s[8:9], 0, v10
	v_fma_f32 v41, v40, v41, v16
	v_cndmask_b32_e64 v10, 0, v11, s[8:9]
	v_mul_f32_e32 v11, 0x7f800000, v8
	v_cmp_neq_f32_e64 s[8:9], 0, v8
	v_and_b32_e32 v39, 1, v45
	v_fma_f32 v41, v40, v41, v17
	v_cndmask_b32_e64 v8, 0, v11, s[8:9]
	v_lshlrev_b32_e32 v11, 30, v45
	v_fma_f32 v40, v40, v41, 1.0
	v_cmp_eq_u32_e64 s[8:9], 0, v39
	v_and_b32_e32 v11, 0x80000000, v11
	v_cndmask_b32_e64 v39, v40, v44, s[8:9]
	v_xor_b32_e32 v40, v43, v9
	v_xor_b32_e32 v11, v40, v11
	;; [unrolled: 1-line block ×3, first 2 shown]
	v_cmp_class_f32_e64 s[8:9], v9, s46
	v_cndmask_b32_e64 v9, v29, v11, s[8:9]
	v_mul_f32_e32 v11, v48, v48
	v_mov_b32_e32 v39, 0x3c0881c4
	v_fmac_f32_e32 v39, 0xb94c1982, v11
	v_fma_f32 v39, v11, v39, v18
	v_mul_f32_e32 v39, v11, v39
	v_fmac_f32_e32 v48, v48, v39
	v_mov_b32_e32 v39, 0xbab64f3b
	v_fmac_f32_e32 v39, 0x37d75334, v11
	v_fma_f32 v39, v11, v39, v16
	v_fma_f32 v39, v11, v39, v17
	v_fma_f32 v11, v11, v39, 1.0
	v_and_b32_e32 v39, 1, v3
	v_cmp_eq_u32_e64 s[12:13], 0, v39
	v_lshlrev_b32_e32 v3, 30, v3
	v_cndmask_b32_e64 v11, -v48, v11, s[12:13]
	v_and_b32_e32 v3, 0x80000000, v3
	v_xor_b32_e32 v3, v3, v11
	v_cndmask_b32_e64 v3, v29, v3, s[8:9]
	v_mul_f32_e32 v11, 0x7f800000, v3
	v_cmp_neq_f32_e64 s[8:9], 0, v3
	v_cndmask_b32_e64 v3, 0, v11, s[8:9]
	v_mul_f32_e32 v11, 0x7f800000, v9
	v_cmp_neq_f32_e64 s[8:9], 0, v9
	v_cndmask_b32_e64 v9, 0, v11, s[8:9]
	v_add_f32_e32 v10, v10, v3
	v_add_f32_e32 v3, v8, v9
	v_add_f32_e32 v41, -1.0, v10
	v_max_f32_e64 v10, |v41|, |v3|
	v_cvt_f64_f32_e32 v[8:9], v10
	v_cmp_eq_f32_e64 s[8:9], s63, v10
	v_frexp_exp_i32_f64_e32 v8, v[8:9]
	v_sub_u32_e32 v9, 0, v8
	v_ldexp_f32 v11, |v41|, v9
	v_ldexp_f32 v9, |v3|, v9
	v_mul_f32_e32 v9, v9, v9
	v_fmac_f32_e32 v9, v11, v11
	v_sqrt_f32_e32 v9, v9
	v_ldexp_f32 v11, v9, v8
	v_add_f32_e32 v8, 1.0, v41
	v_cmp_ngt_f32_e64 s[12:13], 0.5, v11
	v_max_f32_e64 v9, |v8|, |v3|
	s_or_b64 s[8:9], s[8:9], s[12:13]
	s_and_saveexec_b64 s[12:13], s[8:9]
	s_xor_b64 s[14:15], exec, s[12:13]
	s_cbranch_execz .LBB347_117
; %bb.116:                              ;   in Loop: Header=BB347_73 Depth=3
	v_cvt_f64_f32_e32 v[10:11], v9
	v_cmp_neq_f32_e64 s[8:9], s63, v9
	v_frexp_exp_i32_f64_e32 v10, v[10:11]
	v_sub_u32_e32 v11, 0, v10
	v_ldexp_f32 v39, |v8|, v11
	v_ldexp_f32 v11, |v3|, v11
	v_mul_f32_e32 v11, v11, v11
	v_fmac_f32_e32 v11, v39, v39
	v_sqrt_f32_e32 v11, v11
	v_ldexp_f32 v10, v11, v10
	v_cndmask_b32_e64 v10, v28, v10, s[8:9]
	v_cmp_gt_f32_e64 s[8:9], s49, v10
	v_cndmask_b32_e64 v11, 0, 32, s[8:9]
	v_ldexp_f32 v10, v10, v11
	v_log_f32_e32 v10, v10
	v_mul_f32_e32 v11, 0x3f317217, v10
	v_fma_f32 v11, v10, s64, -v11
	v_fmac_f32_e32 v11, 0x3377d1cf, v10
	v_fmac_f32_e32 v11, 0x3f317217, v10
	v_cmp_lt_f32_e64 s[12:13], |v10|, s63
	v_cndmask_b32_e64 v10, v10, v11, s[12:13]
	v_cndmask_b32_e64 v11, 0, v30, s[8:9]
	v_sub_f32_e32 v41, v10, v11
.LBB347_117:                            ;   in Loop: Header=BB347_73 Depth=3
	s_andn2_saveexec_b64 s[12:13], s[14:15]
	s_cbranch_execz .LBB347_68
; %bb.118:                              ;   in Loop: Header=BB347_73 Depth=3
	v_add_f32_e32 v10, 2.0, v41
	v_mul_f32_e32 v10, v41, v10
	v_fmac_f32_e32 v10, v3, v3
	v_cmp_neq_f32_e64 s[8:9], 0, v10
	s_and_saveexec_b64 s[14:15], s[8:9]
	s_cbranch_execz .LBB347_67
; %bb.119:                              ;   in Loop: Header=BB347_73 Depth=3
	v_add_f32_e32 v11, 1.0, v10
	v_cvt_f64_f32_e32 v[39:40], v11
	v_add_f32_e32 v41, -1.0, v11
	v_sub_f32_e32 v42, v41, v11
	v_sub_f32_e32 v41, v10, v41
	v_frexp_exp_i32_f64_e32 v39, v[39:40]
	v_frexp_mant_f32_e32 v40, v11
	v_cmp_gt_f32_e64 s[8:9], s65, v40
	v_add_f32_e32 v42, 1.0, v42
	v_add_f32_e32 v41, v41, v42
	v_subbrev_co_u32_e64 v39, s[8:9], 0, v39, s[8:9]
	v_sub_u32_e32 v40, 0, v39
	v_ldexp_f32 v11, v11, v40
	v_ldexp_f32 v40, v41, v40
	v_add_f32_e32 v41, -1.0, v11
	v_add_f32_e32 v42, 1.0, v11
	v_add_f32_e32 v43, 1.0, v41
	v_add_f32_e32 v45, -1.0, v42
	v_sub_f32_e32 v43, v11, v43
	v_sub_f32_e32 v11, v11, v45
	v_add_f32_e32 v11, v40, v11
	v_add_f32_e32 v43, v40, v43
	;; [unrolled: 1-line block ×3, first 2 shown]
	v_rcp_f32_e32 v45, v40
	v_add_f32_e32 v44, v41, v43
	v_sub_f32_e32 v42, v40, v42
	v_sub_f32_e32 v41, v44, v41
	v_sub_f32_e32 v11, v11, v42
	v_mul_f32_e32 v42, v44, v45
	v_sub_f32_e32 v41, v43, v41
	v_mul_f32_e32 v43, v40, v42
	v_fma_f32 v46, v42, v40, -v43
	v_fmac_f32_e32 v46, v42, v11
	v_add_f32_e32 v47, v43, v46
	v_sub_f32_e32 v48, v44, v47
	v_sub_f32_e32 v44, v44, v48
	;; [unrolled: 1-line block ×4, first 2 shown]
	v_add_f32_e32 v41, v41, v44
	v_sub_f32_e32 v43, v43, v46
	v_add_f32_e32 v41, v43, v41
	v_add_f32_e32 v43, v48, v41
	v_mul_f32_e32 v44, v45, v43
	v_mul_f32_e32 v46, v40, v44
	v_fma_f32 v40, v44, v40, -v46
	v_fmac_f32_e32 v40, v44, v11
	v_sub_f32_e32 v11, v48, v43
	v_add_f32_e32 v11, v41, v11
	v_add_f32_e32 v41, v46, v40
	v_sub_f32_e32 v47, v43, v41
	v_sub_f32_e32 v43, v43, v47
	;; [unrolled: 1-line block ×4, first 2 shown]
	v_add_f32_e32 v11, v11, v41
	v_sub_f32_e32 v40, v46, v40
	v_cvt_f32_i32_e32 v39, v39
	v_add_f32_e32 v11, v40, v11
	v_add_f32_e32 v40, v42, v44
	;; [unrolled: 1-line block ×3, first 2 shown]
	v_sub_f32_e32 v41, v40, v42
	v_mul_f32_e32 v11, v45, v11
	v_sub_f32_e32 v41, v44, v41
	v_add_f32_e32 v11, v41, v11
	v_mul_f32_e32 v44, 0x3f317218, v39
	v_add_f32_e32 v41, v40, v11
	v_fma_f32 v45, v39, s66, -v44
	v_mul_f32_e32 v42, v41, v41
	v_mov_b32_e32 v43, 0x3ecc95a3
	v_fmac_f32_e32 v45, 0xb102e308, v39
	v_sub_f32_e32 v39, v41, v40
	v_fmac_f32_e32 v43, 0x3e9b6dac, v42
	v_sub_f32_e32 v11, v11, v39
	v_add_f32_e32 v39, v44, v45
	v_fma_f32 v43, v42, v43, v19
	v_sub_f32_e32 v40, v39, v44
	v_ldexp_f32 v44, v41, 1
	v_mul_f32_e32 v41, v41, v42
	v_mul_f32_e32 v41, v41, v43
	v_add_f32_e32 v42, v44, v41
	v_sub_f32_e32 v43, v42, v44
	v_ldexp_f32 v11, v11, 1
	v_sub_f32_e32 v41, v41, v43
	v_add_f32_e32 v11, v11, v41
	v_add_f32_e32 v41, v42, v11
	v_sub_f32_e32 v42, v41, v42
	v_sub_f32_e32 v11, v11, v42
	v_add_f32_e32 v42, v39, v41
	v_sub_f32_e32 v43, v42, v39
	v_sub_f32_e32 v44, v42, v43
	;; [unrolled: 1-line block ×5, first 2 shown]
	v_add_f32_e32 v39, v41, v39
	v_add_f32_e32 v41, v40, v11
	v_sub_f32_e32 v43, v41, v40
	v_sub_f32_e32 v44, v41, v43
	;; [unrolled: 1-line block ×4, first 2 shown]
	v_add_f32_e32 v39, v41, v39
	v_add_f32_e32 v11, v11, v40
	;; [unrolled: 1-line block ×3, first 2 shown]
	v_sub_f32_e32 v41, v40, v42
	v_sub_f32_e32 v39, v39, v41
	v_add_f32_e32 v11, v11, v39
	v_add_f32_e32 v11, v40, v11
	v_cmp_neq_f32_e64 s[8:9], s63, v10
	v_cndmask_b32_e64 v11, v28, v11, s[8:9]
	v_cmp_ngt_f32_e64 s[8:9], -1.0, v10
	v_cndmask_b32_e64 v11, v29, v11, s[8:9]
	v_cmp_neq_f32_e64 s[8:9], -1.0, v10
	v_cndmask_b32_e64 v11, v31, v11, s[8:9]
	v_cmp_lt_f32_e64 s[8:9], |v10|, s67
	v_cndmask_b32_e64 v10, v11, v10, s[8:9]
	v_mul_f32_e32 v41, 0.5, v10
	s_branch .LBB347_67
.LBB347_120:                            ;   in Loop: Header=BB347_7 Depth=2
	s_or_b64 exec, exec, s[28:29]
	s_and_saveexec_b64 s[12:13], vcc
	s_cbranch_execz .LBB347_6
; %bb.121:                              ;   in Loop: Header=BB347_7 Depth=2
	v_cmp_gt_u32_e64 s[8:9], s25, v7
	s_and_saveexec_b64 s[14:15], s[8:9]
	s_cbranch_execz .LBB347_123
; %bb.122:                              ;   in Loop: Header=BB347_7 Depth=2
	v_mov_b32_e32 v8, v4
	v_lshlrev_b64 v[6:7], 3, v[7:8]
	ds_read_b64 v[8:9], v1
	v_add_co_u32_e64 v6, s[8:9], v37, v6
	v_addc_co_u32_e64 v7, s[8:9], v38, v7, s[8:9]
	s_waitcnt lgkmcnt(0)
	global_store_dwordx2 v[6:7], v[8:9], off
.LBB347_123:                            ;   in Loop: Header=BB347_7 Depth=2
	s_or_b64 exec, exec, s[14:15]
	v_cmp_gt_u32_e64 s[8:9], s25, v5
	s_and_b64 exec, exec, s[8:9]
	s_cbranch_execz .LBB347_6
; %bb.124:                              ;   in Loop: Header=BB347_7 Depth=2
	v_mov_b32_e32 v6, v4
	ds_read_b64 v[7:8], v14
	v_lshlrev_b64 v[5:6], 3, v[5:6]
	v_add_co_u32_e64 v5, s[8:9], v37, v5
	v_addc_co_u32_e64 v6, s[8:9], v38, v6, s[8:9]
	s_waitcnt lgkmcnt(0)
	global_store_dwordx2 v[5:6], v[7:8], off
	s_branch .LBB347_6
.LBB347_125:
	s_mov_b64 s[0:1], 0
.LBB347_126:
	s_andn2_b64 vcc, exec, s[0:1]
	s_cbranch_vccnz .LBB347_253
; %bb.127:
	s_load_dword s2, s[4:5], 0x3c
	s_add_u32 s0, s4, 48
	s_mov_b32 s14, s24
	s_mov_b32 s15, 0
	s_addc_u32 s1, s5, 0
	s_waitcnt lgkmcnt(0)
	s_lshr_b32 s2, s2, 16
	v_mov_b32_e32 v3, s14
	s_mul_hi_u32 s17, s2, s6
	s_mul_i32 s16, s2, s6
	v_mov_b32_e32 v4, s15
	v_cmp_ge_u64_e32 vcc, s[16:17], v[3:4]
	s_cbranch_vccnz .LBB347_253
; %bb.128:
	s_lshl_b32 s28, 1, s26
	s_load_dword s5, s[0:1], 0x0
	s_and_b32 s4, 0xffff, s2
	s_ashr_i32 s29, s28, 31
	s_cmp_lg_u32 s25, 0
	s_mov_b32 s30, s25
	s_cselect_b64 s[2:3], -1, 0
	s_lshl_b64 s[24:25], s[28:29], 1
	v_mov_b32_e32 v4, 0
	v_lshl_add_u32 v14, v0, 3, v13
	s_lshl_b32 s6, s24, 3
	v_cndmask_b32_e64 v3, 0, 1, s[2:3]
	s_mov_b32 s31, s15
	v_mov_b32_e32 v1, v4
	v_lshl_add_u32 v15, s28, 3, v14
	v_cmp_eq_u32_e64 s[0:1], 0, v0
	v_add3_u32 v16, v13, s6, -8
	s_waitcnt lgkmcnt(0)
	s_mul_i32 s33, s5, s4
	s_add_i32 s48, s26, 1
	v_cmp_ne_u32_e64 s[2:3], 1, v3
	s_movk_i32 s49, 0x1f8
	s_brev_b32 s50, -2
	s_brev_b32 s51, 18
	s_mov_b32 s52, 0x800000
	s_mov_b32 s53, 0xfe5163ab
	;; [unrolled: 1-line block ×15, first 2 shown]
	v_mov_b32_e32 v17, 0x3d2aabf7
	v_mov_b32_e32 v18, 0xbf000004
	;; [unrolled: 1-line block ×3, first 2 shown]
	s_mov_b32 s67, 0x3f317217
	s_mov_b32 s68, 0x3f2aaaab
	v_mov_b32_e32 v20, 0x3f2aaada
	s_mov_b32 s69, 0x3f317218
	s_mov_b32 s70, 0x33800000
	s_movk_i32 s71, 0x204
	v_mov_b32_e32 v21, 0x3d29fb3f
	v_mov_b32_e32 v22, 0xbd97d4d7
	;; [unrolled: 1-line block ×6, first 2 shown]
	v_not_b32_e32 v27, 63
	v_not_b32_e32 v28, 31
	v_mov_b32_e32 v29, 0x7f800000
	v_mov_b32_e32 v30, 0x7fc00000
	;; [unrolled: 1-line block ×7, first 2 shown]
	s_branch .LBB347_130
.LBB347_129:                            ;   in Loop: Header=BB347_130 Depth=1
	s_add_u32 s16, s16, s33
	v_mov_b32_e32 v5, s14
	s_addc_u32 s17, s17, 0
	v_mov_b32_e32 v6, s15
	v_cmp_ge_u64_e32 vcc, s[16:17], v[5:6]
	s_cbranch_vccnz .LBB347_253
.LBB347_130:                            ; =>This Loop Header: Depth=1
                                        ;     Child Loop BB347_133 Depth 2
                                        ;       Child Loop BB347_199 Depth 3
	s_and_b64 vcc, exec, s[2:3]
	s_cbranch_vccnz .LBB347_129
; %bb.131:                              ;   in Loop: Header=BB347_130 Depth=1
	v_add_co_u32_e32 v5, vcc, s16, v2
	v_mad_u64_u32 v[7:8], s[4:5], v5, s30, 0
	v_mov_b32_e32 v3, s17
	v_addc_co_u32_e32 v6, vcc, 0, v3, vcc
	v_mov_b32_e32 v3, v8
	v_mad_u64_u32 v[8:9], s[4:5], v6, s30, v[3:4]
	v_mov_b32_e32 v3, s23
	v_cmp_gt_u64_e64 s[4:5], s[14:15], v[5:6]
	v_lshlrev_b64 v[7:8], 3, v[7:8]
	v_cmp_le_u64_e64 s[6:7], s[14:15], v[5:6]
	v_add_co_u32_e32 v36, vcc, s22, v7
	v_addc_co_u32_e32 v37, vcc, v3, v8, vcc
	v_mov_b32_e32 v3, s21
	v_add_co_u32_e32 v38, vcc, s20, v7
	v_addc_co_u32_e32 v39, vcc, v3, v8, vcc
	s_mov_b64 s[26:27], 0
	v_mov_b32_e32 v10, s19
	v_mov_b32_e32 v9, s18
	s_branch .LBB347_133
.LBB347_132:                            ;   in Loop: Header=BB347_133 Depth=2
	s_or_b64 exec, exec, s[8:9]
	ds_read_b64 v[9:10], v16
	s_add_u32 s26, s26, s24
	v_mov_b32_e32 v5, s30
	s_addc_u32 s27, s27, s25
	v_mov_b32_e32 v6, s31
	v_cmp_ge_u64_e32 vcc, s[26:27], v[5:6]
	s_waitcnt lgkmcnt(0)
	s_waitcnt vmcnt(0)
	s_barrier
	s_cbranch_vccnz .LBB347_129
.LBB347_133:                            ;   Parent Loop BB347_130 Depth=1
                                        ; =>  This Loop Header: Depth=2
                                        ;       Child Loop BB347_199 Depth 3
	v_mov_b32_e32 v3, s27
	v_add_co_u32_e32 v7, vcc, s26, v0
	v_addc_co_u32_e32 v8, vcc, 0, v3, vcc
	v_mov_b32_e32 v3, s29
	v_add_co_u32_e32 v5, vcc, s28, v7
	v_addc_co_u32_e32 v6, vcc, v8, v3, vcc
	s_and_saveexec_b64 s[34:35], s[4:5]
	s_cbranch_execz .LBB347_192
; %bb.134:                              ;   in Loop: Header=BB347_133 Depth=2
	v_cmp_le_u64_e32 vcc, s[30:31], v[7:8]
	s_and_saveexec_b64 s[8:9], vcc
	s_xor_b64 s[8:9], exec, s[8:9]
; %bb.135:                              ;   in Loop: Header=BB347_133 Depth=2
	v_mov_b32_e32 v11, s18
	v_mov_b32_e32 v12, s19
	ds_write_b64 v14, v[11:12]
; %bb.136:                              ;   in Loop: Header=BB347_133 Depth=2
	s_andn2_saveexec_b64 s[8:9], s[8:9]
	s_cbranch_execz .LBB347_138
; %bb.137:                              ;   in Loop: Header=BB347_133 Depth=2
	v_lshlrev_b64 v[11:12], 3, v[7:8]
	v_add_co_u32_e32 v11, vcc, v36, v11
	v_addc_co_u32_e32 v12, vcc, v37, v12, vcc
	global_load_dwordx2 v[11:12], v[11:12], off
	s_waitcnt vmcnt(0)
	ds_write_b64 v14, v[11:12]
.LBB347_138:                            ;   in Loop: Header=BB347_133 Depth=2
	s_or_b64 exec, exec, s[8:9]
	v_cmp_le_u64_e32 vcc, s[30:31], v[5:6]
	s_and_saveexec_b64 s[8:9], vcc
	s_xor_b64 s[8:9], exec, s[8:9]
	s_cbranch_execz .LBB347_141
; %bb.139:                              ;   in Loop: Header=BB347_133 Depth=2
	v_mov_b32_e32 v11, s18
	v_mov_b32_e32 v12, s19
	ds_write_b64 v15, v[11:12]
	s_andn2_saveexec_b64 s[8:9], s[8:9]
	s_cbranch_execnz .LBB347_142
.LBB347_140:                            ;   in Loop: Header=BB347_133 Depth=2
	s_or_b64 exec, exec, s[8:9]
	s_and_b64 exec, exec, s[0:1]
	s_cbranch_execnz .LBB347_143
	s_branch .LBB347_192
.LBB347_141:                            ;   in Loop: Header=BB347_133 Depth=2
	s_andn2_saveexec_b64 s[8:9], s[8:9]
	s_cbranch_execz .LBB347_140
.LBB347_142:                            ;   in Loop: Header=BB347_133 Depth=2
	v_lshlrev_b64 v[11:12], 3, v[5:6]
	v_add_co_u32_e32 v11, vcc, v36, v11
	v_addc_co_u32_e32 v12, vcc, v37, v12, vcc
	global_load_dwordx2 v[11:12], v[11:12], off
	s_waitcnt vmcnt(0)
	ds_write_b64 v15, v[11:12]
	s_or_b64 exec, exec, s[8:9]
	s_and_b64 exec, exec, s[0:1]
	s_cbranch_execz .LBB347_192
.LBB347_143:                            ;   in Loop: Header=BB347_133 Depth=2
	ds_read_b64 v[11:12], v13
	v_cmp_o_f32_e32 vcc, v9, v10
	v_mov_b32_e32 v40, v10
	v_mov_b32_e32 v42, v9
	;; [unrolled: 1-line block ×3, first 2 shown]
	s_and_saveexec_b64 s[12:13], vcc
	s_cbranch_execz .LBB347_145
; %bb.144:                              ;   in Loop: Header=BB347_133 Depth=2
	s_waitcnt lgkmcnt(0)
	v_cmp_u_f32_e64 s[8:9], v11, v12
	v_cmp_lt_f32_e64 s[10:11], v11, v9
	s_or_b64 s[8:9], s[10:11], s[8:9]
	v_cndmask_b32_e64 v40, v10, v12, s[8:9]
	v_cndmask_b32_e64 v42, v9, v11, s[8:9]
	v_mov_b32_e32 v41, v40
.LBB347_145:                            ;   in Loop: Header=BB347_133 Depth=2
	s_or_b64 exec, exec, s[12:13]
	s_and_saveexec_b64 s[10:11], vcc
	s_cbranch_execz .LBB347_147
; %bb.146:                              ;   in Loop: Header=BB347_133 Depth=2
	s_waitcnt lgkmcnt(0)
	v_cmp_u_f32_e32 vcc, v11, v12
	v_cmp_ge_f32_e64 s[8:9], v11, v9
	s_or_b64 vcc, s[8:9], vcc
	v_cndmask_b32_e32 v10, v10, v12, vcc
	v_cndmask_b32_e32 v9, v9, v11, vcc
.LBB347_147:                            ;   in Loop: Header=BB347_133 Depth=2
	s_or_b64 exec, exec, s[10:11]
	v_cmp_o_f32_e32 vcc, v42, v40
	s_waitcnt lgkmcnt(0)
	v_mov_b32_e32 v11, 0x7fc00000
	v_mov_b32_e32 v12, 0x7fc00000
	s_and_saveexec_b64 s[36:37], vcc
	s_cbranch_execz .LBB347_191
; %bb.148:                              ;   in Loop: Header=BB347_133 Depth=2
	v_cmp_class_f32_e64 s[8:9], v42, s49
	v_cmp_neq_f32_e32 vcc, v9, v42
	s_or_b64 s[8:9], s[8:9], vcc
	s_and_saveexec_b64 s[10:11], s[8:9]
	s_xor_b64 s[38:39], exec, s[10:11]
	s_cbranch_execz .LBB347_164
; %bb.149:                              ;   in Loop: Header=BB347_133 Depth=2
	v_sub_f32_e32 v11, v40, v10
	v_and_b32_e32 v12, 0x7fffffff, v11
	v_lshrrev_b32_e32 v3, 23, v12
	v_and_b32_e32 v40, 0x7fffff, v12
	v_cmp_nlt_f32_e64 s[40:41], |v11|, s51
	v_add_u32_e32 v44, 0xffffff88, v3
	v_or_b32_e32 v43, 0x800000, v40
                                        ; implicit-def: $vgpr41
                                        ; implicit-def: $vgpr40
	s_and_saveexec_b64 s[8:9], s[40:41]
	s_xor_b64 s[42:43], exec, s[8:9]
	s_cbranch_execz .LBB347_151
; %bb.150:                              ;   in Loop: Header=BB347_133 Depth=2
	v_mad_u64_u32 v[40:41], s[8:9], v43, s53, 0
	v_cmp_lt_u32_e32 vcc, 63, v44
	v_mov_b32_e32 v3, v41
	v_mad_u64_u32 v[45:46], s[8:9], v43, s54, v[3:4]
	v_mov_b32_e32 v3, v46
	v_mad_u64_u32 v[46:47], s[8:9], v43, s55, v[3:4]
	;; [unrolled: 2-line block ×3, first 2 shown]
	v_cndmask_b32_e32 v3, 0, v27, vcc
	v_add_u32_e32 v41, v3, v44
	v_mov_b32_e32 v3, v48
	v_mad_u64_u32 v[48:49], s[8:9], v43, s57, v[3:4]
	v_cmp_lt_u32_e64 s[8:9], 31, v41
	v_cndmask_b32_e64 v3, 0, v28, s[8:9]
	v_add_u32_e32 v41, v3, v41
	v_mov_b32_e32 v3, v49
	v_mad_u64_u32 v[49:50], s[10:11], v43, s58, v[3:4]
	v_cmp_lt_u32_e64 s[10:11], 31, v41
	v_cndmask_b32_e64 v3, 0, v28, s[10:11]
	v_add_u32_e32 v41, v3, v41
	v_mov_b32_e32 v3, v50
	v_mad_u64_u32 v[50:51], s[12:13], v43, s59, v[3:4]
	v_cndmask_b32_e32 v3, v48, v46, vcc
	v_cndmask_b32_e32 v52, v49, v47, vcc
	;; [unrolled: 1-line block ×4, first 2 shown]
	v_cndmask_b32_e64 v53, v52, v3, s[8:9]
	v_cndmask_b32_e64 v50, v48, v52, s[8:9]
	;; [unrolled: 1-line block ×3, first 2 shown]
	v_cndmask_b32_e32 v45, v47, v45, vcc
	v_cndmask_b32_e64 v48, v48, v50, s[10:11]
	v_cndmask_b32_e64 v49, v50, v53, s[10:11]
	v_sub_u32_e32 v50, 32, v41
	v_cndmask_b32_e64 v3, v3, v45, s[8:9]
	v_alignbit_b32 v51, v48, v49, v50
	v_cmp_eq_u32_e64 s[12:13], 0, v41
	v_cndmask_b32_e64 v47, v53, v3, s[10:11]
	v_cndmask_b32_e64 v41, v51, v48, s[12:13]
	v_alignbit_b32 v48, v49, v47, v50
	v_cndmask_b32_e32 v40, v46, v40, vcc
	v_cndmask_b32_e64 v48, v48, v49, s[12:13]
	v_bfe_u32 v52, v41, 29, 1
	v_cndmask_b32_e64 v40, v45, v40, s[8:9]
	v_alignbit_b32 v49, v41, v48, 30
	v_sub_u32_e32 v53, 0, v52
	v_cndmask_b32_e64 v3, v3, v40, s[10:11]
	v_xor_b32_e32 v49, v49, v53
	v_alignbit_b32 v40, v47, v3, v50
	v_cndmask_b32_e64 v40, v40, v47, s[12:13]
	v_ffbh_u32_e32 v46, v49
	v_alignbit_b32 v45, v48, v40, 30
	v_min_u32_e32 v46, 32, v46
	v_alignbit_b32 v3, v40, v3, 30
	v_xor_b32_e32 v45, v45, v53
	v_sub_u32_e32 v47, 31, v46
	v_xor_b32_e32 v3, v3, v53
	v_alignbit_b32 v48, v49, v45, v47
	v_alignbit_b32 v3, v45, v3, v47
	;; [unrolled: 1-line block ×3, first 2 shown]
	v_ffbh_u32_e32 v45, v40
	v_min_u32_e32 v45, 32, v45
	v_lshrrev_b32_e32 v51, 29, v41
	v_not_b32_e32 v47, v45
	v_alignbit_b32 v3, v40, v3, v47
	v_lshlrev_b32_e32 v40, 31, v51
	v_or_b32_e32 v47, 0x33000000, v40
	v_add_lshl_u32 v45, v45, v46, 23
	v_lshrrev_b32_e32 v3, 9, v3
	v_sub_u32_e32 v45, v47, v45
	v_or_b32_e32 v40, 0.5, v40
	v_lshlrev_b32_e32 v46, 23, v46
	v_or_b32_e32 v3, v45, v3
	v_lshrrev_b32_e32 v45, 9, v48
	v_sub_u32_e32 v40, v40, v46
	v_or_b32_e32 v40, v45, v40
	v_mul_f32_e32 v45, 0x3fc90fda, v40
	v_fma_f32 v46, v40, s60, -v45
	v_fmac_f32_e32 v46, 0x33a22168, v40
	v_fmac_f32_e32 v46, 0x3fc90fda, v3
	v_lshrrev_b32_e32 v3, 30, v41
	v_add_f32_e32 v40, v45, v46
	v_add_u32_e32 v41, v52, v3
.LBB347_151:                            ;   in Loop: Header=BB347_133 Depth=2
	s_or_saveexec_b64 s[8:9], s[42:43]
	v_mul_f32_e64 v3, |v11|, s61
	v_rndne_f32_e32 v46, v3
	s_xor_b64 exec, exec, s[8:9]
; %bb.152:                              ;   in Loop: Header=BB347_133 Depth=2
	v_cvt_i32_f32_e32 v41, v46
	v_fma_f32 v40, v46, s62, |v11|
	v_fmac_f32_e32 v40, 0xb3a22168, v46
	v_fmac_f32_e32 v40, 0xa7c234c4, v46
; %bb.153:                              ;   in Loop: Header=BB347_133 Depth=2
	s_or_b64 exec, exec, s[8:9]
                                        ; implicit-def: $vgpr3
                                        ; implicit-def: $vgpr45
	s_and_saveexec_b64 s[8:9], s[40:41]
	s_xor_b64 s[40:41], exec, s[8:9]
	s_cbranch_execz .LBB347_155
; %bb.154:                              ;   in Loop: Header=BB347_133 Depth=2
	v_mad_u64_u32 v[45:46], s[8:9], v43, s53, 0
	v_cmp_lt_u32_e32 vcc, 63, v44
	v_mov_b32_e32 v3, v46
	v_mad_u64_u32 v[46:47], s[8:9], v43, s54, v[3:4]
	v_mov_b32_e32 v3, v47
	v_mad_u64_u32 v[47:48], s[8:9], v43, s55, v[3:4]
	;; [unrolled: 2-line block ×3, first 2 shown]
	v_cndmask_b32_e32 v3, 0, v27, vcc
	v_add_u32_e32 v44, v3, v44
	v_mov_b32_e32 v3, v49
	v_mad_u64_u32 v[49:50], s[8:9], v43, s57, v[3:4]
	v_cmp_lt_u32_e64 s[8:9], 31, v44
	v_cndmask_b32_e64 v3, 0, v28, s[8:9]
	v_add_u32_e32 v44, v3, v44
	v_mov_b32_e32 v3, v50
	v_mad_u64_u32 v[50:51], s[10:11], v43, s58, v[3:4]
	v_cmp_lt_u32_e64 s[10:11], 31, v44
	v_cndmask_b32_e64 v3, 0, v28, s[10:11]
	v_add_u32_e32 v52, v3, v44
	v_mov_b32_e32 v3, v51
	v_mad_u64_u32 v[43:44], s[12:13], v43, s59, v[3:4]
	v_cndmask_b32_e32 v3, v49, v47, vcc
	v_cndmask_b32_e32 v51, v50, v48, vcc
	;; [unrolled: 1-line block ×4, first 2 shown]
	v_cndmask_b32_e64 v53, v51, v3, s[8:9]
	v_cndmask_b32_e64 v49, v43, v51, s[8:9]
	;; [unrolled: 1-line block ×3, first 2 shown]
	v_cndmask_b32_e32 v46, v48, v46, vcc
	v_cndmask_b32_e64 v43, v43, v49, s[10:11]
	v_cndmask_b32_e64 v44, v49, v53, s[10:11]
	v_sub_u32_e32 v49, 32, v52
	v_cndmask_b32_e64 v3, v3, v46, s[8:9]
	v_alignbit_b32 v50, v43, v44, v49
	v_cmp_eq_u32_e64 s[12:13], 0, v52
	v_cndmask_b32_e64 v48, v53, v3, s[10:11]
	v_cndmask_b32_e64 v43, v50, v43, s[12:13]
	v_alignbit_b32 v50, v44, v48, v49
	v_cndmask_b32_e32 v45, v47, v45, vcc
	v_cndmask_b32_e64 v44, v50, v44, s[12:13]
	v_bfe_u32 v52, v43, 29, 1
	v_cndmask_b32_e64 v45, v46, v45, s[8:9]
	v_alignbit_b32 v50, v43, v44, 30
	v_sub_u32_e32 v53, 0, v52
	v_cndmask_b32_e64 v3, v3, v45, s[10:11]
	v_xor_b32_e32 v50, v50, v53
	v_alignbit_b32 v45, v48, v3, v49
	v_cndmask_b32_e64 v45, v45, v48, s[12:13]
	v_ffbh_u32_e32 v46, v50
	v_alignbit_b32 v44, v44, v45, 30
	v_min_u32_e32 v46, 32, v46
	v_alignbit_b32 v3, v45, v3, 30
	v_xor_b32_e32 v44, v44, v53
	v_sub_u32_e32 v47, 31, v46
	v_xor_b32_e32 v3, v3, v53
	v_alignbit_b32 v48, v50, v44, v47
	v_alignbit_b32 v3, v44, v3, v47
	;; [unrolled: 1-line block ×3, first 2 shown]
	v_ffbh_u32_e32 v45, v44
	v_min_u32_e32 v45, 32, v45
	v_lshrrev_b32_e32 v51, 29, v43
	v_not_b32_e32 v47, v45
	v_alignbit_b32 v3, v44, v3, v47
	v_lshlrev_b32_e32 v44, 31, v51
	v_or_b32_e32 v47, 0x33000000, v44
	v_add_lshl_u32 v45, v45, v46, 23
	v_lshrrev_b32_e32 v3, 9, v3
	v_sub_u32_e32 v45, v47, v45
	v_or_b32_e32 v44, 0.5, v44
	v_lshlrev_b32_e32 v46, 23, v46
	v_or_b32_e32 v3, v45, v3
	v_lshrrev_b32_e32 v45, 9, v48
	v_sub_u32_e32 v44, v44, v46
	v_or_b32_e32 v44, v45, v44
	v_mul_f32_e32 v45, 0x3fc90fda, v44
	v_fma_f32 v46, v44, s60, -v45
	v_fmac_f32_e32 v46, 0x33a22168, v44
	v_fmac_f32_e32 v46, 0x3fc90fda, v3
	v_lshrrev_b32_e32 v3, 30, v43
	v_add_f32_e32 v45, v45, v46
	v_add_u32_e32 v3, v52, v3
                                        ; implicit-def: $vgpr46
	s_andn2_saveexec_b64 s[8:9], s[40:41]
	s_cbranch_execnz .LBB347_156
	s_branch .LBB347_157
.LBB347_155:                            ;   in Loop: Header=BB347_133 Depth=2
	s_andn2_saveexec_b64 s[8:9], s[40:41]
.LBB347_156:                            ;   in Loop: Header=BB347_133 Depth=2
	v_cvt_i32_f32_e32 v3, v46
	v_fma_f32 v45, v46, s62, |v11|
	v_fmac_f32_e32 v45, 0xb3a22168, v46
	v_fmac_f32_e32 v45, 0xa7c234c4, v46
.LBB347_157:                            ;   in Loop: Header=BB347_133 Depth=2
	s_or_b64 exec, exec, s[8:9]
	v_sub_f32_e32 v42, v42, v9
	v_mul_f32_e32 v43, 0x3fb8aa3b, v42
	v_fma_f32 v44, v42, s63, -v43
	v_rndne_f32_e32 v46, v43
	v_fmac_f32_e32 v44, 0x32a5705f, v42
	v_sub_f32_e32 v43, v43, v46
	v_add_f32_e32 v43, v43, v44
	v_cvt_i32_f32_e32 v44, v46
	v_exp_f32_e32 v43, v43
	v_mov_b32_e32 v46, 0xbab64f3b
	v_mov_b32_e32 v47, 0x3c0881c4
	v_cmp_ngt_f32_e32 vcc, s64, v42
	v_ldexp_f32 v43, v43, v44
	v_mul_f32_e32 v44, v40, v40
	v_fmac_f32_e32 v46, 0x37d75334, v44
	v_fma_f32 v46, v44, v46, v17
	v_fmac_f32_e32 v47, 0xb94c1982, v44
	v_cndmask_b32_e32 v43, 0, v43, vcc
	v_cmp_nlt_f32_e32 vcc, s65, v42
	v_fma_f32 v46, v44, v46, v18
	v_fma_f32 v47, v44, v47, v19
	v_cndmask_b32_e32 v42, v29, v43, vcc
	v_lshlrev_b32_e32 v43, 30, v41
	v_and_b32_e32 v41, 1, v41
	v_fma_f32 v46, v44, v46, 1.0
	v_mul_f32_e32 v44, v44, v47
	v_fmac_f32_e32 v40, v40, v44
	v_cmp_eq_u32_e32 vcc, 0, v41
	v_and_b32_e32 v43, 0x80000000, v43
	v_cndmask_b32_e64 v40, -v40, v46, vcc
	v_xor_b32_e32 v40, v43, v40
	v_mul_f32_e32 v43, v45, v45
	v_mov_b32_e32 v44, 0x3c0881c4
	v_fmac_f32_e32 v44, 0xb94c1982, v43
	v_fma_f32 v44, v43, v44, v19
	v_mul_f32_e32 v44, v43, v44
	v_fmac_f32_e32 v45, v45, v44
	v_mov_b32_e32 v44, 0xbab64f3b
	v_fmac_f32_e32 v44, 0x37d75334, v43
	v_fma_f32 v44, v43, v44, v17
	v_fma_f32 v44, v43, v44, v18
	v_fma_f32 v43, v43, v44, 1.0
	v_and_b32_e32 v44, 1, v3
	v_lshlrev_b32_e32 v3, 30, v3
	v_cmp_class_f32_e64 vcc, v11, s49
	v_cmp_eq_u32_e64 s[8:9], 0, v44
	v_and_b32_e32 v3, 0x80000000, v3
	v_xor_b32_e32 v11, v12, v11
	v_cndmask_b32_e64 v43, v43, v45, s[8:9]
	v_xor_b32_e32 v3, v11, v3
	v_xor_b32_e32 v3, v3, v43
	v_cndmask_b32_e32 v40, v30, v40, vcc
	v_cndmask_b32_e32 v3, v30, v3, vcc
	v_mul_f32_e32 v41, v42, v40
	v_mul_f32_e32 v3, v42, v3
	v_max_f32_e64 v43, |v41|, |v3|
	v_cvt_f64_f32_e32 v[11:12], v43
	v_cmp_eq_f32_e32 vcc, s66, v43
	v_frexp_exp_i32_f64_e32 v11, v[11:12]
	v_sub_u32_e32 v12, 0, v11
	v_ldexp_f32 v44, |v41|, v12
	v_ldexp_f32 v12, |v3|, v12
	v_mul_f32_e32 v12, v12, v12
	v_fmac_f32_e32 v12, v44, v44
	v_sqrt_f32_e32 v12, v12
	v_ldexp_f32 v44, v12, v11
	v_fma_f32 v11, v42, v40, 1.0
	v_cmp_ngt_f32_e64 s[8:9], 0.5, v44
	v_max_f32_e64 v12, |v11|, |v3|
	s_or_b64 s[8:9], vcc, s[8:9]
	s_and_saveexec_b64 s[10:11], s[8:9]
	s_xor_b64 s[10:11], exec, s[10:11]
	s_cbranch_execz .LBB347_159
; %bb.158:                              ;   in Loop: Header=BB347_133 Depth=2
	v_cvt_f64_f32_e32 v[40:41], v12
	v_cmp_neq_f32_e32 vcc, s66, v12
	v_frexp_exp_i32_f64_e32 v40, v[40:41]
	v_sub_u32_e32 v41, 0, v40
	v_ldexp_f32 v42, |v11|, v41
	v_ldexp_f32 v41, |v3|, v41
	v_mul_f32_e32 v41, v41, v41
	v_fmac_f32_e32 v41, v42, v42
	v_sqrt_f32_e32 v41, v41
	v_ldexp_f32 v40, v41, v40
	v_cndmask_b32_e32 v40, v29, v40, vcc
	v_cmp_gt_f32_e32 vcc, s52, v40
	v_cndmask_b32_e64 v41, 0, 32, vcc
	v_ldexp_f32 v40, v40, v41
	v_log_f32_e32 v40, v40
	v_mul_f32_e32 v41, 0x3f317217, v40
	v_fma_f32 v41, v40, s67, -v41
	v_fmac_f32_e32 v41, 0x3377d1cf, v40
	v_fmac_f32_e32 v41, 0x3f317217, v40
	v_cmp_lt_f32_e64 s[8:9], |v40|, s66
	v_cndmask_b32_e64 v40, v40, v41, s[8:9]
	v_cndmask_b32_e32 v41, 0, v31, vcc
	v_sub_f32_e32 v41, v40, v41
.LBB347_159:                            ;   in Loop: Header=BB347_133 Depth=2
	s_andn2_saveexec_b64 s[8:9], s[10:11]
	s_cbranch_execz .LBB347_163
; %bb.160:                              ;   in Loop: Header=BB347_133 Depth=2
	v_add_f32_e32 v42, 2.0, v41
	v_mul_f32_e32 v40, v3, v3
	v_fmac_f32_e32 v40, v41, v42
	v_cmp_neq_f32_e32 vcc, 0, v40
	s_and_saveexec_b64 s[10:11], vcc
	s_cbranch_execz .LBB347_162
; %bb.161:                              ;   in Loop: Header=BB347_133 Depth=2
	v_add_f32_e32 v43, 1.0, v40
	v_cvt_f64_f32_e32 v[41:42], v43
	v_add_f32_e32 v44, -1.0, v43
	v_sub_f32_e32 v45, v44, v43
	v_sub_f32_e32 v44, v40, v44
	v_frexp_exp_i32_f64_e32 v41, v[41:42]
	v_frexp_mant_f32_e32 v42, v43
	v_cmp_gt_f32_e32 vcc, s68, v42
	v_add_f32_e32 v45, 1.0, v45
	v_add_f32_e32 v44, v44, v45
	v_subbrev_co_u32_e32 v41, vcc, 0, v41, vcc
	v_sub_u32_e32 v42, 0, v41
	v_ldexp_f32 v43, v43, v42
	v_ldexp_f32 v42, v44, v42
	v_add_f32_e32 v44, -1.0, v43
	v_add_f32_e32 v45, 1.0, v43
	v_add_f32_e32 v46, 1.0, v44
	v_add_f32_e32 v48, -1.0, v45
	v_sub_f32_e32 v46, v43, v46
	v_sub_f32_e32 v43, v43, v48
	v_add_f32_e32 v46, v42, v46
	v_add_f32_e32 v42, v42, v43
	;; [unrolled: 1-line block ×3, first 2 shown]
	v_rcp_f32_e32 v48, v43
	v_add_f32_e32 v47, v44, v46
	v_sub_f32_e32 v45, v43, v45
	v_sub_f32_e32 v44, v47, v44
	;; [unrolled: 1-line block ×3, first 2 shown]
	v_mul_f32_e32 v45, v47, v48
	v_sub_f32_e32 v44, v46, v44
	v_mul_f32_e32 v46, v43, v45
	v_fma_f32 v49, v45, v43, -v46
	v_fmac_f32_e32 v49, v45, v42
	v_add_f32_e32 v50, v46, v49
	v_sub_f32_e32 v51, v47, v50
	v_sub_f32_e32 v47, v47, v51
	;; [unrolled: 1-line block ×4, first 2 shown]
	v_add_f32_e32 v44, v44, v47
	v_sub_f32_e32 v46, v46, v49
	v_add_f32_e32 v44, v46, v44
	v_add_f32_e32 v46, v51, v44
	v_mul_f32_e32 v47, v48, v46
	v_mul_f32_e32 v49, v43, v47
	v_fma_f32 v43, v47, v43, -v49
	v_fmac_f32_e32 v43, v47, v42
	v_sub_f32_e32 v42, v51, v46
	v_add_f32_e32 v42, v44, v42
	v_add_f32_e32 v44, v49, v43
	v_sub_f32_e32 v50, v46, v44
	v_sub_f32_e32 v46, v46, v50
	;; [unrolled: 1-line block ×4, first 2 shown]
	v_add_f32_e32 v42, v42, v44
	v_sub_f32_e32 v43, v49, v43
	v_cvt_f32_i32_e32 v41, v41
	v_add_f32_e32 v42, v43, v42
	v_add_f32_e32 v43, v45, v47
	;; [unrolled: 1-line block ×3, first 2 shown]
	v_sub_f32_e32 v44, v43, v45
	v_mul_f32_e32 v42, v48, v42
	v_sub_f32_e32 v44, v47, v44
	v_add_f32_e32 v42, v44, v42
	v_mul_f32_e32 v47, 0x3f317218, v41
	v_add_f32_e32 v44, v43, v42
	v_fma_f32 v48, v41, s69, -v47
	v_mul_f32_e32 v45, v44, v44
	v_mov_b32_e32 v46, 0x3ecc95a3
	v_fmac_f32_e32 v48, 0xb102e308, v41
	v_sub_f32_e32 v41, v44, v43
	v_fmac_f32_e32 v46, 0x3e9b6dac, v45
	v_sub_f32_e32 v41, v42, v41
	v_add_f32_e32 v42, v47, v48
	v_fma_f32 v46, v45, v46, v20
	v_sub_f32_e32 v43, v42, v47
	v_ldexp_f32 v47, v44, 1
	v_mul_f32_e32 v44, v44, v45
	v_mul_f32_e32 v44, v44, v46
	v_add_f32_e32 v45, v47, v44
	v_sub_f32_e32 v46, v45, v47
	v_ldexp_f32 v41, v41, 1
	v_sub_f32_e32 v44, v44, v46
	v_add_f32_e32 v41, v41, v44
	v_add_f32_e32 v44, v45, v41
	v_sub_f32_e32 v45, v44, v45
	v_sub_f32_e32 v41, v41, v45
	v_add_f32_e32 v45, v42, v44
	v_sub_f32_e32 v46, v45, v42
	v_sub_f32_e32 v47, v45, v46
	;; [unrolled: 1-line block ×5, first 2 shown]
	v_add_f32_e32 v42, v44, v42
	v_add_f32_e32 v44, v43, v41
	v_sub_f32_e32 v46, v44, v43
	v_sub_f32_e32 v47, v44, v46
	;; [unrolled: 1-line block ×4, first 2 shown]
	v_add_f32_e32 v42, v44, v42
	v_add_f32_e32 v41, v41, v43
	;; [unrolled: 1-line block ×3, first 2 shown]
	v_sub_f32_e32 v44, v43, v45
	v_sub_f32_e32 v42, v42, v44
	v_add_f32_e32 v41, v41, v42
	v_add_f32_e32 v41, v43, v41
	v_cmp_neq_f32_e32 vcc, s66, v40
	v_cndmask_b32_e32 v41, v29, v41, vcc
	v_cmp_ngt_f32_e32 vcc, -1.0, v40
	v_cndmask_b32_e32 v41, v30, v41, vcc
	v_cmp_neq_f32_e32 vcc, -1.0, v40
	v_cndmask_b32_e32 v41, v32, v41, vcc
	v_cmp_lt_f32_e64 vcc, |v40|, s70
	v_cndmask_b32_e32 v40, v41, v40, vcc
	v_mul_f32_e32 v41, 0.5, v40
.LBB347_162:                            ;   in Loop: Header=BB347_133 Depth=2
	s_or_b64 exec, exec, s[10:11]
.LBB347_163:                            ;   in Loop: Header=BB347_133 Depth=2
	s_or_b64 exec, exec, s[8:9]
	v_max_f32_e64 v43, |v3|, |v3|
	v_max_f32_e64 v44, |v11|, |v11|
	v_min_f32_e32 v43, v44, v43
	v_frexp_mant_f32_e32 v44, v12
	v_rcp_f32_e32 v44, v44
	v_frexp_exp_i32_f32_e32 v12, v12
	v_frexp_exp_i32_f32_e32 v45, v43
	v_frexp_mant_f32_e32 v43, v43
	v_mul_f32_e32 v43, v43, v44
	v_sub_u32_e32 v12, v45, v12
	v_ldexp_f32 v12, v43, v12
	v_mul_f32_e32 v43, v12, v12
	v_mov_b32_e32 v44, 0xbc7a590c
	v_fmac_f32_e32 v44, 0x3b2d2a58, v43
	v_fma_f32 v44, v43, v44, v21
	v_fma_f32 v44, v43, v44, v22
	v_fma_f32 v44, v43, v44, v23
	v_fma_f32 v44, v43, v44, v24
	v_fma_f32 v44, v43, v44, v25
	v_fma_f32 v44, v43, v44, v26
	v_mul_f32_e32 v43, v43, v44
	v_cmp_gt_i32_e64 s[8:9], 0, v11
	v_fmac_f32_e32 v12, v12, v43
	v_cndmask_b32_e64 v42, 0, v35, s[8:9]
	v_sub_f32_e32 v43, 0x3fc90fdb, v12
	v_cmp_gt_f32_e64 s[8:9], |v3|, |v11|
	v_cndmask_b32_e64 v12, v12, v43, s[8:9]
	v_cmp_gt_f32_e32 vcc, 0, v11
	v_sub_f32_e32 v43, 0x40490fdb, v12
	v_cmp_class_f32_e64 s[10:11], v3, s71
	v_cmp_class_f32_e64 s[12:13], v11, s71
	v_cndmask_b32_e32 v40, v33, v34, vcc
	v_cndmask_b32_e32 v12, v12, v43, vcc
	v_cmp_eq_f32_e32 vcc, 0, v3
	v_cndmask_b32_e32 v12, v12, v42, vcc
	s_and_b64 vcc, s[12:13], s[10:11]
	v_cndmask_b32_e32 v12, v12, v40, vcc
	v_cmp_o_f32_e32 vcc, v11, v3
	v_cndmask_b32_e32 v11, v30, v12, vcc
	v_bfi_b32 v3, s50, v11, v3
	v_add_f32_e32 v42, v9, v41
	v_add_f32_e32 v40, v10, v3
                                        ; implicit-def: $vgpr41
                                        ; implicit-def: $vgpr10
.LBB347_164:                            ;   in Loop: Header=BB347_133 Depth=2
	s_andn2_saveexec_b64 s[38:39], s[38:39]
	s_cbranch_execz .LBB347_190
; %bb.165:                              ;   in Loop: Header=BB347_133 Depth=2
	v_cmp_ngt_f32_e32 vcc, 0, v42
	s_and_saveexec_b64 s[40:41], vcc
	s_cbranch_execz .LBB347_189
; %bb.166:                              ;   in Loop: Header=BB347_133 Depth=2
	v_and_b32_e32 v9, 0x7fffffff, v40
	v_lshrrev_b32_e32 v3, 23, v9
	v_and_b32_e32 v11, 0x7fffff, v9
	v_cmp_nlt_f32_e64 s[42:43], |v40|, s51
	v_add_u32_e32 v45, 0xffffff88, v3
	v_or_b32_e32 v44, 0x800000, v11
                                        ; implicit-def: $vgpr12
                                        ; implicit-def: $vgpr11
	s_and_saveexec_b64 s[8:9], s[42:43]
	s_xor_b64 s[44:45], exec, s[8:9]
	s_cbranch_execz .LBB347_168
; %bb.167:                              ;   in Loop: Header=BB347_133 Depth=2
	v_mad_u64_u32 v[11:12], s[8:9], v44, s53, 0
	v_cmp_lt_u32_e32 vcc, 63, v45
	v_mov_b32_e32 v3, v12
	v_mad_u64_u32 v[42:43], s[8:9], v44, s54, v[3:4]
	v_mov_b32_e32 v3, v43
	v_mad_u64_u32 v[46:47], s[8:9], v44, s55, v[3:4]
	v_mov_b32_e32 v3, v47
	v_mad_u64_u32 v[47:48], s[8:9], v44, s56, v[3:4]
	v_cndmask_b32_e32 v3, 0, v27, vcc
	v_add_u32_e32 v12, v3, v45
	v_mov_b32_e32 v3, v48
	v_mad_u64_u32 v[48:49], s[8:9], v44, s57, v[3:4]
	v_cmp_lt_u32_e64 s[8:9], 31, v12
	v_cndmask_b32_e64 v3, 0, v28, s[8:9]
	v_add_u32_e32 v12, v3, v12
	v_mov_b32_e32 v3, v49
	v_mad_u64_u32 v[49:50], s[10:11], v44, s58, v[3:4]
	v_cmp_lt_u32_e64 s[10:11], 31, v12
	v_cndmask_b32_e64 v3, 0, v28, s[10:11]
	v_add_u32_e32 v12, v3, v12
	v_mov_b32_e32 v3, v50
	v_mad_u64_u32 v[50:51], s[12:13], v44, s59, v[3:4]
	v_cndmask_b32_e32 v3, v48, v46, vcc
	v_cndmask_b32_e32 v43, v49, v47, vcc
	;; [unrolled: 1-line block ×4, first 2 shown]
	v_cndmask_b32_e64 v52, v43, v3, s[8:9]
	v_cndmask_b32_e64 v43, v48, v43, s[8:9]
	;; [unrolled: 1-line block ×3, first 2 shown]
	v_cndmask_b32_e32 v42, v47, v42, vcc
	v_cndmask_b32_e64 v48, v48, v43, s[10:11]
	v_cndmask_b32_e64 v43, v43, v52, s[10:11]
	v_sub_u32_e32 v49, 32, v12
	v_cndmask_b32_e64 v3, v3, v42, s[8:9]
	v_alignbit_b32 v50, v48, v43, v49
	v_cmp_eq_u32_e64 s[12:13], 0, v12
	v_cndmask_b32_e64 v47, v52, v3, s[10:11]
	v_cndmask_b32_e32 v11, v46, v11, vcc
	v_cndmask_b32_e64 v12, v50, v48, s[12:13]
	v_alignbit_b32 v48, v43, v47, v49
	v_cndmask_b32_e64 v11, v42, v11, s[8:9]
	v_cndmask_b32_e64 v43, v48, v43, s[12:13]
	v_bfe_u32 v51, v12, 29, 1
	v_cndmask_b32_e64 v3, v3, v11, s[10:11]
	v_alignbit_b32 v48, v12, v43, 30
	v_sub_u32_e32 v52, 0, v51
	v_alignbit_b32 v11, v47, v3, v49
	v_xor_b32_e32 v48, v48, v52
	v_cndmask_b32_e64 v11, v11, v47, s[12:13]
	v_alignbit_b32 v42, v43, v11, 30
	v_ffbh_u32_e32 v43, v48
	v_min_u32_e32 v43, 32, v43
	v_alignbit_b32 v3, v11, v3, 30
	v_xor_b32_e32 v42, v42, v52
	v_sub_u32_e32 v46, 31, v43
	v_xor_b32_e32 v3, v3, v52
	v_alignbit_b32 v47, v48, v42, v46
	v_alignbit_b32 v3, v42, v3, v46
	;; [unrolled: 1-line block ×3, first 2 shown]
	v_ffbh_u32_e32 v42, v11
	v_min_u32_e32 v42, 32, v42
	v_lshrrev_b32_e32 v50, 29, v12
	v_not_b32_e32 v46, v42
	v_alignbit_b32 v3, v11, v3, v46
	v_lshlrev_b32_e32 v11, 31, v50
	v_or_b32_e32 v46, 0x33000000, v11
	v_add_lshl_u32 v42, v42, v43, 23
	v_lshrrev_b32_e32 v3, 9, v3
	v_sub_u32_e32 v42, v46, v42
	v_or_b32_e32 v11, 0.5, v11
	v_lshlrev_b32_e32 v43, 23, v43
	v_or_b32_e32 v3, v42, v3
	v_lshrrev_b32_e32 v42, 9, v47
	v_sub_u32_e32 v11, v11, v43
	v_or_b32_e32 v11, v42, v11
	v_mul_f32_e32 v42, 0x3fc90fda, v11
	v_fma_f32 v43, v11, s60, -v42
	v_fmac_f32_e32 v43, 0x33a22168, v11
	v_fmac_f32_e32 v43, 0x3fc90fda, v3
	v_lshrrev_b32_e32 v3, 30, v12
	v_add_f32_e32 v11, v42, v43
	v_add_u32_e32 v12, v51, v3
.LBB347_168:                            ;   in Loop: Header=BB347_133 Depth=2
	s_or_saveexec_b64 s[8:9], s[44:45]
	v_mul_f32_e64 v3, |v40|, s61
	v_rndne_f32_e32 v3, v3
	s_xor_b64 exec, exec, s[8:9]
; %bb.169:                              ;   in Loop: Header=BB347_133 Depth=2
	v_cvt_i32_f32_e32 v12, v3
	v_fma_f32 v11, v3, s62, |v40|
	v_fmac_f32_e32 v11, 0xb3a22168, v3
	v_fmac_f32_e32 v11, 0xa7c234c4, v3
; %bb.170:                              ;   in Loop: Header=BB347_133 Depth=2
	s_or_b64 exec, exec, s[8:9]
                                        ; implicit-def: $vgpr42
                                        ; implicit-def: $vgpr43
	s_and_saveexec_b64 s[8:9], s[42:43]
	s_xor_b64 s[42:43], exec, s[8:9]
	s_cbranch_execz .LBB347_172
; %bb.171:                              ;   in Loop: Header=BB347_133 Depth=2
	v_mad_u64_u32 v[42:43], s[8:9], v44, s53, 0
	v_cmp_lt_u32_e32 vcc, 63, v45
	v_mov_b32_e32 v3, v43
	v_mad_u64_u32 v[46:47], s[8:9], v44, s54, v[3:4]
	v_mov_b32_e32 v3, v47
	v_mad_u64_u32 v[47:48], s[8:9], v44, s55, v[3:4]
	;; [unrolled: 2-line block ×3, first 2 shown]
	v_cndmask_b32_e32 v3, 0, v27, vcc
	v_add_u32_e32 v43, v3, v45
	v_mov_b32_e32 v3, v49
	v_mad_u64_u32 v[49:50], s[8:9], v44, s57, v[3:4]
	v_cmp_lt_u32_e64 s[8:9], 31, v43
	v_cndmask_b32_e64 v3, 0, v28, s[8:9]
	v_add_u32_e32 v43, v3, v43
	v_mov_b32_e32 v3, v50
	v_mad_u64_u32 v[50:51], s[10:11], v44, s58, v[3:4]
	v_cmp_lt_u32_e64 s[10:11], 31, v43
	v_cndmask_b32_e64 v3, 0, v28, s[10:11]
	v_add_u32_e32 v45, v3, v43
	v_mov_b32_e32 v3, v51
	v_mad_u64_u32 v[43:44], s[12:13], v44, s59, v[3:4]
	v_cndmask_b32_e32 v3, v49, v47, vcc
	v_cndmask_b32_e32 v51, v50, v48, vcc
	;; [unrolled: 1-line block ×4, first 2 shown]
	v_cndmask_b32_e64 v52, v51, v3, s[8:9]
	v_cndmask_b32_e64 v49, v43, v51, s[8:9]
	;; [unrolled: 1-line block ×5, first 2 shown]
	v_sub_u32_e32 v49, 32, v45
	v_alignbit_b32 v50, v43, v44, v49
	v_cmp_eq_u32_e64 s[12:13], 0, v45
	v_cndmask_b32_e64 v45, v50, v43, s[12:13]
	v_cndmask_b32_e32 v43, v48, v46, vcc
	v_cndmask_b32_e64 v3, v3, v43, s[8:9]
	v_cndmask_b32_e64 v46, v52, v3, s[10:11]
	v_cndmask_b32_e32 v42, v47, v42, vcc
	v_alignbit_b32 v48, v44, v46, v49
	v_cndmask_b32_e64 v42, v43, v42, s[8:9]
	v_cndmask_b32_e64 v44, v48, v44, s[12:13]
	v_bfe_u32 v51, v45, 29, 1
	v_cndmask_b32_e64 v3, v3, v42, s[10:11]
	v_alignbit_b32 v48, v45, v44, 30
	v_sub_u32_e32 v52, 0, v51
	v_alignbit_b32 v42, v46, v3, v49
	v_xor_b32_e32 v48, v48, v52
	v_cndmask_b32_e64 v42, v42, v46, s[12:13]
	v_alignbit_b32 v43, v44, v42, 30
	v_ffbh_u32_e32 v44, v48
	v_min_u32_e32 v44, 32, v44
	v_alignbit_b32 v3, v42, v3, 30
	v_xor_b32_e32 v43, v43, v52
	v_sub_u32_e32 v46, 31, v44
	v_xor_b32_e32 v3, v3, v52
	v_alignbit_b32 v47, v48, v43, v46
	v_alignbit_b32 v3, v43, v3, v46
	v_alignbit_b32 v42, v47, v3, 9
	v_ffbh_u32_e32 v43, v42
	v_min_u32_e32 v43, 32, v43
	v_lshrrev_b32_e32 v50, 29, v45
	v_not_b32_e32 v46, v43
	v_alignbit_b32 v3, v42, v3, v46
	v_lshlrev_b32_e32 v42, 31, v50
	v_or_b32_e32 v46, 0x33000000, v42
	v_add_lshl_u32 v43, v43, v44, 23
	v_lshrrev_b32_e32 v3, 9, v3
	v_sub_u32_e32 v43, v46, v43
	v_or_b32_e32 v42, 0.5, v42
	v_lshlrev_b32_e32 v44, 23, v44
	v_or_b32_e32 v3, v43, v3
	v_lshrrev_b32_e32 v43, 9, v47
	v_sub_u32_e32 v42, v42, v44
	v_or_b32_e32 v42, v43, v42
	v_mul_f32_e32 v43, 0x3fc90fda, v42
	v_fma_f32 v44, v42, s60, -v43
	v_fmac_f32_e32 v44, 0x33a22168, v42
	v_fmac_f32_e32 v44, 0x3fc90fda, v3
	v_lshrrev_b32_e32 v3, 30, v45
	v_add_f32_e32 v43, v43, v44
	v_add_u32_e32 v42, v51, v3
                                        ; implicit-def: $vgpr3
	s_andn2_saveexec_b64 s[8:9], s[42:43]
	s_cbranch_execnz .LBB347_173
	s_branch .LBB347_174
.LBB347_172:                            ;   in Loop: Header=BB347_133 Depth=2
	s_andn2_saveexec_b64 s[8:9], s[42:43]
.LBB347_173:                            ;   in Loop: Header=BB347_133 Depth=2
	v_cvt_i32_f32_e32 v42, v3
	v_fma_f32 v43, v3, s62, |v40|
	v_fmac_f32_e32 v43, 0xb3a22168, v3
	v_fmac_f32_e32 v43, 0xa7c234c4, v3
.LBB347_174:                            ;   in Loop: Header=BB347_133 Depth=2
	s_or_b64 exec, exec, s[8:9]
	v_and_b32_e32 v44, 0x7fffffff, v10
	v_lshrrev_b32_e32 v3, 23, v44
	v_and_b32_e32 v45, 0x7fffff, v44
	v_cmp_nlt_f32_e64 s[42:43], |v10|, s51
	v_add_u32_e32 v48, 0xffffff88, v3
	v_or_b32_e32 v47, 0x800000, v45
                                        ; implicit-def: $vgpr46
                                        ; implicit-def: $vgpr45
	s_and_saveexec_b64 s[8:9], s[42:43]
	s_xor_b64 s[44:45], exec, s[8:9]
	s_cbranch_execz .LBB347_176
; %bb.175:                              ;   in Loop: Header=BB347_133 Depth=2
	v_mad_u64_u32 v[45:46], s[8:9], v47, s53, 0
	v_cmp_lt_u32_e32 vcc, 63, v48
	v_mov_b32_e32 v3, v46
	v_mad_u64_u32 v[49:50], s[8:9], v47, s54, v[3:4]
	v_mov_b32_e32 v3, v50
	v_mad_u64_u32 v[50:51], s[8:9], v47, s55, v[3:4]
	;; [unrolled: 2-line block ×3, first 2 shown]
	v_cndmask_b32_e32 v3, 0, v27, vcc
	v_add_u32_e32 v46, v3, v48
	v_mov_b32_e32 v3, v52
	v_mad_u64_u32 v[52:53], s[8:9], v47, s57, v[3:4]
	v_cmp_lt_u32_e64 s[8:9], 31, v46
	v_cndmask_b32_e64 v3, 0, v28, s[8:9]
	v_add_u32_e32 v46, v3, v46
	v_mov_b32_e32 v3, v53
	v_mad_u64_u32 v[53:54], s[10:11], v47, s58, v[3:4]
	v_cmp_lt_u32_e64 s[10:11], 31, v46
	v_cndmask_b32_e64 v3, 0, v28, s[10:11]
	v_add_u32_e32 v46, v3, v46
	v_mov_b32_e32 v3, v54
	v_mad_u64_u32 v[54:55], s[12:13], v47, s59, v[3:4]
	v_cndmask_b32_e32 v3, v52, v50, vcc
	v_cndmask_b32_e32 v56, v53, v51, vcc
	v_cndmask_b32_e32 v52, v54, v52, vcc
	v_cndmask_b32_e32 v53, v55, v53, vcc
	v_cndmask_b32_e64 v57, v56, v3, s[8:9]
	v_cndmask_b32_e64 v54, v52, v56, s[8:9]
	;; [unrolled: 1-line block ×3, first 2 shown]
	v_cndmask_b32_e32 v49, v51, v49, vcc
	v_cndmask_b32_e64 v52, v52, v54, s[10:11]
	v_cndmask_b32_e64 v53, v54, v57, s[10:11]
	v_sub_u32_e32 v54, 32, v46
	v_cndmask_b32_e64 v3, v3, v49, s[8:9]
	v_alignbit_b32 v55, v52, v53, v54
	v_cmp_eq_u32_e64 s[12:13], 0, v46
	v_cndmask_b32_e64 v51, v57, v3, s[10:11]
	v_cndmask_b32_e64 v46, v55, v52, s[12:13]
	v_alignbit_b32 v52, v53, v51, v54
	v_cndmask_b32_e32 v45, v50, v45, vcc
	v_cndmask_b32_e64 v52, v52, v53, s[12:13]
	v_bfe_u32 v56, v46, 29, 1
	v_cndmask_b32_e64 v45, v49, v45, s[8:9]
	v_alignbit_b32 v53, v46, v52, 30
	v_sub_u32_e32 v57, 0, v56
	v_cndmask_b32_e64 v3, v3, v45, s[10:11]
	v_xor_b32_e32 v53, v53, v57
	v_alignbit_b32 v45, v51, v3, v54
	v_cndmask_b32_e64 v45, v45, v51, s[12:13]
	v_ffbh_u32_e32 v50, v53
	v_alignbit_b32 v49, v52, v45, 30
	v_min_u32_e32 v50, 32, v50
	v_alignbit_b32 v3, v45, v3, 30
	v_xor_b32_e32 v49, v49, v57
	v_sub_u32_e32 v51, 31, v50
	v_xor_b32_e32 v3, v3, v57
	v_alignbit_b32 v52, v53, v49, v51
	v_alignbit_b32 v3, v49, v3, v51
	;; [unrolled: 1-line block ×3, first 2 shown]
	v_ffbh_u32_e32 v49, v45
	v_min_u32_e32 v49, 32, v49
	v_lshrrev_b32_e32 v55, 29, v46
	v_not_b32_e32 v51, v49
	v_alignbit_b32 v3, v45, v3, v51
	v_lshlrev_b32_e32 v45, 31, v55
	v_or_b32_e32 v51, 0x33000000, v45
	v_add_lshl_u32 v49, v49, v50, 23
	v_lshrrev_b32_e32 v3, 9, v3
	v_sub_u32_e32 v49, v51, v49
	v_or_b32_e32 v45, 0.5, v45
	v_lshlrev_b32_e32 v50, 23, v50
	v_or_b32_e32 v3, v49, v3
	v_lshrrev_b32_e32 v49, 9, v52
	v_sub_u32_e32 v45, v45, v50
	v_or_b32_e32 v45, v49, v45
	v_mul_f32_e32 v49, 0x3fc90fda, v45
	v_fma_f32 v50, v45, s60, -v49
	v_fmac_f32_e32 v50, 0x33a22168, v45
	v_fmac_f32_e32 v50, 0x3fc90fda, v3
	v_lshrrev_b32_e32 v3, 30, v46
	v_add_f32_e32 v45, v49, v50
	v_add_u32_e32 v46, v56, v3
.LBB347_176:                            ;   in Loop: Header=BB347_133 Depth=2
	s_or_saveexec_b64 s[8:9], s[44:45]
	v_mul_f32_e64 v3, |v10|, s61
	v_rndne_f32_e32 v50, v3
	s_xor_b64 exec, exec, s[8:9]
; %bb.177:                              ;   in Loop: Header=BB347_133 Depth=2
	v_cvt_i32_f32_e32 v46, v50
	v_fma_f32 v45, v50, s62, |v10|
	v_fmac_f32_e32 v45, 0xb3a22168, v50
	v_fmac_f32_e32 v45, 0xa7c234c4, v50
; %bb.178:                              ;   in Loop: Header=BB347_133 Depth=2
	s_or_b64 exec, exec, s[8:9]
                                        ; implicit-def: $vgpr3
                                        ; implicit-def: $vgpr49
	s_and_saveexec_b64 s[8:9], s[42:43]
	s_xor_b64 s[42:43], exec, s[8:9]
	s_cbranch_execz .LBB347_180
; %bb.179:                              ;   in Loop: Header=BB347_133 Depth=2
	v_mad_u64_u32 v[49:50], s[8:9], v47, s53, 0
	v_cmp_lt_u32_e32 vcc, 63, v48
	v_mov_b32_e32 v3, v50
	v_mad_u64_u32 v[50:51], s[8:9], v47, s54, v[3:4]
	v_mov_b32_e32 v3, v51
	v_mad_u64_u32 v[51:52], s[8:9], v47, s55, v[3:4]
	;; [unrolled: 2-line block ×3, first 2 shown]
	v_cndmask_b32_e32 v3, 0, v27, vcc
	v_add_u32_e32 v48, v3, v48
	v_mov_b32_e32 v3, v53
	v_mad_u64_u32 v[53:54], s[8:9], v47, s57, v[3:4]
	v_cmp_lt_u32_e64 s[8:9], 31, v48
	v_cndmask_b32_e64 v3, 0, v28, s[8:9]
	v_add_u32_e32 v48, v3, v48
	v_mov_b32_e32 v3, v54
	v_mad_u64_u32 v[54:55], s[10:11], v47, s58, v[3:4]
	v_cmp_lt_u32_e64 s[10:11], 31, v48
	v_cndmask_b32_e64 v3, 0, v28, s[10:11]
	v_add_u32_e32 v56, v3, v48
	v_mov_b32_e32 v3, v55
	v_mad_u64_u32 v[47:48], s[12:13], v47, s59, v[3:4]
	v_cndmask_b32_e32 v3, v53, v51, vcc
	v_cndmask_b32_e32 v55, v54, v52, vcc
	;; [unrolled: 1-line block ×4, first 2 shown]
	v_cndmask_b32_e64 v57, v55, v3, s[8:9]
	v_cndmask_b32_e64 v53, v47, v55, s[8:9]
	;; [unrolled: 1-line block ×3, first 2 shown]
	v_cndmask_b32_e32 v50, v52, v50, vcc
	v_cndmask_b32_e64 v47, v47, v53, s[10:11]
	v_cndmask_b32_e64 v48, v53, v57, s[10:11]
	v_sub_u32_e32 v53, 32, v56
	v_cndmask_b32_e64 v3, v3, v50, s[8:9]
	v_alignbit_b32 v54, v47, v48, v53
	v_cmp_eq_u32_e64 s[12:13], 0, v56
	v_cndmask_b32_e64 v52, v57, v3, s[10:11]
	v_cndmask_b32_e64 v47, v54, v47, s[12:13]
	v_alignbit_b32 v54, v48, v52, v53
	v_cndmask_b32_e32 v49, v51, v49, vcc
	v_cndmask_b32_e64 v48, v54, v48, s[12:13]
	v_bfe_u32 v56, v47, 29, 1
	v_cndmask_b32_e64 v49, v50, v49, s[8:9]
	v_alignbit_b32 v54, v47, v48, 30
	v_sub_u32_e32 v57, 0, v56
	v_cndmask_b32_e64 v3, v3, v49, s[10:11]
	v_xor_b32_e32 v54, v54, v57
	v_alignbit_b32 v49, v52, v3, v53
	v_cndmask_b32_e64 v49, v49, v52, s[12:13]
	v_ffbh_u32_e32 v50, v54
	v_alignbit_b32 v48, v48, v49, 30
	v_min_u32_e32 v50, 32, v50
	v_alignbit_b32 v3, v49, v3, 30
	v_xor_b32_e32 v48, v48, v57
	v_sub_u32_e32 v51, 31, v50
	v_xor_b32_e32 v3, v3, v57
	v_alignbit_b32 v52, v54, v48, v51
	v_alignbit_b32 v3, v48, v3, v51
	;; [unrolled: 1-line block ×3, first 2 shown]
	v_ffbh_u32_e32 v49, v48
	v_min_u32_e32 v49, 32, v49
	v_lshrrev_b32_e32 v55, 29, v47
	v_not_b32_e32 v51, v49
	v_alignbit_b32 v3, v48, v3, v51
	v_lshlrev_b32_e32 v48, 31, v55
	v_or_b32_e32 v51, 0x33000000, v48
	v_add_lshl_u32 v49, v49, v50, 23
	v_lshrrev_b32_e32 v3, 9, v3
	v_sub_u32_e32 v49, v51, v49
	v_or_b32_e32 v48, 0.5, v48
	v_lshlrev_b32_e32 v50, 23, v50
	v_or_b32_e32 v3, v49, v3
	v_lshrrev_b32_e32 v49, 9, v52
	v_sub_u32_e32 v48, v48, v50
	v_or_b32_e32 v48, v49, v48
	v_mul_f32_e32 v49, 0x3fc90fda, v48
	v_fma_f32 v50, v48, s60, -v49
	v_fmac_f32_e32 v50, 0x33a22168, v48
	v_fmac_f32_e32 v50, 0x3fc90fda, v3
	v_lshrrev_b32_e32 v3, 30, v47
	v_add_f32_e32 v49, v49, v50
	v_add_u32_e32 v3, v56, v3
                                        ; implicit-def: $vgpr50
	s_andn2_saveexec_b64 s[8:9], s[42:43]
	s_cbranch_execnz .LBB347_181
	s_branch .LBB347_182
.LBB347_180:                            ;   in Loop: Header=BB347_133 Depth=2
	s_andn2_saveexec_b64 s[8:9], s[42:43]
.LBB347_181:                            ;   in Loop: Header=BB347_133 Depth=2
	v_cvt_i32_f32_e32 v3, v50
	v_fma_f32 v49, v50, s62, |v10|
	v_fmac_f32_e32 v49, 0xb3a22168, v50
	v_fmac_f32_e32 v49, 0xa7c234c4, v50
.LBB347_182:                            ;   in Loop: Header=BB347_133 Depth=2
	s_or_b64 exec, exec, s[8:9]
	v_mul_f32_e32 v48, v11, v11
	v_mov_b32_e32 v50, 0x3c0881c4
	v_fmac_f32_e32 v50, 0xb94c1982, v48
	v_fma_f32 v50, v48, v50, v19
	v_mul_f32_e32 v50, v48, v50
	v_fmac_f32_e32 v11, v11, v50
	v_mov_b32_e32 v50, 0xbab64f3b
	v_fmac_f32_e32 v50, 0x37d75334, v48
	v_fma_f32 v50, v48, v50, v17
	v_lshlrev_b32_e32 v47, 30, v12
	v_and_b32_e32 v12, 1, v12
	v_fma_f32 v50, v48, v50, v18
	v_and_b32_e32 v47, 0x80000000, v47
	v_fma_f32 v48, v48, v50, 1.0
	v_cmp_eq_u32_e32 vcc, 0, v12
	v_xor_b32_e32 v9, v9, v41
	v_cndmask_b32_e32 v11, v48, v11, vcc
	v_xor_b32_e32 v9, v9, v47
	v_xor_b32_e32 v9, v9, v11
	v_mul_f32_e32 v11, v43, v43
	v_mov_b32_e32 v12, 0x3c0881c4
	v_fmac_f32_e32 v12, 0xb94c1982, v11
	v_fma_f32 v12, v11, v12, v19
	v_mul_f32_e32 v12, v11, v12
	v_fmac_f32_e32 v43, v43, v12
	v_mov_b32_e32 v12, 0xbab64f3b
	v_fmac_f32_e32 v12, 0x37d75334, v11
	v_fma_f32 v12, v11, v12, v17
	v_fma_f32 v12, v11, v12, v18
	v_fma_f32 v11, v11, v12, 1.0
	v_and_b32_e32 v12, 1, v42
	v_cmp_eq_u32_e64 s[8:9], 0, v12
	v_lshlrev_b32_e32 v12, 30, v42
	v_mul_f32_e32 v41, v45, v45
	v_mov_b32_e32 v42, 0x3c0881c4
	v_fmac_f32_e32 v42, 0xb94c1982, v41
	v_fma_f32 v42, v41, v42, v19
	v_cndmask_b32_e64 v11, -v43, v11, s[8:9]
	v_and_b32_e32 v12, 0x80000000, v12
	v_mul_f32_e32 v42, v41, v42
	v_cmp_class_f32_e64 vcc, v40, s49
	v_xor_b32_e32 v11, v12, v11
	v_fmac_f32_e32 v45, v45, v42
	v_mov_b32_e32 v42, 0xbab64f3b
	v_cndmask_b32_e32 v11, v30, v11, vcc
	v_fmac_f32_e32 v42, 0x37d75334, v41
	v_cndmask_b32_e32 v9, v30, v9, vcc
	v_mul_f32_e32 v12, 0x7f800000, v11
	v_cmp_neq_f32_e32 vcc, 0, v11
	v_fma_f32 v42, v41, v42, v17
	v_cndmask_b32_e32 v11, 0, v12, vcc
	v_mul_f32_e32 v12, 0x7f800000, v9
	v_cmp_neq_f32_e32 vcc, 0, v9
	v_and_b32_e32 v40, 1, v46
	v_fma_f32 v42, v41, v42, v18
	v_cndmask_b32_e32 v9, 0, v12, vcc
	v_lshlrev_b32_e32 v12, 30, v46
	v_fma_f32 v41, v41, v42, 1.0
	v_cmp_eq_u32_e32 vcc, 0, v40
	v_and_b32_e32 v12, 0x80000000, v12
	v_cndmask_b32_e32 v40, v41, v45, vcc
	v_xor_b32_e32 v41, v44, v10
	v_xor_b32_e32 v12, v41, v12
	;; [unrolled: 1-line block ×3, first 2 shown]
	v_cmp_class_f32_e64 vcc, v10, s49
	v_cndmask_b32_e32 v10, v30, v12, vcc
	v_mul_f32_e32 v12, v49, v49
	v_mov_b32_e32 v40, 0x3c0881c4
	v_fmac_f32_e32 v40, 0xb94c1982, v12
	v_fma_f32 v40, v12, v40, v19
	v_mul_f32_e32 v40, v12, v40
	v_fmac_f32_e32 v49, v49, v40
	v_mov_b32_e32 v40, 0xbab64f3b
	v_fmac_f32_e32 v40, 0x37d75334, v12
	v_fma_f32 v40, v12, v40, v17
	v_fma_f32 v40, v12, v40, v18
	v_fma_f32 v12, v12, v40, 1.0
	v_and_b32_e32 v40, 1, v3
	v_cmp_eq_u32_e64 s[8:9], 0, v40
	v_lshlrev_b32_e32 v3, 30, v3
	v_cndmask_b32_e64 v12, -v49, v12, s[8:9]
	v_and_b32_e32 v3, 0x80000000, v3
	v_xor_b32_e32 v3, v3, v12
	v_cndmask_b32_e32 v3, v30, v3, vcc
	v_mul_f32_e32 v12, 0x7f800000, v3
	v_cmp_neq_f32_e32 vcc, 0, v3
	v_cndmask_b32_e32 v3, 0, v12, vcc
	v_mul_f32_e32 v12, 0x7f800000, v10
	v_cmp_neq_f32_e32 vcc, 0, v10
	v_cndmask_b32_e32 v10, 0, v12, vcc
	v_add_f32_e32 v11, v11, v3
	v_add_f32_e32 v3, v9, v10
	v_add_f32_e32 v42, -1.0, v11
	v_max_f32_e64 v11, |v42|, |v3|
	v_cvt_f64_f32_e32 v[9:10], v11
	v_cmp_eq_f32_e32 vcc, s66, v11
	v_frexp_exp_i32_f64_e32 v9, v[9:10]
	v_sub_u32_e32 v10, 0, v9
	v_ldexp_f32 v12, |v42|, v10
	v_ldexp_f32 v10, |v3|, v10
	v_mul_f32_e32 v10, v10, v10
	v_fmac_f32_e32 v10, v12, v12
	v_sqrt_f32_e32 v10, v10
	v_ldexp_f32 v12, v10, v9
	v_add_f32_e32 v9, 1.0, v42
	v_cmp_ngt_f32_e64 s[8:9], 0.5, v12
	v_max_f32_e64 v10, |v9|, |v3|
	s_or_b64 s[8:9], vcc, s[8:9]
	s_and_saveexec_b64 s[10:11], s[8:9]
	s_xor_b64 s[10:11], exec, s[10:11]
	s_cbranch_execz .LBB347_184
; %bb.183:                              ;   in Loop: Header=BB347_133 Depth=2
	v_cvt_f64_f32_e32 v[11:12], v10
	v_cmp_neq_f32_e32 vcc, s66, v10
	v_frexp_exp_i32_f64_e32 v11, v[11:12]
	v_sub_u32_e32 v12, 0, v11
	v_ldexp_f32 v40, |v9|, v12
	v_ldexp_f32 v12, |v3|, v12
	v_mul_f32_e32 v12, v12, v12
	v_fmac_f32_e32 v12, v40, v40
	v_sqrt_f32_e32 v12, v12
	v_ldexp_f32 v11, v12, v11
	v_cndmask_b32_e32 v11, v29, v11, vcc
	v_cmp_gt_f32_e32 vcc, s52, v11
	v_cndmask_b32_e64 v12, 0, 32, vcc
	v_ldexp_f32 v11, v11, v12
	v_log_f32_e32 v11, v11
	v_mul_f32_e32 v12, 0x3f317217, v11
	v_fma_f32 v12, v11, s67, -v12
	v_fmac_f32_e32 v12, 0x3377d1cf, v11
	v_fmac_f32_e32 v12, 0x3f317217, v11
	v_cmp_lt_f32_e64 s[8:9], |v11|, s66
	v_cndmask_b32_e64 v11, v11, v12, s[8:9]
	v_cndmask_b32_e32 v12, 0, v31, vcc
	v_sub_f32_e32 v42, v11, v12
.LBB347_184:                            ;   in Loop: Header=BB347_133 Depth=2
	s_andn2_saveexec_b64 s[8:9], s[10:11]
	s_cbranch_execz .LBB347_188
; %bb.185:                              ;   in Loop: Header=BB347_133 Depth=2
	v_add_f32_e32 v11, 2.0, v42
	v_mul_f32_e32 v11, v42, v11
	v_fmac_f32_e32 v11, v3, v3
	v_cmp_neq_f32_e32 vcc, 0, v11
	s_and_saveexec_b64 s[10:11], vcc
	s_cbranch_execz .LBB347_187
; %bb.186:                              ;   in Loop: Header=BB347_133 Depth=2
	v_add_f32_e32 v12, 1.0, v11
	v_cvt_f64_f32_e32 v[40:41], v12
	v_add_f32_e32 v42, -1.0, v12
	v_sub_f32_e32 v43, v42, v12
	v_sub_f32_e32 v42, v11, v42
	v_frexp_exp_i32_f64_e32 v40, v[40:41]
	v_frexp_mant_f32_e32 v41, v12
	v_cmp_gt_f32_e32 vcc, s68, v41
	v_add_f32_e32 v43, 1.0, v43
	v_add_f32_e32 v42, v42, v43
	v_subbrev_co_u32_e32 v40, vcc, 0, v40, vcc
	v_sub_u32_e32 v41, 0, v40
	v_ldexp_f32 v12, v12, v41
	v_ldexp_f32 v41, v42, v41
	v_add_f32_e32 v42, -1.0, v12
	v_add_f32_e32 v43, 1.0, v12
	v_add_f32_e32 v44, 1.0, v42
	v_add_f32_e32 v46, -1.0, v43
	v_sub_f32_e32 v44, v12, v44
	v_sub_f32_e32 v12, v12, v46
	v_add_f32_e32 v12, v41, v12
	v_add_f32_e32 v44, v41, v44
	;; [unrolled: 1-line block ×3, first 2 shown]
	v_rcp_f32_e32 v46, v41
	v_add_f32_e32 v45, v42, v44
	v_sub_f32_e32 v43, v41, v43
	v_sub_f32_e32 v42, v45, v42
	;; [unrolled: 1-line block ×3, first 2 shown]
	v_mul_f32_e32 v43, v45, v46
	v_sub_f32_e32 v42, v44, v42
	v_mul_f32_e32 v44, v41, v43
	v_fma_f32 v47, v43, v41, -v44
	v_fmac_f32_e32 v47, v43, v12
	v_add_f32_e32 v48, v44, v47
	v_sub_f32_e32 v49, v45, v48
	v_sub_f32_e32 v45, v45, v49
	;; [unrolled: 1-line block ×4, first 2 shown]
	v_add_f32_e32 v42, v42, v45
	v_sub_f32_e32 v44, v44, v47
	v_add_f32_e32 v42, v44, v42
	v_add_f32_e32 v44, v49, v42
	v_mul_f32_e32 v45, v46, v44
	v_mul_f32_e32 v47, v41, v45
	v_fma_f32 v41, v45, v41, -v47
	v_fmac_f32_e32 v41, v45, v12
	v_sub_f32_e32 v12, v49, v44
	v_add_f32_e32 v12, v42, v12
	v_add_f32_e32 v42, v47, v41
	v_sub_f32_e32 v48, v44, v42
	v_sub_f32_e32 v44, v44, v48
	;; [unrolled: 1-line block ×4, first 2 shown]
	v_add_f32_e32 v12, v12, v42
	v_sub_f32_e32 v41, v47, v41
	v_cvt_f32_i32_e32 v40, v40
	v_add_f32_e32 v12, v41, v12
	v_add_f32_e32 v41, v43, v45
	v_add_f32_e32 v12, v48, v12
	v_sub_f32_e32 v42, v41, v43
	v_mul_f32_e32 v12, v46, v12
	v_sub_f32_e32 v42, v45, v42
	v_add_f32_e32 v12, v42, v12
	v_mul_f32_e32 v45, 0x3f317218, v40
	v_add_f32_e32 v42, v41, v12
	v_fma_f32 v46, v40, s69, -v45
	v_mul_f32_e32 v43, v42, v42
	v_mov_b32_e32 v44, 0x3ecc95a3
	v_fmac_f32_e32 v46, 0xb102e308, v40
	v_sub_f32_e32 v40, v42, v41
	v_fmac_f32_e32 v44, 0x3e9b6dac, v43
	v_sub_f32_e32 v12, v12, v40
	v_add_f32_e32 v40, v45, v46
	v_fma_f32 v44, v43, v44, v20
	v_sub_f32_e32 v41, v40, v45
	v_ldexp_f32 v45, v42, 1
	v_mul_f32_e32 v42, v42, v43
	v_mul_f32_e32 v42, v42, v44
	v_add_f32_e32 v43, v45, v42
	v_sub_f32_e32 v44, v43, v45
	v_ldexp_f32 v12, v12, 1
	v_sub_f32_e32 v42, v42, v44
	v_add_f32_e32 v12, v12, v42
	v_add_f32_e32 v42, v43, v12
	v_sub_f32_e32 v43, v42, v43
	v_sub_f32_e32 v12, v12, v43
	v_add_f32_e32 v43, v40, v42
	v_sub_f32_e32 v44, v43, v40
	v_sub_f32_e32 v45, v43, v44
	;; [unrolled: 1-line block ×5, first 2 shown]
	v_add_f32_e32 v40, v42, v40
	v_add_f32_e32 v42, v41, v12
	v_sub_f32_e32 v44, v42, v41
	v_sub_f32_e32 v45, v42, v44
	;; [unrolled: 1-line block ×4, first 2 shown]
	v_add_f32_e32 v40, v42, v40
	v_add_f32_e32 v12, v12, v41
	v_add_f32_e32 v41, v43, v40
	v_sub_f32_e32 v42, v41, v43
	v_sub_f32_e32 v40, v40, v42
	v_add_f32_e32 v12, v12, v40
	v_add_f32_e32 v12, v41, v12
	v_cmp_neq_f32_e32 vcc, s66, v11
	v_cndmask_b32_e32 v12, v29, v12, vcc
	v_cmp_ngt_f32_e32 vcc, -1.0, v11
	v_cndmask_b32_e32 v12, v30, v12, vcc
	v_cmp_neq_f32_e32 vcc, -1.0, v11
	v_cndmask_b32_e32 v12, v32, v12, vcc
	v_cmp_lt_f32_e64 vcc, |v11|, s70
	v_cndmask_b32_e32 v11, v12, v11, vcc
	v_mul_f32_e32 v42, 0.5, v11
.LBB347_187:                            ;   in Loop: Header=BB347_133 Depth=2
	s_or_b64 exec, exec, s[10:11]
.LBB347_188:                            ;   in Loop: Header=BB347_133 Depth=2
	s_or_b64 exec, exec, s[8:9]
	v_max_f32_e64 v40, |v3|, |v3|
	v_max_f32_e64 v41, |v9|, |v9|
	v_min_f32_e32 v40, v41, v40
	v_frexp_mant_f32_e32 v41, v10
	v_rcp_f32_e32 v41, v41
	v_frexp_exp_i32_f32_e32 v10, v10
	v_frexp_exp_i32_f32_e32 v43, v40
	v_frexp_mant_f32_e32 v40, v40
	v_mul_f32_e32 v40, v40, v41
	v_sub_u32_e32 v10, v43, v10
	v_ldexp_f32 v10, v40, v10
	v_mul_f32_e32 v40, v10, v10
	v_mov_b32_e32 v41, 0xbc7a590c
	v_fmac_f32_e32 v41, 0x3b2d2a58, v40
	v_fma_f32 v41, v40, v41, v21
	v_fma_f32 v41, v40, v41, v22
	;; [unrolled: 1-line block ×6, first 2 shown]
	v_mul_f32_e32 v40, v40, v41
	v_cmp_gt_i32_e64 s[8:9], 0, v9
	v_fmac_f32_e32 v10, v10, v40
	v_cndmask_b32_e64 v12, 0, v35, s[8:9]
	v_sub_f32_e32 v40, 0x3fc90fdb, v10
	v_cmp_gt_f32_e64 s[8:9], |v3|, |v9|
	v_cndmask_b32_e64 v10, v10, v40, s[8:9]
	v_cmp_gt_f32_e32 vcc, 0, v9
	v_sub_f32_e32 v40, 0x40490fdb, v10
	v_cmp_class_f32_e64 s[10:11], v3, s71
	v_cmp_class_f32_e64 s[12:13], v9, s71
	v_cndmask_b32_e32 v11, v33, v34, vcc
	v_cndmask_b32_e32 v10, v10, v40, vcc
	v_cmp_eq_f32_e32 vcc, 0, v3
	v_cndmask_b32_e32 v10, v10, v12, vcc
	s_and_b64 vcc, s[10:11], s[12:13]
	v_cndmask_b32_e32 v10, v10, v11, vcc
	v_cmp_o_f32_e32 vcc, v9, v3
	v_cndmask_b32_e32 v9, v30, v10, vcc
	v_bfi_b32 v40, s50, v9, v3
.LBB347_189:                            ;   in Loop: Header=BB347_133 Depth=2
	s_or_b64 exec, exec, s[40:41]
.LBB347_190:                            ;   in Loop: Header=BB347_133 Depth=2
	s_or_b64 exec, exec, s[38:39]
	v_mov_b32_e32 v11, v42
	v_mov_b32_e32 v12, v40
.LBB347_191:                            ;   in Loop: Header=BB347_133 Depth=2
	s_or_b64 exec, exec, s[36:37]
	ds_write_b64 v13, v[11:12]
.LBB347_192:                            ;   in Loop: Header=BB347_133 Depth=2
	s_or_b64 exec, exec, s[34:35]
	v_mov_b32_e32 v3, 0
	s_mov_b64 s[34:35], 0
	s_waitcnt lgkmcnt(0)
	s_barrier
	s_branch .LBB347_199
.LBB347_193:                            ;   in Loop: Header=BB347_199 Depth=3
	s_or_b64 exec, exec, s[10:11]
.LBB347_194:                            ;   in Loop: Header=BB347_199 Depth=3
	s_or_b64 exec, exec, s[8:9]
	v_max_f32_e64 v42, |v3|, |v3|
	v_max_f32_e64 v43, |v9|, |v9|
	v_min_f32_e32 v42, v43, v42
	v_frexp_mant_f32_e32 v43, v10
	v_rcp_f32_e32 v43, v43
	v_frexp_exp_i32_f32_e32 v10, v10
	v_frexp_exp_i32_f32_e32 v45, v42
	v_frexp_mant_f32_e32 v42, v42
	v_mul_f32_e32 v42, v42, v43
	v_sub_u32_e32 v10, v45, v10
	v_ldexp_f32 v10, v42, v10
	v_mul_f32_e32 v42, v10, v10
	v_mov_b32_e32 v43, 0xbc7a590c
	v_fmac_f32_e32 v43, 0x3b2d2a58, v42
	v_fma_f32 v43, v42, v43, v21
	v_fma_f32 v43, v42, v43, v22
	;; [unrolled: 1-line block ×6, first 2 shown]
	v_mul_f32_e32 v42, v42, v43
	v_cmp_gt_i32_e64 s[8:9], 0, v9
	v_fmac_f32_e32 v10, v10, v42
	v_cndmask_b32_e64 v12, 0, v35, s[8:9]
	v_sub_f32_e32 v42, 0x3fc90fdb, v10
	v_cmp_gt_f32_e64 s[8:9], |v3|, |v9|
	v_cndmask_b32_e64 v10, v10, v42, s[8:9]
	v_cmp_gt_f32_e32 vcc, 0, v9
	v_sub_f32_e32 v42, 0x40490fdb, v10
	v_cmp_class_f32_e64 s[10:11], v3, s71
	v_cmp_class_f32_e64 s[12:13], v9, s71
	v_cndmask_b32_e32 v11, v33, v34, vcc
	v_cndmask_b32_e32 v10, v10, v42, vcc
	v_cmp_eq_f32_e32 vcc, 0, v3
	v_cndmask_b32_e32 v10, v10, v12, vcc
	s_and_b64 vcc, s[10:11], s[12:13]
	v_cndmask_b32_e32 v10, v10, v11, vcc
	v_cmp_o_f32_e32 vcc, v9, v3
	v_cndmask_b32_e32 v9, v30, v10, vcc
	v_bfi_b32 v42, s50, v9, v3
.LBB347_195:                            ;   in Loop: Header=BB347_199 Depth=3
	s_or_b64 exec, exec, s[42:43]
.LBB347_196:                            ;   in Loop: Header=BB347_199 Depth=3
	s_or_b64 exec, exec, s[40:41]
	v_mov_b32_e32 v11, v44
	v_mov_b32_e32 v12, v42
.LBB347_197:                            ;   in Loop: Header=BB347_199 Depth=3
	s_or_b64 exec, exec, s[38:39]
	ds_write_b64 v41, v[11:12]
.LBB347_198:                            ;   in Loop: Header=BB347_199 Depth=3
	s_or_b64 exec, exec, s[36:37]
	v_cmp_eq_u32_e32 vcc, s48, v40
	s_or_b64 s[34:35], vcc, s[34:35]
	v_mov_b32_e32 v3, v40
	s_waitcnt lgkmcnt(0)
	s_barrier
	s_andn2_b64 exec, exec, s[34:35]
	s_cbranch_execz .LBB347_248
.LBB347_199:                            ;   Parent Loop BB347_130 Depth=1
                                        ;     Parent Loop BB347_133 Depth=2
                                        ; =>    This Inner Loop Header: Depth=3
	v_add_u32_e32 v40, 1, v3
	s_and_saveexec_b64 s[8:9], s[6:7]
	s_xor_b64 s[8:9], exec, s[8:9]
; %bb.200:                              ;   in Loop: Header=BB347_199 Depth=3
	v_add_u32_e32 v40, 1, v3
                                        ; implicit-def: $vgpr3
; %bb.201:                              ;   in Loop: Header=BB347_199 Depth=3
	s_andn2_saveexec_b64 s[36:37], s[8:9]
	s_cbranch_execz .LBB347_198
; %bb.202:                              ;   in Loop: Header=BB347_199 Depth=3
	v_lshlrev_b32_e64 v9, v3, 1
	v_ashrrev_i32_e32 v10, 31, v9
	v_cmp_ge_u64_e32 vcc, v[0:1], v[9:10]
	v_mov_b32_e32 v12, v1
	v_mov_b32_e32 v11, v0
	s_and_saveexec_b64 s[8:9], vcc
	s_cbranch_execz .LBB347_204
; %bb.203:                              ;   in Loop: Header=BB347_199 Depth=3
	v_cvt_f32_u32_e32 v10, v9
	v_sub_u32_e32 v11, 0, v9
	v_rcp_iflag_f32_e32 v10, v10
	v_mul_f32_e32 v10, 0x4f7ffffe, v10
	v_cvt_u32_f32_e32 v10, v10
	v_mul_lo_u32 v11, v11, v10
	v_mul_hi_u32 v11, v10, v11
	v_add_u32_e32 v10, v10, v11
	v_mul_hi_u32 v10, v0, v10
	v_mul_lo_u32 v10, v10, v9
	v_sub_u32_e32 v10, v0, v10
	v_sub_u32_e32 v11, v10, v9
	v_cmp_ge_u32_e32 vcc, v10, v9
	v_cndmask_b32_e32 v10, v10, v11, vcc
	v_sub_u32_e32 v11, v10, v9
	v_cmp_ge_u32_e32 vcc, v10, v9
	v_cndmask_b32_e32 v11, v10, v11, vcc
.LBB347_204:                            ;   in Loop: Header=BB347_199 Depth=3
	s_or_b64 exec, exec, s[8:9]
	v_lshrrev_b32_e32 v3, v3, v0
	v_lshl_or_b32 v3, v3, v40, v9
	v_lshl_add_u32 v3, v3, 3, v13
	v_add_u32_e32 v9, -8, v3
	ds_read_b64 v[9:10], v9
	v_lshl_add_u32 v41, v11, 3, v3
	ds_read_b64 v[11:12], v41
	s_waitcnt lgkmcnt(1)
	v_cmp_o_f32_e32 vcc, v9, v10
	v_mov_b32_e32 v42, v10
	v_mov_b32_e32 v44, v9
	;; [unrolled: 1-line block ×3, first 2 shown]
	s_and_saveexec_b64 s[12:13], vcc
	s_cbranch_execz .LBB347_206
; %bb.205:                              ;   in Loop: Header=BB347_199 Depth=3
	s_waitcnt lgkmcnt(0)
	v_cmp_u_f32_e64 s[8:9], v11, v12
	v_cmp_lt_f32_e64 s[10:11], v11, v9
	s_or_b64 s[8:9], s[8:9], s[10:11]
	v_cndmask_b32_e64 v42, v10, v12, s[8:9]
	v_cndmask_b32_e64 v44, v9, v11, s[8:9]
	v_mov_b32_e32 v43, v42
.LBB347_206:                            ;   in Loop: Header=BB347_199 Depth=3
	s_or_b64 exec, exec, s[12:13]
	s_and_saveexec_b64 s[10:11], vcc
	s_cbranch_execz .LBB347_208
; %bb.207:                              ;   in Loop: Header=BB347_199 Depth=3
	s_waitcnt lgkmcnt(0)
	v_cmp_u_f32_e32 vcc, v11, v12
	v_cmp_ge_f32_e64 s[8:9], v11, v9
	s_or_b64 vcc, vcc, s[8:9]
	v_cndmask_b32_e32 v10, v10, v12, vcc
	v_cndmask_b32_e32 v9, v9, v11, vcc
.LBB347_208:                            ;   in Loop: Header=BB347_199 Depth=3
	s_or_b64 exec, exec, s[10:11]
	v_cmp_o_f32_e32 vcc, v44, v42
	s_waitcnt lgkmcnt(0)
	v_mov_b32_e32 v11, 0x7fc00000
	v_mov_b32_e32 v12, 0x7fc00000
	s_and_saveexec_b64 s[38:39], vcc
	s_cbranch_execz .LBB347_197
; %bb.209:                              ;   in Loop: Header=BB347_199 Depth=3
	v_cmp_class_f32_e64 s[8:9], v44, s49
	v_cmp_neq_f32_e32 vcc, v9, v44
	s_or_b64 s[8:9], s[8:9], vcc
	s_and_saveexec_b64 s[10:11], s[8:9]
	s_xor_b64 s[40:41], exec, s[10:11]
	s_cbranch_execz .LBB347_225
; %bb.210:                              ;   in Loop: Header=BB347_199 Depth=3
	v_sub_f32_e32 v11, v42, v10
	v_and_b32_e32 v12, 0x7fffffff, v11
	v_lshrrev_b32_e32 v3, 23, v12
	v_and_b32_e32 v42, 0x7fffff, v12
	v_cmp_nlt_f32_e64 s[42:43], |v11|, s51
	v_add_u32_e32 v46, 0xffffff88, v3
	v_or_b32_e32 v45, 0x800000, v42
                                        ; implicit-def: $vgpr43
                                        ; implicit-def: $vgpr42
	s_and_saveexec_b64 s[8:9], s[42:43]
	s_xor_b64 s[44:45], exec, s[8:9]
	s_cbranch_execz .LBB347_212
; %bb.211:                              ;   in Loop: Header=BB347_199 Depth=3
	v_mad_u64_u32 v[42:43], s[8:9], v45, s53, 0
	v_cmp_lt_u32_e32 vcc, 63, v46
	v_mov_b32_e32 v3, v43
	v_mad_u64_u32 v[47:48], s[8:9], v45, s54, v[3:4]
	v_mov_b32_e32 v3, v48
	v_mad_u64_u32 v[48:49], s[8:9], v45, s55, v[3:4]
	;; [unrolled: 2-line block ×3, first 2 shown]
	v_cndmask_b32_e32 v3, 0, v27, vcc
	v_add_u32_e32 v43, v3, v46
	v_mov_b32_e32 v3, v50
	v_mad_u64_u32 v[50:51], s[8:9], v45, s57, v[3:4]
	v_cmp_lt_u32_e64 s[8:9], 31, v43
	v_cndmask_b32_e64 v3, 0, v28, s[8:9]
	v_add_u32_e32 v43, v3, v43
	v_mov_b32_e32 v3, v51
	v_mad_u64_u32 v[51:52], s[10:11], v45, s58, v[3:4]
	v_cmp_lt_u32_e64 s[10:11], 31, v43
	v_cndmask_b32_e64 v3, 0, v28, s[10:11]
	v_add_u32_e32 v43, v3, v43
	v_mov_b32_e32 v3, v52
	v_mad_u64_u32 v[52:53], s[12:13], v45, s59, v[3:4]
	v_cndmask_b32_e32 v3, v50, v48, vcc
	v_cndmask_b32_e32 v54, v51, v49, vcc
	;; [unrolled: 1-line block ×4, first 2 shown]
	v_cndmask_b32_e64 v55, v54, v3, s[8:9]
	v_cndmask_b32_e64 v52, v50, v54, s[8:9]
	;; [unrolled: 1-line block ×3, first 2 shown]
	v_cndmask_b32_e32 v47, v49, v47, vcc
	v_cndmask_b32_e64 v50, v50, v52, s[10:11]
	v_cndmask_b32_e64 v51, v52, v55, s[10:11]
	v_sub_u32_e32 v52, 32, v43
	v_cndmask_b32_e64 v3, v3, v47, s[8:9]
	v_alignbit_b32 v53, v50, v51, v52
	v_cmp_eq_u32_e64 s[12:13], 0, v43
	v_cndmask_b32_e64 v49, v55, v3, s[10:11]
	v_cndmask_b32_e64 v43, v53, v50, s[12:13]
	v_alignbit_b32 v50, v51, v49, v52
	v_cndmask_b32_e32 v42, v48, v42, vcc
	v_cndmask_b32_e64 v50, v50, v51, s[12:13]
	v_bfe_u32 v54, v43, 29, 1
	v_cndmask_b32_e64 v42, v47, v42, s[8:9]
	v_alignbit_b32 v51, v43, v50, 30
	v_sub_u32_e32 v55, 0, v54
	v_cndmask_b32_e64 v3, v3, v42, s[10:11]
	v_xor_b32_e32 v51, v51, v55
	v_alignbit_b32 v42, v49, v3, v52
	v_cndmask_b32_e64 v42, v42, v49, s[12:13]
	v_ffbh_u32_e32 v48, v51
	v_alignbit_b32 v47, v50, v42, 30
	v_min_u32_e32 v48, 32, v48
	v_alignbit_b32 v3, v42, v3, 30
	v_xor_b32_e32 v47, v47, v55
	v_sub_u32_e32 v49, 31, v48
	v_xor_b32_e32 v3, v3, v55
	v_alignbit_b32 v50, v51, v47, v49
	v_alignbit_b32 v3, v47, v3, v49
	;; [unrolled: 1-line block ×3, first 2 shown]
	v_ffbh_u32_e32 v47, v42
	v_min_u32_e32 v47, 32, v47
	v_lshrrev_b32_e32 v53, 29, v43
	v_not_b32_e32 v49, v47
	v_alignbit_b32 v3, v42, v3, v49
	v_lshlrev_b32_e32 v42, 31, v53
	v_or_b32_e32 v49, 0x33000000, v42
	v_add_lshl_u32 v47, v47, v48, 23
	v_lshrrev_b32_e32 v3, 9, v3
	v_sub_u32_e32 v47, v49, v47
	v_or_b32_e32 v42, 0.5, v42
	v_lshlrev_b32_e32 v48, 23, v48
	v_or_b32_e32 v3, v47, v3
	v_lshrrev_b32_e32 v47, 9, v50
	v_sub_u32_e32 v42, v42, v48
	v_or_b32_e32 v42, v47, v42
	v_mul_f32_e32 v47, 0x3fc90fda, v42
	v_fma_f32 v48, v42, s60, -v47
	v_fmac_f32_e32 v48, 0x33a22168, v42
	v_fmac_f32_e32 v48, 0x3fc90fda, v3
	v_lshrrev_b32_e32 v3, 30, v43
	v_add_f32_e32 v42, v47, v48
	v_add_u32_e32 v43, v54, v3
.LBB347_212:                            ;   in Loop: Header=BB347_199 Depth=3
	s_or_saveexec_b64 s[8:9], s[44:45]
	v_mul_f32_e64 v3, |v11|, s61
	v_rndne_f32_e32 v48, v3
	s_xor_b64 exec, exec, s[8:9]
; %bb.213:                              ;   in Loop: Header=BB347_199 Depth=3
	v_cvt_i32_f32_e32 v43, v48
	v_fma_f32 v42, v48, s62, |v11|
	v_fmac_f32_e32 v42, 0xb3a22168, v48
	v_fmac_f32_e32 v42, 0xa7c234c4, v48
; %bb.214:                              ;   in Loop: Header=BB347_199 Depth=3
	s_or_b64 exec, exec, s[8:9]
                                        ; implicit-def: $vgpr3
                                        ; implicit-def: $vgpr47
	s_and_saveexec_b64 s[8:9], s[42:43]
	s_xor_b64 s[42:43], exec, s[8:9]
	s_cbranch_execz .LBB347_216
; %bb.215:                              ;   in Loop: Header=BB347_199 Depth=3
	v_mad_u64_u32 v[47:48], s[8:9], v45, s53, 0
	v_cmp_lt_u32_e32 vcc, 63, v46
	v_mov_b32_e32 v3, v48
	v_mad_u64_u32 v[48:49], s[8:9], v45, s54, v[3:4]
	v_mov_b32_e32 v3, v49
	v_mad_u64_u32 v[49:50], s[8:9], v45, s55, v[3:4]
	;; [unrolled: 2-line block ×3, first 2 shown]
	v_cndmask_b32_e32 v3, 0, v27, vcc
	v_add_u32_e32 v46, v3, v46
	v_mov_b32_e32 v3, v51
	v_mad_u64_u32 v[51:52], s[8:9], v45, s57, v[3:4]
	v_cmp_lt_u32_e64 s[8:9], 31, v46
	v_cndmask_b32_e64 v3, 0, v28, s[8:9]
	v_add_u32_e32 v46, v3, v46
	v_mov_b32_e32 v3, v52
	v_mad_u64_u32 v[52:53], s[10:11], v45, s58, v[3:4]
	v_cmp_lt_u32_e64 s[10:11], 31, v46
	v_cndmask_b32_e64 v3, 0, v28, s[10:11]
	v_add_u32_e32 v54, v3, v46
	v_mov_b32_e32 v3, v53
	v_mad_u64_u32 v[45:46], s[12:13], v45, s59, v[3:4]
	v_cndmask_b32_e32 v3, v51, v49, vcc
	v_cndmask_b32_e32 v53, v52, v50, vcc
	v_cndmask_b32_e32 v45, v45, v51, vcc
	v_cndmask_b32_e32 v46, v46, v52, vcc
	v_cndmask_b32_e64 v55, v53, v3, s[8:9]
	v_cndmask_b32_e64 v51, v45, v53, s[8:9]
	;; [unrolled: 1-line block ×3, first 2 shown]
	v_cndmask_b32_e32 v48, v50, v48, vcc
	v_cndmask_b32_e64 v45, v45, v51, s[10:11]
	v_cndmask_b32_e64 v46, v51, v55, s[10:11]
	v_sub_u32_e32 v51, 32, v54
	v_cndmask_b32_e64 v3, v3, v48, s[8:9]
	v_alignbit_b32 v52, v45, v46, v51
	v_cmp_eq_u32_e64 s[12:13], 0, v54
	v_cndmask_b32_e64 v50, v55, v3, s[10:11]
	v_cndmask_b32_e64 v45, v52, v45, s[12:13]
	v_alignbit_b32 v52, v46, v50, v51
	v_cndmask_b32_e32 v47, v49, v47, vcc
	v_cndmask_b32_e64 v46, v52, v46, s[12:13]
	v_bfe_u32 v54, v45, 29, 1
	v_cndmask_b32_e64 v47, v48, v47, s[8:9]
	v_alignbit_b32 v52, v45, v46, 30
	v_sub_u32_e32 v55, 0, v54
	v_cndmask_b32_e64 v3, v3, v47, s[10:11]
	v_xor_b32_e32 v52, v52, v55
	v_alignbit_b32 v47, v50, v3, v51
	v_cndmask_b32_e64 v47, v47, v50, s[12:13]
	v_ffbh_u32_e32 v48, v52
	v_alignbit_b32 v46, v46, v47, 30
	v_min_u32_e32 v48, 32, v48
	v_alignbit_b32 v3, v47, v3, 30
	v_xor_b32_e32 v46, v46, v55
	v_sub_u32_e32 v49, 31, v48
	v_xor_b32_e32 v3, v3, v55
	v_alignbit_b32 v50, v52, v46, v49
	v_alignbit_b32 v3, v46, v3, v49
	;; [unrolled: 1-line block ×3, first 2 shown]
	v_ffbh_u32_e32 v47, v46
	v_min_u32_e32 v47, 32, v47
	v_lshrrev_b32_e32 v53, 29, v45
	v_not_b32_e32 v49, v47
	v_alignbit_b32 v3, v46, v3, v49
	v_lshlrev_b32_e32 v46, 31, v53
	v_or_b32_e32 v49, 0x33000000, v46
	v_add_lshl_u32 v47, v47, v48, 23
	v_lshrrev_b32_e32 v3, 9, v3
	v_sub_u32_e32 v47, v49, v47
	v_or_b32_e32 v46, 0.5, v46
	v_lshlrev_b32_e32 v48, 23, v48
	v_or_b32_e32 v3, v47, v3
	v_lshrrev_b32_e32 v47, 9, v50
	v_sub_u32_e32 v46, v46, v48
	v_or_b32_e32 v46, v47, v46
	v_mul_f32_e32 v47, 0x3fc90fda, v46
	v_fma_f32 v48, v46, s60, -v47
	v_fmac_f32_e32 v48, 0x33a22168, v46
	v_fmac_f32_e32 v48, 0x3fc90fda, v3
	v_lshrrev_b32_e32 v3, 30, v45
	v_add_f32_e32 v47, v47, v48
	v_add_u32_e32 v3, v54, v3
                                        ; implicit-def: $vgpr48
	s_andn2_saveexec_b64 s[8:9], s[42:43]
	s_cbranch_execnz .LBB347_217
	s_branch .LBB347_218
.LBB347_216:                            ;   in Loop: Header=BB347_199 Depth=3
	s_andn2_saveexec_b64 s[8:9], s[42:43]
.LBB347_217:                            ;   in Loop: Header=BB347_199 Depth=3
	v_cvt_i32_f32_e32 v3, v48
	v_fma_f32 v47, v48, s62, |v11|
	v_fmac_f32_e32 v47, 0xb3a22168, v48
	v_fmac_f32_e32 v47, 0xa7c234c4, v48
.LBB347_218:                            ;   in Loop: Header=BB347_199 Depth=3
	s_or_b64 exec, exec, s[8:9]
	v_sub_f32_e32 v44, v44, v9
	v_mul_f32_e32 v45, 0x3fb8aa3b, v44
	v_fma_f32 v46, v44, s63, -v45
	v_rndne_f32_e32 v48, v45
	v_fmac_f32_e32 v46, 0x32a5705f, v44
	v_sub_f32_e32 v45, v45, v48
	v_add_f32_e32 v45, v45, v46
	v_cvt_i32_f32_e32 v46, v48
	v_exp_f32_e32 v45, v45
	v_mov_b32_e32 v48, 0xbab64f3b
	v_mov_b32_e32 v49, 0x3c0881c4
	v_cmp_ngt_f32_e32 vcc, s64, v44
	v_ldexp_f32 v45, v45, v46
	v_mul_f32_e32 v46, v42, v42
	v_fmac_f32_e32 v48, 0x37d75334, v46
	v_fma_f32 v48, v46, v48, v17
	v_fmac_f32_e32 v49, 0xb94c1982, v46
	v_cndmask_b32_e32 v45, 0, v45, vcc
	v_cmp_nlt_f32_e32 vcc, s65, v44
	v_fma_f32 v48, v46, v48, v18
	v_fma_f32 v49, v46, v49, v19
	v_cndmask_b32_e32 v44, v29, v45, vcc
	v_lshlrev_b32_e32 v45, 30, v43
	v_and_b32_e32 v43, 1, v43
	v_fma_f32 v48, v46, v48, 1.0
	v_mul_f32_e32 v46, v46, v49
	v_fmac_f32_e32 v42, v42, v46
	v_cmp_eq_u32_e32 vcc, 0, v43
	v_and_b32_e32 v45, 0x80000000, v45
	v_cndmask_b32_e64 v42, -v42, v48, vcc
	v_xor_b32_e32 v42, v45, v42
	v_mul_f32_e32 v45, v47, v47
	v_mov_b32_e32 v46, 0x3c0881c4
	v_fmac_f32_e32 v46, 0xb94c1982, v45
	v_fma_f32 v46, v45, v46, v19
	v_mul_f32_e32 v46, v45, v46
	v_fmac_f32_e32 v47, v47, v46
	v_mov_b32_e32 v46, 0xbab64f3b
	v_fmac_f32_e32 v46, 0x37d75334, v45
	v_fma_f32 v46, v45, v46, v17
	v_fma_f32 v46, v45, v46, v18
	v_fma_f32 v45, v45, v46, 1.0
	v_and_b32_e32 v46, 1, v3
	v_lshlrev_b32_e32 v3, 30, v3
	v_cmp_class_f32_e64 vcc, v11, s49
	v_cmp_eq_u32_e64 s[8:9], 0, v46
	v_and_b32_e32 v3, 0x80000000, v3
	v_xor_b32_e32 v11, v12, v11
	v_cndmask_b32_e64 v45, v45, v47, s[8:9]
	v_xor_b32_e32 v3, v11, v3
	v_xor_b32_e32 v3, v3, v45
	v_cndmask_b32_e32 v42, v30, v42, vcc
	v_cndmask_b32_e32 v3, v30, v3, vcc
	v_mul_f32_e32 v43, v44, v42
	v_mul_f32_e32 v3, v44, v3
	v_max_f32_e64 v45, |v43|, |v3|
	v_cvt_f64_f32_e32 v[11:12], v45
	v_cmp_eq_f32_e32 vcc, s66, v45
	v_frexp_exp_i32_f64_e32 v11, v[11:12]
	v_sub_u32_e32 v12, 0, v11
	v_ldexp_f32 v46, |v43|, v12
	v_ldexp_f32 v12, |v3|, v12
	v_mul_f32_e32 v12, v12, v12
	v_fmac_f32_e32 v12, v46, v46
	v_sqrt_f32_e32 v12, v12
	v_ldexp_f32 v46, v12, v11
	v_fma_f32 v11, v44, v42, 1.0
	v_cmp_ngt_f32_e64 s[8:9], 0.5, v46
	v_max_f32_e64 v12, |v11|, |v3|
	s_or_b64 s[8:9], vcc, s[8:9]
	s_and_saveexec_b64 s[10:11], s[8:9]
	s_xor_b64 s[10:11], exec, s[10:11]
	s_cbranch_execz .LBB347_220
; %bb.219:                              ;   in Loop: Header=BB347_199 Depth=3
	v_cvt_f64_f32_e32 v[42:43], v12
	v_cmp_neq_f32_e32 vcc, s66, v12
	v_frexp_exp_i32_f64_e32 v42, v[42:43]
	v_sub_u32_e32 v43, 0, v42
	v_ldexp_f32 v44, |v11|, v43
	v_ldexp_f32 v43, |v3|, v43
	v_mul_f32_e32 v43, v43, v43
	v_fmac_f32_e32 v43, v44, v44
	v_sqrt_f32_e32 v43, v43
	v_ldexp_f32 v42, v43, v42
	v_cndmask_b32_e32 v42, v29, v42, vcc
	v_cmp_gt_f32_e32 vcc, s52, v42
	v_cndmask_b32_e64 v43, 0, 32, vcc
	v_ldexp_f32 v42, v42, v43
	v_log_f32_e32 v42, v42
	v_mul_f32_e32 v43, 0x3f317217, v42
	v_fma_f32 v43, v42, s67, -v43
	v_fmac_f32_e32 v43, 0x3377d1cf, v42
	v_fmac_f32_e32 v43, 0x3f317217, v42
	v_cmp_lt_f32_e64 s[8:9], |v42|, s66
	v_cndmask_b32_e64 v42, v42, v43, s[8:9]
	v_cndmask_b32_e32 v43, 0, v31, vcc
	v_sub_f32_e32 v43, v42, v43
.LBB347_220:                            ;   in Loop: Header=BB347_199 Depth=3
	s_andn2_saveexec_b64 s[8:9], s[10:11]
	s_cbranch_execz .LBB347_224
; %bb.221:                              ;   in Loop: Header=BB347_199 Depth=3
	v_add_f32_e32 v44, 2.0, v43
	v_mul_f32_e32 v42, v3, v3
	v_fmac_f32_e32 v42, v43, v44
	v_cmp_neq_f32_e32 vcc, 0, v42
	s_and_saveexec_b64 s[10:11], vcc
	s_cbranch_execz .LBB347_223
; %bb.222:                              ;   in Loop: Header=BB347_199 Depth=3
	v_add_f32_e32 v45, 1.0, v42
	v_cvt_f64_f32_e32 v[43:44], v45
	v_add_f32_e32 v46, -1.0, v45
	v_sub_f32_e32 v47, v46, v45
	v_sub_f32_e32 v46, v42, v46
	v_frexp_exp_i32_f64_e32 v43, v[43:44]
	v_frexp_mant_f32_e32 v44, v45
	v_cmp_gt_f32_e32 vcc, s68, v44
	v_add_f32_e32 v47, 1.0, v47
	v_add_f32_e32 v46, v46, v47
	v_subbrev_co_u32_e32 v43, vcc, 0, v43, vcc
	v_sub_u32_e32 v44, 0, v43
	v_ldexp_f32 v45, v45, v44
	v_ldexp_f32 v44, v46, v44
	v_add_f32_e32 v46, -1.0, v45
	v_add_f32_e32 v47, 1.0, v45
	v_add_f32_e32 v48, 1.0, v46
	v_add_f32_e32 v50, -1.0, v47
	v_sub_f32_e32 v48, v45, v48
	v_sub_f32_e32 v45, v45, v50
	v_add_f32_e32 v48, v44, v48
	v_add_f32_e32 v44, v44, v45
	;; [unrolled: 1-line block ×3, first 2 shown]
	v_rcp_f32_e32 v50, v45
	v_add_f32_e32 v49, v46, v48
	v_sub_f32_e32 v47, v45, v47
	v_sub_f32_e32 v46, v49, v46
	;; [unrolled: 1-line block ×3, first 2 shown]
	v_mul_f32_e32 v47, v49, v50
	v_sub_f32_e32 v46, v48, v46
	v_mul_f32_e32 v48, v45, v47
	v_fma_f32 v51, v47, v45, -v48
	v_fmac_f32_e32 v51, v47, v44
	v_add_f32_e32 v52, v48, v51
	v_sub_f32_e32 v53, v49, v52
	v_sub_f32_e32 v49, v49, v53
	;; [unrolled: 1-line block ×4, first 2 shown]
	v_add_f32_e32 v46, v46, v49
	v_sub_f32_e32 v48, v48, v51
	v_add_f32_e32 v46, v48, v46
	v_add_f32_e32 v48, v53, v46
	v_mul_f32_e32 v49, v50, v48
	v_mul_f32_e32 v51, v45, v49
	v_fma_f32 v45, v49, v45, -v51
	v_fmac_f32_e32 v45, v49, v44
	v_sub_f32_e32 v44, v53, v48
	v_add_f32_e32 v44, v46, v44
	v_add_f32_e32 v46, v51, v45
	v_sub_f32_e32 v52, v48, v46
	v_sub_f32_e32 v48, v48, v52
	;; [unrolled: 1-line block ×4, first 2 shown]
	v_add_f32_e32 v44, v44, v46
	v_sub_f32_e32 v45, v51, v45
	v_cvt_f32_i32_e32 v43, v43
	v_add_f32_e32 v44, v45, v44
	v_add_f32_e32 v45, v47, v49
	;; [unrolled: 1-line block ×3, first 2 shown]
	v_sub_f32_e32 v46, v45, v47
	v_mul_f32_e32 v44, v50, v44
	v_sub_f32_e32 v46, v49, v46
	v_add_f32_e32 v44, v46, v44
	v_mul_f32_e32 v49, 0x3f317218, v43
	v_add_f32_e32 v46, v45, v44
	v_fma_f32 v50, v43, s69, -v49
	v_mul_f32_e32 v47, v46, v46
	v_mov_b32_e32 v48, 0x3ecc95a3
	v_fmac_f32_e32 v50, 0xb102e308, v43
	v_sub_f32_e32 v43, v46, v45
	v_fmac_f32_e32 v48, 0x3e9b6dac, v47
	v_sub_f32_e32 v43, v44, v43
	v_add_f32_e32 v44, v49, v50
	v_fma_f32 v48, v47, v48, v20
	v_sub_f32_e32 v45, v44, v49
	v_ldexp_f32 v49, v46, 1
	v_mul_f32_e32 v46, v46, v47
	v_mul_f32_e32 v46, v46, v48
	v_add_f32_e32 v47, v49, v46
	v_sub_f32_e32 v48, v47, v49
	v_ldexp_f32 v43, v43, 1
	v_sub_f32_e32 v46, v46, v48
	v_add_f32_e32 v43, v43, v46
	v_add_f32_e32 v46, v47, v43
	v_sub_f32_e32 v47, v46, v47
	v_sub_f32_e32 v43, v43, v47
	v_add_f32_e32 v47, v44, v46
	v_sub_f32_e32 v48, v47, v44
	v_sub_f32_e32 v49, v47, v48
	;; [unrolled: 1-line block ×5, first 2 shown]
	v_add_f32_e32 v44, v46, v44
	v_add_f32_e32 v46, v45, v43
	v_sub_f32_e32 v48, v46, v45
	v_sub_f32_e32 v49, v46, v48
	;; [unrolled: 1-line block ×4, first 2 shown]
	v_add_f32_e32 v44, v46, v44
	v_add_f32_e32 v43, v43, v45
	;; [unrolled: 1-line block ×3, first 2 shown]
	v_sub_f32_e32 v46, v45, v47
	v_sub_f32_e32 v44, v44, v46
	v_add_f32_e32 v43, v43, v44
	v_add_f32_e32 v43, v45, v43
	v_cmp_neq_f32_e32 vcc, s66, v42
	v_cndmask_b32_e32 v43, v29, v43, vcc
	v_cmp_ngt_f32_e32 vcc, -1.0, v42
	v_cndmask_b32_e32 v43, v30, v43, vcc
	v_cmp_neq_f32_e32 vcc, -1.0, v42
	v_cndmask_b32_e32 v43, v32, v43, vcc
	v_cmp_lt_f32_e64 vcc, |v42|, s70
	v_cndmask_b32_e32 v42, v43, v42, vcc
	v_mul_f32_e32 v43, 0.5, v42
.LBB347_223:                            ;   in Loop: Header=BB347_199 Depth=3
	s_or_b64 exec, exec, s[10:11]
.LBB347_224:                            ;   in Loop: Header=BB347_199 Depth=3
	s_or_b64 exec, exec, s[8:9]
	v_max_f32_e64 v45, |v3|, |v3|
	v_max_f32_e64 v46, |v11|, |v11|
	v_min_f32_e32 v45, v46, v45
	v_frexp_mant_f32_e32 v46, v12
	v_rcp_f32_e32 v46, v46
	v_frexp_exp_i32_f32_e32 v12, v12
	v_frexp_exp_i32_f32_e32 v47, v45
	v_frexp_mant_f32_e32 v45, v45
	v_mul_f32_e32 v45, v45, v46
	v_sub_u32_e32 v12, v47, v12
	v_ldexp_f32 v12, v45, v12
	v_mul_f32_e32 v45, v12, v12
	v_mov_b32_e32 v46, 0xbc7a590c
	v_fmac_f32_e32 v46, 0x3b2d2a58, v45
	v_fma_f32 v46, v45, v46, v21
	v_fma_f32 v46, v45, v46, v22
	;; [unrolled: 1-line block ×6, first 2 shown]
	v_mul_f32_e32 v45, v45, v46
	v_cmp_gt_i32_e64 s[8:9], 0, v11
	v_fmac_f32_e32 v12, v12, v45
	v_cndmask_b32_e64 v44, 0, v35, s[8:9]
	v_sub_f32_e32 v45, 0x3fc90fdb, v12
	v_cmp_gt_f32_e64 s[8:9], |v3|, |v11|
	v_cndmask_b32_e64 v12, v12, v45, s[8:9]
	v_cmp_gt_f32_e32 vcc, 0, v11
	v_sub_f32_e32 v45, 0x40490fdb, v12
	v_cmp_class_f32_e64 s[10:11], v3, s71
	v_cmp_class_f32_e64 s[12:13], v11, s71
	v_cndmask_b32_e32 v42, v33, v34, vcc
	v_cndmask_b32_e32 v12, v12, v45, vcc
	v_cmp_eq_f32_e32 vcc, 0, v3
	v_cndmask_b32_e32 v12, v12, v44, vcc
	s_and_b64 vcc, s[12:13], s[10:11]
	v_cndmask_b32_e32 v12, v12, v42, vcc
	v_cmp_o_f32_e32 vcc, v11, v3
	v_cndmask_b32_e32 v11, v30, v12, vcc
	v_bfi_b32 v3, s50, v11, v3
	v_add_f32_e32 v44, v9, v43
	v_add_f32_e32 v42, v10, v3
                                        ; implicit-def: $vgpr43
                                        ; implicit-def: $vgpr10
.LBB347_225:                            ;   in Loop: Header=BB347_199 Depth=3
	s_andn2_saveexec_b64 s[40:41], s[40:41]
	s_cbranch_execz .LBB347_196
; %bb.226:                              ;   in Loop: Header=BB347_199 Depth=3
	v_cmp_ngt_f32_e32 vcc, 0, v44
	s_and_saveexec_b64 s[42:43], vcc
	s_cbranch_execz .LBB347_195
; %bb.227:                              ;   in Loop: Header=BB347_199 Depth=3
	v_and_b32_e32 v9, 0x7fffffff, v42
	v_lshrrev_b32_e32 v3, 23, v9
	v_and_b32_e32 v11, 0x7fffff, v9
	v_cmp_nlt_f32_e64 s[44:45], |v42|, s51
	v_add_u32_e32 v47, 0xffffff88, v3
	v_or_b32_e32 v46, 0x800000, v11
                                        ; implicit-def: $vgpr12
                                        ; implicit-def: $vgpr11
	s_and_saveexec_b64 s[8:9], s[44:45]
	s_xor_b64 s[46:47], exec, s[8:9]
	s_cbranch_execz .LBB347_229
; %bb.228:                              ;   in Loop: Header=BB347_199 Depth=3
	v_mad_u64_u32 v[11:12], s[8:9], v46, s53, 0
	v_cmp_lt_u32_e32 vcc, 63, v47
	v_mov_b32_e32 v3, v12
	v_mad_u64_u32 v[44:45], s[8:9], v46, s54, v[3:4]
	v_mov_b32_e32 v3, v45
	v_mad_u64_u32 v[48:49], s[8:9], v46, s55, v[3:4]
	;; [unrolled: 2-line block ×3, first 2 shown]
	v_cndmask_b32_e32 v3, 0, v27, vcc
	v_add_u32_e32 v12, v3, v47
	v_mov_b32_e32 v3, v50
	v_mad_u64_u32 v[50:51], s[8:9], v46, s57, v[3:4]
	v_cmp_lt_u32_e64 s[8:9], 31, v12
	v_cndmask_b32_e64 v3, 0, v28, s[8:9]
	v_add_u32_e32 v12, v3, v12
	v_mov_b32_e32 v3, v51
	v_mad_u64_u32 v[51:52], s[10:11], v46, s58, v[3:4]
	v_cmp_lt_u32_e64 s[10:11], 31, v12
	v_cndmask_b32_e64 v3, 0, v28, s[10:11]
	v_add_u32_e32 v12, v3, v12
	v_mov_b32_e32 v3, v52
	v_mad_u64_u32 v[52:53], s[12:13], v46, s59, v[3:4]
	v_cndmask_b32_e32 v3, v50, v48, vcc
	v_cndmask_b32_e32 v45, v51, v49, vcc
	;; [unrolled: 1-line block ×4, first 2 shown]
	v_cndmask_b32_e64 v54, v45, v3, s[8:9]
	v_cndmask_b32_e64 v45, v50, v45, s[8:9]
	;; [unrolled: 1-line block ×3, first 2 shown]
	v_cndmask_b32_e32 v44, v49, v44, vcc
	v_cndmask_b32_e64 v50, v50, v45, s[10:11]
	v_cndmask_b32_e64 v45, v45, v54, s[10:11]
	v_sub_u32_e32 v51, 32, v12
	v_cndmask_b32_e64 v3, v3, v44, s[8:9]
	v_alignbit_b32 v52, v50, v45, v51
	v_cmp_eq_u32_e64 s[12:13], 0, v12
	v_cndmask_b32_e64 v49, v54, v3, s[10:11]
	v_cndmask_b32_e32 v11, v48, v11, vcc
	v_cndmask_b32_e64 v12, v52, v50, s[12:13]
	v_alignbit_b32 v50, v45, v49, v51
	v_cndmask_b32_e64 v11, v44, v11, s[8:9]
	v_cndmask_b32_e64 v45, v50, v45, s[12:13]
	v_bfe_u32 v53, v12, 29, 1
	v_cndmask_b32_e64 v3, v3, v11, s[10:11]
	v_alignbit_b32 v50, v12, v45, 30
	v_sub_u32_e32 v54, 0, v53
	v_alignbit_b32 v11, v49, v3, v51
	v_xor_b32_e32 v50, v50, v54
	v_cndmask_b32_e64 v11, v11, v49, s[12:13]
	v_alignbit_b32 v44, v45, v11, 30
	v_ffbh_u32_e32 v45, v50
	v_min_u32_e32 v45, 32, v45
	v_alignbit_b32 v3, v11, v3, 30
	v_xor_b32_e32 v44, v44, v54
	v_sub_u32_e32 v48, 31, v45
	v_xor_b32_e32 v3, v3, v54
	v_alignbit_b32 v49, v50, v44, v48
	v_alignbit_b32 v3, v44, v3, v48
	;; [unrolled: 1-line block ×3, first 2 shown]
	v_ffbh_u32_e32 v44, v11
	v_min_u32_e32 v44, 32, v44
	v_lshrrev_b32_e32 v52, 29, v12
	v_not_b32_e32 v48, v44
	v_alignbit_b32 v3, v11, v3, v48
	v_lshlrev_b32_e32 v11, 31, v52
	v_or_b32_e32 v48, 0x33000000, v11
	v_add_lshl_u32 v44, v44, v45, 23
	v_lshrrev_b32_e32 v3, 9, v3
	v_sub_u32_e32 v44, v48, v44
	v_or_b32_e32 v11, 0.5, v11
	v_lshlrev_b32_e32 v45, 23, v45
	v_or_b32_e32 v3, v44, v3
	v_lshrrev_b32_e32 v44, 9, v49
	v_sub_u32_e32 v11, v11, v45
	v_or_b32_e32 v11, v44, v11
	v_mul_f32_e32 v44, 0x3fc90fda, v11
	v_fma_f32 v45, v11, s60, -v44
	v_fmac_f32_e32 v45, 0x33a22168, v11
	v_fmac_f32_e32 v45, 0x3fc90fda, v3
	v_lshrrev_b32_e32 v3, 30, v12
	v_add_f32_e32 v11, v44, v45
	v_add_u32_e32 v12, v53, v3
.LBB347_229:                            ;   in Loop: Header=BB347_199 Depth=3
	s_or_saveexec_b64 s[8:9], s[46:47]
	v_mul_f32_e64 v3, |v42|, s61
	v_rndne_f32_e32 v3, v3
	s_xor_b64 exec, exec, s[8:9]
; %bb.230:                              ;   in Loop: Header=BB347_199 Depth=3
	v_cvt_i32_f32_e32 v12, v3
	v_fma_f32 v11, v3, s62, |v42|
	v_fmac_f32_e32 v11, 0xb3a22168, v3
	v_fmac_f32_e32 v11, 0xa7c234c4, v3
; %bb.231:                              ;   in Loop: Header=BB347_199 Depth=3
	s_or_b64 exec, exec, s[8:9]
                                        ; implicit-def: $vgpr44
                                        ; implicit-def: $vgpr45
	s_and_saveexec_b64 s[8:9], s[44:45]
	s_xor_b64 s[44:45], exec, s[8:9]
	s_cbranch_execz .LBB347_233
; %bb.232:                              ;   in Loop: Header=BB347_199 Depth=3
	v_mad_u64_u32 v[44:45], s[8:9], v46, s53, 0
	v_cmp_lt_u32_e32 vcc, 63, v47
	v_mov_b32_e32 v3, v45
	v_mad_u64_u32 v[48:49], s[8:9], v46, s54, v[3:4]
	v_mov_b32_e32 v3, v49
	v_mad_u64_u32 v[49:50], s[8:9], v46, s55, v[3:4]
	;; [unrolled: 2-line block ×3, first 2 shown]
	v_cndmask_b32_e32 v3, 0, v27, vcc
	v_add_u32_e32 v45, v3, v47
	v_mov_b32_e32 v3, v51
	v_mad_u64_u32 v[51:52], s[8:9], v46, s57, v[3:4]
	v_cmp_lt_u32_e64 s[8:9], 31, v45
	v_cndmask_b32_e64 v3, 0, v28, s[8:9]
	v_add_u32_e32 v45, v3, v45
	v_mov_b32_e32 v3, v52
	v_mad_u64_u32 v[52:53], s[10:11], v46, s58, v[3:4]
	v_cmp_lt_u32_e64 s[10:11], 31, v45
	v_cndmask_b32_e64 v3, 0, v28, s[10:11]
	v_add_u32_e32 v47, v3, v45
	v_mov_b32_e32 v3, v53
	v_mad_u64_u32 v[45:46], s[12:13], v46, s59, v[3:4]
	v_cndmask_b32_e32 v3, v51, v49, vcc
	v_cndmask_b32_e32 v53, v52, v50, vcc
	;; [unrolled: 1-line block ×4, first 2 shown]
	v_cndmask_b32_e64 v54, v53, v3, s[8:9]
	v_cndmask_b32_e64 v51, v45, v53, s[8:9]
	;; [unrolled: 1-line block ×5, first 2 shown]
	v_sub_u32_e32 v51, 32, v47
	v_alignbit_b32 v52, v45, v46, v51
	v_cmp_eq_u32_e64 s[12:13], 0, v47
	v_cndmask_b32_e64 v47, v52, v45, s[12:13]
	v_cndmask_b32_e32 v45, v50, v48, vcc
	v_cndmask_b32_e64 v3, v3, v45, s[8:9]
	v_cndmask_b32_e64 v48, v54, v3, s[10:11]
	v_cndmask_b32_e32 v44, v49, v44, vcc
	v_alignbit_b32 v50, v46, v48, v51
	v_cndmask_b32_e64 v44, v45, v44, s[8:9]
	v_cndmask_b32_e64 v46, v50, v46, s[12:13]
	v_bfe_u32 v53, v47, 29, 1
	v_cndmask_b32_e64 v3, v3, v44, s[10:11]
	v_alignbit_b32 v50, v47, v46, 30
	v_sub_u32_e32 v54, 0, v53
	v_alignbit_b32 v44, v48, v3, v51
	v_xor_b32_e32 v50, v50, v54
	v_cndmask_b32_e64 v44, v44, v48, s[12:13]
	v_alignbit_b32 v45, v46, v44, 30
	v_ffbh_u32_e32 v46, v50
	v_min_u32_e32 v46, 32, v46
	v_alignbit_b32 v3, v44, v3, 30
	v_xor_b32_e32 v45, v45, v54
	v_sub_u32_e32 v48, 31, v46
	v_xor_b32_e32 v3, v3, v54
	v_alignbit_b32 v49, v50, v45, v48
	v_alignbit_b32 v3, v45, v3, v48
	;; [unrolled: 1-line block ×3, first 2 shown]
	v_ffbh_u32_e32 v45, v44
	v_min_u32_e32 v45, 32, v45
	v_lshrrev_b32_e32 v52, 29, v47
	v_not_b32_e32 v48, v45
	v_alignbit_b32 v3, v44, v3, v48
	v_lshlrev_b32_e32 v44, 31, v52
	v_or_b32_e32 v48, 0x33000000, v44
	v_add_lshl_u32 v45, v45, v46, 23
	v_lshrrev_b32_e32 v3, 9, v3
	v_sub_u32_e32 v45, v48, v45
	v_or_b32_e32 v44, 0.5, v44
	v_lshlrev_b32_e32 v46, 23, v46
	v_or_b32_e32 v3, v45, v3
	v_lshrrev_b32_e32 v45, 9, v49
	v_sub_u32_e32 v44, v44, v46
	v_or_b32_e32 v44, v45, v44
	v_mul_f32_e32 v45, 0x3fc90fda, v44
	v_fma_f32 v46, v44, s60, -v45
	v_fmac_f32_e32 v46, 0x33a22168, v44
	v_fmac_f32_e32 v46, 0x3fc90fda, v3
	v_lshrrev_b32_e32 v3, 30, v47
	v_add_f32_e32 v45, v45, v46
	v_add_u32_e32 v44, v53, v3
                                        ; implicit-def: $vgpr3
	s_andn2_saveexec_b64 s[8:9], s[44:45]
	s_cbranch_execnz .LBB347_234
	s_branch .LBB347_235
.LBB347_233:                            ;   in Loop: Header=BB347_199 Depth=3
	s_andn2_saveexec_b64 s[8:9], s[44:45]
.LBB347_234:                            ;   in Loop: Header=BB347_199 Depth=3
	v_cvt_i32_f32_e32 v44, v3
	v_fma_f32 v45, v3, s62, |v42|
	v_fmac_f32_e32 v45, 0xb3a22168, v3
	v_fmac_f32_e32 v45, 0xa7c234c4, v3
.LBB347_235:                            ;   in Loop: Header=BB347_199 Depth=3
	s_or_b64 exec, exec, s[8:9]
	v_and_b32_e32 v46, 0x7fffffff, v10
	v_lshrrev_b32_e32 v3, 23, v46
	v_and_b32_e32 v47, 0x7fffff, v46
	v_cmp_nlt_f32_e64 s[44:45], |v10|, s51
	v_add_u32_e32 v50, 0xffffff88, v3
	v_or_b32_e32 v49, 0x800000, v47
                                        ; implicit-def: $vgpr48
                                        ; implicit-def: $vgpr47
	s_and_saveexec_b64 s[8:9], s[44:45]
	s_xor_b64 s[46:47], exec, s[8:9]
	s_cbranch_execz .LBB347_237
; %bb.236:                              ;   in Loop: Header=BB347_199 Depth=3
	v_mad_u64_u32 v[47:48], s[8:9], v49, s53, 0
	v_cmp_lt_u32_e32 vcc, 63, v50
	v_mov_b32_e32 v3, v48
	v_mad_u64_u32 v[51:52], s[8:9], v49, s54, v[3:4]
	v_mov_b32_e32 v3, v52
	v_mad_u64_u32 v[52:53], s[8:9], v49, s55, v[3:4]
	;; [unrolled: 2-line block ×3, first 2 shown]
	v_cndmask_b32_e32 v3, 0, v27, vcc
	v_add_u32_e32 v48, v3, v50
	v_mov_b32_e32 v3, v54
	v_mad_u64_u32 v[54:55], s[8:9], v49, s57, v[3:4]
	v_cmp_lt_u32_e64 s[8:9], 31, v48
	v_cndmask_b32_e64 v3, 0, v28, s[8:9]
	v_add_u32_e32 v48, v3, v48
	v_mov_b32_e32 v3, v55
	v_mad_u64_u32 v[55:56], s[10:11], v49, s58, v[3:4]
	v_cmp_lt_u32_e64 s[10:11], 31, v48
	v_cndmask_b32_e64 v3, 0, v28, s[10:11]
	v_add_u32_e32 v48, v3, v48
	v_mov_b32_e32 v3, v56
	v_mad_u64_u32 v[56:57], s[12:13], v49, s59, v[3:4]
	v_cndmask_b32_e32 v3, v54, v52, vcc
	v_cndmask_b32_e32 v58, v55, v53, vcc
	;; [unrolled: 1-line block ×4, first 2 shown]
	v_cndmask_b32_e64 v59, v58, v3, s[8:9]
	v_cndmask_b32_e64 v56, v54, v58, s[8:9]
	;; [unrolled: 1-line block ×3, first 2 shown]
	v_cndmask_b32_e32 v51, v53, v51, vcc
	v_cndmask_b32_e64 v54, v54, v56, s[10:11]
	v_cndmask_b32_e64 v55, v56, v59, s[10:11]
	v_sub_u32_e32 v56, 32, v48
	v_cndmask_b32_e64 v3, v3, v51, s[8:9]
	v_alignbit_b32 v57, v54, v55, v56
	v_cmp_eq_u32_e64 s[12:13], 0, v48
	v_cndmask_b32_e64 v53, v59, v3, s[10:11]
	v_cndmask_b32_e64 v48, v57, v54, s[12:13]
	v_alignbit_b32 v54, v55, v53, v56
	v_cndmask_b32_e32 v47, v52, v47, vcc
	v_cndmask_b32_e64 v54, v54, v55, s[12:13]
	v_bfe_u32 v58, v48, 29, 1
	v_cndmask_b32_e64 v47, v51, v47, s[8:9]
	v_alignbit_b32 v55, v48, v54, 30
	v_sub_u32_e32 v59, 0, v58
	v_cndmask_b32_e64 v3, v3, v47, s[10:11]
	v_xor_b32_e32 v55, v55, v59
	v_alignbit_b32 v47, v53, v3, v56
	v_cndmask_b32_e64 v47, v47, v53, s[12:13]
	v_ffbh_u32_e32 v52, v55
	v_alignbit_b32 v51, v54, v47, 30
	v_min_u32_e32 v52, 32, v52
	v_alignbit_b32 v3, v47, v3, 30
	v_xor_b32_e32 v51, v51, v59
	v_sub_u32_e32 v53, 31, v52
	v_xor_b32_e32 v3, v3, v59
	v_alignbit_b32 v54, v55, v51, v53
	v_alignbit_b32 v3, v51, v3, v53
	;; [unrolled: 1-line block ×3, first 2 shown]
	v_ffbh_u32_e32 v51, v47
	v_min_u32_e32 v51, 32, v51
	v_lshrrev_b32_e32 v57, 29, v48
	v_not_b32_e32 v53, v51
	v_alignbit_b32 v3, v47, v3, v53
	v_lshlrev_b32_e32 v47, 31, v57
	v_or_b32_e32 v53, 0x33000000, v47
	v_add_lshl_u32 v51, v51, v52, 23
	v_lshrrev_b32_e32 v3, 9, v3
	v_sub_u32_e32 v51, v53, v51
	v_or_b32_e32 v47, 0.5, v47
	v_lshlrev_b32_e32 v52, 23, v52
	v_or_b32_e32 v3, v51, v3
	v_lshrrev_b32_e32 v51, 9, v54
	v_sub_u32_e32 v47, v47, v52
	v_or_b32_e32 v47, v51, v47
	v_mul_f32_e32 v51, 0x3fc90fda, v47
	v_fma_f32 v52, v47, s60, -v51
	v_fmac_f32_e32 v52, 0x33a22168, v47
	v_fmac_f32_e32 v52, 0x3fc90fda, v3
	v_lshrrev_b32_e32 v3, 30, v48
	v_add_f32_e32 v47, v51, v52
	v_add_u32_e32 v48, v58, v3
.LBB347_237:                            ;   in Loop: Header=BB347_199 Depth=3
	s_or_saveexec_b64 s[8:9], s[46:47]
	v_mul_f32_e64 v3, |v10|, s61
	v_rndne_f32_e32 v52, v3
	s_xor_b64 exec, exec, s[8:9]
; %bb.238:                              ;   in Loop: Header=BB347_199 Depth=3
	v_cvt_i32_f32_e32 v48, v52
	v_fma_f32 v47, v52, s62, |v10|
	v_fmac_f32_e32 v47, 0xb3a22168, v52
	v_fmac_f32_e32 v47, 0xa7c234c4, v52
; %bb.239:                              ;   in Loop: Header=BB347_199 Depth=3
	s_or_b64 exec, exec, s[8:9]
                                        ; implicit-def: $vgpr3
                                        ; implicit-def: $vgpr51
	s_and_saveexec_b64 s[8:9], s[44:45]
	s_xor_b64 s[44:45], exec, s[8:9]
	s_cbranch_execz .LBB347_241
; %bb.240:                              ;   in Loop: Header=BB347_199 Depth=3
	v_mad_u64_u32 v[51:52], s[8:9], v49, s53, 0
	v_cmp_lt_u32_e32 vcc, 63, v50
	v_mov_b32_e32 v3, v52
	v_mad_u64_u32 v[52:53], s[8:9], v49, s54, v[3:4]
	v_mov_b32_e32 v3, v53
	v_mad_u64_u32 v[53:54], s[8:9], v49, s55, v[3:4]
	;; [unrolled: 2-line block ×3, first 2 shown]
	v_cndmask_b32_e32 v3, 0, v27, vcc
	v_add_u32_e32 v50, v3, v50
	v_mov_b32_e32 v3, v55
	v_mad_u64_u32 v[55:56], s[8:9], v49, s57, v[3:4]
	v_cmp_lt_u32_e64 s[8:9], 31, v50
	v_cndmask_b32_e64 v3, 0, v28, s[8:9]
	v_add_u32_e32 v50, v3, v50
	v_mov_b32_e32 v3, v56
	v_mad_u64_u32 v[56:57], s[10:11], v49, s58, v[3:4]
	v_cmp_lt_u32_e64 s[10:11], 31, v50
	v_cndmask_b32_e64 v3, 0, v28, s[10:11]
	v_add_u32_e32 v58, v3, v50
	v_mov_b32_e32 v3, v57
	v_mad_u64_u32 v[49:50], s[12:13], v49, s59, v[3:4]
	v_cndmask_b32_e32 v3, v55, v53, vcc
	v_cndmask_b32_e32 v57, v56, v54, vcc
	;; [unrolled: 1-line block ×4, first 2 shown]
	v_cndmask_b32_e64 v59, v57, v3, s[8:9]
	v_cndmask_b32_e64 v55, v49, v57, s[8:9]
	;; [unrolled: 1-line block ×3, first 2 shown]
	v_cndmask_b32_e32 v52, v54, v52, vcc
	v_cndmask_b32_e64 v49, v49, v55, s[10:11]
	v_cndmask_b32_e64 v50, v55, v59, s[10:11]
	v_sub_u32_e32 v55, 32, v58
	v_cndmask_b32_e64 v3, v3, v52, s[8:9]
	v_alignbit_b32 v56, v49, v50, v55
	v_cmp_eq_u32_e64 s[12:13], 0, v58
	v_cndmask_b32_e64 v54, v59, v3, s[10:11]
	v_cndmask_b32_e64 v49, v56, v49, s[12:13]
	v_alignbit_b32 v56, v50, v54, v55
	v_cndmask_b32_e32 v51, v53, v51, vcc
	v_cndmask_b32_e64 v50, v56, v50, s[12:13]
	v_bfe_u32 v58, v49, 29, 1
	v_cndmask_b32_e64 v51, v52, v51, s[8:9]
	v_alignbit_b32 v56, v49, v50, 30
	v_sub_u32_e32 v59, 0, v58
	v_cndmask_b32_e64 v3, v3, v51, s[10:11]
	v_xor_b32_e32 v56, v56, v59
	v_alignbit_b32 v51, v54, v3, v55
	v_cndmask_b32_e64 v51, v51, v54, s[12:13]
	v_ffbh_u32_e32 v52, v56
	v_alignbit_b32 v50, v50, v51, 30
	v_min_u32_e32 v52, 32, v52
	v_alignbit_b32 v3, v51, v3, 30
	v_xor_b32_e32 v50, v50, v59
	v_sub_u32_e32 v53, 31, v52
	v_xor_b32_e32 v3, v3, v59
	v_alignbit_b32 v54, v56, v50, v53
	v_alignbit_b32 v3, v50, v3, v53
	v_alignbit_b32 v50, v54, v3, 9
	v_ffbh_u32_e32 v51, v50
	v_min_u32_e32 v51, 32, v51
	v_lshrrev_b32_e32 v57, 29, v49
	v_not_b32_e32 v53, v51
	v_alignbit_b32 v3, v50, v3, v53
	v_lshlrev_b32_e32 v50, 31, v57
	v_or_b32_e32 v53, 0x33000000, v50
	v_add_lshl_u32 v51, v51, v52, 23
	v_lshrrev_b32_e32 v3, 9, v3
	v_sub_u32_e32 v51, v53, v51
	v_or_b32_e32 v50, 0.5, v50
	v_lshlrev_b32_e32 v52, 23, v52
	v_or_b32_e32 v3, v51, v3
	v_lshrrev_b32_e32 v51, 9, v54
	v_sub_u32_e32 v50, v50, v52
	v_or_b32_e32 v50, v51, v50
	v_mul_f32_e32 v51, 0x3fc90fda, v50
	v_fma_f32 v52, v50, s60, -v51
	v_fmac_f32_e32 v52, 0x33a22168, v50
	v_fmac_f32_e32 v52, 0x3fc90fda, v3
	v_lshrrev_b32_e32 v3, 30, v49
	v_add_f32_e32 v51, v51, v52
	v_add_u32_e32 v3, v58, v3
                                        ; implicit-def: $vgpr52
	s_andn2_saveexec_b64 s[8:9], s[44:45]
	s_cbranch_execnz .LBB347_242
	s_branch .LBB347_243
.LBB347_241:                            ;   in Loop: Header=BB347_199 Depth=3
	s_andn2_saveexec_b64 s[8:9], s[44:45]
.LBB347_242:                            ;   in Loop: Header=BB347_199 Depth=3
	v_cvt_i32_f32_e32 v3, v52
	v_fma_f32 v51, v52, s62, |v10|
	v_fmac_f32_e32 v51, 0xb3a22168, v52
	v_fmac_f32_e32 v51, 0xa7c234c4, v52
.LBB347_243:                            ;   in Loop: Header=BB347_199 Depth=3
	s_or_b64 exec, exec, s[8:9]
	v_mul_f32_e32 v50, v11, v11
	v_mov_b32_e32 v52, 0x3c0881c4
	v_fmac_f32_e32 v52, 0xb94c1982, v50
	v_fma_f32 v52, v50, v52, v19
	v_mul_f32_e32 v52, v50, v52
	v_fmac_f32_e32 v11, v11, v52
	v_mov_b32_e32 v52, 0xbab64f3b
	v_fmac_f32_e32 v52, 0x37d75334, v50
	v_fma_f32 v52, v50, v52, v17
	v_lshlrev_b32_e32 v49, 30, v12
	v_and_b32_e32 v12, 1, v12
	v_fma_f32 v52, v50, v52, v18
	v_and_b32_e32 v49, 0x80000000, v49
	v_fma_f32 v50, v50, v52, 1.0
	v_cmp_eq_u32_e32 vcc, 0, v12
	v_xor_b32_e32 v9, v9, v43
	v_cndmask_b32_e32 v11, v50, v11, vcc
	v_xor_b32_e32 v9, v9, v49
	v_xor_b32_e32 v9, v9, v11
	v_mul_f32_e32 v11, v45, v45
	v_mov_b32_e32 v12, 0x3c0881c4
	v_fmac_f32_e32 v12, 0xb94c1982, v11
	v_fma_f32 v12, v11, v12, v19
	v_mul_f32_e32 v12, v11, v12
	v_fmac_f32_e32 v45, v45, v12
	v_mov_b32_e32 v12, 0xbab64f3b
	v_fmac_f32_e32 v12, 0x37d75334, v11
	v_fma_f32 v12, v11, v12, v17
	v_fma_f32 v12, v11, v12, v18
	v_fma_f32 v11, v11, v12, 1.0
	v_and_b32_e32 v12, 1, v44
	v_cmp_eq_u32_e64 s[8:9], 0, v12
	v_lshlrev_b32_e32 v12, 30, v44
	v_mul_f32_e32 v43, v47, v47
	v_mov_b32_e32 v44, 0x3c0881c4
	v_fmac_f32_e32 v44, 0xb94c1982, v43
	v_fma_f32 v44, v43, v44, v19
	v_cndmask_b32_e64 v11, -v45, v11, s[8:9]
	v_and_b32_e32 v12, 0x80000000, v12
	v_mul_f32_e32 v44, v43, v44
	v_cmp_class_f32_e64 vcc, v42, s49
	v_xor_b32_e32 v11, v12, v11
	v_fmac_f32_e32 v47, v47, v44
	v_mov_b32_e32 v44, 0xbab64f3b
	v_cndmask_b32_e32 v11, v30, v11, vcc
	v_fmac_f32_e32 v44, 0x37d75334, v43
	v_cndmask_b32_e32 v9, v30, v9, vcc
	v_mul_f32_e32 v12, 0x7f800000, v11
	v_cmp_neq_f32_e32 vcc, 0, v11
	v_fma_f32 v44, v43, v44, v17
	v_cndmask_b32_e32 v11, 0, v12, vcc
	v_mul_f32_e32 v12, 0x7f800000, v9
	v_cmp_neq_f32_e32 vcc, 0, v9
	v_and_b32_e32 v42, 1, v48
	v_fma_f32 v44, v43, v44, v18
	v_cndmask_b32_e32 v9, 0, v12, vcc
	v_lshlrev_b32_e32 v12, 30, v48
	v_fma_f32 v43, v43, v44, 1.0
	v_cmp_eq_u32_e32 vcc, 0, v42
	v_and_b32_e32 v12, 0x80000000, v12
	v_cndmask_b32_e32 v42, v43, v47, vcc
	v_xor_b32_e32 v43, v46, v10
	v_xor_b32_e32 v12, v43, v12
	;; [unrolled: 1-line block ×3, first 2 shown]
	v_cmp_class_f32_e64 vcc, v10, s49
	v_cndmask_b32_e32 v10, v30, v12, vcc
	v_mul_f32_e32 v12, v51, v51
	v_mov_b32_e32 v42, 0x3c0881c4
	v_fmac_f32_e32 v42, 0xb94c1982, v12
	v_fma_f32 v42, v12, v42, v19
	v_mul_f32_e32 v42, v12, v42
	v_fmac_f32_e32 v51, v51, v42
	v_mov_b32_e32 v42, 0xbab64f3b
	v_fmac_f32_e32 v42, 0x37d75334, v12
	v_fma_f32 v42, v12, v42, v17
	v_fma_f32 v42, v12, v42, v18
	v_fma_f32 v12, v12, v42, 1.0
	v_and_b32_e32 v42, 1, v3
	v_cmp_eq_u32_e64 s[8:9], 0, v42
	v_lshlrev_b32_e32 v3, 30, v3
	v_cndmask_b32_e64 v12, -v51, v12, s[8:9]
	v_and_b32_e32 v3, 0x80000000, v3
	v_xor_b32_e32 v3, v3, v12
	v_cndmask_b32_e32 v3, v30, v3, vcc
	v_mul_f32_e32 v12, 0x7f800000, v3
	v_cmp_neq_f32_e32 vcc, 0, v3
	v_cndmask_b32_e32 v3, 0, v12, vcc
	v_mul_f32_e32 v12, 0x7f800000, v10
	v_cmp_neq_f32_e32 vcc, 0, v10
	v_cndmask_b32_e32 v10, 0, v12, vcc
	v_add_f32_e32 v11, v11, v3
	v_add_f32_e32 v3, v9, v10
	v_add_f32_e32 v44, -1.0, v11
	v_max_f32_e64 v11, |v44|, |v3|
	v_cvt_f64_f32_e32 v[9:10], v11
	v_cmp_eq_f32_e32 vcc, s66, v11
	v_frexp_exp_i32_f64_e32 v9, v[9:10]
	v_sub_u32_e32 v10, 0, v9
	v_ldexp_f32 v12, |v44|, v10
	v_ldexp_f32 v10, |v3|, v10
	v_mul_f32_e32 v10, v10, v10
	v_fmac_f32_e32 v10, v12, v12
	v_sqrt_f32_e32 v10, v10
	v_ldexp_f32 v12, v10, v9
	v_add_f32_e32 v9, 1.0, v44
	v_cmp_ngt_f32_e64 s[8:9], 0.5, v12
	v_max_f32_e64 v10, |v9|, |v3|
	s_or_b64 s[8:9], vcc, s[8:9]
	s_and_saveexec_b64 s[10:11], s[8:9]
	s_xor_b64 s[10:11], exec, s[10:11]
	s_cbranch_execz .LBB347_245
; %bb.244:                              ;   in Loop: Header=BB347_199 Depth=3
	v_cvt_f64_f32_e32 v[11:12], v10
	v_cmp_neq_f32_e32 vcc, s66, v10
	v_frexp_exp_i32_f64_e32 v11, v[11:12]
	v_sub_u32_e32 v12, 0, v11
	v_ldexp_f32 v42, |v9|, v12
	v_ldexp_f32 v12, |v3|, v12
	v_mul_f32_e32 v12, v12, v12
	v_fmac_f32_e32 v12, v42, v42
	v_sqrt_f32_e32 v12, v12
	v_ldexp_f32 v11, v12, v11
	v_cndmask_b32_e32 v11, v29, v11, vcc
	v_cmp_gt_f32_e32 vcc, s52, v11
	v_cndmask_b32_e64 v12, 0, 32, vcc
	v_ldexp_f32 v11, v11, v12
	v_log_f32_e32 v11, v11
	v_mul_f32_e32 v12, 0x3f317217, v11
	v_fma_f32 v12, v11, s67, -v12
	v_fmac_f32_e32 v12, 0x3377d1cf, v11
	v_fmac_f32_e32 v12, 0x3f317217, v11
	v_cmp_lt_f32_e64 s[8:9], |v11|, s66
	v_cndmask_b32_e64 v11, v11, v12, s[8:9]
	v_cndmask_b32_e32 v12, 0, v31, vcc
	v_sub_f32_e32 v44, v11, v12
.LBB347_245:                            ;   in Loop: Header=BB347_199 Depth=3
	s_andn2_saveexec_b64 s[8:9], s[10:11]
	s_cbranch_execz .LBB347_194
; %bb.246:                              ;   in Loop: Header=BB347_199 Depth=3
	v_add_f32_e32 v11, 2.0, v44
	v_mul_f32_e32 v11, v44, v11
	v_fmac_f32_e32 v11, v3, v3
	v_cmp_neq_f32_e32 vcc, 0, v11
	s_and_saveexec_b64 s[10:11], vcc
	s_cbranch_execz .LBB347_193
; %bb.247:                              ;   in Loop: Header=BB347_199 Depth=3
	v_add_f32_e32 v12, 1.0, v11
	v_cvt_f64_f32_e32 v[42:43], v12
	v_add_f32_e32 v44, -1.0, v12
	v_sub_f32_e32 v45, v44, v12
	v_sub_f32_e32 v44, v11, v44
	v_frexp_exp_i32_f64_e32 v42, v[42:43]
	v_frexp_mant_f32_e32 v43, v12
	v_cmp_gt_f32_e32 vcc, s68, v43
	v_add_f32_e32 v45, 1.0, v45
	v_add_f32_e32 v44, v44, v45
	v_subbrev_co_u32_e32 v42, vcc, 0, v42, vcc
	v_sub_u32_e32 v43, 0, v42
	v_ldexp_f32 v12, v12, v43
	v_ldexp_f32 v43, v44, v43
	v_add_f32_e32 v44, -1.0, v12
	v_add_f32_e32 v45, 1.0, v12
	v_add_f32_e32 v46, 1.0, v44
	v_add_f32_e32 v48, -1.0, v45
	v_sub_f32_e32 v46, v12, v46
	v_sub_f32_e32 v12, v12, v48
	v_add_f32_e32 v12, v43, v12
	v_add_f32_e32 v46, v43, v46
	v_add_f32_e32 v43, v45, v12
	v_rcp_f32_e32 v48, v43
	v_add_f32_e32 v47, v44, v46
	v_sub_f32_e32 v45, v43, v45
	v_sub_f32_e32 v44, v47, v44
	;; [unrolled: 1-line block ×3, first 2 shown]
	v_mul_f32_e32 v45, v47, v48
	v_sub_f32_e32 v44, v46, v44
	v_mul_f32_e32 v46, v43, v45
	v_fma_f32 v49, v45, v43, -v46
	v_fmac_f32_e32 v49, v45, v12
	v_add_f32_e32 v50, v46, v49
	v_sub_f32_e32 v51, v47, v50
	v_sub_f32_e32 v47, v47, v51
	;; [unrolled: 1-line block ×4, first 2 shown]
	v_add_f32_e32 v44, v44, v47
	v_sub_f32_e32 v46, v46, v49
	v_add_f32_e32 v44, v46, v44
	v_add_f32_e32 v46, v51, v44
	v_mul_f32_e32 v47, v48, v46
	v_mul_f32_e32 v49, v43, v47
	v_fma_f32 v43, v47, v43, -v49
	v_fmac_f32_e32 v43, v47, v12
	v_sub_f32_e32 v12, v51, v46
	v_add_f32_e32 v12, v44, v12
	v_add_f32_e32 v44, v49, v43
	v_sub_f32_e32 v50, v46, v44
	v_sub_f32_e32 v46, v46, v50
	;; [unrolled: 1-line block ×4, first 2 shown]
	v_add_f32_e32 v12, v12, v44
	v_sub_f32_e32 v43, v49, v43
	v_cvt_f32_i32_e32 v42, v42
	v_add_f32_e32 v12, v43, v12
	v_add_f32_e32 v43, v45, v47
	;; [unrolled: 1-line block ×3, first 2 shown]
	v_sub_f32_e32 v44, v43, v45
	v_mul_f32_e32 v12, v48, v12
	v_sub_f32_e32 v44, v47, v44
	v_add_f32_e32 v12, v44, v12
	v_mul_f32_e32 v47, 0x3f317218, v42
	v_add_f32_e32 v44, v43, v12
	v_fma_f32 v48, v42, s69, -v47
	v_mul_f32_e32 v45, v44, v44
	v_mov_b32_e32 v46, 0x3ecc95a3
	v_fmac_f32_e32 v48, 0xb102e308, v42
	v_sub_f32_e32 v42, v44, v43
	v_fmac_f32_e32 v46, 0x3e9b6dac, v45
	v_sub_f32_e32 v12, v12, v42
	v_add_f32_e32 v42, v47, v48
	v_fma_f32 v46, v45, v46, v20
	v_sub_f32_e32 v43, v42, v47
	v_ldexp_f32 v47, v44, 1
	v_mul_f32_e32 v44, v44, v45
	v_mul_f32_e32 v44, v44, v46
	v_add_f32_e32 v45, v47, v44
	v_sub_f32_e32 v46, v45, v47
	v_ldexp_f32 v12, v12, 1
	v_sub_f32_e32 v44, v44, v46
	v_add_f32_e32 v12, v12, v44
	v_add_f32_e32 v44, v45, v12
	v_sub_f32_e32 v45, v44, v45
	v_sub_f32_e32 v12, v12, v45
	v_add_f32_e32 v45, v42, v44
	v_sub_f32_e32 v46, v45, v42
	v_sub_f32_e32 v47, v45, v46
	;; [unrolled: 1-line block ×5, first 2 shown]
	v_add_f32_e32 v42, v44, v42
	v_add_f32_e32 v44, v43, v12
	v_sub_f32_e32 v46, v44, v43
	v_sub_f32_e32 v47, v44, v46
	;; [unrolled: 1-line block ×4, first 2 shown]
	v_add_f32_e32 v42, v44, v42
	v_add_f32_e32 v12, v12, v43
	;; [unrolled: 1-line block ×3, first 2 shown]
	v_sub_f32_e32 v44, v43, v45
	v_sub_f32_e32 v42, v42, v44
	v_add_f32_e32 v12, v12, v42
	v_add_f32_e32 v12, v43, v12
	v_cmp_neq_f32_e32 vcc, s66, v11
	v_cndmask_b32_e32 v12, v29, v12, vcc
	v_cmp_ngt_f32_e32 vcc, -1.0, v11
	v_cndmask_b32_e32 v12, v30, v12, vcc
	v_cmp_neq_f32_e32 vcc, -1.0, v11
	v_cndmask_b32_e32 v12, v32, v12, vcc
	v_cmp_lt_f32_e64 vcc, |v11|, s70
	v_cndmask_b32_e32 v11, v12, v11, vcc
	v_mul_f32_e32 v44, 0.5, v11
	s_branch .LBB347_193
.LBB347_248:                            ;   in Loop: Header=BB347_133 Depth=2
	s_or_b64 exec, exec, s[34:35]
	s_and_saveexec_b64 s[8:9], s[4:5]
	s_cbranch_execz .LBB347_132
; %bb.249:                              ;   in Loop: Header=BB347_133 Depth=2
	v_cmp_gt_u64_e32 vcc, s[30:31], v[7:8]
	s_and_saveexec_b64 s[10:11], vcc
	s_cbranch_execz .LBB347_251
; %bb.250:                              ;   in Loop: Header=BB347_133 Depth=2
	ds_read_b64 v[9:10], v14
	v_lshlrev_b64 v[7:8], 3, v[7:8]
	v_add_co_u32_e32 v7, vcc, v38, v7
	v_addc_co_u32_e32 v8, vcc, v39, v8, vcc
	s_waitcnt lgkmcnt(0)
	global_store_dwordx2 v[7:8], v[9:10], off
.LBB347_251:                            ;   in Loop: Header=BB347_133 Depth=2
	s_or_b64 exec, exec, s[10:11]
	v_cmp_gt_u64_e32 vcc, s[30:31], v[5:6]
	s_and_b64 exec, exec, vcc
	s_cbranch_execz .LBB347_132
; %bb.252:                              ;   in Loop: Header=BB347_133 Depth=2
	ds_read_b64 v[7:8], v15
	v_lshlrev_b64 v[5:6], 3, v[5:6]
	v_add_co_u32_e32 v5, vcc, v38, v5
	v_addc_co_u32_e32 v6, vcc, v39, v6, vcc
	s_waitcnt lgkmcnt(0)
	global_store_dwordx2 v[5:6], v[7:8], off
	s_branch .LBB347_132
.LBB347_253:
	s_endpgm
	.section	.rodata,"a",@progbits
	.p2align	6, 0x0
	.amdhsa_kernel _ZN2at6native32tensor_kernel_scan_innermost_dimIN3c107complexIfEEZZZNS0_31launch_logcumsumexp_cuda_kernelERKNS_10TensorBaseES7_lENKUlvE_clEvENKUlvE2_clEvEUlS4_S4_E_EEvPT_PKSB_jjjSB_T0_
		.amdhsa_group_segment_fixed_size 0
		.amdhsa_private_segment_fixed_size 0
		.amdhsa_kernarg_size 304
		.amdhsa_user_sgpr_count 6
		.amdhsa_user_sgpr_private_segment_buffer 1
		.amdhsa_user_sgpr_dispatch_ptr 0
		.amdhsa_user_sgpr_queue_ptr 0
		.amdhsa_user_sgpr_kernarg_segment_ptr 1
		.amdhsa_user_sgpr_dispatch_id 0
		.amdhsa_user_sgpr_flat_scratch_init 0
		.amdhsa_user_sgpr_private_segment_size 0
		.amdhsa_uses_dynamic_stack 0
		.amdhsa_system_sgpr_private_segment_wavefront_offset 0
		.amdhsa_system_sgpr_workgroup_id_x 1
		.amdhsa_system_sgpr_workgroup_id_y 0
		.amdhsa_system_sgpr_workgroup_id_z 0
		.amdhsa_system_sgpr_workgroup_info 0
		.amdhsa_system_vgpr_workitem_id 1
		.amdhsa_next_free_vgpr 60
		.amdhsa_next_free_sgpr 72
		.amdhsa_reserve_vcc 1
		.amdhsa_reserve_flat_scratch 0
		.amdhsa_float_round_mode_32 0
		.amdhsa_float_round_mode_16_64 0
		.amdhsa_float_denorm_mode_32 3
		.amdhsa_float_denorm_mode_16_64 3
		.amdhsa_dx10_clamp 1
		.amdhsa_ieee_mode 1
		.amdhsa_fp16_overflow 0
		.amdhsa_exception_fp_ieee_invalid_op 0
		.amdhsa_exception_fp_denorm_src 0
		.amdhsa_exception_fp_ieee_div_zero 0
		.amdhsa_exception_fp_ieee_overflow 0
		.amdhsa_exception_fp_ieee_underflow 0
		.amdhsa_exception_fp_ieee_inexact 0
		.amdhsa_exception_int_div_zero 0
	.end_amdhsa_kernel
	.section	.text._ZN2at6native32tensor_kernel_scan_innermost_dimIN3c107complexIfEEZZZNS0_31launch_logcumsumexp_cuda_kernelERKNS_10TensorBaseES7_lENKUlvE_clEvENKUlvE2_clEvEUlS4_S4_E_EEvPT_PKSB_jjjSB_T0_,"axG",@progbits,_ZN2at6native32tensor_kernel_scan_innermost_dimIN3c107complexIfEEZZZNS0_31launch_logcumsumexp_cuda_kernelERKNS_10TensorBaseES7_lENKUlvE_clEvENKUlvE2_clEvEUlS4_S4_E_EEvPT_PKSB_jjjSB_T0_,comdat
.Lfunc_end347:
	.size	_ZN2at6native32tensor_kernel_scan_innermost_dimIN3c107complexIfEEZZZNS0_31launch_logcumsumexp_cuda_kernelERKNS_10TensorBaseES7_lENKUlvE_clEvENKUlvE2_clEvEUlS4_S4_E_EEvPT_PKSB_jjjSB_T0_, .Lfunc_end347-_ZN2at6native32tensor_kernel_scan_innermost_dimIN3c107complexIfEEZZZNS0_31launch_logcumsumexp_cuda_kernelERKNS_10TensorBaseES7_lENKUlvE_clEvENKUlvE2_clEvEUlS4_S4_E_EEvPT_PKSB_jjjSB_T0_
                                        ; -- End function
	.set _ZN2at6native32tensor_kernel_scan_innermost_dimIN3c107complexIfEEZZZNS0_31launch_logcumsumexp_cuda_kernelERKNS_10TensorBaseES7_lENKUlvE_clEvENKUlvE2_clEvEUlS4_S4_E_EEvPT_PKSB_jjjSB_T0_.num_vgpr, 60
	.set _ZN2at6native32tensor_kernel_scan_innermost_dimIN3c107complexIfEEZZZNS0_31launch_logcumsumexp_cuda_kernelERKNS_10TensorBaseES7_lENKUlvE_clEvENKUlvE2_clEvEUlS4_S4_E_EEvPT_PKSB_jjjSB_T0_.num_agpr, 0
	.set _ZN2at6native32tensor_kernel_scan_innermost_dimIN3c107complexIfEEZZZNS0_31launch_logcumsumexp_cuda_kernelERKNS_10TensorBaseES7_lENKUlvE_clEvENKUlvE2_clEvEUlS4_S4_E_EEvPT_PKSB_jjjSB_T0_.numbered_sgpr, 72
	.set _ZN2at6native32tensor_kernel_scan_innermost_dimIN3c107complexIfEEZZZNS0_31launch_logcumsumexp_cuda_kernelERKNS_10TensorBaseES7_lENKUlvE_clEvENKUlvE2_clEvEUlS4_S4_E_EEvPT_PKSB_jjjSB_T0_.num_named_barrier, 0
	.set _ZN2at6native32tensor_kernel_scan_innermost_dimIN3c107complexIfEEZZZNS0_31launch_logcumsumexp_cuda_kernelERKNS_10TensorBaseES7_lENKUlvE_clEvENKUlvE2_clEvEUlS4_S4_E_EEvPT_PKSB_jjjSB_T0_.private_seg_size, 0
	.set _ZN2at6native32tensor_kernel_scan_innermost_dimIN3c107complexIfEEZZZNS0_31launch_logcumsumexp_cuda_kernelERKNS_10TensorBaseES7_lENKUlvE_clEvENKUlvE2_clEvEUlS4_S4_E_EEvPT_PKSB_jjjSB_T0_.uses_vcc, 1
	.set _ZN2at6native32tensor_kernel_scan_innermost_dimIN3c107complexIfEEZZZNS0_31launch_logcumsumexp_cuda_kernelERKNS_10TensorBaseES7_lENKUlvE_clEvENKUlvE2_clEvEUlS4_S4_E_EEvPT_PKSB_jjjSB_T0_.uses_flat_scratch, 0
	.set _ZN2at6native32tensor_kernel_scan_innermost_dimIN3c107complexIfEEZZZNS0_31launch_logcumsumexp_cuda_kernelERKNS_10TensorBaseES7_lENKUlvE_clEvENKUlvE2_clEvEUlS4_S4_E_EEvPT_PKSB_jjjSB_T0_.has_dyn_sized_stack, 0
	.set _ZN2at6native32tensor_kernel_scan_innermost_dimIN3c107complexIfEEZZZNS0_31launch_logcumsumexp_cuda_kernelERKNS_10TensorBaseES7_lENKUlvE_clEvENKUlvE2_clEvEUlS4_S4_E_EEvPT_PKSB_jjjSB_T0_.has_recursion, 0
	.set _ZN2at6native32tensor_kernel_scan_innermost_dimIN3c107complexIfEEZZZNS0_31launch_logcumsumexp_cuda_kernelERKNS_10TensorBaseES7_lENKUlvE_clEvENKUlvE2_clEvEUlS4_S4_E_EEvPT_PKSB_jjjSB_T0_.has_indirect_call, 0
	.section	.AMDGPU.csdata,"",@progbits
; Kernel info:
; codeLenInByte = 29900
; TotalNumSgprs: 76
; NumVgprs: 60
; ScratchSize: 0
; MemoryBound: 0
; FloatMode: 240
; IeeeMode: 1
; LDSByteSize: 0 bytes/workgroup (compile time only)
; SGPRBlocks: 9
; VGPRBlocks: 14
; NumSGPRsForWavesPerEU: 76
; NumVGPRsForWavesPerEU: 60
; Occupancy: 4
; WaveLimiterHint : 0
; COMPUTE_PGM_RSRC2:SCRATCH_EN: 0
; COMPUTE_PGM_RSRC2:USER_SGPR: 6
; COMPUTE_PGM_RSRC2:TRAP_HANDLER: 0
; COMPUTE_PGM_RSRC2:TGID_X_EN: 1
; COMPUTE_PGM_RSRC2:TGID_Y_EN: 0
; COMPUTE_PGM_RSRC2:TGID_Z_EN: 0
; COMPUTE_PGM_RSRC2:TIDIG_COMP_CNT: 1
	.section	.text._ZN2at6native28tensor_kernel_scan_outer_dimIN3c107complexIfEEjZZZNS0_31launch_logcumsumexp_cuda_kernelERKNS_10TensorBaseES7_lENKUlvE_clEvENKUlvE2_clEvEUlS4_S4_E_EEvPT_PKSB_jjjSB_T1_,"axG",@progbits,_ZN2at6native28tensor_kernel_scan_outer_dimIN3c107complexIfEEjZZZNS0_31launch_logcumsumexp_cuda_kernelERKNS_10TensorBaseES7_lENKUlvE_clEvENKUlvE2_clEvEUlS4_S4_E_EEvPT_PKSB_jjjSB_T1_,comdat
	.globl	_ZN2at6native28tensor_kernel_scan_outer_dimIN3c107complexIfEEjZZZNS0_31launch_logcumsumexp_cuda_kernelERKNS_10TensorBaseES7_lENKUlvE_clEvENKUlvE2_clEvEUlS4_S4_E_EEvPT_PKSB_jjjSB_T1_ ; -- Begin function _ZN2at6native28tensor_kernel_scan_outer_dimIN3c107complexIfEEjZZZNS0_31launch_logcumsumexp_cuda_kernelERKNS_10TensorBaseES7_lENKUlvE_clEvENKUlvE2_clEvEUlS4_S4_E_EEvPT_PKSB_jjjSB_T1_
	.p2align	8
	.type	_ZN2at6native28tensor_kernel_scan_outer_dimIN3c107complexIfEEjZZZNS0_31launch_logcumsumexp_cuda_kernelERKNS_10TensorBaseES7_lENKUlvE_clEvENKUlvE2_clEvEUlS4_S4_E_EEvPT_PKSB_jjjSB_T1_,@function
_ZN2at6native28tensor_kernel_scan_outer_dimIN3c107complexIfEEjZZZNS0_31launch_logcumsumexp_cuda_kernelERKNS_10TensorBaseES7_lENKUlvE_clEvENKUlvE2_clEvEUlS4_S4_E_EEvPT_PKSB_jjjSB_T1_: ; @_ZN2at6native28tensor_kernel_scan_outer_dimIN3c107complexIfEEjZZZNS0_31launch_logcumsumexp_cuda_kernelERKNS_10TensorBaseES7_lENKUlvE_clEvENKUlvE2_clEvEUlS4_S4_E_EEvPT_PKSB_jjjSB_T1_
; %bb.0:
	s_load_dwordx4 s[12:15], s[4:5], 0x10
	s_waitcnt lgkmcnt(0)
	s_cmp_ge_u32 s6, s12
	s_cbranch_scc1 .LBB348_57
; %bb.1:
	s_load_dword s15, s[4:5], 0x30
	s_load_dword s0, s[4:5], 0x3c
	s_load_dwordx4 s[16:19], s[4:5], 0x0
	s_load_dwordx2 s[20:21], s[4:5], 0x20
	s_add_u32 s22, s4, 48
	s_addc_u32 s23, s5, 0
	s_waitcnt lgkmcnt(0)
	s_and_b32 s33, s0, 0xffff
	s_cmp_lg_u32 s14, 0
	s_mul_i32 s7, s7, s33
	s_cselect_b64 s[2:3], -1, 0
	s_mul_i32 s4, s6, s14
	v_add_u32_e32 v7, s7, v0
	s_mov_b32 s25, 0
	s_mov_b32 s24, s13
	s_mul_i32 s4, s4, s13
	s_mul_i32 s7, s15, s14
	v_cndmask_b32_e64 v0, 0, 1, s[2:3]
	v_cmp_gt_u32_e64 s[0:1], s13, v7
	s_mul_i32 s7, s7, s13
	s_lshl_b64 s[26:27], s[24:25], 3
	v_cmp_ne_u32_e64 s[2:3], 1, v0
	s_movk_i32 s46, 0x1f8
	s_brev_b32 s47, -2
	s_brev_b32 s48, 18
	s_mov_b32 s49, 0x800000
	s_mov_b32 s50, 0xfe5163ab
	;; [unrolled: 1-line block ×15, first 2 shown]
	v_mov_b32_e32 v8, 0x3d2aabf7
	v_mov_b32_e32 v9, 0xbf000004
	v_mov_b32_e32 v10, 0xbe2aaa9d
	s_mov_b32 s64, 0x3f317217
	s_mov_b32 s65, 0x3f2aaaab
	v_mov_b32_e32 v11, 0x3f2aaada
	s_mov_b32 s66, 0x3f317218
	s_mov_b32 s67, 0x33800000
	s_movk_i32 s68, 0x204
	v_mov_b32_e32 v12, 0x3d29fb3f
	v_mov_b32_e32 v13, 0xbd97d4d7
	;; [unrolled: 1-line block ×6, first 2 shown]
	v_not_b32_e32 v18, 63
	v_not_b32_e32 v19, 31
	v_mov_b32_e32 v20, 0x7f800000
	v_mov_b32_e32 v21, 0x7fc00000
	;; [unrolled: 1-line block ×7, first 2 shown]
	s_mov_b32 s24, s4
	v_mov_b32_e32 v1, 0
	s_branch .LBB348_3
.LBB348_2:                              ;   in Loop: Header=BB348_3 Depth=1
	s_or_b64 exec, exec, s[28:29]
	s_add_i32 s6, s15, s6
	s_add_i32 s24, s24, s7
	s_cmp_ge_u32 s6, s12
	s_cbranch_scc1 .LBB348_57
.LBB348_3:                              ; =>This Loop Header: Depth=1
                                        ;     Child Loop BB348_6 Depth 2
                                        ;       Child Loop BB348_13 Depth 3
	s_and_saveexec_b64 s[28:29], s[0:1]
	s_cbranch_execz .LBB348_2
; %bb.4:                                ;   in Loop: Header=BB348_3 Depth=1
	s_load_dword s69, s[22:23], 0x4
	s_lshl_b64 s[30:31], s[24:25], 3
	s_mov_b64 s[34:35], 0
	v_mov_b32_e32 v2, v7
	s_waitcnt lgkmcnt(0)
	s_mul_i32 s69, s69, s33
	s_branch .LBB348_6
.LBB348_5:                              ;   in Loop: Header=BB348_6 Depth=2
	v_add_u32_e32 v2, s69, v2
	v_cmp_le_u32_e32 vcc, s13, v2
	s_or_b64 s[34:35], vcc, s[34:35]
	s_andn2_b64 exec, exec, s[34:35]
	s_cbranch_execz .LBB348_2
.LBB348_6:                              ;   Parent Loop BB348_3 Depth=1
                                        ; =>  This Loop Header: Depth=2
                                        ;       Child Loop BB348_13 Depth 3
	s_and_b64 vcc, exec, s[2:3]
	s_cbranch_vccnz .LBB348_5
; %bb.7:                                ;   in Loop: Header=BB348_6 Depth=2
	v_mov_b32_e32 v3, v1
	v_lshlrev_b64 v[3:4], 3, v[2:3]
	v_mov_b32_e32 v0, s31
	v_add_co_u32_e32 v27, vcc, s30, v3
	v_addc_co_u32_e32 v28, vcc, v0, v4, vcc
	v_mov_b32_e32 v6, s21
	v_mov_b32_e32 v5, s20
	s_mov_b32 s70, s14
	s_branch .LBB348_13
.LBB348_8:                              ;   in Loop: Header=BB348_13 Depth=3
	s_or_b64 exec, exec, s[8:9]
.LBB348_9:                              ;   in Loop: Header=BB348_13 Depth=3
	s_or_b64 exec, exec, s[4:5]
	v_max_f32_e64 v29, |v0|, |v0|
	v_max_f32_e64 v30, |v3|, |v3|
	v_min_f32_e32 v29, v30, v29
	v_frexp_mant_f32_e32 v30, v4
	v_rcp_f32_e32 v30, v30
	v_frexp_exp_i32_f32_e32 v4, v4
	v_frexp_exp_i32_f32_e32 v32, v29
	v_frexp_mant_f32_e32 v29, v29
	v_mul_f32_e32 v29, v29, v30
	v_sub_u32_e32 v4, v32, v4
	v_ldexp_f32 v4, v29, v4
	v_mul_f32_e32 v29, v4, v4
	v_mov_b32_e32 v30, 0xbc7a590c
	v_fmac_f32_e32 v30, 0x3b2d2a58, v29
	v_fma_f32 v30, v29, v30, v12
	v_fma_f32 v30, v29, v30, v13
	;; [unrolled: 1-line block ×6, first 2 shown]
	v_mul_f32_e32 v29, v29, v30
	v_cmp_gt_i32_e64 s[4:5], 0, v3
	v_fmac_f32_e32 v4, v4, v29
	v_cndmask_b32_e64 v6, 0, v26, s[4:5]
	v_sub_f32_e32 v29, 0x3fc90fdb, v4
	v_cmp_gt_f32_e64 s[4:5], |v0|, |v3|
	v_cndmask_b32_e64 v4, v4, v29, s[4:5]
	v_cmp_gt_f32_e32 vcc, 0, v3
	v_sub_f32_e32 v29, 0x40490fdb, v4
	v_cmp_class_f32_e64 s[8:9], v0, s68
	v_cmp_class_f32_e64 s[10:11], v3, s68
	v_cndmask_b32_e32 v5, v24, v25, vcc
	v_cndmask_b32_e32 v4, v4, v29, vcc
	v_cmp_eq_f32_e32 vcc, 0, v0
	v_cndmask_b32_e32 v4, v4, v6, vcc
	s_and_b64 vcc, s[8:9], s[10:11]
	v_cndmask_b32_e32 v4, v4, v5, vcc
	v_cmp_o_f32_e32 vcc, v3, v0
	v_cndmask_b32_e32 v3, v21, v4, vcc
	v_bfi_b32 v29, s47, v3, v0
.LBB348_10:                             ;   in Loop: Header=BB348_13 Depth=3
	s_or_b64 exec, exec, s[40:41]
.LBB348_11:                             ;   in Loop: Header=BB348_13 Depth=3
	s_or_b64 exec, exec, s[38:39]
	v_mov_b32_e32 v5, v31
	v_mov_b32_e32 v6, v29
.LBB348_12:                             ;   in Loop: Header=BB348_13 Depth=3
	s_or_b64 exec, exec, s[36:37]
	v_mov_b32_e32 v0, s17
	v_add_co_u32_e32 v3, vcc, s16, v27
	v_addc_co_u32_e32 v4, vcc, v0, v28, vcc
	s_add_i32 s70, s70, -1
	v_mov_b32_e32 v0, s27
	v_add_co_u32_e32 v27, vcc, s26, v27
	s_cmp_eq_u32 s70, 0
	v_addc_co_u32_e32 v28, vcc, v28, v0, vcc
	global_store_dwordx2 v[3:4], v[5:6], off
	s_cbranch_scc1 .LBB348_5
.LBB348_13:                             ;   Parent Loop BB348_3 Depth=1
                                        ;     Parent Loop BB348_6 Depth=2
                                        ; =>    This Inner Loop Header: Depth=3
	v_mov_b32_e32 v0, s19
	v_add_co_u32_e32 v3, vcc, s18, v27
	v_addc_co_u32_e32 v4, vcc, v0, v28, vcc
	global_load_dwordx2 v[3:4], v[3:4], off
	s_waitcnt vmcnt(0)
	v_cmp_o_f32_e32 vcc, v3, v4
	v_mov_b32_e32 v29, v4
	v_mov_b32_e32 v31, v3
	;; [unrolled: 1-line block ×3, first 2 shown]
	s_and_saveexec_b64 s[10:11], vcc
; %bb.14:                               ;   in Loop: Header=BB348_13 Depth=3
	v_cmp_u_f32_e64 s[4:5], v5, v6
	v_cmp_lt_f32_e64 s[8:9], v5, v3
	s_or_b64 s[4:5], s[4:5], s[8:9]
	v_cndmask_b32_e64 v29, v4, v6, s[4:5]
	v_cndmask_b32_e64 v31, v3, v5, s[4:5]
	v_mov_b32_e32 v30, v29
; %bb.15:                               ;   in Loop: Header=BB348_13 Depth=3
	s_or_b64 exec, exec, s[10:11]
	s_and_saveexec_b64 s[8:9], vcc
; %bb.16:                               ;   in Loop: Header=BB348_13 Depth=3
	v_cmp_u_f32_e32 vcc, v5, v6
	v_cmp_ge_f32_e64 s[4:5], v5, v3
	s_or_b64 vcc, vcc, s[4:5]
	v_cndmask_b32_e32 v4, v4, v6, vcc
	v_cndmask_b32_e32 v3, v3, v5, vcc
; %bb.17:                               ;   in Loop: Header=BB348_13 Depth=3
	s_or_b64 exec, exec, s[8:9]
	v_cmp_o_f32_e32 vcc, v31, v29
	v_mov_b32_e32 v5, 0x7fc00000
	v_mov_b32_e32 v6, 0x7fc00000
	s_and_saveexec_b64 s[36:37], vcc
	s_cbranch_execz .LBB348_12
; %bb.18:                               ;   in Loop: Header=BB348_13 Depth=3
	v_cmp_class_f32_e64 s[4:5], v31, s46
	v_cmp_neq_f32_e32 vcc, v3, v31
	s_or_b64 s[4:5], s[4:5], vcc
	s_and_saveexec_b64 s[8:9], s[4:5]
	s_xor_b64 s[38:39], exec, s[8:9]
	s_cbranch_execz .LBB348_34
; %bb.19:                               ;   in Loop: Header=BB348_13 Depth=3
	v_sub_f32_e32 v5, v29, v4
	v_and_b32_e32 v6, 0x7fffffff, v5
	v_lshrrev_b32_e32 v0, 23, v6
	v_and_b32_e32 v29, 0x7fffff, v6
	v_cmp_nlt_f32_e64 s[40:41], |v5|, s48
	v_add_u32_e32 v33, 0xffffff88, v0
	v_or_b32_e32 v32, 0x800000, v29
                                        ; implicit-def: $vgpr30
                                        ; implicit-def: $vgpr29
	s_and_saveexec_b64 s[4:5], s[40:41]
	s_xor_b64 s[42:43], exec, s[4:5]
	s_cbranch_execz .LBB348_21
; %bb.20:                               ;   in Loop: Header=BB348_13 Depth=3
	v_mad_u64_u32 v[29:30], s[4:5], v32, s50, 0
	v_cmp_lt_u32_e32 vcc, 63, v33
	v_mov_b32_e32 v0, v30
	v_mad_u64_u32 v[34:35], s[4:5], v32, s51, v[0:1]
	v_mov_b32_e32 v0, v35
	v_mad_u64_u32 v[35:36], s[4:5], v32, s52, v[0:1]
	v_mov_b32_e32 v0, v36
	v_mad_u64_u32 v[36:37], s[4:5], v32, s53, v[0:1]
	v_cndmask_b32_e32 v0, 0, v18, vcc
	v_add_u32_e32 v30, v0, v33
	v_mov_b32_e32 v0, v37
	v_mad_u64_u32 v[37:38], s[4:5], v32, s54, v[0:1]
	v_cmp_lt_u32_e64 s[4:5], 31, v30
	v_cndmask_b32_e64 v0, 0, v19, s[4:5]
	v_add_u32_e32 v30, v0, v30
	v_mov_b32_e32 v0, v38
	v_mad_u64_u32 v[38:39], s[8:9], v32, s55, v[0:1]
	v_cmp_lt_u32_e64 s[8:9], 31, v30
	v_cndmask_b32_e64 v0, 0, v19, s[8:9]
	v_add_u32_e32 v30, v0, v30
	v_mov_b32_e32 v0, v39
	v_mad_u64_u32 v[39:40], s[10:11], v32, s56, v[0:1]
	v_cndmask_b32_e32 v0, v37, v35, vcc
	v_cndmask_b32_e32 v41, v38, v36, vcc
	;; [unrolled: 1-line block ×4, first 2 shown]
	v_cndmask_b32_e64 v42, v41, v0, s[4:5]
	v_cndmask_b32_e64 v39, v37, v41, s[4:5]
	;; [unrolled: 1-line block ×3, first 2 shown]
	v_cndmask_b32_e32 v34, v36, v34, vcc
	v_cndmask_b32_e64 v37, v37, v39, s[8:9]
	v_cndmask_b32_e64 v38, v39, v42, s[8:9]
	v_sub_u32_e32 v39, 32, v30
	v_cndmask_b32_e64 v0, v0, v34, s[4:5]
	v_alignbit_b32 v40, v37, v38, v39
	v_cmp_eq_u32_e64 s[10:11], 0, v30
	v_cndmask_b32_e64 v36, v42, v0, s[8:9]
	v_cndmask_b32_e64 v30, v40, v37, s[10:11]
	v_alignbit_b32 v37, v38, v36, v39
	v_cndmask_b32_e32 v29, v35, v29, vcc
	v_cndmask_b32_e64 v37, v37, v38, s[10:11]
	v_bfe_u32 v41, v30, 29, 1
	v_cndmask_b32_e64 v29, v34, v29, s[4:5]
	v_alignbit_b32 v38, v30, v37, 30
	v_sub_u32_e32 v42, 0, v41
	v_cndmask_b32_e64 v0, v0, v29, s[8:9]
	v_xor_b32_e32 v38, v38, v42
	v_alignbit_b32 v29, v36, v0, v39
	v_cndmask_b32_e64 v29, v29, v36, s[10:11]
	v_ffbh_u32_e32 v35, v38
	v_alignbit_b32 v34, v37, v29, 30
	v_min_u32_e32 v35, 32, v35
	v_alignbit_b32 v0, v29, v0, 30
	v_xor_b32_e32 v34, v34, v42
	v_sub_u32_e32 v36, 31, v35
	v_xor_b32_e32 v0, v0, v42
	v_alignbit_b32 v37, v38, v34, v36
	v_alignbit_b32 v0, v34, v0, v36
	;; [unrolled: 1-line block ×3, first 2 shown]
	v_ffbh_u32_e32 v34, v29
	v_min_u32_e32 v34, 32, v34
	v_lshrrev_b32_e32 v40, 29, v30
	v_not_b32_e32 v36, v34
	v_alignbit_b32 v0, v29, v0, v36
	v_lshlrev_b32_e32 v29, 31, v40
	v_or_b32_e32 v36, 0x33000000, v29
	v_add_lshl_u32 v34, v34, v35, 23
	v_lshrrev_b32_e32 v0, 9, v0
	v_sub_u32_e32 v34, v36, v34
	v_or_b32_e32 v29, 0.5, v29
	v_lshlrev_b32_e32 v35, 23, v35
	v_or_b32_e32 v0, v34, v0
	v_lshrrev_b32_e32 v34, 9, v37
	v_sub_u32_e32 v29, v29, v35
	v_or_b32_e32 v29, v34, v29
	v_mul_f32_e32 v34, 0x3fc90fda, v29
	v_fma_f32 v35, v29, s57, -v34
	v_fmac_f32_e32 v35, 0x33a22168, v29
	v_fmac_f32_e32 v35, 0x3fc90fda, v0
	v_lshrrev_b32_e32 v0, 30, v30
	v_add_f32_e32 v29, v34, v35
	v_add_u32_e32 v30, v41, v0
.LBB348_21:                             ;   in Loop: Header=BB348_13 Depth=3
	s_or_saveexec_b64 s[4:5], s[42:43]
	v_mul_f32_e64 v0, |v5|, s58
	v_rndne_f32_e32 v35, v0
	s_xor_b64 exec, exec, s[4:5]
; %bb.22:                               ;   in Loop: Header=BB348_13 Depth=3
	v_cvt_i32_f32_e32 v30, v35
	v_fma_f32 v29, v35, s59, |v5|
	v_fmac_f32_e32 v29, 0xb3a22168, v35
	v_fmac_f32_e32 v29, 0xa7c234c4, v35
; %bb.23:                               ;   in Loop: Header=BB348_13 Depth=3
	s_or_b64 exec, exec, s[4:5]
                                        ; implicit-def: $vgpr0
                                        ; implicit-def: $vgpr34
	s_and_saveexec_b64 s[4:5], s[40:41]
	s_xor_b64 s[40:41], exec, s[4:5]
	s_cbranch_execz .LBB348_25
; %bb.24:                               ;   in Loop: Header=BB348_13 Depth=3
	v_mad_u64_u32 v[34:35], s[4:5], v32, s50, 0
	v_cmp_lt_u32_e32 vcc, 63, v33
	v_mov_b32_e32 v0, v35
	v_mad_u64_u32 v[35:36], s[4:5], v32, s51, v[0:1]
	v_mov_b32_e32 v0, v36
	v_mad_u64_u32 v[36:37], s[4:5], v32, s52, v[0:1]
	;; [unrolled: 2-line block ×3, first 2 shown]
	v_cndmask_b32_e32 v0, 0, v18, vcc
	v_add_u32_e32 v33, v0, v33
	v_mov_b32_e32 v0, v38
	v_mad_u64_u32 v[38:39], s[4:5], v32, s54, v[0:1]
	v_cmp_lt_u32_e64 s[4:5], 31, v33
	v_cndmask_b32_e64 v0, 0, v19, s[4:5]
	v_add_u32_e32 v33, v0, v33
	v_mov_b32_e32 v0, v39
	v_mad_u64_u32 v[39:40], s[8:9], v32, s55, v[0:1]
	v_cmp_lt_u32_e64 s[8:9], 31, v33
	v_cndmask_b32_e64 v0, 0, v19, s[8:9]
	v_add_u32_e32 v41, v0, v33
	v_mov_b32_e32 v0, v40
	v_mad_u64_u32 v[32:33], s[10:11], v32, s56, v[0:1]
	v_cndmask_b32_e32 v0, v38, v36, vcc
	v_cndmask_b32_e32 v40, v39, v37, vcc
	;; [unrolled: 1-line block ×4, first 2 shown]
	v_cndmask_b32_e64 v42, v40, v0, s[4:5]
	v_cndmask_b32_e64 v38, v32, v40, s[4:5]
	;; [unrolled: 1-line block ×3, first 2 shown]
	v_cndmask_b32_e32 v35, v37, v35, vcc
	v_cndmask_b32_e64 v32, v32, v38, s[8:9]
	v_cndmask_b32_e64 v33, v38, v42, s[8:9]
	v_sub_u32_e32 v38, 32, v41
	v_cndmask_b32_e64 v0, v0, v35, s[4:5]
	v_alignbit_b32 v39, v32, v33, v38
	v_cmp_eq_u32_e64 s[10:11], 0, v41
	v_cndmask_b32_e64 v37, v42, v0, s[8:9]
	v_cndmask_b32_e64 v32, v39, v32, s[10:11]
	v_alignbit_b32 v39, v33, v37, v38
	v_cndmask_b32_e32 v34, v36, v34, vcc
	v_cndmask_b32_e64 v33, v39, v33, s[10:11]
	v_bfe_u32 v41, v32, 29, 1
	v_cndmask_b32_e64 v34, v35, v34, s[4:5]
	v_alignbit_b32 v39, v32, v33, 30
	v_sub_u32_e32 v42, 0, v41
	v_cndmask_b32_e64 v0, v0, v34, s[8:9]
	v_xor_b32_e32 v39, v39, v42
	v_alignbit_b32 v34, v37, v0, v38
	v_cndmask_b32_e64 v34, v34, v37, s[10:11]
	v_ffbh_u32_e32 v35, v39
	v_alignbit_b32 v33, v33, v34, 30
	v_min_u32_e32 v35, 32, v35
	v_alignbit_b32 v0, v34, v0, 30
	v_xor_b32_e32 v33, v33, v42
	v_sub_u32_e32 v36, 31, v35
	v_xor_b32_e32 v0, v0, v42
	v_alignbit_b32 v37, v39, v33, v36
	v_alignbit_b32 v0, v33, v0, v36
	;; [unrolled: 1-line block ×3, first 2 shown]
	v_ffbh_u32_e32 v34, v33
	v_min_u32_e32 v34, 32, v34
	v_lshrrev_b32_e32 v40, 29, v32
	v_not_b32_e32 v36, v34
	v_alignbit_b32 v0, v33, v0, v36
	v_lshlrev_b32_e32 v33, 31, v40
	v_or_b32_e32 v36, 0x33000000, v33
	v_add_lshl_u32 v34, v34, v35, 23
	v_lshrrev_b32_e32 v0, 9, v0
	v_sub_u32_e32 v34, v36, v34
	v_or_b32_e32 v33, 0.5, v33
	v_lshlrev_b32_e32 v35, 23, v35
	v_or_b32_e32 v0, v34, v0
	v_lshrrev_b32_e32 v34, 9, v37
	v_sub_u32_e32 v33, v33, v35
	v_or_b32_e32 v33, v34, v33
	v_mul_f32_e32 v34, 0x3fc90fda, v33
	v_fma_f32 v35, v33, s57, -v34
	v_fmac_f32_e32 v35, 0x33a22168, v33
	v_fmac_f32_e32 v35, 0x3fc90fda, v0
	v_lshrrev_b32_e32 v0, 30, v32
	v_add_f32_e32 v34, v34, v35
	v_add_u32_e32 v0, v41, v0
                                        ; implicit-def: $vgpr35
	s_andn2_saveexec_b64 s[4:5], s[40:41]
	s_cbranch_execnz .LBB348_26
	s_branch .LBB348_27
.LBB348_25:                             ;   in Loop: Header=BB348_13 Depth=3
	s_andn2_saveexec_b64 s[4:5], s[40:41]
.LBB348_26:                             ;   in Loop: Header=BB348_13 Depth=3
	v_cvt_i32_f32_e32 v0, v35
	v_fma_f32 v34, v35, s59, |v5|
	v_fmac_f32_e32 v34, 0xb3a22168, v35
	v_fmac_f32_e32 v34, 0xa7c234c4, v35
.LBB348_27:                             ;   in Loop: Header=BB348_13 Depth=3
	s_or_b64 exec, exec, s[4:5]
	v_sub_f32_e32 v31, v31, v3
	v_mul_f32_e32 v32, 0x3fb8aa3b, v31
	v_fma_f32 v33, v31, s60, -v32
	v_rndne_f32_e32 v35, v32
	v_fmac_f32_e32 v33, 0x32a5705f, v31
	v_sub_f32_e32 v32, v32, v35
	v_add_f32_e32 v32, v32, v33
	v_cvt_i32_f32_e32 v33, v35
	v_exp_f32_e32 v32, v32
	v_mov_b32_e32 v35, 0xbab64f3b
	v_mov_b32_e32 v36, 0x3c0881c4
	v_cmp_ngt_f32_e32 vcc, s61, v31
	v_ldexp_f32 v32, v32, v33
	v_mul_f32_e32 v33, v29, v29
	v_fmac_f32_e32 v35, 0x37d75334, v33
	v_fma_f32 v35, v33, v35, v8
	v_fmac_f32_e32 v36, 0xb94c1982, v33
	v_cndmask_b32_e32 v32, 0, v32, vcc
	v_cmp_nlt_f32_e32 vcc, s62, v31
	v_fma_f32 v35, v33, v35, v9
	v_fma_f32 v36, v33, v36, v10
	v_cndmask_b32_e32 v31, v20, v32, vcc
	v_lshlrev_b32_e32 v32, 30, v30
	v_and_b32_e32 v30, 1, v30
	v_fma_f32 v35, v33, v35, 1.0
	v_mul_f32_e32 v33, v33, v36
	v_fmac_f32_e32 v29, v29, v33
	v_cmp_eq_u32_e32 vcc, 0, v30
	v_and_b32_e32 v32, 0x80000000, v32
	v_cndmask_b32_e64 v29, -v29, v35, vcc
	v_xor_b32_e32 v29, v32, v29
	v_mul_f32_e32 v32, v34, v34
	v_mov_b32_e32 v33, 0x3c0881c4
	v_fmac_f32_e32 v33, 0xb94c1982, v32
	v_fma_f32 v33, v32, v33, v10
	v_mul_f32_e32 v33, v32, v33
	v_fmac_f32_e32 v34, v34, v33
	v_mov_b32_e32 v33, 0xbab64f3b
	v_fmac_f32_e32 v33, 0x37d75334, v32
	v_fma_f32 v33, v32, v33, v8
	v_fma_f32 v33, v32, v33, v9
	v_fma_f32 v32, v32, v33, 1.0
	v_and_b32_e32 v33, 1, v0
	v_lshlrev_b32_e32 v0, 30, v0
	v_cmp_class_f32_e64 vcc, v5, s46
	v_cmp_eq_u32_e64 s[4:5], 0, v33
	v_and_b32_e32 v0, 0x80000000, v0
	v_xor_b32_e32 v5, v6, v5
	v_cndmask_b32_e64 v32, v32, v34, s[4:5]
	v_xor_b32_e32 v0, v5, v0
	v_xor_b32_e32 v0, v0, v32
	v_cndmask_b32_e32 v29, v21, v29, vcc
	v_cndmask_b32_e32 v0, v21, v0, vcc
	v_mul_f32_e32 v30, v31, v29
	v_mul_f32_e32 v0, v31, v0
	v_max_f32_e64 v32, |v30|, |v0|
	v_cvt_f64_f32_e32 v[5:6], v32
	v_cmp_eq_f32_e32 vcc, s63, v32
	v_frexp_exp_i32_f64_e32 v5, v[5:6]
	v_sub_u32_e32 v6, 0, v5
	v_ldexp_f32 v33, |v30|, v6
	v_ldexp_f32 v6, |v0|, v6
	v_mul_f32_e32 v6, v6, v6
	v_fmac_f32_e32 v6, v33, v33
	v_sqrt_f32_e32 v6, v6
	v_ldexp_f32 v33, v6, v5
	v_fma_f32 v5, v31, v29, 1.0
	v_cmp_ngt_f32_e64 s[4:5], 0.5, v33
	v_max_f32_e64 v6, |v5|, |v0|
	s_or_b64 s[4:5], vcc, s[4:5]
	s_and_saveexec_b64 s[8:9], s[4:5]
	s_xor_b64 s[8:9], exec, s[8:9]
	s_cbranch_execz .LBB348_29
; %bb.28:                               ;   in Loop: Header=BB348_13 Depth=3
	v_cvt_f64_f32_e32 v[29:30], v6
	v_cmp_neq_f32_e32 vcc, s63, v6
	v_frexp_exp_i32_f64_e32 v29, v[29:30]
	v_sub_u32_e32 v30, 0, v29
	v_ldexp_f32 v31, |v5|, v30
	v_ldexp_f32 v30, |v0|, v30
	v_mul_f32_e32 v30, v30, v30
	v_fmac_f32_e32 v30, v31, v31
	v_sqrt_f32_e32 v30, v30
	v_ldexp_f32 v29, v30, v29
	v_cndmask_b32_e32 v29, v20, v29, vcc
	v_cmp_gt_f32_e32 vcc, s49, v29
	v_cndmask_b32_e64 v30, 0, 32, vcc
	v_ldexp_f32 v29, v29, v30
	v_log_f32_e32 v29, v29
	v_mul_f32_e32 v30, 0x3f317217, v29
	v_fma_f32 v30, v29, s64, -v30
	v_fmac_f32_e32 v30, 0x3377d1cf, v29
	v_fmac_f32_e32 v30, 0x3f317217, v29
	v_cmp_lt_f32_e64 s[4:5], |v29|, s63
	v_cndmask_b32_e64 v29, v29, v30, s[4:5]
	v_cndmask_b32_e32 v30, 0, v22, vcc
	v_sub_f32_e32 v30, v29, v30
.LBB348_29:                             ;   in Loop: Header=BB348_13 Depth=3
	s_andn2_saveexec_b64 s[4:5], s[8:9]
	s_cbranch_execz .LBB348_33
; %bb.30:                               ;   in Loop: Header=BB348_13 Depth=3
	v_add_f32_e32 v31, 2.0, v30
	v_mul_f32_e32 v29, v0, v0
	v_fmac_f32_e32 v29, v30, v31
	v_cmp_neq_f32_e32 vcc, 0, v29
	s_and_saveexec_b64 s[8:9], vcc
	s_cbranch_execz .LBB348_32
; %bb.31:                               ;   in Loop: Header=BB348_13 Depth=3
	v_add_f32_e32 v32, 1.0, v29
	v_cvt_f64_f32_e32 v[30:31], v32
	v_add_f32_e32 v33, -1.0, v32
	v_sub_f32_e32 v34, v33, v32
	v_sub_f32_e32 v33, v29, v33
	v_frexp_exp_i32_f64_e32 v30, v[30:31]
	v_frexp_mant_f32_e32 v31, v32
	v_cmp_gt_f32_e32 vcc, s65, v31
	v_add_f32_e32 v34, 1.0, v34
	v_add_f32_e32 v33, v33, v34
	v_subbrev_co_u32_e32 v30, vcc, 0, v30, vcc
	v_sub_u32_e32 v31, 0, v30
	v_ldexp_f32 v32, v32, v31
	v_ldexp_f32 v31, v33, v31
	v_add_f32_e32 v33, -1.0, v32
	v_add_f32_e32 v34, 1.0, v32
	v_add_f32_e32 v35, 1.0, v33
	v_add_f32_e32 v37, -1.0, v34
	v_sub_f32_e32 v35, v32, v35
	v_sub_f32_e32 v32, v32, v37
	v_add_f32_e32 v35, v31, v35
	v_add_f32_e32 v31, v31, v32
	;; [unrolled: 1-line block ×3, first 2 shown]
	v_rcp_f32_e32 v37, v32
	v_add_f32_e32 v36, v33, v35
	v_sub_f32_e32 v34, v32, v34
	v_sub_f32_e32 v33, v36, v33
	;; [unrolled: 1-line block ×3, first 2 shown]
	v_mul_f32_e32 v34, v36, v37
	v_sub_f32_e32 v33, v35, v33
	v_mul_f32_e32 v35, v32, v34
	v_fma_f32 v38, v34, v32, -v35
	v_fmac_f32_e32 v38, v34, v31
	v_add_f32_e32 v39, v35, v38
	v_sub_f32_e32 v40, v36, v39
	v_sub_f32_e32 v36, v36, v40
	;; [unrolled: 1-line block ×4, first 2 shown]
	v_add_f32_e32 v33, v33, v36
	v_sub_f32_e32 v35, v35, v38
	v_add_f32_e32 v33, v35, v33
	v_add_f32_e32 v35, v40, v33
	v_mul_f32_e32 v36, v37, v35
	v_mul_f32_e32 v38, v32, v36
	v_fma_f32 v32, v36, v32, -v38
	v_fmac_f32_e32 v32, v36, v31
	v_sub_f32_e32 v31, v40, v35
	v_add_f32_e32 v31, v33, v31
	v_add_f32_e32 v33, v38, v32
	v_sub_f32_e32 v39, v35, v33
	v_sub_f32_e32 v35, v35, v39
	;; [unrolled: 1-line block ×4, first 2 shown]
	v_add_f32_e32 v31, v31, v33
	v_sub_f32_e32 v32, v38, v32
	v_cvt_f32_i32_e32 v30, v30
	v_add_f32_e32 v31, v32, v31
	v_add_f32_e32 v32, v34, v36
	;; [unrolled: 1-line block ×3, first 2 shown]
	v_sub_f32_e32 v33, v32, v34
	v_mul_f32_e32 v31, v37, v31
	v_sub_f32_e32 v33, v36, v33
	v_add_f32_e32 v31, v33, v31
	v_mul_f32_e32 v36, 0x3f317218, v30
	v_add_f32_e32 v33, v32, v31
	v_fma_f32 v37, v30, s66, -v36
	v_mul_f32_e32 v34, v33, v33
	v_mov_b32_e32 v35, 0x3ecc95a3
	v_fmac_f32_e32 v37, 0xb102e308, v30
	v_sub_f32_e32 v30, v33, v32
	v_fmac_f32_e32 v35, 0x3e9b6dac, v34
	v_sub_f32_e32 v30, v31, v30
	v_add_f32_e32 v31, v36, v37
	v_fma_f32 v35, v34, v35, v11
	v_sub_f32_e32 v32, v31, v36
	v_ldexp_f32 v36, v33, 1
	v_mul_f32_e32 v33, v33, v34
	v_mul_f32_e32 v33, v33, v35
	v_add_f32_e32 v34, v36, v33
	v_sub_f32_e32 v35, v34, v36
	v_ldexp_f32 v30, v30, 1
	v_sub_f32_e32 v33, v33, v35
	v_add_f32_e32 v30, v30, v33
	v_add_f32_e32 v33, v34, v30
	v_sub_f32_e32 v34, v33, v34
	v_sub_f32_e32 v30, v30, v34
	v_add_f32_e32 v34, v31, v33
	v_sub_f32_e32 v35, v34, v31
	v_sub_f32_e32 v36, v34, v35
	;; [unrolled: 1-line block ×5, first 2 shown]
	v_add_f32_e32 v31, v33, v31
	v_add_f32_e32 v33, v32, v30
	v_sub_f32_e32 v35, v33, v32
	v_sub_f32_e32 v36, v33, v35
	v_sub_f32_e32 v32, v32, v36
	v_sub_f32_e32 v30, v30, v35
	v_add_f32_e32 v31, v33, v31
	v_add_f32_e32 v30, v30, v32
	;; [unrolled: 1-line block ×3, first 2 shown]
	v_sub_f32_e32 v33, v32, v34
	v_sub_f32_e32 v31, v31, v33
	v_add_f32_e32 v30, v30, v31
	v_add_f32_e32 v30, v32, v30
	v_cmp_neq_f32_e32 vcc, s63, v29
	v_cndmask_b32_e32 v30, v20, v30, vcc
	v_cmp_ngt_f32_e32 vcc, -1.0, v29
	v_cndmask_b32_e32 v30, v21, v30, vcc
	v_cmp_neq_f32_e32 vcc, -1.0, v29
	v_cndmask_b32_e32 v30, v23, v30, vcc
	v_cmp_lt_f32_e64 vcc, |v29|, s67
	v_cndmask_b32_e32 v29, v30, v29, vcc
	v_mul_f32_e32 v30, 0.5, v29
.LBB348_32:                             ;   in Loop: Header=BB348_13 Depth=3
	s_or_b64 exec, exec, s[8:9]
.LBB348_33:                             ;   in Loop: Header=BB348_13 Depth=3
	s_or_b64 exec, exec, s[4:5]
	v_max_f32_e64 v32, |v0|, |v0|
	v_max_f32_e64 v33, |v5|, |v5|
	v_min_f32_e32 v32, v33, v32
	v_frexp_mant_f32_e32 v33, v6
	v_rcp_f32_e32 v33, v33
	v_frexp_exp_i32_f32_e32 v6, v6
	v_frexp_exp_i32_f32_e32 v34, v32
	v_frexp_mant_f32_e32 v32, v32
	v_mul_f32_e32 v32, v32, v33
	v_sub_u32_e32 v6, v34, v6
	v_ldexp_f32 v6, v32, v6
	v_mul_f32_e32 v32, v6, v6
	v_mov_b32_e32 v33, 0xbc7a590c
	v_fmac_f32_e32 v33, 0x3b2d2a58, v32
	v_fma_f32 v33, v32, v33, v12
	v_fma_f32 v33, v32, v33, v13
	;; [unrolled: 1-line block ×6, first 2 shown]
	v_mul_f32_e32 v32, v32, v33
	v_cmp_gt_i32_e64 s[4:5], 0, v5
	v_fmac_f32_e32 v6, v6, v32
	v_cndmask_b32_e64 v31, 0, v26, s[4:5]
	v_sub_f32_e32 v32, 0x3fc90fdb, v6
	v_cmp_gt_f32_e64 s[4:5], |v0|, |v5|
	v_cndmask_b32_e64 v6, v6, v32, s[4:5]
	v_cmp_gt_f32_e32 vcc, 0, v5
	v_sub_f32_e32 v32, 0x40490fdb, v6
	v_cmp_class_f32_e64 s[8:9], v0, s68
	v_cmp_class_f32_e64 s[10:11], v5, s68
	v_cndmask_b32_e32 v29, v24, v25, vcc
	v_cndmask_b32_e32 v6, v6, v32, vcc
	v_cmp_eq_f32_e32 vcc, 0, v0
	v_cndmask_b32_e32 v6, v6, v31, vcc
	s_and_b64 vcc, s[10:11], s[8:9]
	v_cndmask_b32_e32 v6, v6, v29, vcc
	v_cmp_o_f32_e32 vcc, v5, v0
	v_cndmask_b32_e32 v5, v21, v6, vcc
	v_bfi_b32 v0, s47, v5, v0
	v_add_f32_e32 v31, v3, v30
	v_add_f32_e32 v29, v4, v0
                                        ; implicit-def: $vgpr30
                                        ; implicit-def: $vgpr4
.LBB348_34:                             ;   in Loop: Header=BB348_13 Depth=3
	s_andn2_saveexec_b64 s[38:39], s[38:39]
	s_cbranch_execz .LBB348_11
; %bb.35:                               ;   in Loop: Header=BB348_13 Depth=3
	v_cmp_ngt_f32_e32 vcc, 0, v31
	s_and_saveexec_b64 s[40:41], vcc
	s_cbranch_execz .LBB348_10
; %bb.36:                               ;   in Loop: Header=BB348_13 Depth=3
	v_and_b32_e32 v3, 0x7fffffff, v29
	v_lshrrev_b32_e32 v0, 23, v3
	v_and_b32_e32 v5, 0x7fffff, v3
	v_cmp_nlt_f32_e64 s[42:43], |v29|, s48
	v_add_u32_e32 v34, 0xffffff88, v0
	v_or_b32_e32 v33, 0x800000, v5
                                        ; implicit-def: $vgpr6
                                        ; implicit-def: $vgpr5
	s_and_saveexec_b64 s[4:5], s[42:43]
	s_xor_b64 s[44:45], exec, s[4:5]
	s_cbranch_execz .LBB348_38
; %bb.37:                               ;   in Loop: Header=BB348_13 Depth=3
	v_mad_u64_u32 v[5:6], s[4:5], v33, s50, 0
	v_cmp_lt_u32_e32 vcc, 63, v34
	v_mov_b32_e32 v0, v6
	v_mad_u64_u32 v[31:32], s[4:5], v33, s51, v[0:1]
	v_mov_b32_e32 v0, v32
	v_mad_u64_u32 v[35:36], s[4:5], v33, s52, v[0:1]
	;; [unrolled: 2-line block ×3, first 2 shown]
	v_cndmask_b32_e32 v0, 0, v18, vcc
	v_add_u32_e32 v6, v0, v34
	v_mov_b32_e32 v0, v37
	v_mad_u64_u32 v[37:38], s[4:5], v33, s54, v[0:1]
	v_cmp_lt_u32_e64 s[4:5], 31, v6
	v_cndmask_b32_e64 v0, 0, v19, s[4:5]
	v_add_u32_e32 v6, v0, v6
	v_mov_b32_e32 v0, v38
	v_mad_u64_u32 v[38:39], s[8:9], v33, s55, v[0:1]
	v_cmp_lt_u32_e64 s[8:9], 31, v6
	v_cndmask_b32_e64 v0, 0, v19, s[8:9]
	v_add_u32_e32 v6, v0, v6
	v_mov_b32_e32 v0, v39
	v_mad_u64_u32 v[39:40], s[10:11], v33, s56, v[0:1]
	v_cndmask_b32_e32 v0, v37, v35, vcc
	v_cndmask_b32_e32 v32, v38, v36, vcc
	;; [unrolled: 1-line block ×4, first 2 shown]
	v_cndmask_b32_e64 v41, v32, v0, s[4:5]
	v_cndmask_b32_e64 v32, v37, v32, s[4:5]
	;; [unrolled: 1-line block ×3, first 2 shown]
	v_cndmask_b32_e32 v31, v36, v31, vcc
	v_cndmask_b32_e64 v37, v37, v32, s[8:9]
	v_cndmask_b32_e64 v32, v32, v41, s[8:9]
	v_sub_u32_e32 v38, 32, v6
	v_cndmask_b32_e64 v0, v0, v31, s[4:5]
	v_alignbit_b32 v39, v37, v32, v38
	v_cmp_eq_u32_e64 s[10:11], 0, v6
	v_cndmask_b32_e64 v36, v41, v0, s[8:9]
	v_cndmask_b32_e32 v5, v35, v5, vcc
	v_cndmask_b32_e64 v6, v39, v37, s[10:11]
	v_alignbit_b32 v37, v32, v36, v38
	v_cndmask_b32_e64 v5, v31, v5, s[4:5]
	v_cndmask_b32_e64 v32, v37, v32, s[10:11]
	v_bfe_u32 v40, v6, 29, 1
	v_cndmask_b32_e64 v0, v0, v5, s[8:9]
	v_alignbit_b32 v37, v6, v32, 30
	v_sub_u32_e32 v41, 0, v40
	v_alignbit_b32 v5, v36, v0, v38
	v_xor_b32_e32 v37, v37, v41
	v_cndmask_b32_e64 v5, v5, v36, s[10:11]
	v_alignbit_b32 v31, v32, v5, 30
	v_ffbh_u32_e32 v32, v37
	v_min_u32_e32 v32, 32, v32
	v_alignbit_b32 v0, v5, v0, 30
	v_xor_b32_e32 v31, v31, v41
	v_sub_u32_e32 v35, 31, v32
	v_xor_b32_e32 v0, v0, v41
	v_alignbit_b32 v36, v37, v31, v35
	v_alignbit_b32 v0, v31, v0, v35
	;; [unrolled: 1-line block ×3, first 2 shown]
	v_ffbh_u32_e32 v31, v5
	v_min_u32_e32 v31, 32, v31
	v_lshrrev_b32_e32 v39, 29, v6
	v_not_b32_e32 v35, v31
	v_alignbit_b32 v0, v5, v0, v35
	v_lshlrev_b32_e32 v5, 31, v39
	v_or_b32_e32 v35, 0x33000000, v5
	v_add_lshl_u32 v31, v31, v32, 23
	v_lshrrev_b32_e32 v0, 9, v0
	v_sub_u32_e32 v31, v35, v31
	v_or_b32_e32 v5, 0.5, v5
	v_lshlrev_b32_e32 v32, 23, v32
	v_or_b32_e32 v0, v31, v0
	v_lshrrev_b32_e32 v31, 9, v36
	v_sub_u32_e32 v5, v5, v32
	v_or_b32_e32 v5, v31, v5
	v_mul_f32_e32 v31, 0x3fc90fda, v5
	v_fma_f32 v32, v5, s57, -v31
	v_fmac_f32_e32 v32, 0x33a22168, v5
	v_fmac_f32_e32 v32, 0x3fc90fda, v0
	v_lshrrev_b32_e32 v0, 30, v6
	v_add_f32_e32 v5, v31, v32
	v_add_u32_e32 v6, v40, v0
.LBB348_38:                             ;   in Loop: Header=BB348_13 Depth=3
	s_or_saveexec_b64 s[4:5], s[44:45]
	v_mul_f32_e64 v0, |v29|, s58
	v_rndne_f32_e32 v0, v0
	s_xor_b64 exec, exec, s[4:5]
; %bb.39:                               ;   in Loop: Header=BB348_13 Depth=3
	v_cvt_i32_f32_e32 v6, v0
	v_fma_f32 v5, v0, s59, |v29|
	v_fmac_f32_e32 v5, 0xb3a22168, v0
	v_fmac_f32_e32 v5, 0xa7c234c4, v0
; %bb.40:                               ;   in Loop: Header=BB348_13 Depth=3
	s_or_b64 exec, exec, s[4:5]
                                        ; implicit-def: $vgpr31
                                        ; implicit-def: $vgpr32
	s_and_saveexec_b64 s[4:5], s[42:43]
	s_xor_b64 s[42:43], exec, s[4:5]
	s_cbranch_execz .LBB348_42
; %bb.41:                               ;   in Loop: Header=BB348_13 Depth=3
	v_mad_u64_u32 v[31:32], s[4:5], v33, s50, 0
	v_cmp_lt_u32_e32 vcc, 63, v34
	v_mov_b32_e32 v0, v32
	v_mad_u64_u32 v[35:36], s[4:5], v33, s51, v[0:1]
	v_mov_b32_e32 v0, v36
	v_mad_u64_u32 v[36:37], s[4:5], v33, s52, v[0:1]
	v_mov_b32_e32 v0, v37
	v_mad_u64_u32 v[37:38], s[4:5], v33, s53, v[0:1]
	v_cndmask_b32_e32 v0, 0, v18, vcc
	v_add_u32_e32 v32, v0, v34
	v_mov_b32_e32 v0, v38
	v_mad_u64_u32 v[38:39], s[4:5], v33, s54, v[0:1]
	v_cmp_lt_u32_e64 s[4:5], 31, v32
	v_cndmask_b32_e64 v0, 0, v19, s[4:5]
	v_add_u32_e32 v32, v0, v32
	v_mov_b32_e32 v0, v39
	v_mad_u64_u32 v[39:40], s[8:9], v33, s55, v[0:1]
	v_cmp_lt_u32_e64 s[8:9], 31, v32
	v_cndmask_b32_e64 v0, 0, v19, s[8:9]
	v_add_u32_e32 v34, v0, v32
	v_mov_b32_e32 v0, v40
	v_mad_u64_u32 v[32:33], s[10:11], v33, s56, v[0:1]
	v_cndmask_b32_e32 v0, v38, v36, vcc
	v_cndmask_b32_e32 v40, v39, v37, vcc
	;; [unrolled: 1-line block ×4, first 2 shown]
	v_cndmask_b32_e64 v41, v40, v0, s[4:5]
	v_cndmask_b32_e64 v38, v32, v40, s[4:5]
	;; [unrolled: 1-line block ×5, first 2 shown]
	v_sub_u32_e32 v38, 32, v34
	v_alignbit_b32 v39, v32, v33, v38
	v_cmp_eq_u32_e64 s[10:11], 0, v34
	v_cndmask_b32_e64 v34, v39, v32, s[10:11]
	v_cndmask_b32_e32 v32, v37, v35, vcc
	v_cndmask_b32_e64 v0, v0, v32, s[4:5]
	v_cndmask_b32_e64 v35, v41, v0, s[8:9]
	v_cndmask_b32_e32 v31, v36, v31, vcc
	v_alignbit_b32 v37, v33, v35, v38
	v_cndmask_b32_e64 v31, v32, v31, s[4:5]
	v_cndmask_b32_e64 v33, v37, v33, s[10:11]
	v_bfe_u32 v40, v34, 29, 1
	v_cndmask_b32_e64 v0, v0, v31, s[8:9]
	v_alignbit_b32 v37, v34, v33, 30
	v_sub_u32_e32 v41, 0, v40
	v_alignbit_b32 v31, v35, v0, v38
	v_xor_b32_e32 v37, v37, v41
	v_cndmask_b32_e64 v31, v31, v35, s[10:11]
	v_alignbit_b32 v32, v33, v31, 30
	v_ffbh_u32_e32 v33, v37
	v_min_u32_e32 v33, 32, v33
	v_alignbit_b32 v0, v31, v0, 30
	v_xor_b32_e32 v32, v32, v41
	v_sub_u32_e32 v35, 31, v33
	v_xor_b32_e32 v0, v0, v41
	v_alignbit_b32 v36, v37, v32, v35
	v_alignbit_b32 v0, v32, v0, v35
	v_alignbit_b32 v31, v36, v0, 9
	v_ffbh_u32_e32 v32, v31
	v_min_u32_e32 v32, 32, v32
	v_lshrrev_b32_e32 v39, 29, v34
	v_not_b32_e32 v35, v32
	v_alignbit_b32 v0, v31, v0, v35
	v_lshlrev_b32_e32 v31, 31, v39
	v_or_b32_e32 v35, 0x33000000, v31
	v_add_lshl_u32 v32, v32, v33, 23
	v_lshrrev_b32_e32 v0, 9, v0
	v_sub_u32_e32 v32, v35, v32
	v_or_b32_e32 v31, 0.5, v31
	v_lshlrev_b32_e32 v33, 23, v33
	v_or_b32_e32 v0, v32, v0
	v_lshrrev_b32_e32 v32, 9, v36
	v_sub_u32_e32 v31, v31, v33
	v_or_b32_e32 v31, v32, v31
	v_mul_f32_e32 v32, 0x3fc90fda, v31
	v_fma_f32 v33, v31, s57, -v32
	v_fmac_f32_e32 v33, 0x33a22168, v31
	v_fmac_f32_e32 v33, 0x3fc90fda, v0
	v_lshrrev_b32_e32 v0, 30, v34
	v_add_f32_e32 v32, v32, v33
	v_add_u32_e32 v31, v40, v0
                                        ; implicit-def: $vgpr0
	s_andn2_saveexec_b64 s[4:5], s[42:43]
	s_cbranch_execnz .LBB348_43
	s_branch .LBB348_44
.LBB348_42:                             ;   in Loop: Header=BB348_13 Depth=3
	s_andn2_saveexec_b64 s[4:5], s[42:43]
.LBB348_43:                             ;   in Loop: Header=BB348_13 Depth=3
	v_cvt_i32_f32_e32 v31, v0
	v_fma_f32 v32, v0, s59, |v29|
	v_fmac_f32_e32 v32, 0xb3a22168, v0
	v_fmac_f32_e32 v32, 0xa7c234c4, v0
.LBB348_44:                             ;   in Loop: Header=BB348_13 Depth=3
	s_or_b64 exec, exec, s[4:5]
	v_and_b32_e32 v33, 0x7fffffff, v4
	v_lshrrev_b32_e32 v0, 23, v33
	v_and_b32_e32 v34, 0x7fffff, v33
	v_cmp_nlt_f32_e64 s[42:43], |v4|, s48
	v_add_u32_e32 v37, 0xffffff88, v0
	v_or_b32_e32 v36, 0x800000, v34
                                        ; implicit-def: $vgpr35
                                        ; implicit-def: $vgpr34
	s_and_saveexec_b64 s[4:5], s[42:43]
	s_xor_b64 s[44:45], exec, s[4:5]
	s_cbranch_execz .LBB348_46
; %bb.45:                               ;   in Loop: Header=BB348_13 Depth=3
	v_mad_u64_u32 v[34:35], s[4:5], v36, s50, 0
	v_cmp_lt_u32_e32 vcc, 63, v37
	v_mov_b32_e32 v0, v35
	v_mad_u64_u32 v[38:39], s[4:5], v36, s51, v[0:1]
	v_mov_b32_e32 v0, v39
	v_mad_u64_u32 v[39:40], s[4:5], v36, s52, v[0:1]
	;; [unrolled: 2-line block ×3, first 2 shown]
	v_cndmask_b32_e32 v0, 0, v18, vcc
	v_add_u32_e32 v35, v0, v37
	v_mov_b32_e32 v0, v41
	v_mad_u64_u32 v[41:42], s[4:5], v36, s54, v[0:1]
	v_cmp_lt_u32_e64 s[4:5], 31, v35
	v_cndmask_b32_e64 v0, 0, v19, s[4:5]
	v_add_u32_e32 v35, v0, v35
	v_mov_b32_e32 v0, v42
	v_mad_u64_u32 v[42:43], s[8:9], v36, s55, v[0:1]
	v_cmp_lt_u32_e64 s[8:9], 31, v35
	v_cndmask_b32_e64 v0, 0, v19, s[8:9]
	v_add_u32_e32 v35, v0, v35
	v_mov_b32_e32 v0, v43
	v_mad_u64_u32 v[43:44], s[10:11], v36, s56, v[0:1]
	v_cndmask_b32_e32 v0, v41, v39, vcc
	v_cndmask_b32_e32 v45, v42, v40, vcc
	;; [unrolled: 1-line block ×4, first 2 shown]
	v_cndmask_b32_e64 v46, v45, v0, s[4:5]
	v_cndmask_b32_e64 v43, v41, v45, s[4:5]
	;; [unrolled: 1-line block ×3, first 2 shown]
	v_cndmask_b32_e32 v38, v40, v38, vcc
	v_cndmask_b32_e64 v41, v41, v43, s[8:9]
	v_cndmask_b32_e64 v42, v43, v46, s[8:9]
	v_sub_u32_e32 v43, 32, v35
	v_cndmask_b32_e64 v0, v0, v38, s[4:5]
	v_alignbit_b32 v44, v41, v42, v43
	v_cmp_eq_u32_e64 s[10:11], 0, v35
	v_cndmask_b32_e64 v40, v46, v0, s[8:9]
	v_cndmask_b32_e64 v35, v44, v41, s[10:11]
	v_alignbit_b32 v41, v42, v40, v43
	v_cndmask_b32_e32 v34, v39, v34, vcc
	v_cndmask_b32_e64 v41, v41, v42, s[10:11]
	v_bfe_u32 v45, v35, 29, 1
	v_cndmask_b32_e64 v34, v38, v34, s[4:5]
	v_alignbit_b32 v42, v35, v41, 30
	v_sub_u32_e32 v46, 0, v45
	v_cndmask_b32_e64 v0, v0, v34, s[8:9]
	v_xor_b32_e32 v42, v42, v46
	v_alignbit_b32 v34, v40, v0, v43
	v_cndmask_b32_e64 v34, v34, v40, s[10:11]
	v_ffbh_u32_e32 v39, v42
	v_alignbit_b32 v38, v41, v34, 30
	v_min_u32_e32 v39, 32, v39
	v_alignbit_b32 v0, v34, v0, 30
	v_xor_b32_e32 v38, v38, v46
	v_sub_u32_e32 v40, 31, v39
	v_xor_b32_e32 v0, v0, v46
	v_alignbit_b32 v41, v42, v38, v40
	v_alignbit_b32 v0, v38, v0, v40
	;; [unrolled: 1-line block ×3, first 2 shown]
	v_ffbh_u32_e32 v38, v34
	v_min_u32_e32 v38, 32, v38
	v_lshrrev_b32_e32 v44, 29, v35
	v_not_b32_e32 v40, v38
	v_alignbit_b32 v0, v34, v0, v40
	v_lshlrev_b32_e32 v34, 31, v44
	v_or_b32_e32 v40, 0x33000000, v34
	v_add_lshl_u32 v38, v38, v39, 23
	v_lshrrev_b32_e32 v0, 9, v0
	v_sub_u32_e32 v38, v40, v38
	v_or_b32_e32 v34, 0.5, v34
	v_lshlrev_b32_e32 v39, 23, v39
	v_or_b32_e32 v0, v38, v0
	v_lshrrev_b32_e32 v38, 9, v41
	v_sub_u32_e32 v34, v34, v39
	v_or_b32_e32 v34, v38, v34
	v_mul_f32_e32 v38, 0x3fc90fda, v34
	v_fma_f32 v39, v34, s57, -v38
	v_fmac_f32_e32 v39, 0x33a22168, v34
	v_fmac_f32_e32 v39, 0x3fc90fda, v0
	v_lshrrev_b32_e32 v0, 30, v35
	v_add_f32_e32 v34, v38, v39
	v_add_u32_e32 v35, v45, v0
.LBB348_46:                             ;   in Loop: Header=BB348_13 Depth=3
	s_or_saveexec_b64 s[4:5], s[44:45]
	v_mul_f32_e64 v0, |v4|, s58
	v_rndne_f32_e32 v39, v0
	s_xor_b64 exec, exec, s[4:5]
; %bb.47:                               ;   in Loop: Header=BB348_13 Depth=3
	v_cvt_i32_f32_e32 v35, v39
	v_fma_f32 v34, v39, s59, |v4|
	v_fmac_f32_e32 v34, 0xb3a22168, v39
	v_fmac_f32_e32 v34, 0xa7c234c4, v39
; %bb.48:                               ;   in Loop: Header=BB348_13 Depth=3
	s_or_b64 exec, exec, s[4:5]
                                        ; implicit-def: $vgpr0
                                        ; implicit-def: $vgpr38
	s_and_saveexec_b64 s[4:5], s[42:43]
	s_xor_b64 s[42:43], exec, s[4:5]
	s_cbranch_execz .LBB348_50
; %bb.49:                               ;   in Loop: Header=BB348_13 Depth=3
	v_mad_u64_u32 v[38:39], s[4:5], v36, s50, 0
	v_cmp_lt_u32_e32 vcc, 63, v37
	v_mov_b32_e32 v0, v39
	v_mad_u64_u32 v[39:40], s[4:5], v36, s51, v[0:1]
	v_mov_b32_e32 v0, v40
	v_mad_u64_u32 v[40:41], s[4:5], v36, s52, v[0:1]
	;; [unrolled: 2-line block ×3, first 2 shown]
	v_cndmask_b32_e32 v0, 0, v18, vcc
	v_add_u32_e32 v37, v0, v37
	v_mov_b32_e32 v0, v42
	v_mad_u64_u32 v[42:43], s[4:5], v36, s54, v[0:1]
	v_cmp_lt_u32_e64 s[4:5], 31, v37
	v_cndmask_b32_e64 v0, 0, v19, s[4:5]
	v_add_u32_e32 v37, v0, v37
	v_mov_b32_e32 v0, v43
	v_mad_u64_u32 v[43:44], s[8:9], v36, s55, v[0:1]
	v_cmp_lt_u32_e64 s[8:9], 31, v37
	v_cndmask_b32_e64 v0, 0, v19, s[8:9]
	v_add_u32_e32 v45, v0, v37
	v_mov_b32_e32 v0, v44
	v_mad_u64_u32 v[36:37], s[10:11], v36, s56, v[0:1]
	v_cndmask_b32_e32 v0, v42, v40, vcc
	v_cndmask_b32_e32 v44, v43, v41, vcc
	v_cndmask_b32_e32 v36, v36, v42, vcc
	v_cndmask_b32_e32 v37, v37, v43, vcc
	v_cndmask_b32_e64 v46, v44, v0, s[4:5]
	v_cndmask_b32_e64 v42, v36, v44, s[4:5]
	;; [unrolled: 1-line block ×3, first 2 shown]
	v_cndmask_b32_e32 v39, v41, v39, vcc
	v_cndmask_b32_e64 v36, v36, v42, s[8:9]
	v_cndmask_b32_e64 v37, v42, v46, s[8:9]
	v_sub_u32_e32 v42, 32, v45
	v_cndmask_b32_e64 v0, v0, v39, s[4:5]
	v_alignbit_b32 v43, v36, v37, v42
	v_cmp_eq_u32_e64 s[10:11], 0, v45
	v_cndmask_b32_e64 v41, v46, v0, s[8:9]
	v_cndmask_b32_e64 v36, v43, v36, s[10:11]
	v_alignbit_b32 v43, v37, v41, v42
	v_cndmask_b32_e32 v38, v40, v38, vcc
	v_cndmask_b32_e64 v37, v43, v37, s[10:11]
	v_bfe_u32 v45, v36, 29, 1
	v_cndmask_b32_e64 v38, v39, v38, s[4:5]
	v_alignbit_b32 v43, v36, v37, 30
	v_sub_u32_e32 v46, 0, v45
	v_cndmask_b32_e64 v0, v0, v38, s[8:9]
	v_xor_b32_e32 v43, v43, v46
	v_alignbit_b32 v38, v41, v0, v42
	v_cndmask_b32_e64 v38, v38, v41, s[10:11]
	v_ffbh_u32_e32 v39, v43
	v_alignbit_b32 v37, v37, v38, 30
	v_min_u32_e32 v39, 32, v39
	v_alignbit_b32 v0, v38, v0, 30
	v_xor_b32_e32 v37, v37, v46
	v_sub_u32_e32 v40, 31, v39
	v_xor_b32_e32 v0, v0, v46
	v_alignbit_b32 v41, v43, v37, v40
	v_alignbit_b32 v0, v37, v0, v40
	;; [unrolled: 1-line block ×3, first 2 shown]
	v_ffbh_u32_e32 v38, v37
	v_min_u32_e32 v38, 32, v38
	v_lshrrev_b32_e32 v44, 29, v36
	v_not_b32_e32 v40, v38
	v_alignbit_b32 v0, v37, v0, v40
	v_lshlrev_b32_e32 v37, 31, v44
	v_or_b32_e32 v40, 0x33000000, v37
	v_add_lshl_u32 v38, v38, v39, 23
	v_lshrrev_b32_e32 v0, 9, v0
	v_sub_u32_e32 v38, v40, v38
	v_or_b32_e32 v37, 0.5, v37
	v_lshlrev_b32_e32 v39, 23, v39
	v_or_b32_e32 v0, v38, v0
	v_lshrrev_b32_e32 v38, 9, v41
	v_sub_u32_e32 v37, v37, v39
	v_or_b32_e32 v37, v38, v37
	v_mul_f32_e32 v38, 0x3fc90fda, v37
	v_fma_f32 v39, v37, s57, -v38
	v_fmac_f32_e32 v39, 0x33a22168, v37
	v_fmac_f32_e32 v39, 0x3fc90fda, v0
	v_lshrrev_b32_e32 v0, 30, v36
	v_add_f32_e32 v38, v38, v39
	v_add_u32_e32 v0, v45, v0
                                        ; implicit-def: $vgpr39
	s_andn2_saveexec_b64 s[4:5], s[42:43]
	s_cbranch_execnz .LBB348_51
	s_branch .LBB348_52
.LBB348_50:                             ;   in Loop: Header=BB348_13 Depth=3
	s_andn2_saveexec_b64 s[4:5], s[42:43]
.LBB348_51:                             ;   in Loop: Header=BB348_13 Depth=3
	v_cvt_i32_f32_e32 v0, v39
	v_fma_f32 v38, v39, s59, |v4|
	v_fmac_f32_e32 v38, 0xb3a22168, v39
	v_fmac_f32_e32 v38, 0xa7c234c4, v39
.LBB348_52:                             ;   in Loop: Header=BB348_13 Depth=3
	s_or_b64 exec, exec, s[4:5]
	v_mul_f32_e32 v37, v5, v5
	v_mov_b32_e32 v39, 0x3c0881c4
	v_fmac_f32_e32 v39, 0xb94c1982, v37
	v_fma_f32 v39, v37, v39, v10
	v_mul_f32_e32 v39, v37, v39
	v_fmac_f32_e32 v5, v5, v39
	v_mov_b32_e32 v39, 0xbab64f3b
	v_fmac_f32_e32 v39, 0x37d75334, v37
	v_fma_f32 v39, v37, v39, v8
	v_lshlrev_b32_e32 v36, 30, v6
	v_and_b32_e32 v6, 1, v6
	v_fma_f32 v39, v37, v39, v9
	v_and_b32_e32 v36, 0x80000000, v36
	v_fma_f32 v37, v37, v39, 1.0
	v_cmp_eq_u32_e32 vcc, 0, v6
	v_xor_b32_e32 v3, v3, v30
	v_cndmask_b32_e32 v5, v37, v5, vcc
	v_xor_b32_e32 v3, v3, v36
	v_xor_b32_e32 v3, v3, v5
	v_mul_f32_e32 v5, v32, v32
	v_mov_b32_e32 v6, 0x3c0881c4
	v_fmac_f32_e32 v6, 0xb94c1982, v5
	v_fma_f32 v6, v5, v6, v10
	v_mul_f32_e32 v6, v5, v6
	v_fmac_f32_e32 v32, v32, v6
	v_mov_b32_e32 v6, 0xbab64f3b
	v_fmac_f32_e32 v6, 0x37d75334, v5
	v_fma_f32 v6, v5, v6, v8
	v_fma_f32 v6, v5, v6, v9
	v_fma_f32 v5, v5, v6, 1.0
	v_and_b32_e32 v6, 1, v31
	v_cmp_eq_u32_e64 s[4:5], 0, v6
	v_lshlrev_b32_e32 v6, 30, v31
	v_mul_f32_e32 v30, v34, v34
	v_mov_b32_e32 v31, 0x3c0881c4
	v_fmac_f32_e32 v31, 0xb94c1982, v30
	v_fma_f32 v31, v30, v31, v10
	v_cndmask_b32_e64 v5, -v32, v5, s[4:5]
	v_and_b32_e32 v6, 0x80000000, v6
	v_mul_f32_e32 v31, v30, v31
	v_cmp_class_f32_e64 vcc, v29, s46
	v_xor_b32_e32 v5, v6, v5
	v_fmac_f32_e32 v34, v34, v31
	v_mov_b32_e32 v31, 0xbab64f3b
	v_cndmask_b32_e32 v5, v21, v5, vcc
	v_fmac_f32_e32 v31, 0x37d75334, v30
	v_cndmask_b32_e32 v3, v21, v3, vcc
	v_mul_f32_e32 v6, 0x7f800000, v5
	v_cmp_neq_f32_e32 vcc, 0, v5
	v_fma_f32 v31, v30, v31, v8
	v_cndmask_b32_e32 v5, 0, v6, vcc
	v_mul_f32_e32 v6, 0x7f800000, v3
	v_cmp_neq_f32_e32 vcc, 0, v3
	v_and_b32_e32 v29, 1, v35
	v_fma_f32 v31, v30, v31, v9
	v_cndmask_b32_e32 v3, 0, v6, vcc
	v_lshlrev_b32_e32 v6, 30, v35
	v_fma_f32 v30, v30, v31, 1.0
	v_cmp_eq_u32_e32 vcc, 0, v29
	v_and_b32_e32 v6, 0x80000000, v6
	v_cndmask_b32_e32 v29, v30, v34, vcc
	v_xor_b32_e32 v30, v33, v4
	v_xor_b32_e32 v6, v30, v6
	;; [unrolled: 1-line block ×3, first 2 shown]
	v_cmp_class_f32_e64 vcc, v4, s46
	v_cndmask_b32_e32 v4, v21, v6, vcc
	v_mul_f32_e32 v6, v38, v38
	v_mov_b32_e32 v29, 0x3c0881c4
	v_fmac_f32_e32 v29, 0xb94c1982, v6
	v_fma_f32 v29, v6, v29, v10
	v_mul_f32_e32 v29, v6, v29
	v_fmac_f32_e32 v38, v38, v29
	v_mov_b32_e32 v29, 0xbab64f3b
	v_fmac_f32_e32 v29, 0x37d75334, v6
	v_fma_f32 v29, v6, v29, v8
	v_fma_f32 v29, v6, v29, v9
	v_fma_f32 v6, v6, v29, 1.0
	v_and_b32_e32 v29, 1, v0
	v_cmp_eq_u32_e64 s[4:5], 0, v29
	v_lshlrev_b32_e32 v0, 30, v0
	v_cndmask_b32_e64 v6, -v38, v6, s[4:5]
	v_and_b32_e32 v0, 0x80000000, v0
	v_xor_b32_e32 v0, v0, v6
	v_cndmask_b32_e32 v0, v21, v0, vcc
	v_mul_f32_e32 v6, 0x7f800000, v0
	v_cmp_neq_f32_e32 vcc, 0, v0
	v_cndmask_b32_e32 v0, 0, v6, vcc
	v_mul_f32_e32 v6, 0x7f800000, v4
	v_cmp_neq_f32_e32 vcc, 0, v4
	v_cndmask_b32_e32 v4, 0, v6, vcc
	v_add_f32_e32 v5, v5, v0
	v_add_f32_e32 v0, v3, v4
	v_add_f32_e32 v31, -1.0, v5
	v_max_f32_e64 v5, |v31|, |v0|
	v_cvt_f64_f32_e32 v[3:4], v5
	v_cmp_eq_f32_e32 vcc, s63, v5
	v_frexp_exp_i32_f64_e32 v3, v[3:4]
	v_sub_u32_e32 v4, 0, v3
	v_ldexp_f32 v6, |v31|, v4
	v_ldexp_f32 v4, |v0|, v4
	v_mul_f32_e32 v4, v4, v4
	v_fmac_f32_e32 v4, v6, v6
	v_sqrt_f32_e32 v4, v4
	v_ldexp_f32 v6, v4, v3
	v_add_f32_e32 v3, 1.0, v31
	v_cmp_ngt_f32_e64 s[4:5], 0.5, v6
	v_max_f32_e64 v4, |v3|, |v0|
	s_or_b64 s[4:5], vcc, s[4:5]
	s_and_saveexec_b64 s[8:9], s[4:5]
	s_xor_b64 s[8:9], exec, s[8:9]
	s_cbranch_execz .LBB348_54
; %bb.53:                               ;   in Loop: Header=BB348_13 Depth=3
	v_cvt_f64_f32_e32 v[5:6], v4
	v_cmp_neq_f32_e32 vcc, s63, v4
	v_frexp_exp_i32_f64_e32 v5, v[5:6]
	v_sub_u32_e32 v6, 0, v5
	v_ldexp_f32 v29, |v3|, v6
	v_ldexp_f32 v6, |v0|, v6
	v_mul_f32_e32 v6, v6, v6
	v_fmac_f32_e32 v6, v29, v29
	v_sqrt_f32_e32 v6, v6
	v_ldexp_f32 v5, v6, v5
	v_cndmask_b32_e32 v5, v20, v5, vcc
	v_cmp_gt_f32_e32 vcc, s49, v5
	v_cndmask_b32_e64 v6, 0, 32, vcc
	v_ldexp_f32 v5, v5, v6
	v_log_f32_e32 v5, v5
	v_mul_f32_e32 v6, 0x3f317217, v5
	v_fma_f32 v6, v5, s64, -v6
	v_fmac_f32_e32 v6, 0x3377d1cf, v5
	v_fmac_f32_e32 v6, 0x3f317217, v5
	v_cmp_lt_f32_e64 s[4:5], |v5|, s63
	v_cndmask_b32_e64 v5, v5, v6, s[4:5]
	v_cndmask_b32_e32 v6, 0, v22, vcc
	v_sub_f32_e32 v31, v5, v6
.LBB348_54:                             ;   in Loop: Header=BB348_13 Depth=3
	s_andn2_saveexec_b64 s[4:5], s[8:9]
	s_cbranch_execz .LBB348_9
; %bb.55:                               ;   in Loop: Header=BB348_13 Depth=3
	v_add_f32_e32 v5, 2.0, v31
	v_mul_f32_e32 v5, v31, v5
	v_fmac_f32_e32 v5, v0, v0
	v_cmp_neq_f32_e32 vcc, 0, v5
	s_and_saveexec_b64 s[8:9], vcc
	s_cbranch_execz .LBB348_8
; %bb.56:                               ;   in Loop: Header=BB348_13 Depth=3
	v_add_f32_e32 v6, 1.0, v5
	v_cvt_f64_f32_e32 v[29:30], v6
	v_add_f32_e32 v31, -1.0, v6
	v_sub_f32_e32 v32, v31, v6
	v_sub_f32_e32 v31, v5, v31
	v_frexp_exp_i32_f64_e32 v29, v[29:30]
	v_frexp_mant_f32_e32 v30, v6
	v_cmp_gt_f32_e32 vcc, s65, v30
	v_add_f32_e32 v32, 1.0, v32
	v_add_f32_e32 v31, v31, v32
	v_subbrev_co_u32_e32 v29, vcc, 0, v29, vcc
	v_sub_u32_e32 v30, 0, v29
	v_ldexp_f32 v6, v6, v30
	v_ldexp_f32 v30, v31, v30
	v_add_f32_e32 v31, -1.0, v6
	v_add_f32_e32 v32, 1.0, v6
	v_add_f32_e32 v33, 1.0, v31
	v_add_f32_e32 v35, -1.0, v32
	v_sub_f32_e32 v33, v6, v33
	v_sub_f32_e32 v6, v6, v35
	v_add_f32_e32 v6, v30, v6
	v_add_f32_e32 v33, v30, v33
	;; [unrolled: 1-line block ×3, first 2 shown]
	v_rcp_f32_e32 v35, v30
	v_add_f32_e32 v34, v31, v33
	v_sub_f32_e32 v32, v30, v32
	v_sub_f32_e32 v31, v34, v31
	;; [unrolled: 1-line block ×3, first 2 shown]
	v_mul_f32_e32 v32, v34, v35
	v_sub_f32_e32 v31, v33, v31
	v_mul_f32_e32 v33, v30, v32
	v_fma_f32 v36, v32, v30, -v33
	v_fmac_f32_e32 v36, v32, v6
	v_add_f32_e32 v37, v33, v36
	v_sub_f32_e32 v38, v34, v37
	v_sub_f32_e32 v34, v34, v38
	;; [unrolled: 1-line block ×4, first 2 shown]
	v_add_f32_e32 v31, v31, v34
	v_sub_f32_e32 v33, v33, v36
	v_add_f32_e32 v31, v33, v31
	v_add_f32_e32 v33, v38, v31
	v_mul_f32_e32 v34, v35, v33
	v_mul_f32_e32 v36, v30, v34
	v_fma_f32 v30, v34, v30, -v36
	v_fmac_f32_e32 v30, v34, v6
	v_sub_f32_e32 v6, v38, v33
	v_add_f32_e32 v6, v31, v6
	v_add_f32_e32 v31, v36, v30
	v_sub_f32_e32 v37, v33, v31
	v_sub_f32_e32 v33, v33, v37
	;; [unrolled: 1-line block ×4, first 2 shown]
	v_add_f32_e32 v6, v6, v31
	v_sub_f32_e32 v30, v36, v30
	v_cvt_f32_i32_e32 v29, v29
	v_add_f32_e32 v6, v30, v6
	v_add_f32_e32 v30, v32, v34
	;; [unrolled: 1-line block ×3, first 2 shown]
	v_sub_f32_e32 v31, v30, v32
	v_mul_f32_e32 v6, v35, v6
	v_sub_f32_e32 v31, v34, v31
	v_add_f32_e32 v6, v31, v6
	v_mul_f32_e32 v34, 0x3f317218, v29
	v_add_f32_e32 v31, v30, v6
	v_fma_f32 v35, v29, s66, -v34
	v_mul_f32_e32 v32, v31, v31
	v_mov_b32_e32 v33, 0x3ecc95a3
	v_fmac_f32_e32 v35, 0xb102e308, v29
	v_sub_f32_e32 v29, v31, v30
	v_fmac_f32_e32 v33, 0x3e9b6dac, v32
	v_sub_f32_e32 v6, v6, v29
	v_add_f32_e32 v29, v34, v35
	v_fma_f32 v33, v32, v33, v11
	v_sub_f32_e32 v30, v29, v34
	v_ldexp_f32 v34, v31, 1
	v_mul_f32_e32 v31, v31, v32
	v_mul_f32_e32 v31, v31, v33
	v_add_f32_e32 v32, v34, v31
	v_sub_f32_e32 v33, v32, v34
	v_ldexp_f32 v6, v6, 1
	v_sub_f32_e32 v31, v31, v33
	v_add_f32_e32 v6, v6, v31
	v_add_f32_e32 v31, v32, v6
	v_sub_f32_e32 v32, v31, v32
	v_sub_f32_e32 v6, v6, v32
	v_add_f32_e32 v32, v29, v31
	v_sub_f32_e32 v33, v32, v29
	v_sub_f32_e32 v34, v32, v33
	v_sub_f32_e32 v30, v35, v30
	v_sub_f32_e32 v29, v29, v34
	v_sub_f32_e32 v31, v31, v33
	v_add_f32_e32 v29, v31, v29
	v_add_f32_e32 v31, v30, v6
	v_sub_f32_e32 v33, v31, v30
	v_sub_f32_e32 v34, v31, v33
	;; [unrolled: 1-line block ×4, first 2 shown]
	v_add_f32_e32 v29, v31, v29
	v_add_f32_e32 v6, v6, v30
	;; [unrolled: 1-line block ×3, first 2 shown]
	v_sub_f32_e32 v31, v30, v32
	v_sub_f32_e32 v29, v29, v31
	v_add_f32_e32 v6, v6, v29
	v_add_f32_e32 v6, v30, v6
	v_cmp_neq_f32_e32 vcc, s63, v5
	v_cndmask_b32_e32 v6, v20, v6, vcc
	v_cmp_ngt_f32_e32 vcc, -1.0, v5
	v_cndmask_b32_e32 v6, v21, v6, vcc
	v_cmp_neq_f32_e32 vcc, -1.0, v5
	v_cndmask_b32_e32 v6, v23, v6, vcc
	v_cmp_lt_f32_e64 vcc, |v5|, s67
	v_cndmask_b32_e32 v5, v6, v5, vcc
	v_mul_f32_e32 v31, 0.5, v5
	s_branch .LBB348_8
.LBB348_57:
	s_endpgm
	.section	.rodata,"a",@progbits
	.p2align	6, 0x0
	.amdhsa_kernel _ZN2at6native28tensor_kernel_scan_outer_dimIN3c107complexIfEEjZZZNS0_31launch_logcumsumexp_cuda_kernelERKNS_10TensorBaseES7_lENKUlvE_clEvENKUlvE2_clEvEUlS4_S4_E_EEvPT_PKSB_jjjSB_T1_
		.amdhsa_group_segment_fixed_size 0
		.amdhsa_private_segment_fixed_size 0
		.amdhsa_kernarg_size 304
		.amdhsa_user_sgpr_count 6
		.amdhsa_user_sgpr_private_segment_buffer 1
		.amdhsa_user_sgpr_dispatch_ptr 0
		.amdhsa_user_sgpr_queue_ptr 0
		.amdhsa_user_sgpr_kernarg_segment_ptr 1
		.amdhsa_user_sgpr_dispatch_id 0
		.amdhsa_user_sgpr_flat_scratch_init 0
		.amdhsa_user_sgpr_private_segment_size 0
		.amdhsa_uses_dynamic_stack 0
		.amdhsa_system_sgpr_private_segment_wavefront_offset 0
		.amdhsa_system_sgpr_workgroup_id_x 1
		.amdhsa_system_sgpr_workgroup_id_y 1
		.amdhsa_system_sgpr_workgroup_id_z 0
		.amdhsa_system_sgpr_workgroup_info 0
		.amdhsa_system_vgpr_workitem_id 0
		.amdhsa_next_free_vgpr 47
		.amdhsa_next_free_sgpr 71
		.amdhsa_reserve_vcc 1
		.amdhsa_reserve_flat_scratch 0
		.amdhsa_float_round_mode_32 0
		.amdhsa_float_round_mode_16_64 0
		.amdhsa_float_denorm_mode_32 3
		.amdhsa_float_denorm_mode_16_64 3
		.amdhsa_dx10_clamp 1
		.amdhsa_ieee_mode 1
		.amdhsa_fp16_overflow 0
		.amdhsa_exception_fp_ieee_invalid_op 0
		.amdhsa_exception_fp_denorm_src 0
		.amdhsa_exception_fp_ieee_div_zero 0
		.amdhsa_exception_fp_ieee_overflow 0
		.amdhsa_exception_fp_ieee_underflow 0
		.amdhsa_exception_fp_ieee_inexact 0
		.amdhsa_exception_int_div_zero 0
	.end_amdhsa_kernel
	.section	.text._ZN2at6native28tensor_kernel_scan_outer_dimIN3c107complexIfEEjZZZNS0_31launch_logcumsumexp_cuda_kernelERKNS_10TensorBaseES7_lENKUlvE_clEvENKUlvE2_clEvEUlS4_S4_E_EEvPT_PKSB_jjjSB_T1_,"axG",@progbits,_ZN2at6native28tensor_kernel_scan_outer_dimIN3c107complexIfEEjZZZNS0_31launch_logcumsumexp_cuda_kernelERKNS_10TensorBaseES7_lENKUlvE_clEvENKUlvE2_clEvEUlS4_S4_E_EEvPT_PKSB_jjjSB_T1_,comdat
.Lfunc_end348:
	.size	_ZN2at6native28tensor_kernel_scan_outer_dimIN3c107complexIfEEjZZZNS0_31launch_logcumsumexp_cuda_kernelERKNS_10TensorBaseES7_lENKUlvE_clEvENKUlvE2_clEvEUlS4_S4_E_EEvPT_PKSB_jjjSB_T1_, .Lfunc_end348-_ZN2at6native28tensor_kernel_scan_outer_dimIN3c107complexIfEEjZZZNS0_31launch_logcumsumexp_cuda_kernelERKNS_10TensorBaseES7_lENKUlvE_clEvENKUlvE2_clEvEUlS4_S4_E_EEvPT_PKSB_jjjSB_T1_
                                        ; -- End function
	.set _ZN2at6native28tensor_kernel_scan_outer_dimIN3c107complexIfEEjZZZNS0_31launch_logcumsumexp_cuda_kernelERKNS_10TensorBaseES7_lENKUlvE_clEvENKUlvE2_clEvEUlS4_S4_E_EEvPT_PKSB_jjjSB_T1_.num_vgpr, 47
	.set _ZN2at6native28tensor_kernel_scan_outer_dimIN3c107complexIfEEjZZZNS0_31launch_logcumsumexp_cuda_kernelERKNS_10TensorBaseES7_lENKUlvE_clEvENKUlvE2_clEvEUlS4_S4_E_EEvPT_PKSB_jjjSB_T1_.num_agpr, 0
	.set _ZN2at6native28tensor_kernel_scan_outer_dimIN3c107complexIfEEjZZZNS0_31launch_logcumsumexp_cuda_kernelERKNS_10TensorBaseES7_lENKUlvE_clEvENKUlvE2_clEvEUlS4_S4_E_EEvPT_PKSB_jjjSB_T1_.numbered_sgpr, 71
	.set _ZN2at6native28tensor_kernel_scan_outer_dimIN3c107complexIfEEjZZZNS0_31launch_logcumsumexp_cuda_kernelERKNS_10TensorBaseES7_lENKUlvE_clEvENKUlvE2_clEvEUlS4_S4_E_EEvPT_PKSB_jjjSB_T1_.num_named_barrier, 0
	.set _ZN2at6native28tensor_kernel_scan_outer_dimIN3c107complexIfEEjZZZNS0_31launch_logcumsumexp_cuda_kernelERKNS_10TensorBaseES7_lENKUlvE_clEvENKUlvE2_clEvEUlS4_S4_E_EEvPT_PKSB_jjjSB_T1_.private_seg_size, 0
	.set _ZN2at6native28tensor_kernel_scan_outer_dimIN3c107complexIfEEjZZZNS0_31launch_logcumsumexp_cuda_kernelERKNS_10TensorBaseES7_lENKUlvE_clEvENKUlvE2_clEvEUlS4_S4_E_EEvPT_PKSB_jjjSB_T1_.uses_vcc, 1
	.set _ZN2at6native28tensor_kernel_scan_outer_dimIN3c107complexIfEEjZZZNS0_31launch_logcumsumexp_cuda_kernelERKNS_10TensorBaseES7_lENKUlvE_clEvENKUlvE2_clEvEUlS4_S4_E_EEvPT_PKSB_jjjSB_T1_.uses_flat_scratch, 0
	.set _ZN2at6native28tensor_kernel_scan_outer_dimIN3c107complexIfEEjZZZNS0_31launch_logcumsumexp_cuda_kernelERKNS_10TensorBaseES7_lENKUlvE_clEvENKUlvE2_clEvEUlS4_S4_E_EEvPT_PKSB_jjjSB_T1_.has_dyn_sized_stack, 0
	.set _ZN2at6native28tensor_kernel_scan_outer_dimIN3c107complexIfEEjZZZNS0_31launch_logcumsumexp_cuda_kernelERKNS_10TensorBaseES7_lENKUlvE_clEvENKUlvE2_clEvEUlS4_S4_E_EEvPT_PKSB_jjjSB_T1_.has_recursion, 0
	.set _ZN2at6native28tensor_kernel_scan_outer_dimIN3c107complexIfEEjZZZNS0_31launch_logcumsumexp_cuda_kernelERKNS_10TensorBaseES7_lENKUlvE_clEvENKUlvE2_clEvEUlS4_S4_E_EEvPT_PKSB_jjjSB_T1_.has_indirect_call, 0
	.section	.AMDGPU.csdata,"",@progbits
; Kernel info:
; codeLenInByte = 7252
; TotalNumSgprs: 75
; NumVgprs: 47
; ScratchSize: 0
; MemoryBound: 0
; FloatMode: 240
; IeeeMode: 1
; LDSByteSize: 0 bytes/workgroup (compile time only)
; SGPRBlocks: 9
; VGPRBlocks: 11
; NumSGPRsForWavesPerEU: 75
; NumVGPRsForWavesPerEU: 47
; Occupancy: 5
; WaveLimiterHint : 0
; COMPUTE_PGM_RSRC2:SCRATCH_EN: 0
; COMPUTE_PGM_RSRC2:USER_SGPR: 6
; COMPUTE_PGM_RSRC2:TRAP_HANDLER: 0
; COMPUTE_PGM_RSRC2:TGID_X_EN: 1
; COMPUTE_PGM_RSRC2:TGID_Y_EN: 1
; COMPUTE_PGM_RSRC2:TGID_Z_EN: 0
; COMPUTE_PGM_RSRC2:TIDIG_COMP_CNT: 0
	.section	.text._ZN2at6native28tensor_kernel_scan_outer_dimIN3c107complexIfEEmZZZNS0_31launch_logcumsumexp_cuda_kernelERKNS_10TensorBaseES7_lENKUlvE_clEvENKUlvE2_clEvEUlS4_S4_E_EEvPT_PKSB_jjjSB_T1_,"axG",@progbits,_ZN2at6native28tensor_kernel_scan_outer_dimIN3c107complexIfEEmZZZNS0_31launch_logcumsumexp_cuda_kernelERKNS_10TensorBaseES7_lENKUlvE_clEvENKUlvE2_clEvEUlS4_S4_E_EEvPT_PKSB_jjjSB_T1_,comdat
	.globl	_ZN2at6native28tensor_kernel_scan_outer_dimIN3c107complexIfEEmZZZNS0_31launch_logcumsumexp_cuda_kernelERKNS_10TensorBaseES7_lENKUlvE_clEvENKUlvE2_clEvEUlS4_S4_E_EEvPT_PKSB_jjjSB_T1_ ; -- Begin function _ZN2at6native28tensor_kernel_scan_outer_dimIN3c107complexIfEEmZZZNS0_31launch_logcumsumexp_cuda_kernelERKNS_10TensorBaseES7_lENKUlvE_clEvENKUlvE2_clEvEUlS4_S4_E_EEvPT_PKSB_jjjSB_T1_
	.p2align	8
	.type	_ZN2at6native28tensor_kernel_scan_outer_dimIN3c107complexIfEEmZZZNS0_31launch_logcumsumexp_cuda_kernelERKNS_10TensorBaseES7_lENKUlvE_clEvENKUlvE2_clEvEUlS4_S4_E_EEvPT_PKSB_jjjSB_T1_,@function
_ZN2at6native28tensor_kernel_scan_outer_dimIN3c107complexIfEEmZZZNS0_31launch_logcumsumexp_cuda_kernelERKNS_10TensorBaseES7_lENKUlvE_clEvENKUlvE2_clEvEUlS4_S4_E_EEvPT_PKSB_jjjSB_T1_: ; @_ZN2at6native28tensor_kernel_scan_outer_dimIN3c107complexIfEEmZZZNS0_31launch_logcumsumexp_cuda_kernelERKNS_10TensorBaseES7_lENKUlvE_clEvENKUlvE2_clEvEUlS4_S4_E_EEvPT_PKSB_jjjSB_T1_
; %bb.0:
	s_load_dwordx4 s[12:15], s[4:5], 0x10
	s_waitcnt lgkmcnt(0)
	s_cmp_ge_u32 s6, s12
	s_cbranch_scc1 .LBB349_57
; %bb.1:
	s_load_dword s15, s[4:5], 0x30
	s_load_dword s0, s[4:5], 0x3c
	s_load_dwordx4 s[16:19], s[4:5], 0x0
	s_load_dwordx2 s[20:21], s[4:5], 0x20
	s_add_u32 s22, s4, 48
	s_addc_u32 s23, s5, 0
	s_waitcnt lgkmcnt(0)
	s_and_b32 s33, s0, 0xffff
	s_cmp_lg_u32 s14, 0
	s_mul_i32 s7, s7, s33
	s_cselect_b64 s[4:5], -1, 0
	v_add_u32_e32 v7, s7, v0
	s_mov_b32 s3, 0
	s_mov_b32 s2, s13
	s_mul_hi_u32 s9, s14, s13
	s_mul_i32 s8, s14, s13
	v_cndmask_b32_e64 v0, 0, 1, s[4:5]
	v_cmp_gt_u32_e64 s[0:1], s13, v7
	s_lshl_b64 s[24:25], s[8:9], 3
	s_lshl_b64 s[26:27], s[2:3], 3
	v_cmp_ne_u32_e64 s[2:3], 1, v0
	s_movk_i32 s7, 0x1f8
	s_brev_b32 s44, -2
	s_brev_b32 s45, 18
	s_mov_b32 s46, 0x800000
	s_mov_b32 s47, 0xfe5163ab
	;; [unrolled: 1-line block ×15, first 2 shown]
	v_mov_b32_e32 v8, 0x3d2aabf7
	v_mov_b32_e32 v9, 0xbf000004
	;; [unrolled: 1-line block ×3, first 2 shown]
	s_mov_b32 s61, 0x3f317217
	s_mov_b32 s62, 0x3f2aaaab
	v_mov_b32_e32 v11, 0x3f2aaada
	s_mov_b32 s63, 0x3f317218
	s_mov_b32 s64, 0x33800000
	s_movk_i32 s65, 0x204
	v_mov_b32_e32 v12, 0x3d29fb3f
	v_mov_b32_e32 v13, 0xbd97d4d7
	;; [unrolled: 1-line block ×6, first 2 shown]
	v_not_b32_e32 v18, 63
	v_not_b32_e32 v19, 31
	v_mov_b32_e32 v20, 0x7f800000
	v_mov_b32_e32 v21, 0x7fc00000
	;; [unrolled: 1-line block ×8, first 2 shown]
	s_branch .LBB349_3
.LBB349_2:                              ;   in Loop: Header=BB349_3 Depth=1
	s_or_b64 exec, exec, s[28:29]
	s_add_i32 s6, s6, s15
	s_cmp_ge_u32 s6, s12
	s_cbranch_scc1 .LBB349_57
.LBB349_3:                              ; =>This Loop Header: Depth=1
                                        ;     Child Loop BB349_6 Depth 2
                                        ;       Child Loop BB349_13 Depth 3
	s_and_saveexec_b64 s[28:29], s[0:1]
	s_cbranch_execz .LBB349_2
; %bb.4:                                ;   in Loop: Header=BB349_3 Depth=1
	s_load_dword s68, s[22:23], 0x4
	s_mul_i32 s4, s25, s6
	s_mul_hi_u32 s5, s24, s6
	s_mul_i32 s66, s24, s6
	s_add_i32 s67, s5, s4
	s_waitcnt lgkmcnt(0)
	s_mul_i32 s68, s68, s33
	s_mov_b64 s[30:31], 0
	v_mov_b32_e32 v2, v7
	s_branch .LBB349_6
.LBB349_5:                              ;   in Loop: Header=BB349_6 Depth=2
	v_add_u32_e32 v2, s68, v2
	v_cmp_le_u32_e32 vcc, s13, v2
	s_or_b64 s[30:31], vcc, s[30:31]
	s_andn2_b64 exec, exec, s[30:31]
	s_cbranch_execz .LBB349_2
.LBB349_6:                              ;   Parent Loop BB349_3 Depth=1
                                        ; =>  This Loop Header: Depth=2
                                        ;       Child Loop BB349_13 Depth 3
	s_and_b64 vcc, exec, s[2:3]
	s_cbranch_vccnz .LBB349_5
; %bb.7:                                ;   in Loop: Header=BB349_6 Depth=2
	v_mov_b32_e32 v3, v1
	v_lshlrev_b64 v[3:4], 3, v[2:3]
	v_mov_b32_e32 v0, s67
	v_add_co_u32_e32 v27, vcc, s66, v3
	v_addc_co_u32_e32 v28, vcc, v0, v4, vcc
	v_mov_b32_e32 v6, s21
	v_mov_b32_e32 v5, s20
	s_mov_b32 s69, s14
	s_branch .LBB349_13
.LBB349_8:                              ;   in Loop: Header=BB349_13 Depth=3
	s_or_b64 exec, exec, s[8:9]
.LBB349_9:                              ;   in Loop: Header=BB349_13 Depth=3
	s_or_b64 exec, exec, s[4:5]
	v_max_f32_e64 v29, |v0|, |v0|
	v_max_f32_e64 v30, |v3|, |v3|
	v_min_f32_e32 v29, v30, v29
	v_frexp_mant_f32_e32 v30, v4
	v_rcp_f32_e32 v30, v30
	v_frexp_exp_i32_f32_e32 v4, v4
	v_frexp_exp_i32_f32_e32 v32, v29
	v_frexp_mant_f32_e32 v29, v29
	v_mul_f32_e32 v29, v29, v30
	v_sub_u32_e32 v4, v32, v4
	v_ldexp_f32 v4, v29, v4
	v_mul_f32_e32 v29, v4, v4
	v_mov_b32_e32 v30, 0xbc7a590c
	v_fmac_f32_e32 v30, 0x3b2d2a58, v29
	v_fma_f32 v30, v29, v30, v12
	v_fma_f32 v30, v29, v30, v13
	;; [unrolled: 1-line block ×6, first 2 shown]
	v_mul_f32_e32 v29, v29, v30
	v_cmp_gt_i32_e64 s[4:5], 0, v3
	v_fmac_f32_e32 v4, v4, v29
	v_cndmask_b32_e64 v6, 0, v26, s[4:5]
	v_sub_f32_e32 v29, 0x3fc90fdb, v4
	v_cmp_gt_f32_e64 s[4:5], |v0|, |v3|
	v_cndmask_b32_e64 v4, v4, v29, s[4:5]
	v_cmp_gt_f32_e32 vcc, 0, v3
	v_sub_f32_e32 v29, 0x40490fdb, v4
	v_cmp_class_f32_e64 s[8:9], v0, s65
	v_cmp_class_f32_e64 s[10:11], v3, s65
	v_cndmask_b32_e32 v5, v24, v25, vcc
	v_cndmask_b32_e32 v4, v4, v29, vcc
	v_cmp_eq_f32_e32 vcc, 0, v0
	v_cndmask_b32_e32 v4, v4, v6, vcc
	s_and_b64 vcc, s[8:9], s[10:11]
	v_cndmask_b32_e32 v4, v4, v5, vcc
	v_cmp_o_f32_e32 vcc, v3, v0
	v_cndmask_b32_e32 v3, v21, v4, vcc
	v_bfi_b32 v29, s44, v3, v0
.LBB349_10:                             ;   in Loop: Header=BB349_13 Depth=3
	s_or_b64 exec, exec, s[38:39]
.LBB349_11:                             ;   in Loop: Header=BB349_13 Depth=3
	s_or_b64 exec, exec, s[36:37]
	v_mov_b32_e32 v5, v31
	v_mov_b32_e32 v6, v29
.LBB349_12:                             ;   in Loop: Header=BB349_13 Depth=3
	s_or_b64 exec, exec, s[34:35]
	v_mov_b32_e32 v0, s17
	v_add_co_u32_e32 v3, vcc, s16, v27
	v_addc_co_u32_e32 v4, vcc, v0, v28, vcc
	s_add_i32 s69, s69, -1
	v_mov_b32_e32 v0, s27
	v_add_co_u32_e32 v27, vcc, s26, v27
	s_cmp_eq_u32 s69, 0
	v_addc_co_u32_e32 v28, vcc, v28, v0, vcc
	global_store_dwordx2 v[3:4], v[5:6], off
	s_cbranch_scc1 .LBB349_5
.LBB349_13:                             ;   Parent Loop BB349_3 Depth=1
                                        ;     Parent Loop BB349_6 Depth=2
                                        ; =>    This Inner Loop Header: Depth=3
	v_mov_b32_e32 v0, s19
	v_add_co_u32_e32 v3, vcc, s18, v27
	v_addc_co_u32_e32 v4, vcc, v0, v28, vcc
	global_load_dwordx2 v[3:4], v[3:4], off
	s_waitcnt vmcnt(0)
	v_cmp_o_f32_e32 vcc, v3, v4
	v_mov_b32_e32 v29, v4
	v_mov_b32_e32 v31, v3
	;; [unrolled: 1-line block ×3, first 2 shown]
	s_and_saveexec_b64 s[10:11], vcc
; %bb.14:                               ;   in Loop: Header=BB349_13 Depth=3
	v_cmp_u_f32_e64 s[4:5], v5, v6
	v_cmp_lt_f32_e64 s[8:9], v5, v3
	s_or_b64 s[4:5], s[4:5], s[8:9]
	v_cndmask_b32_e64 v29, v4, v6, s[4:5]
	v_cndmask_b32_e64 v31, v3, v5, s[4:5]
	v_mov_b32_e32 v30, v29
; %bb.15:                               ;   in Loop: Header=BB349_13 Depth=3
	s_or_b64 exec, exec, s[10:11]
	s_and_saveexec_b64 s[8:9], vcc
; %bb.16:                               ;   in Loop: Header=BB349_13 Depth=3
	v_cmp_u_f32_e32 vcc, v5, v6
	v_cmp_ge_f32_e64 s[4:5], v5, v3
	s_or_b64 vcc, vcc, s[4:5]
	v_cndmask_b32_e32 v4, v4, v6, vcc
	v_cndmask_b32_e32 v3, v3, v5, vcc
; %bb.17:                               ;   in Loop: Header=BB349_13 Depth=3
	s_or_b64 exec, exec, s[8:9]
	v_cmp_o_f32_e32 vcc, v31, v29
	v_mov_b32_e32 v5, 0x7fc00000
	v_mov_b32_e32 v6, 0x7fc00000
	s_and_saveexec_b64 s[34:35], vcc
	s_cbranch_execz .LBB349_12
; %bb.18:                               ;   in Loop: Header=BB349_13 Depth=3
	v_cmp_class_f32_e64 s[4:5], v31, s7
	v_cmp_neq_f32_e32 vcc, v3, v31
	s_or_b64 s[4:5], s[4:5], vcc
	s_and_saveexec_b64 s[8:9], s[4:5]
	s_xor_b64 s[36:37], exec, s[8:9]
	s_cbranch_execz .LBB349_34
; %bb.19:                               ;   in Loop: Header=BB349_13 Depth=3
	v_sub_f32_e32 v5, v29, v4
	v_and_b32_e32 v6, 0x7fffffff, v5
	v_lshrrev_b32_e32 v0, 23, v6
	v_and_b32_e32 v29, 0x7fffff, v6
	v_cmp_nlt_f32_e64 s[38:39], |v5|, s45
	v_add_u32_e32 v33, 0xffffff88, v0
	v_or_b32_e32 v32, 0x800000, v29
                                        ; implicit-def: $vgpr30
                                        ; implicit-def: $vgpr29
	s_and_saveexec_b64 s[4:5], s[38:39]
	s_xor_b64 s[40:41], exec, s[4:5]
	s_cbranch_execz .LBB349_21
; %bb.20:                               ;   in Loop: Header=BB349_13 Depth=3
	v_mad_u64_u32 v[29:30], s[4:5], v32, s47, 0
	v_cmp_lt_u32_e32 vcc, 63, v33
	v_mov_b32_e32 v0, v30
	v_mad_u64_u32 v[34:35], s[4:5], v32, s48, v[0:1]
	v_mov_b32_e32 v0, v35
	v_mad_u64_u32 v[35:36], s[4:5], v32, s49, v[0:1]
	;; [unrolled: 2-line block ×3, first 2 shown]
	v_cndmask_b32_e32 v0, 0, v18, vcc
	v_add_u32_e32 v30, v0, v33
	v_mov_b32_e32 v0, v37
	v_mad_u64_u32 v[37:38], s[4:5], v32, s51, v[0:1]
	v_cmp_lt_u32_e64 s[4:5], 31, v30
	v_cndmask_b32_e64 v0, 0, v19, s[4:5]
	v_add_u32_e32 v30, v0, v30
	v_mov_b32_e32 v0, v38
	v_mad_u64_u32 v[38:39], s[8:9], v32, s52, v[0:1]
	v_cmp_lt_u32_e64 s[8:9], 31, v30
	v_cndmask_b32_e64 v0, 0, v19, s[8:9]
	v_add_u32_e32 v30, v0, v30
	v_mov_b32_e32 v0, v39
	v_mad_u64_u32 v[39:40], s[10:11], v32, s53, v[0:1]
	v_cndmask_b32_e32 v0, v37, v35, vcc
	v_cndmask_b32_e32 v41, v38, v36, vcc
	;; [unrolled: 1-line block ×4, first 2 shown]
	v_cndmask_b32_e64 v42, v41, v0, s[4:5]
	v_cndmask_b32_e64 v39, v37, v41, s[4:5]
	;; [unrolled: 1-line block ×3, first 2 shown]
	v_cndmask_b32_e32 v34, v36, v34, vcc
	v_cndmask_b32_e64 v37, v37, v39, s[8:9]
	v_cndmask_b32_e64 v38, v39, v42, s[8:9]
	v_sub_u32_e32 v39, 32, v30
	v_cndmask_b32_e64 v0, v0, v34, s[4:5]
	v_alignbit_b32 v40, v37, v38, v39
	v_cmp_eq_u32_e64 s[10:11], 0, v30
	v_cndmask_b32_e64 v36, v42, v0, s[8:9]
	v_cndmask_b32_e64 v30, v40, v37, s[10:11]
	v_alignbit_b32 v37, v38, v36, v39
	v_cndmask_b32_e32 v29, v35, v29, vcc
	v_cndmask_b32_e64 v37, v37, v38, s[10:11]
	v_bfe_u32 v41, v30, 29, 1
	v_cndmask_b32_e64 v29, v34, v29, s[4:5]
	v_alignbit_b32 v38, v30, v37, 30
	v_sub_u32_e32 v42, 0, v41
	v_cndmask_b32_e64 v0, v0, v29, s[8:9]
	v_xor_b32_e32 v38, v38, v42
	v_alignbit_b32 v29, v36, v0, v39
	v_cndmask_b32_e64 v29, v29, v36, s[10:11]
	v_ffbh_u32_e32 v35, v38
	v_alignbit_b32 v34, v37, v29, 30
	v_min_u32_e32 v35, 32, v35
	v_alignbit_b32 v0, v29, v0, 30
	v_xor_b32_e32 v34, v34, v42
	v_sub_u32_e32 v36, 31, v35
	v_xor_b32_e32 v0, v0, v42
	v_alignbit_b32 v37, v38, v34, v36
	v_alignbit_b32 v0, v34, v0, v36
	;; [unrolled: 1-line block ×3, first 2 shown]
	v_ffbh_u32_e32 v34, v29
	v_min_u32_e32 v34, 32, v34
	v_lshrrev_b32_e32 v40, 29, v30
	v_not_b32_e32 v36, v34
	v_alignbit_b32 v0, v29, v0, v36
	v_lshlrev_b32_e32 v29, 31, v40
	v_or_b32_e32 v36, 0x33000000, v29
	v_add_lshl_u32 v34, v34, v35, 23
	v_lshrrev_b32_e32 v0, 9, v0
	v_sub_u32_e32 v34, v36, v34
	v_or_b32_e32 v29, 0.5, v29
	v_lshlrev_b32_e32 v35, 23, v35
	v_or_b32_e32 v0, v34, v0
	v_lshrrev_b32_e32 v34, 9, v37
	v_sub_u32_e32 v29, v29, v35
	v_or_b32_e32 v29, v34, v29
	v_mul_f32_e32 v34, 0x3fc90fda, v29
	v_fma_f32 v35, v29, s54, -v34
	v_fmac_f32_e32 v35, 0x33a22168, v29
	v_fmac_f32_e32 v35, 0x3fc90fda, v0
	v_lshrrev_b32_e32 v0, 30, v30
	v_add_f32_e32 v29, v34, v35
	v_add_u32_e32 v30, v41, v0
.LBB349_21:                             ;   in Loop: Header=BB349_13 Depth=3
	s_or_saveexec_b64 s[4:5], s[40:41]
	v_mul_f32_e64 v0, |v5|, s55
	v_rndne_f32_e32 v35, v0
	s_xor_b64 exec, exec, s[4:5]
; %bb.22:                               ;   in Loop: Header=BB349_13 Depth=3
	v_cvt_i32_f32_e32 v30, v35
	v_fma_f32 v29, v35, s56, |v5|
	v_fmac_f32_e32 v29, 0xb3a22168, v35
	v_fmac_f32_e32 v29, 0xa7c234c4, v35
; %bb.23:                               ;   in Loop: Header=BB349_13 Depth=3
	s_or_b64 exec, exec, s[4:5]
                                        ; implicit-def: $vgpr0
                                        ; implicit-def: $vgpr34
	s_and_saveexec_b64 s[4:5], s[38:39]
	s_xor_b64 s[38:39], exec, s[4:5]
	s_cbranch_execz .LBB349_25
; %bb.24:                               ;   in Loop: Header=BB349_13 Depth=3
	v_mad_u64_u32 v[34:35], s[4:5], v32, s47, 0
	v_cmp_lt_u32_e32 vcc, 63, v33
	v_mov_b32_e32 v0, v35
	v_mad_u64_u32 v[35:36], s[4:5], v32, s48, v[0:1]
	v_mov_b32_e32 v0, v36
	v_mad_u64_u32 v[36:37], s[4:5], v32, s49, v[0:1]
	;; [unrolled: 2-line block ×3, first 2 shown]
	v_cndmask_b32_e32 v0, 0, v18, vcc
	v_add_u32_e32 v33, v0, v33
	v_mov_b32_e32 v0, v38
	v_mad_u64_u32 v[38:39], s[4:5], v32, s51, v[0:1]
	v_cmp_lt_u32_e64 s[4:5], 31, v33
	v_cndmask_b32_e64 v0, 0, v19, s[4:5]
	v_add_u32_e32 v33, v0, v33
	v_mov_b32_e32 v0, v39
	v_mad_u64_u32 v[39:40], s[8:9], v32, s52, v[0:1]
	v_cmp_lt_u32_e64 s[8:9], 31, v33
	v_cndmask_b32_e64 v0, 0, v19, s[8:9]
	v_add_u32_e32 v41, v0, v33
	v_mov_b32_e32 v0, v40
	v_mad_u64_u32 v[32:33], s[10:11], v32, s53, v[0:1]
	v_cndmask_b32_e32 v0, v38, v36, vcc
	v_cndmask_b32_e32 v40, v39, v37, vcc
	v_cndmask_b32_e32 v32, v32, v38, vcc
	v_cndmask_b32_e32 v33, v33, v39, vcc
	v_cndmask_b32_e64 v42, v40, v0, s[4:5]
	v_cndmask_b32_e64 v38, v32, v40, s[4:5]
	;; [unrolled: 1-line block ×3, first 2 shown]
	v_cndmask_b32_e32 v35, v37, v35, vcc
	v_cndmask_b32_e64 v32, v32, v38, s[8:9]
	v_cndmask_b32_e64 v33, v38, v42, s[8:9]
	v_sub_u32_e32 v38, 32, v41
	v_cndmask_b32_e64 v0, v0, v35, s[4:5]
	v_alignbit_b32 v39, v32, v33, v38
	v_cmp_eq_u32_e64 s[10:11], 0, v41
	v_cndmask_b32_e64 v37, v42, v0, s[8:9]
	v_cndmask_b32_e64 v32, v39, v32, s[10:11]
	v_alignbit_b32 v39, v33, v37, v38
	v_cndmask_b32_e32 v34, v36, v34, vcc
	v_cndmask_b32_e64 v33, v39, v33, s[10:11]
	v_bfe_u32 v41, v32, 29, 1
	v_cndmask_b32_e64 v34, v35, v34, s[4:5]
	v_alignbit_b32 v39, v32, v33, 30
	v_sub_u32_e32 v42, 0, v41
	v_cndmask_b32_e64 v0, v0, v34, s[8:9]
	v_xor_b32_e32 v39, v39, v42
	v_alignbit_b32 v34, v37, v0, v38
	v_cndmask_b32_e64 v34, v34, v37, s[10:11]
	v_ffbh_u32_e32 v35, v39
	v_alignbit_b32 v33, v33, v34, 30
	v_min_u32_e32 v35, 32, v35
	v_alignbit_b32 v0, v34, v0, 30
	v_xor_b32_e32 v33, v33, v42
	v_sub_u32_e32 v36, 31, v35
	v_xor_b32_e32 v0, v0, v42
	v_alignbit_b32 v37, v39, v33, v36
	v_alignbit_b32 v0, v33, v0, v36
	;; [unrolled: 1-line block ×3, first 2 shown]
	v_ffbh_u32_e32 v34, v33
	v_min_u32_e32 v34, 32, v34
	v_lshrrev_b32_e32 v40, 29, v32
	v_not_b32_e32 v36, v34
	v_alignbit_b32 v0, v33, v0, v36
	v_lshlrev_b32_e32 v33, 31, v40
	v_or_b32_e32 v36, 0x33000000, v33
	v_add_lshl_u32 v34, v34, v35, 23
	v_lshrrev_b32_e32 v0, 9, v0
	v_sub_u32_e32 v34, v36, v34
	v_or_b32_e32 v33, 0.5, v33
	v_lshlrev_b32_e32 v35, 23, v35
	v_or_b32_e32 v0, v34, v0
	v_lshrrev_b32_e32 v34, 9, v37
	v_sub_u32_e32 v33, v33, v35
	v_or_b32_e32 v33, v34, v33
	v_mul_f32_e32 v34, 0x3fc90fda, v33
	v_fma_f32 v35, v33, s54, -v34
	v_fmac_f32_e32 v35, 0x33a22168, v33
	v_fmac_f32_e32 v35, 0x3fc90fda, v0
	v_lshrrev_b32_e32 v0, 30, v32
	v_add_f32_e32 v34, v34, v35
	v_add_u32_e32 v0, v41, v0
                                        ; implicit-def: $vgpr35
	s_andn2_saveexec_b64 s[4:5], s[38:39]
	s_cbranch_execnz .LBB349_26
	s_branch .LBB349_27
.LBB349_25:                             ;   in Loop: Header=BB349_13 Depth=3
	s_andn2_saveexec_b64 s[4:5], s[38:39]
.LBB349_26:                             ;   in Loop: Header=BB349_13 Depth=3
	v_cvt_i32_f32_e32 v0, v35
	v_fma_f32 v34, v35, s56, |v5|
	v_fmac_f32_e32 v34, 0xb3a22168, v35
	v_fmac_f32_e32 v34, 0xa7c234c4, v35
.LBB349_27:                             ;   in Loop: Header=BB349_13 Depth=3
	s_or_b64 exec, exec, s[4:5]
	v_sub_f32_e32 v31, v31, v3
	v_mul_f32_e32 v32, 0x3fb8aa3b, v31
	v_fma_f32 v33, v31, s57, -v32
	v_rndne_f32_e32 v35, v32
	v_fmac_f32_e32 v33, 0x32a5705f, v31
	v_sub_f32_e32 v32, v32, v35
	v_add_f32_e32 v32, v32, v33
	v_cvt_i32_f32_e32 v33, v35
	v_exp_f32_e32 v32, v32
	v_mov_b32_e32 v35, 0xbab64f3b
	v_mov_b32_e32 v36, 0x3c0881c4
	v_cmp_ngt_f32_e32 vcc, s58, v31
	v_ldexp_f32 v32, v32, v33
	v_mul_f32_e32 v33, v29, v29
	v_fmac_f32_e32 v35, 0x37d75334, v33
	v_fma_f32 v35, v33, v35, v8
	v_fmac_f32_e32 v36, 0xb94c1982, v33
	v_cndmask_b32_e32 v32, 0, v32, vcc
	v_cmp_nlt_f32_e32 vcc, s59, v31
	v_fma_f32 v35, v33, v35, v9
	v_fma_f32 v36, v33, v36, v10
	v_cndmask_b32_e32 v31, v20, v32, vcc
	v_lshlrev_b32_e32 v32, 30, v30
	v_and_b32_e32 v30, 1, v30
	v_fma_f32 v35, v33, v35, 1.0
	v_mul_f32_e32 v33, v33, v36
	v_fmac_f32_e32 v29, v29, v33
	v_cmp_eq_u32_e32 vcc, 0, v30
	v_and_b32_e32 v32, 0x80000000, v32
	v_cndmask_b32_e64 v29, -v29, v35, vcc
	v_xor_b32_e32 v29, v32, v29
	v_mul_f32_e32 v32, v34, v34
	v_mov_b32_e32 v33, 0x3c0881c4
	v_fmac_f32_e32 v33, 0xb94c1982, v32
	v_fma_f32 v33, v32, v33, v10
	v_mul_f32_e32 v33, v32, v33
	v_fmac_f32_e32 v34, v34, v33
	v_mov_b32_e32 v33, 0xbab64f3b
	v_fmac_f32_e32 v33, 0x37d75334, v32
	v_fma_f32 v33, v32, v33, v8
	v_fma_f32 v33, v32, v33, v9
	v_fma_f32 v32, v32, v33, 1.0
	v_and_b32_e32 v33, 1, v0
	v_lshlrev_b32_e32 v0, 30, v0
	v_cmp_class_f32_e64 vcc, v5, s7
	v_cmp_eq_u32_e64 s[4:5], 0, v33
	v_and_b32_e32 v0, 0x80000000, v0
	v_xor_b32_e32 v5, v6, v5
	v_cndmask_b32_e64 v32, v32, v34, s[4:5]
	v_xor_b32_e32 v0, v5, v0
	v_xor_b32_e32 v0, v0, v32
	v_cndmask_b32_e32 v29, v21, v29, vcc
	v_cndmask_b32_e32 v0, v21, v0, vcc
	v_mul_f32_e32 v30, v31, v29
	v_mul_f32_e32 v0, v31, v0
	v_max_f32_e64 v32, |v30|, |v0|
	v_cvt_f64_f32_e32 v[5:6], v32
	v_cmp_eq_f32_e32 vcc, s60, v32
	v_frexp_exp_i32_f64_e32 v5, v[5:6]
	v_sub_u32_e32 v6, 0, v5
	v_ldexp_f32 v33, |v30|, v6
	v_ldexp_f32 v6, |v0|, v6
	v_mul_f32_e32 v6, v6, v6
	v_fmac_f32_e32 v6, v33, v33
	v_sqrt_f32_e32 v6, v6
	v_ldexp_f32 v33, v6, v5
	v_fma_f32 v5, v31, v29, 1.0
	v_cmp_ngt_f32_e64 s[4:5], 0.5, v33
	v_max_f32_e64 v6, |v5|, |v0|
	s_or_b64 s[4:5], vcc, s[4:5]
	s_and_saveexec_b64 s[8:9], s[4:5]
	s_xor_b64 s[8:9], exec, s[8:9]
	s_cbranch_execz .LBB349_29
; %bb.28:                               ;   in Loop: Header=BB349_13 Depth=3
	v_cvt_f64_f32_e32 v[29:30], v6
	v_cmp_neq_f32_e32 vcc, s60, v6
	v_frexp_exp_i32_f64_e32 v29, v[29:30]
	v_sub_u32_e32 v30, 0, v29
	v_ldexp_f32 v31, |v5|, v30
	v_ldexp_f32 v30, |v0|, v30
	v_mul_f32_e32 v30, v30, v30
	v_fmac_f32_e32 v30, v31, v31
	v_sqrt_f32_e32 v30, v30
	v_ldexp_f32 v29, v30, v29
	v_cndmask_b32_e32 v29, v20, v29, vcc
	v_cmp_gt_f32_e32 vcc, s46, v29
	v_cndmask_b32_e64 v30, 0, 32, vcc
	v_ldexp_f32 v29, v29, v30
	v_log_f32_e32 v29, v29
	v_mul_f32_e32 v30, 0x3f317217, v29
	v_fma_f32 v30, v29, s61, -v30
	v_fmac_f32_e32 v30, 0x3377d1cf, v29
	v_fmac_f32_e32 v30, 0x3f317217, v29
	v_cmp_lt_f32_e64 s[4:5], |v29|, s60
	v_cndmask_b32_e64 v29, v29, v30, s[4:5]
	v_cndmask_b32_e32 v30, 0, v22, vcc
	v_sub_f32_e32 v30, v29, v30
.LBB349_29:                             ;   in Loop: Header=BB349_13 Depth=3
	s_andn2_saveexec_b64 s[4:5], s[8:9]
	s_cbranch_execz .LBB349_33
; %bb.30:                               ;   in Loop: Header=BB349_13 Depth=3
	v_add_f32_e32 v31, 2.0, v30
	v_mul_f32_e32 v29, v0, v0
	v_fmac_f32_e32 v29, v30, v31
	v_cmp_neq_f32_e32 vcc, 0, v29
	s_and_saveexec_b64 s[8:9], vcc
	s_cbranch_execz .LBB349_32
; %bb.31:                               ;   in Loop: Header=BB349_13 Depth=3
	v_add_f32_e32 v32, 1.0, v29
	v_cvt_f64_f32_e32 v[30:31], v32
	v_add_f32_e32 v33, -1.0, v32
	v_sub_f32_e32 v34, v33, v32
	v_sub_f32_e32 v33, v29, v33
	v_frexp_exp_i32_f64_e32 v30, v[30:31]
	v_frexp_mant_f32_e32 v31, v32
	v_cmp_gt_f32_e32 vcc, s62, v31
	v_add_f32_e32 v34, 1.0, v34
	v_add_f32_e32 v33, v33, v34
	v_subbrev_co_u32_e32 v30, vcc, 0, v30, vcc
	v_sub_u32_e32 v31, 0, v30
	v_ldexp_f32 v32, v32, v31
	v_ldexp_f32 v31, v33, v31
	v_add_f32_e32 v33, -1.0, v32
	v_add_f32_e32 v34, 1.0, v32
	v_add_f32_e32 v35, 1.0, v33
	v_add_f32_e32 v37, -1.0, v34
	v_sub_f32_e32 v35, v32, v35
	v_sub_f32_e32 v32, v32, v37
	v_add_f32_e32 v35, v31, v35
	v_add_f32_e32 v31, v31, v32
	;; [unrolled: 1-line block ×3, first 2 shown]
	v_rcp_f32_e32 v37, v32
	v_add_f32_e32 v36, v33, v35
	v_sub_f32_e32 v34, v32, v34
	v_sub_f32_e32 v33, v36, v33
	;; [unrolled: 1-line block ×3, first 2 shown]
	v_mul_f32_e32 v34, v36, v37
	v_sub_f32_e32 v33, v35, v33
	v_mul_f32_e32 v35, v32, v34
	v_fma_f32 v38, v34, v32, -v35
	v_fmac_f32_e32 v38, v34, v31
	v_add_f32_e32 v39, v35, v38
	v_sub_f32_e32 v40, v36, v39
	v_sub_f32_e32 v36, v36, v40
	;; [unrolled: 1-line block ×4, first 2 shown]
	v_add_f32_e32 v33, v33, v36
	v_sub_f32_e32 v35, v35, v38
	v_add_f32_e32 v33, v35, v33
	v_add_f32_e32 v35, v40, v33
	v_mul_f32_e32 v36, v37, v35
	v_mul_f32_e32 v38, v32, v36
	v_fma_f32 v32, v36, v32, -v38
	v_fmac_f32_e32 v32, v36, v31
	v_sub_f32_e32 v31, v40, v35
	v_add_f32_e32 v31, v33, v31
	v_add_f32_e32 v33, v38, v32
	v_sub_f32_e32 v39, v35, v33
	v_sub_f32_e32 v35, v35, v39
	;; [unrolled: 1-line block ×4, first 2 shown]
	v_add_f32_e32 v31, v31, v33
	v_sub_f32_e32 v32, v38, v32
	v_cvt_f32_i32_e32 v30, v30
	v_add_f32_e32 v31, v32, v31
	v_add_f32_e32 v32, v34, v36
	;; [unrolled: 1-line block ×3, first 2 shown]
	v_sub_f32_e32 v33, v32, v34
	v_mul_f32_e32 v31, v37, v31
	v_sub_f32_e32 v33, v36, v33
	v_add_f32_e32 v31, v33, v31
	v_mul_f32_e32 v36, 0x3f317218, v30
	v_add_f32_e32 v33, v32, v31
	v_fma_f32 v37, v30, s63, -v36
	v_mul_f32_e32 v34, v33, v33
	v_mov_b32_e32 v35, 0x3ecc95a3
	v_fmac_f32_e32 v37, 0xb102e308, v30
	v_sub_f32_e32 v30, v33, v32
	v_fmac_f32_e32 v35, 0x3e9b6dac, v34
	v_sub_f32_e32 v30, v31, v30
	v_add_f32_e32 v31, v36, v37
	v_fma_f32 v35, v34, v35, v11
	v_sub_f32_e32 v32, v31, v36
	v_ldexp_f32 v36, v33, 1
	v_mul_f32_e32 v33, v33, v34
	v_mul_f32_e32 v33, v33, v35
	v_add_f32_e32 v34, v36, v33
	v_sub_f32_e32 v35, v34, v36
	v_ldexp_f32 v30, v30, 1
	v_sub_f32_e32 v33, v33, v35
	v_add_f32_e32 v30, v30, v33
	v_add_f32_e32 v33, v34, v30
	v_sub_f32_e32 v34, v33, v34
	v_sub_f32_e32 v30, v30, v34
	v_add_f32_e32 v34, v31, v33
	v_sub_f32_e32 v35, v34, v31
	v_sub_f32_e32 v36, v34, v35
	;; [unrolled: 1-line block ×5, first 2 shown]
	v_add_f32_e32 v31, v33, v31
	v_add_f32_e32 v33, v32, v30
	v_sub_f32_e32 v35, v33, v32
	v_sub_f32_e32 v36, v33, v35
	;; [unrolled: 1-line block ×4, first 2 shown]
	v_add_f32_e32 v31, v33, v31
	v_add_f32_e32 v30, v30, v32
	;; [unrolled: 1-line block ×3, first 2 shown]
	v_sub_f32_e32 v33, v32, v34
	v_sub_f32_e32 v31, v31, v33
	v_add_f32_e32 v30, v30, v31
	v_add_f32_e32 v30, v32, v30
	v_cmp_neq_f32_e32 vcc, s60, v29
	v_cndmask_b32_e32 v30, v20, v30, vcc
	v_cmp_ngt_f32_e32 vcc, -1.0, v29
	v_cndmask_b32_e32 v30, v21, v30, vcc
	v_cmp_neq_f32_e32 vcc, -1.0, v29
	v_cndmask_b32_e32 v30, v23, v30, vcc
	v_cmp_lt_f32_e64 vcc, |v29|, s64
	v_cndmask_b32_e32 v29, v30, v29, vcc
	v_mul_f32_e32 v30, 0.5, v29
.LBB349_32:                             ;   in Loop: Header=BB349_13 Depth=3
	s_or_b64 exec, exec, s[8:9]
.LBB349_33:                             ;   in Loop: Header=BB349_13 Depth=3
	s_or_b64 exec, exec, s[4:5]
	v_max_f32_e64 v32, |v0|, |v0|
	v_max_f32_e64 v33, |v5|, |v5|
	v_min_f32_e32 v32, v33, v32
	v_frexp_mant_f32_e32 v33, v6
	v_rcp_f32_e32 v33, v33
	v_frexp_exp_i32_f32_e32 v6, v6
	v_frexp_exp_i32_f32_e32 v34, v32
	v_frexp_mant_f32_e32 v32, v32
	v_mul_f32_e32 v32, v32, v33
	v_sub_u32_e32 v6, v34, v6
	v_ldexp_f32 v6, v32, v6
	v_mul_f32_e32 v32, v6, v6
	v_mov_b32_e32 v33, 0xbc7a590c
	v_fmac_f32_e32 v33, 0x3b2d2a58, v32
	v_fma_f32 v33, v32, v33, v12
	v_fma_f32 v33, v32, v33, v13
	;; [unrolled: 1-line block ×6, first 2 shown]
	v_mul_f32_e32 v32, v32, v33
	v_cmp_gt_i32_e64 s[4:5], 0, v5
	v_fmac_f32_e32 v6, v6, v32
	v_cndmask_b32_e64 v31, 0, v26, s[4:5]
	v_sub_f32_e32 v32, 0x3fc90fdb, v6
	v_cmp_gt_f32_e64 s[4:5], |v0|, |v5|
	v_cndmask_b32_e64 v6, v6, v32, s[4:5]
	v_cmp_gt_f32_e32 vcc, 0, v5
	v_sub_f32_e32 v32, 0x40490fdb, v6
	v_cmp_class_f32_e64 s[8:9], v0, s65
	v_cmp_class_f32_e64 s[10:11], v5, s65
	v_cndmask_b32_e32 v29, v24, v25, vcc
	v_cndmask_b32_e32 v6, v6, v32, vcc
	v_cmp_eq_f32_e32 vcc, 0, v0
	v_cndmask_b32_e32 v6, v6, v31, vcc
	s_and_b64 vcc, s[10:11], s[8:9]
	v_cndmask_b32_e32 v6, v6, v29, vcc
	v_cmp_o_f32_e32 vcc, v5, v0
	v_cndmask_b32_e32 v5, v21, v6, vcc
	v_bfi_b32 v0, s44, v5, v0
	v_add_f32_e32 v31, v3, v30
	v_add_f32_e32 v29, v4, v0
                                        ; implicit-def: $vgpr30
                                        ; implicit-def: $vgpr4
.LBB349_34:                             ;   in Loop: Header=BB349_13 Depth=3
	s_andn2_saveexec_b64 s[36:37], s[36:37]
	s_cbranch_execz .LBB349_11
; %bb.35:                               ;   in Loop: Header=BB349_13 Depth=3
	v_cmp_ngt_f32_e32 vcc, 0, v31
	s_and_saveexec_b64 s[38:39], vcc
	s_cbranch_execz .LBB349_10
; %bb.36:                               ;   in Loop: Header=BB349_13 Depth=3
	v_and_b32_e32 v3, 0x7fffffff, v29
	v_lshrrev_b32_e32 v0, 23, v3
	v_and_b32_e32 v5, 0x7fffff, v3
	v_cmp_nlt_f32_e64 s[40:41], |v29|, s45
	v_add_u32_e32 v34, 0xffffff88, v0
	v_or_b32_e32 v33, 0x800000, v5
                                        ; implicit-def: $vgpr6
                                        ; implicit-def: $vgpr5
	s_and_saveexec_b64 s[4:5], s[40:41]
	s_xor_b64 s[42:43], exec, s[4:5]
	s_cbranch_execz .LBB349_38
; %bb.37:                               ;   in Loop: Header=BB349_13 Depth=3
	v_mad_u64_u32 v[5:6], s[4:5], v33, s47, 0
	v_cmp_lt_u32_e32 vcc, 63, v34
	v_mov_b32_e32 v0, v6
	v_mad_u64_u32 v[31:32], s[4:5], v33, s48, v[0:1]
	v_mov_b32_e32 v0, v32
	v_mad_u64_u32 v[35:36], s[4:5], v33, s49, v[0:1]
	;; [unrolled: 2-line block ×3, first 2 shown]
	v_cndmask_b32_e32 v0, 0, v18, vcc
	v_add_u32_e32 v6, v0, v34
	v_mov_b32_e32 v0, v37
	v_mad_u64_u32 v[37:38], s[4:5], v33, s51, v[0:1]
	v_cmp_lt_u32_e64 s[4:5], 31, v6
	v_cndmask_b32_e64 v0, 0, v19, s[4:5]
	v_add_u32_e32 v6, v0, v6
	v_mov_b32_e32 v0, v38
	v_mad_u64_u32 v[38:39], s[8:9], v33, s52, v[0:1]
	v_cmp_lt_u32_e64 s[8:9], 31, v6
	v_cndmask_b32_e64 v0, 0, v19, s[8:9]
	v_add_u32_e32 v6, v0, v6
	v_mov_b32_e32 v0, v39
	v_mad_u64_u32 v[39:40], s[10:11], v33, s53, v[0:1]
	v_cndmask_b32_e32 v0, v37, v35, vcc
	v_cndmask_b32_e32 v32, v38, v36, vcc
	;; [unrolled: 1-line block ×4, first 2 shown]
	v_cndmask_b32_e64 v41, v32, v0, s[4:5]
	v_cndmask_b32_e64 v32, v37, v32, s[4:5]
	;; [unrolled: 1-line block ×3, first 2 shown]
	v_cndmask_b32_e32 v31, v36, v31, vcc
	v_cndmask_b32_e64 v37, v37, v32, s[8:9]
	v_cndmask_b32_e64 v32, v32, v41, s[8:9]
	v_sub_u32_e32 v38, 32, v6
	v_cndmask_b32_e64 v0, v0, v31, s[4:5]
	v_alignbit_b32 v39, v37, v32, v38
	v_cmp_eq_u32_e64 s[10:11], 0, v6
	v_cndmask_b32_e64 v36, v41, v0, s[8:9]
	v_cndmask_b32_e32 v5, v35, v5, vcc
	v_cndmask_b32_e64 v6, v39, v37, s[10:11]
	v_alignbit_b32 v37, v32, v36, v38
	v_cndmask_b32_e64 v5, v31, v5, s[4:5]
	v_cndmask_b32_e64 v32, v37, v32, s[10:11]
	v_bfe_u32 v40, v6, 29, 1
	v_cndmask_b32_e64 v0, v0, v5, s[8:9]
	v_alignbit_b32 v37, v6, v32, 30
	v_sub_u32_e32 v41, 0, v40
	v_alignbit_b32 v5, v36, v0, v38
	v_xor_b32_e32 v37, v37, v41
	v_cndmask_b32_e64 v5, v5, v36, s[10:11]
	v_alignbit_b32 v31, v32, v5, 30
	v_ffbh_u32_e32 v32, v37
	v_min_u32_e32 v32, 32, v32
	v_alignbit_b32 v0, v5, v0, 30
	v_xor_b32_e32 v31, v31, v41
	v_sub_u32_e32 v35, 31, v32
	v_xor_b32_e32 v0, v0, v41
	v_alignbit_b32 v36, v37, v31, v35
	v_alignbit_b32 v0, v31, v0, v35
	;; [unrolled: 1-line block ×3, first 2 shown]
	v_ffbh_u32_e32 v31, v5
	v_min_u32_e32 v31, 32, v31
	v_lshrrev_b32_e32 v39, 29, v6
	v_not_b32_e32 v35, v31
	v_alignbit_b32 v0, v5, v0, v35
	v_lshlrev_b32_e32 v5, 31, v39
	v_or_b32_e32 v35, 0x33000000, v5
	v_add_lshl_u32 v31, v31, v32, 23
	v_lshrrev_b32_e32 v0, 9, v0
	v_sub_u32_e32 v31, v35, v31
	v_or_b32_e32 v5, 0.5, v5
	v_lshlrev_b32_e32 v32, 23, v32
	v_or_b32_e32 v0, v31, v0
	v_lshrrev_b32_e32 v31, 9, v36
	v_sub_u32_e32 v5, v5, v32
	v_or_b32_e32 v5, v31, v5
	v_mul_f32_e32 v31, 0x3fc90fda, v5
	v_fma_f32 v32, v5, s54, -v31
	v_fmac_f32_e32 v32, 0x33a22168, v5
	v_fmac_f32_e32 v32, 0x3fc90fda, v0
	v_lshrrev_b32_e32 v0, 30, v6
	v_add_f32_e32 v5, v31, v32
	v_add_u32_e32 v6, v40, v0
.LBB349_38:                             ;   in Loop: Header=BB349_13 Depth=3
	s_or_saveexec_b64 s[4:5], s[42:43]
	v_mul_f32_e64 v0, |v29|, s55
	v_rndne_f32_e32 v0, v0
	s_xor_b64 exec, exec, s[4:5]
; %bb.39:                               ;   in Loop: Header=BB349_13 Depth=3
	v_cvt_i32_f32_e32 v6, v0
	v_fma_f32 v5, v0, s56, |v29|
	v_fmac_f32_e32 v5, 0xb3a22168, v0
	v_fmac_f32_e32 v5, 0xa7c234c4, v0
; %bb.40:                               ;   in Loop: Header=BB349_13 Depth=3
	s_or_b64 exec, exec, s[4:5]
                                        ; implicit-def: $vgpr31
                                        ; implicit-def: $vgpr32
	s_and_saveexec_b64 s[4:5], s[40:41]
	s_xor_b64 s[40:41], exec, s[4:5]
	s_cbranch_execz .LBB349_42
; %bb.41:                               ;   in Loop: Header=BB349_13 Depth=3
	v_mad_u64_u32 v[31:32], s[4:5], v33, s47, 0
	v_cmp_lt_u32_e32 vcc, 63, v34
	v_mov_b32_e32 v0, v32
	v_mad_u64_u32 v[35:36], s[4:5], v33, s48, v[0:1]
	v_mov_b32_e32 v0, v36
	v_mad_u64_u32 v[36:37], s[4:5], v33, s49, v[0:1]
	;; [unrolled: 2-line block ×3, first 2 shown]
	v_cndmask_b32_e32 v0, 0, v18, vcc
	v_add_u32_e32 v32, v0, v34
	v_mov_b32_e32 v0, v38
	v_mad_u64_u32 v[38:39], s[4:5], v33, s51, v[0:1]
	v_cmp_lt_u32_e64 s[4:5], 31, v32
	v_cndmask_b32_e64 v0, 0, v19, s[4:5]
	v_add_u32_e32 v32, v0, v32
	v_mov_b32_e32 v0, v39
	v_mad_u64_u32 v[39:40], s[8:9], v33, s52, v[0:1]
	v_cmp_lt_u32_e64 s[8:9], 31, v32
	v_cndmask_b32_e64 v0, 0, v19, s[8:9]
	v_add_u32_e32 v34, v0, v32
	v_mov_b32_e32 v0, v40
	v_mad_u64_u32 v[32:33], s[10:11], v33, s53, v[0:1]
	v_cndmask_b32_e32 v0, v38, v36, vcc
	v_cndmask_b32_e32 v40, v39, v37, vcc
	;; [unrolled: 1-line block ×4, first 2 shown]
	v_cndmask_b32_e64 v41, v40, v0, s[4:5]
	v_cndmask_b32_e64 v38, v32, v40, s[4:5]
	;; [unrolled: 1-line block ×5, first 2 shown]
	v_sub_u32_e32 v38, 32, v34
	v_alignbit_b32 v39, v32, v33, v38
	v_cmp_eq_u32_e64 s[10:11], 0, v34
	v_cndmask_b32_e64 v34, v39, v32, s[10:11]
	v_cndmask_b32_e32 v32, v37, v35, vcc
	v_cndmask_b32_e64 v0, v0, v32, s[4:5]
	v_cndmask_b32_e64 v35, v41, v0, s[8:9]
	v_cndmask_b32_e32 v31, v36, v31, vcc
	v_alignbit_b32 v37, v33, v35, v38
	v_cndmask_b32_e64 v31, v32, v31, s[4:5]
	v_cndmask_b32_e64 v33, v37, v33, s[10:11]
	v_bfe_u32 v40, v34, 29, 1
	v_cndmask_b32_e64 v0, v0, v31, s[8:9]
	v_alignbit_b32 v37, v34, v33, 30
	v_sub_u32_e32 v41, 0, v40
	v_alignbit_b32 v31, v35, v0, v38
	v_xor_b32_e32 v37, v37, v41
	v_cndmask_b32_e64 v31, v31, v35, s[10:11]
	v_alignbit_b32 v32, v33, v31, 30
	v_ffbh_u32_e32 v33, v37
	v_min_u32_e32 v33, 32, v33
	v_alignbit_b32 v0, v31, v0, 30
	v_xor_b32_e32 v32, v32, v41
	v_sub_u32_e32 v35, 31, v33
	v_xor_b32_e32 v0, v0, v41
	v_alignbit_b32 v36, v37, v32, v35
	v_alignbit_b32 v0, v32, v0, v35
	;; [unrolled: 1-line block ×3, first 2 shown]
	v_ffbh_u32_e32 v32, v31
	v_min_u32_e32 v32, 32, v32
	v_lshrrev_b32_e32 v39, 29, v34
	v_not_b32_e32 v35, v32
	v_alignbit_b32 v0, v31, v0, v35
	v_lshlrev_b32_e32 v31, 31, v39
	v_or_b32_e32 v35, 0x33000000, v31
	v_add_lshl_u32 v32, v32, v33, 23
	v_lshrrev_b32_e32 v0, 9, v0
	v_sub_u32_e32 v32, v35, v32
	v_or_b32_e32 v31, 0.5, v31
	v_lshlrev_b32_e32 v33, 23, v33
	v_or_b32_e32 v0, v32, v0
	v_lshrrev_b32_e32 v32, 9, v36
	v_sub_u32_e32 v31, v31, v33
	v_or_b32_e32 v31, v32, v31
	v_mul_f32_e32 v32, 0x3fc90fda, v31
	v_fma_f32 v33, v31, s54, -v32
	v_fmac_f32_e32 v33, 0x33a22168, v31
	v_fmac_f32_e32 v33, 0x3fc90fda, v0
	v_lshrrev_b32_e32 v0, 30, v34
	v_add_f32_e32 v32, v32, v33
	v_add_u32_e32 v31, v40, v0
                                        ; implicit-def: $vgpr0
	s_andn2_saveexec_b64 s[4:5], s[40:41]
	s_cbranch_execnz .LBB349_43
	s_branch .LBB349_44
.LBB349_42:                             ;   in Loop: Header=BB349_13 Depth=3
	s_andn2_saveexec_b64 s[4:5], s[40:41]
.LBB349_43:                             ;   in Loop: Header=BB349_13 Depth=3
	v_cvt_i32_f32_e32 v31, v0
	v_fma_f32 v32, v0, s56, |v29|
	v_fmac_f32_e32 v32, 0xb3a22168, v0
	v_fmac_f32_e32 v32, 0xa7c234c4, v0
.LBB349_44:                             ;   in Loop: Header=BB349_13 Depth=3
	s_or_b64 exec, exec, s[4:5]
	v_and_b32_e32 v33, 0x7fffffff, v4
	v_lshrrev_b32_e32 v0, 23, v33
	v_and_b32_e32 v34, 0x7fffff, v33
	v_cmp_nlt_f32_e64 s[40:41], |v4|, s45
	v_add_u32_e32 v37, 0xffffff88, v0
	v_or_b32_e32 v36, 0x800000, v34
                                        ; implicit-def: $vgpr35
                                        ; implicit-def: $vgpr34
	s_and_saveexec_b64 s[4:5], s[40:41]
	s_xor_b64 s[42:43], exec, s[4:5]
	s_cbranch_execz .LBB349_46
; %bb.45:                               ;   in Loop: Header=BB349_13 Depth=3
	v_mad_u64_u32 v[34:35], s[4:5], v36, s47, 0
	v_cmp_lt_u32_e32 vcc, 63, v37
	v_mov_b32_e32 v0, v35
	v_mad_u64_u32 v[38:39], s[4:5], v36, s48, v[0:1]
	v_mov_b32_e32 v0, v39
	v_mad_u64_u32 v[39:40], s[4:5], v36, s49, v[0:1]
	;; [unrolled: 2-line block ×3, first 2 shown]
	v_cndmask_b32_e32 v0, 0, v18, vcc
	v_add_u32_e32 v35, v0, v37
	v_mov_b32_e32 v0, v41
	v_mad_u64_u32 v[41:42], s[4:5], v36, s51, v[0:1]
	v_cmp_lt_u32_e64 s[4:5], 31, v35
	v_cndmask_b32_e64 v0, 0, v19, s[4:5]
	v_add_u32_e32 v35, v0, v35
	v_mov_b32_e32 v0, v42
	v_mad_u64_u32 v[42:43], s[8:9], v36, s52, v[0:1]
	v_cmp_lt_u32_e64 s[8:9], 31, v35
	v_cndmask_b32_e64 v0, 0, v19, s[8:9]
	v_add_u32_e32 v35, v0, v35
	v_mov_b32_e32 v0, v43
	v_mad_u64_u32 v[43:44], s[10:11], v36, s53, v[0:1]
	v_cndmask_b32_e32 v0, v41, v39, vcc
	v_cndmask_b32_e32 v45, v42, v40, vcc
	;; [unrolled: 1-line block ×4, first 2 shown]
	v_cndmask_b32_e64 v46, v45, v0, s[4:5]
	v_cndmask_b32_e64 v43, v41, v45, s[4:5]
	;; [unrolled: 1-line block ×3, first 2 shown]
	v_cndmask_b32_e32 v38, v40, v38, vcc
	v_cndmask_b32_e64 v41, v41, v43, s[8:9]
	v_cndmask_b32_e64 v42, v43, v46, s[8:9]
	v_sub_u32_e32 v43, 32, v35
	v_cndmask_b32_e64 v0, v0, v38, s[4:5]
	v_alignbit_b32 v44, v41, v42, v43
	v_cmp_eq_u32_e64 s[10:11], 0, v35
	v_cndmask_b32_e64 v40, v46, v0, s[8:9]
	v_cndmask_b32_e64 v35, v44, v41, s[10:11]
	v_alignbit_b32 v41, v42, v40, v43
	v_cndmask_b32_e32 v34, v39, v34, vcc
	v_cndmask_b32_e64 v41, v41, v42, s[10:11]
	v_bfe_u32 v45, v35, 29, 1
	v_cndmask_b32_e64 v34, v38, v34, s[4:5]
	v_alignbit_b32 v42, v35, v41, 30
	v_sub_u32_e32 v46, 0, v45
	v_cndmask_b32_e64 v0, v0, v34, s[8:9]
	v_xor_b32_e32 v42, v42, v46
	v_alignbit_b32 v34, v40, v0, v43
	v_cndmask_b32_e64 v34, v34, v40, s[10:11]
	v_ffbh_u32_e32 v39, v42
	v_alignbit_b32 v38, v41, v34, 30
	v_min_u32_e32 v39, 32, v39
	v_alignbit_b32 v0, v34, v0, 30
	v_xor_b32_e32 v38, v38, v46
	v_sub_u32_e32 v40, 31, v39
	v_xor_b32_e32 v0, v0, v46
	v_alignbit_b32 v41, v42, v38, v40
	v_alignbit_b32 v0, v38, v0, v40
	;; [unrolled: 1-line block ×3, first 2 shown]
	v_ffbh_u32_e32 v38, v34
	v_min_u32_e32 v38, 32, v38
	v_lshrrev_b32_e32 v44, 29, v35
	v_not_b32_e32 v40, v38
	v_alignbit_b32 v0, v34, v0, v40
	v_lshlrev_b32_e32 v34, 31, v44
	v_or_b32_e32 v40, 0x33000000, v34
	v_add_lshl_u32 v38, v38, v39, 23
	v_lshrrev_b32_e32 v0, 9, v0
	v_sub_u32_e32 v38, v40, v38
	v_or_b32_e32 v34, 0.5, v34
	v_lshlrev_b32_e32 v39, 23, v39
	v_or_b32_e32 v0, v38, v0
	v_lshrrev_b32_e32 v38, 9, v41
	v_sub_u32_e32 v34, v34, v39
	v_or_b32_e32 v34, v38, v34
	v_mul_f32_e32 v38, 0x3fc90fda, v34
	v_fma_f32 v39, v34, s54, -v38
	v_fmac_f32_e32 v39, 0x33a22168, v34
	v_fmac_f32_e32 v39, 0x3fc90fda, v0
	v_lshrrev_b32_e32 v0, 30, v35
	v_add_f32_e32 v34, v38, v39
	v_add_u32_e32 v35, v45, v0
.LBB349_46:                             ;   in Loop: Header=BB349_13 Depth=3
	s_or_saveexec_b64 s[4:5], s[42:43]
	v_mul_f32_e64 v0, |v4|, s55
	v_rndne_f32_e32 v39, v0
	s_xor_b64 exec, exec, s[4:5]
; %bb.47:                               ;   in Loop: Header=BB349_13 Depth=3
	v_cvt_i32_f32_e32 v35, v39
	v_fma_f32 v34, v39, s56, |v4|
	v_fmac_f32_e32 v34, 0xb3a22168, v39
	v_fmac_f32_e32 v34, 0xa7c234c4, v39
; %bb.48:                               ;   in Loop: Header=BB349_13 Depth=3
	s_or_b64 exec, exec, s[4:5]
                                        ; implicit-def: $vgpr0
                                        ; implicit-def: $vgpr38
	s_and_saveexec_b64 s[4:5], s[40:41]
	s_xor_b64 s[40:41], exec, s[4:5]
	s_cbranch_execz .LBB349_50
; %bb.49:                               ;   in Loop: Header=BB349_13 Depth=3
	v_mad_u64_u32 v[38:39], s[4:5], v36, s47, 0
	v_cmp_lt_u32_e32 vcc, 63, v37
	v_mov_b32_e32 v0, v39
	v_mad_u64_u32 v[39:40], s[4:5], v36, s48, v[0:1]
	v_mov_b32_e32 v0, v40
	v_mad_u64_u32 v[40:41], s[4:5], v36, s49, v[0:1]
	v_mov_b32_e32 v0, v41
	v_mad_u64_u32 v[41:42], s[4:5], v36, s50, v[0:1]
	v_cndmask_b32_e32 v0, 0, v18, vcc
	v_add_u32_e32 v37, v0, v37
	v_mov_b32_e32 v0, v42
	v_mad_u64_u32 v[42:43], s[4:5], v36, s51, v[0:1]
	v_cmp_lt_u32_e64 s[4:5], 31, v37
	v_cndmask_b32_e64 v0, 0, v19, s[4:5]
	v_add_u32_e32 v37, v0, v37
	v_mov_b32_e32 v0, v43
	v_mad_u64_u32 v[43:44], s[8:9], v36, s52, v[0:1]
	v_cmp_lt_u32_e64 s[8:9], 31, v37
	v_cndmask_b32_e64 v0, 0, v19, s[8:9]
	v_add_u32_e32 v45, v0, v37
	v_mov_b32_e32 v0, v44
	v_mad_u64_u32 v[36:37], s[10:11], v36, s53, v[0:1]
	v_cndmask_b32_e32 v0, v42, v40, vcc
	v_cndmask_b32_e32 v44, v43, v41, vcc
	;; [unrolled: 1-line block ×4, first 2 shown]
	v_cndmask_b32_e64 v46, v44, v0, s[4:5]
	v_cndmask_b32_e64 v42, v36, v44, s[4:5]
	;; [unrolled: 1-line block ×3, first 2 shown]
	v_cndmask_b32_e32 v39, v41, v39, vcc
	v_cndmask_b32_e64 v36, v36, v42, s[8:9]
	v_cndmask_b32_e64 v37, v42, v46, s[8:9]
	v_sub_u32_e32 v42, 32, v45
	v_cndmask_b32_e64 v0, v0, v39, s[4:5]
	v_alignbit_b32 v43, v36, v37, v42
	v_cmp_eq_u32_e64 s[10:11], 0, v45
	v_cndmask_b32_e64 v41, v46, v0, s[8:9]
	v_cndmask_b32_e64 v36, v43, v36, s[10:11]
	v_alignbit_b32 v43, v37, v41, v42
	v_cndmask_b32_e32 v38, v40, v38, vcc
	v_cndmask_b32_e64 v37, v43, v37, s[10:11]
	v_bfe_u32 v45, v36, 29, 1
	v_cndmask_b32_e64 v38, v39, v38, s[4:5]
	v_alignbit_b32 v43, v36, v37, 30
	v_sub_u32_e32 v46, 0, v45
	v_cndmask_b32_e64 v0, v0, v38, s[8:9]
	v_xor_b32_e32 v43, v43, v46
	v_alignbit_b32 v38, v41, v0, v42
	v_cndmask_b32_e64 v38, v38, v41, s[10:11]
	v_ffbh_u32_e32 v39, v43
	v_alignbit_b32 v37, v37, v38, 30
	v_min_u32_e32 v39, 32, v39
	v_alignbit_b32 v0, v38, v0, 30
	v_xor_b32_e32 v37, v37, v46
	v_sub_u32_e32 v40, 31, v39
	v_xor_b32_e32 v0, v0, v46
	v_alignbit_b32 v41, v43, v37, v40
	v_alignbit_b32 v0, v37, v0, v40
	;; [unrolled: 1-line block ×3, first 2 shown]
	v_ffbh_u32_e32 v38, v37
	v_min_u32_e32 v38, 32, v38
	v_lshrrev_b32_e32 v44, 29, v36
	v_not_b32_e32 v40, v38
	v_alignbit_b32 v0, v37, v0, v40
	v_lshlrev_b32_e32 v37, 31, v44
	v_or_b32_e32 v40, 0x33000000, v37
	v_add_lshl_u32 v38, v38, v39, 23
	v_lshrrev_b32_e32 v0, 9, v0
	v_sub_u32_e32 v38, v40, v38
	v_or_b32_e32 v37, 0.5, v37
	v_lshlrev_b32_e32 v39, 23, v39
	v_or_b32_e32 v0, v38, v0
	v_lshrrev_b32_e32 v38, 9, v41
	v_sub_u32_e32 v37, v37, v39
	v_or_b32_e32 v37, v38, v37
	v_mul_f32_e32 v38, 0x3fc90fda, v37
	v_fma_f32 v39, v37, s54, -v38
	v_fmac_f32_e32 v39, 0x33a22168, v37
	v_fmac_f32_e32 v39, 0x3fc90fda, v0
	v_lshrrev_b32_e32 v0, 30, v36
	v_add_f32_e32 v38, v38, v39
	v_add_u32_e32 v0, v45, v0
                                        ; implicit-def: $vgpr39
	s_andn2_saveexec_b64 s[4:5], s[40:41]
	s_cbranch_execnz .LBB349_51
	s_branch .LBB349_52
.LBB349_50:                             ;   in Loop: Header=BB349_13 Depth=3
	s_andn2_saveexec_b64 s[4:5], s[40:41]
.LBB349_51:                             ;   in Loop: Header=BB349_13 Depth=3
	v_cvt_i32_f32_e32 v0, v39
	v_fma_f32 v38, v39, s56, |v4|
	v_fmac_f32_e32 v38, 0xb3a22168, v39
	v_fmac_f32_e32 v38, 0xa7c234c4, v39
.LBB349_52:                             ;   in Loop: Header=BB349_13 Depth=3
	s_or_b64 exec, exec, s[4:5]
	v_mul_f32_e32 v37, v5, v5
	v_mov_b32_e32 v39, 0x3c0881c4
	v_fmac_f32_e32 v39, 0xb94c1982, v37
	v_fma_f32 v39, v37, v39, v10
	v_mul_f32_e32 v39, v37, v39
	v_fmac_f32_e32 v5, v5, v39
	v_mov_b32_e32 v39, 0xbab64f3b
	v_fmac_f32_e32 v39, 0x37d75334, v37
	v_fma_f32 v39, v37, v39, v8
	v_lshlrev_b32_e32 v36, 30, v6
	v_and_b32_e32 v6, 1, v6
	v_fma_f32 v39, v37, v39, v9
	v_and_b32_e32 v36, 0x80000000, v36
	v_fma_f32 v37, v37, v39, 1.0
	v_cmp_eq_u32_e32 vcc, 0, v6
	v_xor_b32_e32 v3, v3, v30
	v_cndmask_b32_e32 v5, v37, v5, vcc
	v_xor_b32_e32 v3, v3, v36
	v_xor_b32_e32 v3, v3, v5
	v_mul_f32_e32 v5, v32, v32
	v_mov_b32_e32 v6, 0x3c0881c4
	v_fmac_f32_e32 v6, 0xb94c1982, v5
	v_fma_f32 v6, v5, v6, v10
	v_mul_f32_e32 v6, v5, v6
	v_fmac_f32_e32 v32, v32, v6
	v_mov_b32_e32 v6, 0xbab64f3b
	v_fmac_f32_e32 v6, 0x37d75334, v5
	v_fma_f32 v6, v5, v6, v8
	v_fma_f32 v6, v5, v6, v9
	v_fma_f32 v5, v5, v6, 1.0
	v_and_b32_e32 v6, 1, v31
	v_cmp_eq_u32_e64 s[4:5], 0, v6
	v_lshlrev_b32_e32 v6, 30, v31
	v_mul_f32_e32 v30, v34, v34
	v_mov_b32_e32 v31, 0x3c0881c4
	v_fmac_f32_e32 v31, 0xb94c1982, v30
	v_fma_f32 v31, v30, v31, v10
	v_cndmask_b32_e64 v5, -v32, v5, s[4:5]
	v_and_b32_e32 v6, 0x80000000, v6
	v_mul_f32_e32 v31, v30, v31
	v_cmp_class_f32_e64 vcc, v29, s7
	v_xor_b32_e32 v5, v6, v5
	v_fmac_f32_e32 v34, v34, v31
	v_mov_b32_e32 v31, 0xbab64f3b
	v_cndmask_b32_e32 v5, v21, v5, vcc
	v_fmac_f32_e32 v31, 0x37d75334, v30
	v_cndmask_b32_e32 v3, v21, v3, vcc
	v_mul_f32_e32 v6, 0x7f800000, v5
	v_cmp_neq_f32_e32 vcc, 0, v5
	v_fma_f32 v31, v30, v31, v8
	v_cndmask_b32_e32 v5, 0, v6, vcc
	v_mul_f32_e32 v6, 0x7f800000, v3
	v_cmp_neq_f32_e32 vcc, 0, v3
	v_and_b32_e32 v29, 1, v35
	v_fma_f32 v31, v30, v31, v9
	v_cndmask_b32_e32 v3, 0, v6, vcc
	v_lshlrev_b32_e32 v6, 30, v35
	v_fma_f32 v30, v30, v31, 1.0
	v_cmp_eq_u32_e32 vcc, 0, v29
	v_and_b32_e32 v6, 0x80000000, v6
	v_cndmask_b32_e32 v29, v30, v34, vcc
	v_xor_b32_e32 v30, v33, v4
	v_xor_b32_e32 v6, v30, v6
	;; [unrolled: 1-line block ×3, first 2 shown]
	v_cmp_class_f32_e64 vcc, v4, s7
	v_cndmask_b32_e32 v4, v21, v6, vcc
	v_mul_f32_e32 v6, v38, v38
	v_mov_b32_e32 v29, 0x3c0881c4
	v_fmac_f32_e32 v29, 0xb94c1982, v6
	v_fma_f32 v29, v6, v29, v10
	v_mul_f32_e32 v29, v6, v29
	v_fmac_f32_e32 v38, v38, v29
	v_mov_b32_e32 v29, 0xbab64f3b
	v_fmac_f32_e32 v29, 0x37d75334, v6
	v_fma_f32 v29, v6, v29, v8
	v_fma_f32 v29, v6, v29, v9
	v_fma_f32 v6, v6, v29, 1.0
	v_and_b32_e32 v29, 1, v0
	v_cmp_eq_u32_e64 s[4:5], 0, v29
	v_lshlrev_b32_e32 v0, 30, v0
	v_cndmask_b32_e64 v6, -v38, v6, s[4:5]
	v_and_b32_e32 v0, 0x80000000, v0
	v_xor_b32_e32 v0, v0, v6
	v_cndmask_b32_e32 v0, v21, v0, vcc
	v_mul_f32_e32 v6, 0x7f800000, v0
	v_cmp_neq_f32_e32 vcc, 0, v0
	v_cndmask_b32_e32 v0, 0, v6, vcc
	v_mul_f32_e32 v6, 0x7f800000, v4
	v_cmp_neq_f32_e32 vcc, 0, v4
	v_cndmask_b32_e32 v4, 0, v6, vcc
	v_add_f32_e32 v5, v5, v0
	v_add_f32_e32 v0, v3, v4
	v_add_f32_e32 v31, -1.0, v5
	v_max_f32_e64 v5, |v31|, |v0|
	v_cvt_f64_f32_e32 v[3:4], v5
	v_cmp_eq_f32_e32 vcc, s60, v5
	v_frexp_exp_i32_f64_e32 v3, v[3:4]
	v_sub_u32_e32 v4, 0, v3
	v_ldexp_f32 v6, |v31|, v4
	v_ldexp_f32 v4, |v0|, v4
	v_mul_f32_e32 v4, v4, v4
	v_fmac_f32_e32 v4, v6, v6
	v_sqrt_f32_e32 v4, v4
	v_ldexp_f32 v6, v4, v3
	v_add_f32_e32 v3, 1.0, v31
	v_cmp_ngt_f32_e64 s[4:5], 0.5, v6
	v_max_f32_e64 v4, |v3|, |v0|
	s_or_b64 s[4:5], vcc, s[4:5]
	s_and_saveexec_b64 s[8:9], s[4:5]
	s_xor_b64 s[8:9], exec, s[8:9]
	s_cbranch_execz .LBB349_54
; %bb.53:                               ;   in Loop: Header=BB349_13 Depth=3
	v_cvt_f64_f32_e32 v[5:6], v4
	v_cmp_neq_f32_e32 vcc, s60, v4
	v_frexp_exp_i32_f64_e32 v5, v[5:6]
	v_sub_u32_e32 v6, 0, v5
	v_ldexp_f32 v29, |v3|, v6
	v_ldexp_f32 v6, |v0|, v6
	v_mul_f32_e32 v6, v6, v6
	v_fmac_f32_e32 v6, v29, v29
	v_sqrt_f32_e32 v6, v6
	v_ldexp_f32 v5, v6, v5
	v_cndmask_b32_e32 v5, v20, v5, vcc
	v_cmp_gt_f32_e32 vcc, s46, v5
	v_cndmask_b32_e64 v6, 0, 32, vcc
	v_ldexp_f32 v5, v5, v6
	v_log_f32_e32 v5, v5
	v_mul_f32_e32 v6, 0x3f317217, v5
	v_fma_f32 v6, v5, s61, -v6
	v_fmac_f32_e32 v6, 0x3377d1cf, v5
	v_fmac_f32_e32 v6, 0x3f317217, v5
	v_cmp_lt_f32_e64 s[4:5], |v5|, s60
	v_cndmask_b32_e64 v5, v5, v6, s[4:5]
	v_cndmask_b32_e32 v6, 0, v22, vcc
	v_sub_f32_e32 v31, v5, v6
.LBB349_54:                             ;   in Loop: Header=BB349_13 Depth=3
	s_andn2_saveexec_b64 s[4:5], s[8:9]
	s_cbranch_execz .LBB349_9
; %bb.55:                               ;   in Loop: Header=BB349_13 Depth=3
	v_add_f32_e32 v5, 2.0, v31
	v_mul_f32_e32 v5, v31, v5
	v_fmac_f32_e32 v5, v0, v0
	v_cmp_neq_f32_e32 vcc, 0, v5
	s_and_saveexec_b64 s[8:9], vcc
	s_cbranch_execz .LBB349_8
; %bb.56:                               ;   in Loop: Header=BB349_13 Depth=3
	v_add_f32_e32 v6, 1.0, v5
	v_cvt_f64_f32_e32 v[29:30], v6
	v_add_f32_e32 v31, -1.0, v6
	v_sub_f32_e32 v32, v31, v6
	v_sub_f32_e32 v31, v5, v31
	v_frexp_exp_i32_f64_e32 v29, v[29:30]
	v_frexp_mant_f32_e32 v30, v6
	v_cmp_gt_f32_e32 vcc, s62, v30
	v_add_f32_e32 v32, 1.0, v32
	v_add_f32_e32 v31, v31, v32
	v_subbrev_co_u32_e32 v29, vcc, 0, v29, vcc
	v_sub_u32_e32 v30, 0, v29
	v_ldexp_f32 v6, v6, v30
	v_ldexp_f32 v30, v31, v30
	v_add_f32_e32 v31, -1.0, v6
	v_add_f32_e32 v32, 1.0, v6
	v_add_f32_e32 v33, 1.0, v31
	v_add_f32_e32 v35, -1.0, v32
	v_sub_f32_e32 v33, v6, v33
	v_sub_f32_e32 v6, v6, v35
	v_add_f32_e32 v6, v30, v6
	v_add_f32_e32 v33, v30, v33
	;; [unrolled: 1-line block ×3, first 2 shown]
	v_rcp_f32_e32 v35, v30
	v_add_f32_e32 v34, v31, v33
	v_sub_f32_e32 v32, v30, v32
	v_sub_f32_e32 v31, v34, v31
	;; [unrolled: 1-line block ×3, first 2 shown]
	v_mul_f32_e32 v32, v34, v35
	v_sub_f32_e32 v31, v33, v31
	v_mul_f32_e32 v33, v30, v32
	v_fma_f32 v36, v32, v30, -v33
	v_fmac_f32_e32 v36, v32, v6
	v_add_f32_e32 v37, v33, v36
	v_sub_f32_e32 v38, v34, v37
	v_sub_f32_e32 v34, v34, v38
	;; [unrolled: 1-line block ×4, first 2 shown]
	v_add_f32_e32 v31, v31, v34
	v_sub_f32_e32 v33, v33, v36
	v_add_f32_e32 v31, v33, v31
	v_add_f32_e32 v33, v38, v31
	v_mul_f32_e32 v34, v35, v33
	v_mul_f32_e32 v36, v30, v34
	v_fma_f32 v30, v34, v30, -v36
	v_fmac_f32_e32 v30, v34, v6
	v_sub_f32_e32 v6, v38, v33
	v_add_f32_e32 v6, v31, v6
	v_add_f32_e32 v31, v36, v30
	v_sub_f32_e32 v37, v33, v31
	v_sub_f32_e32 v33, v33, v37
	;; [unrolled: 1-line block ×4, first 2 shown]
	v_add_f32_e32 v6, v6, v31
	v_sub_f32_e32 v30, v36, v30
	v_cvt_f32_i32_e32 v29, v29
	v_add_f32_e32 v6, v30, v6
	v_add_f32_e32 v30, v32, v34
	;; [unrolled: 1-line block ×3, first 2 shown]
	v_sub_f32_e32 v31, v30, v32
	v_mul_f32_e32 v6, v35, v6
	v_sub_f32_e32 v31, v34, v31
	v_add_f32_e32 v6, v31, v6
	v_mul_f32_e32 v34, 0x3f317218, v29
	v_add_f32_e32 v31, v30, v6
	v_fma_f32 v35, v29, s63, -v34
	v_mul_f32_e32 v32, v31, v31
	v_mov_b32_e32 v33, 0x3ecc95a3
	v_fmac_f32_e32 v35, 0xb102e308, v29
	v_sub_f32_e32 v29, v31, v30
	v_fmac_f32_e32 v33, 0x3e9b6dac, v32
	v_sub_f32_e32 v6, v6, v29
	v_add_f32_e32 v29, v34, v35
	v_fma_f32 v33, v32, v33, v11
	v_sub_f32_e32 v30, v29, v34
	v_ldexp_f32 v34, v31, 1
	v_mul_f32_e32 v31, v31, v32
	v_mul_f32_e32 v31, v31, v33
	v_add_f32_e32 v32, v34, v31
	v_sub_f32_e32 v33, v32, v34
	v_ldexp_f32 v6, v6, 1
	v_sub_f32_e32 v31, v31, v33
	v_add_f32_e32 v6, v6, v31
	v_add_f32_e32 v31, v32, v6
	v_sub_f32_e32 v32, v31, v32
	v_sub_f32_e32 v6, v6, v32
	v_add_f32_e32 v32, v29, v31
	v_sub_f32_e32 v33, v32, v29
	v_sub_f32_e32 v34, v32, v33
	;; [unrolled: 1-line block ×5, first 2 shown]
	v_add_f32_e32 v29, v31, v29
	v_add_f32_e32 v31, v30, v6
	v_sub_f32_e32 v33, v31, v30
	v_sub_f32_e32 v34, v31, v33
	;; [unrolled: 1-line block ×4, first 2 shown]
	v_add_f32_e32 v29, v31, v29
	v_add_f32_e32 v6, v6, v30
	;; [unrolled: 1-line block ×3, first 2 shown]
	v_sub_f32_e32 v31, v30, v32
	v_sub_f32_e32 v29, v29, v31
	v_add_f32_e32 v6, v6, v29
	v_add_f32_e32 v6, v30, v6
	v_cmp_neq_f32_e32 vcc, s60, v5
	v_cndmask_b32_e32 v6, v20, v6, vcc
	v_cmp_ngt_f32_e32 vcc, -1.0, v5
	v_cndmask_b32_e32 v6, v21, v6, vcc
	v_cmp_neq_f32_e32 vcc, -1.0, v5
	v_cndmask_b32_e32 v6, v23, v6, vcc
	v_cmp_lt_f32_e64 vcc, |v5|, s64
	v_cndmask_b32_e32 v5, v6, v5, vcc
	v_mul_f32_e32 v31, 0.5, v5
	s_branch .LBB349_8
.LBB349_57:
	s_endpgm
	.section	.rodata,"a",@progbits
	.p2align	6, 0x0
	.amdhsa_kernel _ZN2at6native28tensor_kernel_scan_outer_dimIN3c107complexIfEEmZZZNS0_31launch_logcumsumexp_cuda_kernelERKNS_10TensorBaseES7_lENKUlvE_clEvENKUlvE2_clEvEUlS4_S4_E_EEvPT_PKSB_jjjSB_T1_
		.amdhsa_group_segment_fixed_size 0
		.amdhsa_private_segment_fixed_size 0
		.amdhsa_kernarg_size 304
		.amdhsa_user_sgpr_count 6
		.amdhsa_user_sgpr_private_segment_buffer 1
		.amdhsa_user_sgpr_dispatch_ptr 0
		.amdhsa_user_sgpr_queue_ptr 0
		.amdhsa_user_sgpr_kernarg_segment_ptr 1
		.amdhsa_user_sgpr_dispatch_id 0
		.amdhsa_user_sgpr_flat_scratch_init 0
		.amdhsa_user_sgpr_private_segment_size 0
		.amdhsa_uses_dynamic_stack 0
		.amdhsa_system_sgpr_private_segment_wavefront_offset 0
		.amdhsa_system_sgpr_workgroup_id_x 1
		.amdhsa_system_sgpr_workgroup_id_y 1
		.amdhsa_system_sgpr_workgroup_id_z 0
		.amdhsa_system_sgpr_workgroup_info 0
		.amdhsa_system_vgpr_workitem_id 0
		.amdhsa_next_free_vgpr 47
		.amdhsa_next_free_sgpr 70
		.amdhsa_reserve_vcc 1
		.amdhsa_reserve_flat_scratch 0
		.amdhsa_float_round_mode_32 0
		.amdhsa_float_round_mode_16_64 0
		.amdhsa_float_denorm_mode_32 3
		.amdhsa_float_denorm_mode_16_64 3
		.amdhsa_dx10_clamp 1
		.amdhsa_ieee_mode 1
		.amdhsa_fp16_overflow 0
		.amdhsa_exception_fp_ieee_invalid_op 0
		.amdhsa_exception_fp_denorm_src 0
		.amdhsa_exception_fp_ieee_div_zero 0
		.amdhsa_exception_fp_ieee_overflow 0
		.amdhsa_exception_fp_ieee_underflow 0
		.amdhsa_exception_fp_ieee_inexact 0
		.amdhsa_exception_int_div_zero 0
	.end_amdhsa_kernel
	.section	.text._ZN2at6native28tensor_kernel_scan_outer_dimIN3c107complexIfEEmZZZNS0_31launch_logcumsumexp_cuda_kernelERKNS_10TensorBaseES7_lENKUlvE_clEvENKUlvE2_clEvEUlS4_S4_E_EEvPT_PKSB_jjjSB_T1_,"axG",@progbits,_ZN2at6native28tensor_kernel_scan_outer_dimIN3c107complexIfEEmZZZNS0_31launch_logcumsumexp_cuda_kernelERKNS_10TensorBaseES7_lENKUlvE_clEvENKUlvE2_clEvEUlS4_S4_E_EEvPT_PKSB_jjjSB_T1_,comdat
.Lfunc_end349:
	.size	_ZN2at6native28tensor_kernel_scan_outer_dimIN3c107complexIfEEmZZZNS0_31launch_logcumsumexp_cuda_kernelERKNS_10TensorBaseES7_lENKUlvE_clEvENKUlvE2_clEvEUlS4_S4_E_EEvPT_PKSB_jjjSB_T1_, .Lfunc_end349-_ZN2at6native28tensor_kernel_scan_outer_dimIN3c107complexIfEEmZZZNS0_31launch_logcumsumexp_cuda_kernelERKNS_10TensorBaseES7_lENKUlvE_clEvENKUlvE2_clEvEUlS4_S4_E_EEvPT_PKSB_jjjSB_T1_
                                        ; -- End function
	.set _ZN2at6native28tensor_kernel_scan_outer_dimIN3c107complexIfEEmZZZNS0_31launch_logcumsumexp_cuda_kernelERKNS_10TensorBaseES7_lENKUlvE_clEvENKUlvE2_clEvEUlS4_S4_E_EEvPT_PKSB_jjjSB_T1_.num_vgpr, 47
	.set _ZN2at6native28tensor_kernel_scan_outer_dimIN3c107complexIfEEmZZZNS0_31launch_logcumsumexp_cuda_kernelERKNS_10TensorBaseES7_lENKUlvE_clEvENKUlvE2_clEvEUlS4_S4_E_EEvPT_PKSB_jjjSB_T1_.num_agpr, 0
	.set _ZN2at6native28tensor_kernel_scan_outer_dimIN3c107complexIfEEmZZZNS0_31launch_logcumsumexp_cuda_kernelERKNS_10TensorBaseES7_lENKUlvE_clEvENKUlvE2_clEvEUlS4_S4_E_EEvPT_PKSB_jjjSB_T1_.numbered_sgpr, 70
	.set _ZN2at6native28tensor_kernel_scan_outer_dimIN3c107complexIfEEmZZZNS0_31launch_logcumsumexp_cuda_kernelERKNS_10TensorBaseES7_lENKUlvE_clEvENKUlvE2_clEvEUlS4_S4_E_EEvPT_PKSB_jjjSB_T1_.num_named_barrier, 0
	.set _ZN2at6native28tensor_kernel_scan_outer_dimIN3c107complexIfEEmZZZNS0_31launch_logcumsumexp_cuda_kernelERKNS_10TensorBaseES7_lENKUlvE_clEvENKUlvE2_clEvEUlS4_S4_E_EEvPT_PKSB_jjjSB_T1_.private_seg_size, 0
	.set _ZN2at6native28tensor_kernel_scan_outer_dimIN3c107complexIfEEmZZZNS0_31launch_logcumsumexp_cuda_kernelERKNS_10TensorBaseES7_lENKUlvE_clEvENKUlvE2_clEvEUlS4_S4_E_EEvPT_PKSB_jjjSB_T1_.uses_vcc, 1
	.set _ZN2at6native28tensor_kernel_scan_outer_dimIN3c107complexIfEEmZZZNS0_31launch_logcumsumexp_cuda_kernelERKNS_10TensorBaseES7_lENKUlvE_clEvENKUlvE2_clEvEUlS4_S4_E_EEvPT_PKSB_jjjSB_T1_.uses_flat_scratch, 0
	.set _ZN2at6native28tensor_kernel_scan_outer_dimIN3c107complexIfEEmZZZNS0_31launch_logcumsumexp_cuda_kernelERKNS_10TensorBaseES7_lENKUlvE_clEvENKUlvE2_clEvEUlS4_S4_E_EEvPT_PKSB_jjjSB_T1_.has_dyn_sized_stack, 0
	.set _ZN2at6native28tensor_kernel_scan_outer_dimIN3c107complexIfEEmZZZNS0_31launch_logcumsumexp_cuda_kernelERKNS_10TensorBaseES7_lENKUlvE_clEvENKUlvE2_clEvEUlS4_S4_E_EEvPT_PKSB_jjjSB_T1_.has_recursion, 0
	.set _ZN2at6native28tensor_kernel_scan_outer_dimIN3c107complexIfEEmZZZNS0_31launch_logcumsumexp_cuda_kernelERKNS_10TensorBaseES7_lENKUlvE_clEvENKUlvE2_clEvEUlS4_S4_E_EEvPT_PKSB_jjjSB_T1_.has_indirect_call, 0
	.section	.AMDGPU.csdata,"",@progbits
; Kernel info:
; codeLenInByte = 7252
; TotalNumSgprs: 74
; NumVgprs: 47
; ScratchSize: 0
; MemoryBound: 0
; FloatMode: 240
; IeeeMode: 1
; LDSByteSize: 0 bytes/workgroup (compile time only)
; SGPRBlocks: 9
; VGPRBlocks: 11
; NumSGPRsForWavesPerEU: 74
; NumVGPRsForWavesPerEU: 47
; Occupancy: 5
; WaveLimiterHint : 0
; COMPUTE_PGM_RSRC2:SCRATCH_EN: 0
; COMPUTE_PGM_RSRC2:USER_SGPR: 6
; COMPUTE_PGM_RSRC2:TRAP_HANDLER: 0
; COMPUTE_PGM_RSRC2:TGID_X_EN: 1
; COMPUTE_PGM_RSRC2:TGID_Y_EN: 1
; COMPUTE_PGM_RSRC2:TGID_Z_EN: 0
; COMPUTE_PGM_RSRC2:TIDIG_COMP_CNT: 0
	.section	.text._ZN7rocprim17ROCPRIM_400000_NS6detail31init_lookback_scan_state_kernelINS1_19lookback_scan_stateIN3c104HalfELb0ELb1EEENS1_16block_id_wrapperIjLb0EEEEEvT_jT0_jPNS9_10value_typeE,"axG",@progbits,_ZN7rocprim17ROCPRIM_400000_NS6detail31init_lookback_scan_state_kernelINS1_19lookback_scan_stateIN3c104HalfELb0ELb1EEENS1_16block_id_wrapperIjLb0EEEEEvT_jT0_jPNS9_10value_typeE,comdat
	.protected	_ZN7rocprim17ROCPRIM_400000_NS6detail31init_lookback_scan_state_kernelINS1_19lookback_scan_stateIN3c104HalfELb0ELb1EEENS1_16block_id_wrapperIjLb0EEEEEvT_jT0_jPNS9_10value_typeE ; -- Begin function _ZN7rocprim17ROCPRIM_400000_NS6detail31init_lookback_scan_state_kernelINS1_19lookback_scan_stateIN3c104HalfELb0ELb1EEENS1_16block_id_wrapperIjLb0EEEEEvT_jT0_jPNS9_10value_typeE
	.globl	_ZN7rocprim17ROCPRIM_400000_NS6detail31init_lookback_scan_state_kernelINS1_19lookback_scan_stateIN3c104HalfELb0ELb1EEENS1_16block_id_wrapperIjLb0EEEEEvT_jT0_jPNS9_10value_typeE
	.p2align	8
	.type	_ZN7rocprim17ROCPRIM_400000_NS6detail31init_lookback_scan_state_kernelINS1_19lookback_scan_stateIN3c104HalfELb0ELb1EEENS1_16block_id_wrapperIjLb0EEEEEvT_jT0_jPNS9_10value_typeE,@function
_ZN7rocprim17ROCPRIM_400000_NS6detail31init_lookback_scan_state_kernelINS1_19lookback_scan_stateIN3c104HalfELb0ELb1EEENS1_16block_id_wrapperIjLb0EEEEEvT_jT0_jPNS9_10value_typeE: ; @_ZN7rocprim17ROCPRIM_400000_NS6detail31init_lookback_scan_state_kernelINS1_19lookback_scan_stateIN3c104HalfELb0ELb1EEENS1_16block_id_wrapperIjLb0EEEEEvT_jT0_jPNS9_10value_typeE
; %bb.0:
	s_load_dword s7, s[4:5], 0x2c
	s_load_dwordx2 s[2:3], s[4:5], 0x18
	s_load_dwordx2 s[0:1], s[4:5], 0x0
	s_load_dword s8, s[4:5], 0x8
	s_waitcnt lgkmcnt(0)
	s_and_b32 s7, s7, 0xffff
	s_mul_i32 s6, s6, s7
	s_cmp_eq_u64 s[2:3], 0
	v_add_u32_e32 v0, s6, v0
	s_cbranch_scc1 .LBB350_6
; %bb.1:
	s_load_dword s6, s[4:5], 0x10
	s_mov_b32 s7, 0
	s_waitcnt lgkmcnt(0)
	s_cmp_lt_u32 s6, s8
	s_cselect_b32 s4, s6, 0
	v_cmp_eq_u32_e32 vcc, s4, v0
	s_and_saveexec_b64 s[4:5], vcc
	s_cbranch_execz .LBB350_5
; %bb.2:
	s_add_i32 s6, s6, 64
	s_lshl_b64 s[6:7], s[6:7], 2
	s_add_u32 s6, s0, s6
	s_addc_u32 s7, s1, s7
	v_mov_b32_e32 v2, 0
	global_load_dword v1, v2, s[6:7] glc
	s_waitcnt vmcnt(0)
	v_and_b32_e32 v3, 0xff0000, v1
	v_cmp_ne_u32_e32 vcc, 0, v3
	s_cbranch_vccnz .LBB350_4
.LBB350_3:                              ; =>This Inner Loop Header: Depth=1
	global_load_dword v1, v2, s[6:7] glc
	s_waitcnt vmcnt(0)
	v_and_b32_e32 v3, 0xff0000, v1
	v_cmp_eq_u32_e32 vcc, 0, v3
	s_cbranch_vccnz .LBB350_3
.LBB350_4:
	v_mov_b32_e32 v2, 0
	global_store_short v2, v1, s[2:3]
.LBB350_5:
	s_or_b64 exec, exec, s[4:5]
.LBB350_6:
	v_cmp_gt_u32_e32 vcc, s8, v0
	s_and_saveexec_b64 s[2:3], vcc
	s_cbranch_execnz .LBB350_9
; %bb.7:
	s_or_b64 exec, exec, s[2:3]
	v_cmp_gt_u32_e32 vcc, 64, v0
	s_and_saveexec_b64 s[2:3], vcc
	s_cbranch_execnz .LBB350_10
.LBB350_8:
	s_endpgm
.LBB350_9:
	v_add_u32_e32 v1, 64, v0
	v_mov_b32_e32 v2, 0
	v_lshlrev_b64 v[3:4], 2, v[1:2]
	v_mov_b32_e32 v1, s1
	v_add_co_u32_e32 v3, vcc, s0, v3
	v_addc_co_u32_e32 v4, vcc, v1, v4, vcc
	global_store_dword v[3:4], v2, off
	s_or_b64 exec, exec, s[2:3]
	v_cmp_gt_u32_e32 vcc, 64, v0
	s_and_saveexec_b64 s[2:3], vcc
	s_cbranch_execz .LBB350_8
.LBB350_10:
	v_mov_b32_e32 v1, 0
	v_lshlrev_b64 v[0:1], 2, v[0:1]
	v_mov_b32_e32 v2, s1
	v_add_co_u32_e32 v0, vcc, s0, v0
	v_addc_co_u32_e32 v1, vcc, v2, v1, vcc
	v_mov_b32_e32 v2, 0xff0000
	global_store_dword v[0:1], v2, off
	s_endpgm
	.section	.rodata,"a",@progbits
	.p2align	6, 0x0
	.amdhsa_kernel _ZN7rocprim17ROCPRIM_400000_NS6detail31init_lookback_scan_state_kernelINS1_19lookback_scan_stateIN3c104HalfELb0ELb1EEENS1_16block_id_wrapperIjLb0EEEEEvT_jT0_jPNS9_10value_typeE
		.amdhsa_group_segment_fixed_size 0
		.amdhsa_private_segment_fixed_size 0
		.amdhsa_kernarg_size 288
		.amdhsa_user_sgpr_count 6
		.amdhsa_user_sgpr_private_segment_buffer 1
		.amdhsa_user_sgpr_dispatch_ptr 0
		.amdhsa_user_sgpr_queue_ptr 0
		.amdhsa_user_sgpr_kernarg_segment_ptr 1
		.amdhsa_user_sgpr_dispatch_id 0
		.amdhsa_user_sgpr_flat_scratch_init 0
		.amdhsa_user_sgpr_private_segment_size 0
		.amdhsa_uses_dynamic_stack 0
		.amdhsa_system_sgpr_private_segment_wavefront_offset 0
		.amdhsa_system_sgpr_workgroup_id_x 1
		.amdhsa_system_sgpr_workgroup_id_y 0
		.amdhsa_system_sgpr_workgroup_id_z 0
		.amdhsa_system_sgpr_workgroup_info 0
		.amdhsa_system_vgpr_workitem_id 0
		.amdhsa_next_free_vgpr 5
		.amdhsa_next_free_sgpr 9
		.amdhsa_reserve_vcc 1
		.amdhsa_reserve_flat_scratch 0
		.amdhsa_float_round_mode_32 0
		.amdhsa_float_round_mode_16_64 0
		.amdhsa_float_denorm_mode_32 3
		.amdhsa_float_denorm_mode_16_64 3
		.amdhsa_dx10_clamp 1
		.amdhsa_ieee_mode 1
		.amdhsa_fp16_overflow 0
		.amdhsa_exception_fp_ieee_invalid_op 0
		.amdhsa_exception_fp_denorm_src 0
		.amdhsa_exception_fp_ieee_div_zero 0
		.amdhsa_exception_fp_ieee_overflow 0
		.amdhsa_exception_fp_ieee_underflow 0
		.amdhsa_exception_fp_ieee_inexact 0
		.amdhsa_exception_int_div_zero 0
	.end_amdhsa_kernel
	.section	.text._ZN7rocprim17ROCPRIM_400000_NS6detail31init_lookback_scan_state_kernelINS1_19lookback_scan_stateIN3c104HalfELb0ELb1EEENS1_16block_id_wrapperIjLb0EEEEEvT_jT0_jPNS9_10value_typeE,"axG",@progbits,_ZN7rocprim17ROCPRIM_400000_NS6detail31init_lookback_scan_state_kernelINS1_19lookback_scan_stateIN3c104HalfELb0ELb1EEENS1_16block_id_wrapperIjLb0EEEEEvT_jT0_jPNS9_10value_typeE,comdat
.Lfunc_end350:
	.size	_ZN7rocprim17ROCPRIM_400000_NS6detail31init_lookback_scan_state_kernelINS1_19lookback_scan_stateIN3c104HalfELb0ELb1EEENS1_16block_id_wrapperIjLb0EEEEEvT_jT0_jPNS9_10value_typeE, .Lfunc_end350-_ZN7rocprim17ROCPRIM_400000_NS6detail31init_lookback_scan_state_kernelINS1_19lookback_scan_stateIN3c104HalfELb0ELb1EEENS1_16block_id_wrapperIjLb0EEEEEvT_jT0_jPNS9_10value_typeE
                                        ; -- End function
	.set _ZN7rocprim17ROCPRIM_400000_NS6detail31init_lookback_scan_state_kernelINS1_19lookback_scan_stateIN3c104HalfELb0ELb1EEENS1_16block_id_wrapperIjLb0EEEEEvT_jT0_jPNS9_10value_typeE.num_vgpr, 5
	.set _ZN7rocprim17ROCPRIM_400000_NS6detail31init_lookback_scan_state_kernelINS1_19lookback_scan_stateIN3c104HalfELb0ELb1EEENS1_16block_id_wrapperIjLb0EEEEEvT_jT0_jPNS9_10value_typeE.num_agpr, 0
	.set _ZN7rocprim17ROCPRIM_400000_NS6detail31init_lookback_scan_state_kernelINS1_19lookback_scan_stateIN3c104HalfELb0ELb1EEENS1_16block_id_wrapperIjLb0EEEEEvT_jT0_jPNS9_10value_typeE.numbered_sgpr, 9
	.set _ZN7rocprim17ROCPRIM_400000_NS6detail31init_lookback_scan_state_kernelINS1_19lookback_scan_stateIN3c104HalfELb0ELb1EEENS1_16block_id_wrapperIjLb0EEEEEvT_jT0_jPNS9_10value_typeE.num_named_barrier, 0
	.set _ZN7rocprim17ROCPRIM_400000_NS6detail31init_lookback_scan_state_kernelINS1_19lookback_scan_stateIN3c104HalfELb0ELb1EEENS1_16block_id_wrapperIjLb0EEEEEvT_jT0_jPNS9_10value_typeE.private_seg_size, 0
	.set _ZN7rocprim17ROCPRIM_400000_NS6detail31init_lookback_scan_state_kernelINS1_19lookback_scan_stateIN3c104HalfELb0ELb1EEENS1_16block_id_wrapperIjLb0EEEEEvT_jT0_jPNS9_10value_typeE.uses_vcc, 1
	.set _ZN7rocprim17ROCPRIM_400000_NS6detail31init_lookback_scan_state_kernelINS1_19lookback_scan_stateIN3c104HalfELb0ELb1EEENS1_16block_id_wrapperIjLb0EEEEEvT_jT0_jPNS9_10value_typeE.uses_flat_scratch, 0
	.set _ZN7rocprim17ROCPRIM_400000_NS6detail31init_lookback_scan_state_kernelINS1_19lookback_scan_stateIN3c104HalfELb0ELb1EEENS1_16block_id_wrapperIjLb0EEEEEvT_jT0_jPNS9_10value_typeE.has_dyn_sized_stack, 0
	.set _ZN7rocprim17ROCPRIM_400000_NS6detail31init_lookback_scan_state_kernelINS1_19lookback_scan_stateIN3c104HalfELb0ELb1EEENS1_16block_id_wrapperIjLb0EEEEEvT_jT0_jPNS9_10value_typeE.has_recursion, 0
	.set _ZN7rocprim17ROCPRIM_400000_NS6detail31init_lookback_scan_state_kernelINS1_19lookback_scan_stateIN3c104HalfELb0ELb1EEENS1_16block_id_wrapperIjLb0EEEEEvT_jT0_jPNS9_10value_typeE.has_indirect_call, 0
	.section	.AMDGPU.csdata,"",@progbits
; Kernel info:
; codeLenInByte = 316
; TotalNumSgprs: 13
; NumVgprs: 5
; ScratchSize: 0
; MemoryBound: 0
; FloatMode: 240
; IeeeMode: 1
; LDSByteSize: 0 bytes/workgroup (compile time only)
; SGPRBlocks: 1
; VGPRBlocks: 1
; NumSGPRsForWavesPerEU: 13
; NumVGPRsForWavesPerEU: 5
; Occupancy: 10
; WaveLimiterHint : 0
; COMPUTE_PGM_RSRC2:SCRATCH_EN: 0
; COMPUTE_PGM_RSRC2:USER_SGPR: 6
; COMPUTE_PGM_RSRC2:TRAP_HANDLER: 0
; COMPUTE_PGM_RSRC2:TGID_X_EN: 1
; COMPUTE_PGM_RSRC2:TGID_Y_EN: 0
; COMPUTE_PGM_RSRC2:TGID_Z_EN: 0
; COMPUTE_PGM_RSRC2:TIDIG_COMP_CNT: 0
	.section	.text._ZN7rocprim17ROCPRIM_400000_NS6detail17trampoline_kernelINS0_14default_configENS1_20scan_config_selectorIN3c104HalfEEEZZNS1_9scan_implILNS1_25lookback_scan_determinismE0ELb0ELb0ES3_PKS6_PS6_S6_ZZZN2at6native31launch_logcumsumexp_cuda_kernelERKNSD_10TensorBaseESH_lENKUlvE_clEvENKUlvE3_clEvEUlS6_S6_E_S6_EEDaPvRmT3_T4_T5_mT6_P12ihipStream_tbENKUlT_T0_E_clISt17integral_constantIbLb0EESY_EEDaST_SU_EUlST_E_NS1_11comp_targetILNS1_3genE0ELNS1_11target_archE4294967295ELNS1_3gpuE0ELNS1_3repE0EEENS1_30default_config_static_selectorELNS0_4arch9wavefront6targetE1EEEvT1_,"axG",@progbits,_ZN7rocprim17ROCPRIM_400000_NS6detail17trampoline_kernelINS0_14default_configENS1_20scan_config_selectorIN3c104HalfEEEZZNS1_9scan_implILNS1_25lookback_scan_determinismE0ELb0ELb0ES3_PKS6_PS6_S6_ZZZN2at6native31launch_logcumsumexp_cuda_kernelERKNSD_10TensorBaseESH_lENKUlvE_clEvENKUlvE3_clEvEUlS6_S6_E_S6_EEDaPvRmT3_T4_T5_mT6_P12ihipStream_tbENKUlT_T0_E_clISt17integral_constantIbLb0EESY_EEDaST_SU_EUlST_E_NS1_11comp_targetILNS1_3genE0ELNS1_11target_archE4294967295ELNS1_3gpuE0ELNS1_3repE0EEENS1_30default_config_static_selectorELNS0_4arch9wavefront6targetE1EEEvT1_,comdat
	.globl	_ZN7rocprim17ROCPRIM_400000_NS6detail17trampoline_kernelINS0_14default_configENS1_20scan_config_selectorIN3c104HalfEEEZZNS1_9scan_implILNS1_25lookback_scan_determinismE0ELb0ELb0ES3_PKS6_PS6_S6_ZZZN2at6native31launch_logcumsumexp_cuda_kernelERKNSD_10TensorBaseESH_lENKUlvE_clEvENKUlvE3_clEvEUlS6_S6_E_S6_EEDaPvRmT3_T4_T5_mT6_P12ihipStream_tbENKUlT_T0_E_clISt17integral_constantIbLb0EESY_EEDaST_SU_EUlST_E_NS1_11comp_targetILNS1_3genE0ELNS1_11target_archE4294967295ELNS1_3gpuE0ELNS1_3repE0EEENS1_30default_config_static_selectorELNS0_4arch9wavefront6targetE1EEEvT1_ ; -- Begin function _ZN7rocprim17ROCPRIM_400000_NS6detail17trampoline_kernelINS0_14default_configENS1_20scan_config_selectorIN3c104HalfEEEZZNS1_9scan_implILNS1_25lookback_scan_determinismE0ELb0ELb0ES3_PKS6_PS6_S6_ZZZN2at6native31launch_logcumsumexp_cuda_kernelERKNSD_10TensorBaseESH_lENKUlvE_clEvENKUlvE3_clEvEUlS6_S6_E_S6_EEDaPvRmT3_T4_T5_mT6_P12ihipStream_tbENKUlT_T0_E_clISt17integral_constantIbLb0EESY_EEDaST_SU_EUlST_E_NS1_11comp_targetILNS1_3genE0ELNS1_11target_archE4294967295ELNS1_3gpuE0ELNS1_3repE0EEENS1_30default_config_static_selectorELNS0_4arch9wavefront6targetE1EEEvT1_
	.p2align	8
	.type	_ZN7rocprim17ROCPRIM_400000_NS6detail17trampoline_kernelINS0_14default_configENS1_20scan_config_selectorIN3c104HalfEEEZZNS1_9scan_implILNS1_25lookback_scan_determinismE0ELb0ELb0ES3_PKS6_PS6_S6_ZZZN2at6native31launch_logcumsumexp_cuda_kernelERKNSD_10TensorBaseESH_lENKUlvE_clEvENKUlvE3_clEvEUlS6_S6_E_S6_EEDaPvRmT3_T4_T5_mT6_P12ihipStream_tbENKUlT_T0_E_clISt17integral_constantIbLb0EESY_EEDaST_SU_EUlST_E_NS1_11comp_targetILNS1_3genE0ELNS1_11target_archE4294967295ELNS1_3gpuE0ELNS1_3repE0EEENS1_30default_config_static_selectorELNS0_4arch9wavefront6targetE1EEEvT1_,@function
_ZN7rocprim17ROCPRIM_400000_NS6detail17trampoline_kernelINS0_14default_configENS1_20scan_config_selectorIN3c104HalfEEEZZNS1_9scan_implILNS1_25lookback_scan_determinismE0ELb0ELb0ES3_PKS6_PS6_S6_ZZZN2at6native31launch_logcumsumexp_cuda_kernelERKNSD_10TensorBaseESH_lENKUlvE_clEvENKUlvE3_clEvEUlS6_S6_E_S6_EEDaPvRmT3_T4_T5_mT6_P12ihipStream_tbENKUlT_T0_E_clISt17integral_constantIbLb0EESY_EEDaST_SU_EUlST_E_NS1_11comp_targetILNS1_3genE0ELNS1_11target_archE4294967295ELNS1_3gpuE0ELNS1_3repE0EEENS1_30default_config_static_selectorELNS0_4arch9wavefront6targetE1EEEvT1_: ; @_ZN7rocprim17ROCPRIM_400000_NS6detail17trampoline_kernelINS0_14default_configENS1_20scan_config_selectorIN3c104HalfEEEZZNS1_9scan_implILNS1_25lookback_scan_determinismE0ELb0ELb0ES3_PKS6_PS6_S6_ZZZN2at6native31launch_logcumsumexp_cuda_kernelERKNSD_10TensorBaseESH_lENKUlvE_clEvENKUlvE3_clEvEUlS6_S6_E_S6_EEDaPvRmT3_T4_T5_mT6_P12ihipStream_tbENKUlT_T0_E_clISt17integral_constantIbLb0EESY_EEDaST_SU_EUlST_E_NS1_11comp_targetILNS1_3genE0ELNS1_11target_archE4294967295ELNS1_3gpuE0ELNS1_3repE0EEENS1_30default_config_static_selectorELNS0_4arch9wavefront6targetE1EEEvT1_
; %bb.0:
	.section	.rodata,"a",@progbits
	.p2align	6, 0x0
	.amdhsa_kernel _ZN7rocprim17ROCPRIM_400000_NS6detail17trampoline_kernelINS0_14default_configENS1_20scan_config_selectorIN3c104HalfEEEZZNS1_9scan_implILNS1_25lookback_scan_determinismE0ELb0ELb0ES3_PKS6_PS6_S6_ZZZN2at6native31launch_logcumsumexp_cuda_kernelERKNSD_10TensorBaseESH_lENKUlvE_clEvENKUlvE3_clEvEUlS6_S6_E_S6_EEDaPvRmT3_T4_T5_mT6_P12ihipStream_tbENKUlT_T0_E_clISt17integral_constantIbLb0EESY_EEDaST_SU_EUlST_E_NS1_11comp_targetILNS1_3genE0ELNS1_11target_archE4294967295ELNS1_3gpuE0ELNS1_3repE0EEENS1_30default_config_static_selectorELNS0_4arch9wavefront6targetE1EEEvT1_
		.amdhsa_group_segment_fixed_size 0
		.amdhsa_private_segment_fixed_size 0
		.amdhsa_kernarg_size 96
		.amdhsa_user_sgpr_count 6
		.amdhsa_user_sgpr_private_segment_buffer 1
		.amdhsa_user_sgpr_dispatch_ptr 0
		.amdhsa_user_sgpr_queue_ptr 0
		.amdhsa_user_sgpr_kernarg_segment_ptr 1
		.amdhsa_user_sgpr_dispatch_id 0
		.amdhsa_user_sgpr_flat_scratch_init 0
		.amdhsa_user_sgpr_private_segment_size 0
		.amdhsa_uses_dynamic_stack 0
		.amdhsa_system_sgpr_private_segment_wavefront_offset 0
		.amdhsa_system_sgpr_workgroup_id_x 1
		.amdhsa_system_sgpr_workgroup_id_y 0
		.amdhsa_system_sgpr_workgroup_id_z 0
		.amdhsa_system_sgpr_workgroup_info 0
		.amdhsa_system_vgpr_workitem_id 0
		.amdhsa_next_free_vgpr 1
		.amdhsa_next_free_sgpr 0
		.amdhsa_reserve_vcc 0
		.amdhsa_reserve_flat_scratch 0
		.amdhsa_float_round_mode_32 0
		.amdhsa_float_round_mode_16_64 0
		.amdhsa_float_denorm_mode_32 3
		.amdhsa_float_denorm_mode_16_64 3
		.amdhsa_dx10_clamp 1
		.amdhsa_ieee_mode 1
		.amdhsa_fp16_overflow 0
		.amdhsa_exception_fp_ieee_invalid_op 0
		.amdhsa_exception_fp_denorm_src 0
		.amdhsa_exception_fp_ieee_div_zero 0
		.amdhsa_exception_fp_ieee_overflow 0
		.amdhsa_exception_fp_ieee_underflow 0
		.amdhsa_exception_fp_ieee_inexact 0
		.amdhsa_exception_int_div_zero 0
	.end_amdhsa_kernel
	.section	.text._ZN7rocprim17ROCPRIM_400000_NS6detail17trampoline_kernelINS0_14default_configENS1_20scan_config_selectorIN3c104HalfEEEZZNS1_9scan_implILNS1_25lookback_scan_determinismE0ELb0ELb0ES3_PKS6_PS6_S6_ZZZN2at6native31launch_logcumsumexp_cuda_kernelERKNSD_10TensorBaseESH_lENKUlvE_clEvENKUlvE3_clEvEUlS6_S6_E_S6_EEDaPvRmT3_T4_T5_mT6_P12ihipStream_tbENKUlT_T0_E_clISt17integral_constantIbLb0EESY_EEDaST_SU_EUlST_E_NS1_11comp_targetILNS1_3genE0ELNS1_11target_archE4294967295ELNS1_3gpuE0ELNS1_3repE0EEENS1_30default_config_static_selectorELNS0_4arch9wavefront6targetE1EEEvT1_,"axG",@progbits,_ZN7rocprim17ROCPRIM_400000_NS6detail17trampoline_kernelINS0_14default_configENS1_20scan_config_selectorIN3c104HalfEEEZZNS1_9scan_implILNS1_25lookback_scan_determinismE0ELb0ELb0ES3_PKS6_PS6_S6_ZZZN2at6native31launch_logcumsumexp_cuda_kernelERKNSD_10TensorBaseESH_lENKUlvE_clEvENKUlvE3_clEvEUlS6_S6_E_S6_EEDaPvRmT3_T4_T5_mT6_P12ihipStream_tbENKUlT_T0_E_clISt17integral_constantIbLb0EESY_EEDaST_SU_EUlST_E_NS1_11comp_targetILNS1_3genE0ELNS1_11target_archE4294967295ELNS1_3gpuE0ELNS1_3repE0EEENS1_30default_config_static_selectorELNS0_4arch9wavefront6targetE1EEEvT1_,comdat
.Lfunc_end351:
	.size	_ZN7rocprim17ROCPRIM_400000_NS6detail17trampoline_kernelINS0_14default_configENS1_20scan_config_selectorIN3c104HalfEEEZZNS1_9scan_implILNS1_25lookback_scan_determinismE0ELb0ELb0ES3_PKS6_PS6_S6_ZZZN2at6native31launch_logcumsumexp_cuda_kernelERKNSD_10TensorBaseESH_lENKUlvE_clEvENKUlvE3_clEvEUlS6_S6_E_S6_EEDaPvRmT3_T4_T5_mT6_P12ihipStream_tbENKUlT_T0_E_clISt17integral_constantIbLb0EESY_EEDaST_SU_EUlST_E_NS1_11comp_targetILNS1_3genE0ELNS1_11target_archE4294967295ELNS1_3gpuE0ELNS1_3repE0EEENS1_30default_config_static_selectorELNS0_4arch9wavefront6targetE1EEEvT1_, .Lfunc_end351-_ZN7rocprim17ROCPRIM_400000_NS6detail17trampoline_kernelINS0_14default_configENS1_20scan_config_selectorIN3c104HalfEEEZZNS1_9scan_implILNS1_25lookback_scan_determinismE0ELb0ELb0ES3_PKS6_PS6_S6_ZZZN2at6native31launch_logcumsumexp_cuda_kernelERKNSD_10TensorBaseESH_lENKUlvE_clEvENKUlvE3_clEvEUlS6_S6_E_S6_EEDaPvRmT3_T4_T5_mT6_P12ihipStream_tbENKUlT_T0_E_clISt17integral_constantIbLb0EESY_EEDaST_SU_EUlST_E_NS1_11comp_targetILNS1_3genE0ELNS1_11target_archE4294967295ELNS1_3gpuE0ELNS1_3repE0EEENS1_30default_config_static_selectorELNS0_4arch9wavefront6targetE1EEEvT1_
                                        ; -- End function
	.set _ZN7rocprim17ROCPRIM_400000_NS6detail17trampoline_kernelINS0_14default_configENS1_20scan_config_selectorIN3c104HalfEEEZZNS1_9scan_implILNS1_25lookback_scan_determinismE0ELb0ELb0ES3_PKS6_PS6_S6_ZZZN2at6native31launch_logcumsumexp_cuda_kernelERKNSD_10TensorBaseESH_lENKUlvE_clEvENKUlvE3_clEvEUlS6_S6_E_S6_EEDaPvRmT3_T4_T5_mT6_P12ihipStream_tbENKUlT_T0_E_clISt17integral_constantIbLb0EESY_EEDaST_SU_EUlST_E_NS1_11comp_targetILNS1_3genE0ELNS1_11target_archE4294967295ELNS1_3gpuE0ELNS1_3repE0EEENS1_30default_config_static_selectorELNS0_4arch9wavefront6targetE1EEEvT1_.num_vgpr, 0
	.set _ZN7rocprim17ROCPRIM_400000_NS6detail17trampoline_kernelINS0_14default_configENS1_20scan_config_selectorIN3c104HalfEEEZZNS1_9scan_implILNS1_25lookback_scan_determinismE0ELb0ELb0ES3_PKS6_PS6_S6_ZZZN2at6native31launch_logcumsumexp_cuda_kernelERKNSD_10TensorBaseESH_lENKUlvE_clEvENKUlvE3_clEvEUlS6_S6_E_S6_EEDaPvRmT3_T4_T5_mT6_P12ihipStream_tbENKUlT_T0_E_clISt17integral_constantIbLb0EESY_EEDaST_SU_EUlST_E_NS1_11comp_targetILNS1_3genE0ELNS1_11target_archE4294967295ELNS1_3gpuE0ELNS1_3repE0EEENS1_30default_config_static_selectorELNS0_4arch9wavefront6targetE1EEEvT1_.num_agpr, 0
	.set _ZN7rocprim17ROCPRIM_400000_NS6detail17trampoline_kernelINS0_14default_configENS1_20scan_config_selectorIN3c104HalfEEEZZNS1_9scan_implILNS1_25lookback_scan_determinismE0ELb0ELb0ES3_PKS6_PS6_S6_ZZZN2at6native31launch_logcumsumexp_cuda_kernelERKNSD_10TensorBaseESH_lENKUlvE_clEvENKUlvE3_clEvEUlS6_S6_E_S6_EEDaPvRmT3_T4_T5_mT6_P12ihipStream_tbENKUlT_T0_E_clISt17integral_constantIbLb0EESY_EEDaST_SU_EUlST_E_NS1_11comp_targetILNS1_3genE0ELNS1_11target_archE4294967295ELNS1_3gpuE0ELNS1_3repE0EEENS1_30default_config_static_selectorELNS0_4arch9wavefront6targetE1EEEvT1_.numbered_sgpr, 0
	.set _ZN7rocprim17ROCPRIM_400000_NS6detail17trampoline_kernelINS0_14default_configENS1_20scan_config_selectorIN3c104HalfEEEZZNS1_9scan_implILNS1_25lookback_scan_determinismE0ELb0ELb0ES3_PKS6_PS6_S6_ZZZN2at6native31launch_logcumsumexp_cuda_kernelERKNSD_10TensorBaseESH_lENKUlvE_clEvENKUlvE3_clEvEUlS6_S6_E_S6_EEDaPvRmT3_T4_T5_mT6_P12ihipStream_tbENKUlT_T0_E_clISt17integral_constantIbLb0EESY_EEDaST_SU_EUlST_E_NS1_11comp_targetILNS1_3genE0ELNS1_11target_archE4294967295ELNS1_3gpuE0ELNS1_3repE0EEENS1_30default_config_static_selectorELNS0_4arch9wavefront6targetE1EEEvT1_.num_named_barrier, 0
	.set _ZN7rocprim17ROCPRIM_400000_NS6detail17trampoline_kernelINS0_14default_configENS1_20scan_config_selectorIN3c104HalfEEEZZNS1_9scan_implILNS1_25lookback_scan_determinismE0ELb0ELb0ES3_PKS6_PS6_S6_ZZZN2at6native31launch_logcumsumexp_cuda_kernelERKNSD_10TensorBaseESH_lENKUlvE_clEvENKUlvE3_clEvEUlS6_S6_E_S6_EEDaPvRmT3_T4_T5_mT6_P12ihipStream_tbENKUlT_T0_E_clISt17integral_constantIbLb0EESY_EEDaST_SU_EUlST_E_NS1_11comp_targetILNS1_3genE0ELNS1_11target_archE4294967295ELNS1_3gpuE0ELNS1_3repE0EEENS1_30default_config_static_selectorELNS0_4arch9wavefront6targetE1EEEvT1_.private_seg_size, 0
	.set _ZN7rocprim17ROCPRIM_400000_NS6detail17trampoline_kernelINS0_14default_configENS1_20scan_config_selectorIN3c104HalfEEEZZNS1_9scan_implILNS1_25lookback_scan_determinismE0ELb0ELb0ES3_PKS6_PS6_S6_ZZZN2at6native31launch_logcumsumexp_cuda_kernelERKNSD_10TensorBaseESH_lENKUlvE_clEvENKUlvE3_clEvEUlS6_S6_E_S6_EEDaPvRmT3_T4_T5_mT6_P12ihipStream_tbENKUlT_T0_E_clISt17integral_constantIbLb0EESY_EEDaST_SU_EUlST_E_NS1_11comp_targetILNS1_3genE0ELNS1_11target_archE4294967295ELNS1_3gpuE0ELNS1_3repE0EEENS1_30default_config_static_selectorELNS0_4arch9wavefront6targetE1EEEvT1_.uses_vcc, 0
	.set _ZN7rocprim17ROCPRIM_400000_NS6detail17trampoline_kernelINS0_14default_configENS1_20scan_config_selectorIN3c104HalfEEEZZNS1_9scan_implILNS1_25lookback_scan_determinismE0ELb0ELb0ES3_PKS6_PS6_S6_ZZZN2at6native31launch_logcumsumexp_cuda_kernelERKNSD_10TensorBaseESH_lENKUlvE_clEvENKUlvE3_clEvEUlS6_S6_E_S6_EEDaPvRmT3_T4_T5_mT6_P12ihipStream_tbENKUlT_T0_E_clISt17integral_constantIbLb0EESY_EEDaST_SU_EUlST_E_NS1_11comp_targetILNS1_3genE0ELNS1_11target_archE4294967295ELNS1_3gpuE0ELNS1_3repE0EEENS1_30default_config_static_selectorELNS0_4arch9wavefront6targetE1EEEvT1_.uses_flat_scratch, 0
	.set _ZN7rocprim17ROCPRIM_400000_NS6detail17trampoline_kernelINS0_14default_configENS1_20scan_config_selectorIN3c104HalfEEEZZNS1_9scan_implILNS1_25lookback_scan_determinismE0ELb0ELb0ES3_PKS6_PS6_S6_ZZZN2at6native31launch_logcumsumexp_cuda_kernelERKNSD_10TensorBaseESH_lENKUlvE_clEvENKUlvE3_clEvEUlS6_S6_E_S6_EEDaPvRmT3_T4_T5_mT6_P12ihipStream_tbENKUlT_T0_E_clISt17integral_constantIbLb0EESY_EEDaST_SU_EUlST_E_NS1_11comp_targetILNS1_3genE0ELNS1_11target_archE4294967295ELNS1_3gpuE0ELNS1_3repE0EEENS1_30default_config_static_selectorELNS0_4arch9wavefront6targetE1EEEvT1_.has_dyn_sized_stack, 0
	.set _ZN7rocprim17ROCPRIM_400000_NS6detail17trampoline_kernelINS0_14default_configENS1_20scan_config_selectorIN3c104HalfEEEZZNS1_9scan_implILNS1_25lookback_scan_determinismE0ELb0ELb0ES3_PKS6_PS6_S6_ZZZN2at6native31launch_logcumsumexp_cuda_kernelERKNSD_10TensorBaseESH_lENKUlvE_clEvENKUlvE3_clEvEUlS6_S6_E_S6_EEDaPvRmT3_T4_T5_mT6_P12ihipStream_tbENKUlT_T0_E_clISt17integral_constantIbLb0EESY_EEDaST_SU_EUlST_E_NS1_11comp_targetILNS1_3genE0ELNS1_11target_archE4294967295ELNS1_3gpuE0ELNS1_3repE0EEENS1_30default_config_static_selectorELNS0_4arch9wavefront6targetE1EEEvT1_.has_recursion, 0
	.set _ZN7rocprim17ROCPRIM_400000_NS6detail17trampoline_kernelINS0_14default_configENS1_20scan_config_selectorIN3c104HalfEEEZZNS1_9scan_implILNS1_25lookback_scan_determinismE0ELb0ELb0ES3_PKS6_PS6_S6_ZZZN2at6native31launch_logcumsumexp_cuda_kernelERKNSD_10TensorBaseESH_lENKUlvE_clEvENKUlvE3_clEvEUlS6_S6_E_S6_EEDaPvRmT3_T4_T5_mT6_P12ihipStream_tbENKUlT_T0_E_clISt17integral_constantIbLb0EESY_EEDaST_SU_EUlST_E_NS1_11comp_targetILNS1_3genE0ELNS1_11target_archE4294967295ELNS1_3gpuE0ELNS1_3repE0EEENS1_30default_config_static_selectorELNS0_4arch9wavefront6targetE1EEEvT1_.has_indirect_call, 0
	.section	.AMDGPU.csdata,"",@progbits
; Kernel info:
; codeLenInByte = 0
; TotalNumSgprs: 4
; NumVgprs: 0
; ScratchSize: 0
; MemoryBound: 0
; FloatMode: 240
; IeeeMode: 1
; LDSByteSize: 0 bytes/workgroup (compile time only)
; SGPRBlocks: 0
; VGPRBlocks: 0
; NumSGPRsForWavesPerEU: 4
; NumVGPRsForWavesPerEU: 1
; Occupancy: 10
; WaveLimiterHint : 0
; COMPUTE_PGM_RSRC2:SCRATCH_EN: 0
; COMPUTE_PGM_RSRC2:USER_SGPR: 6
; COMPUTE_PGM_RSRC2:TRAP_HANDLER: 0
; COMPUTE_PGM_RSRC2:TGID_X_EN: 1
; COMPUTE_PGM_RSRC2:TGID_Y_EN: 0
; COMPUTE_PGM_RSRC2:TGID_Z_EN: 0
; COMPUTE_PGM_RSRC2:TIDIG_COMP_CNT: 0
	.section	.text._ZN7rocprim17ROCPRIM_400000_NS6detail17trampoline_kernelINS0_14default_configENS1_20scan_config_selectorIN3c104HalfEEEZZNS1_9scan_implILNS1_25lookback_scan_determinismE0ELb0ELb0ES3_PKS6_PS6_S6_ZZZN2at6native31launch_logcumsumexp_cuda_kernelERKNSD_10TensorBaseESH_lENKUlvE_clEvENKUlvE3_clEvEUlS6_S6_E_S6_EEDaPvRmT3_T4_T5_mT6_P12ihipStream_tbENKUlT_T0_E_clISt17integral_constantIbLb0EESY_EEDaST_SU_EUlST_E_NS1_11comp_targetILNS1_3genE5ELNS1_11target_archE942ELNS1_3gpuE9ELNS1_3repE0EEENS1_30default_config_static_selectorELNS0_4arch9wavefront6targetE1EEEvT1_,"axG",@progbits,_ZN7rocprim17ROCPRIM_400000_NS6detail17trampoline_kernelINS0_14default_configENS1_20scan_config_selectorIN3c104HalfEEEZZNS1_9scan_implILNS1_25lookback_scan_determinismE0ELb0ELb0ES3_PKS6_PS6_S6_ZZZN2at6native31launch_logcumsumexp_cuda_kernelERKNSD_10TensorBaseESH_lENKUlvE_clEvENKUlvE3_clEvEUlS6_S6_E_S6_EEDaPvRmT3_T4_T5_mT6_P12ihipStream_tbENKUlT_T0_E_clISt17integral_constantIbLb0EESY_EEDaST_SU_EUlST_E_NS1_11comp_targetILNS1_3genE5ELNS1_11target_archE942ELNS1_3gpuE9ELNS1_3repE0EEENS1_30default_config_static_selectorELNS0_4arch9wavefront6targetE1EEEvT1_,comdat
	.globl	_ZN7rocprim17ROCPRIM_400000_NS6detail17trampoline_kernelINS0_14default_configENS1_20scan_config_selectorIN3c104HalfEEEZZNS1_9scan_implILNS1_25lookback_scan_determinismE0ELb0ELb0ES3_PKS6_PS6_S6_ZZZN2at6native31launch_logcumsumexp_cuda_kernelERKNSD_10TensorBaseESH_lENKUlvE_clEvENKUlvE3_clEvEUlS6_S6_E_S6_EEDaPvRmT3_T4_T5_mT6_P12ihipStream_tbENKUlT_T0_E_clISt17integral_constantIbLb0EESY_EEDaST_SU_EUlST_E_NS1_11comp_targetILNS1_3genE5ELNS1_11target_archE942ELNS1_3gpuE9ELNS1_3repE0EEENS1_30default_config_static_selectorELNS0_4arch9wavefront6targetE1EEEvT1_ ; -- Begin function _ZN7rocprim17ROCPRIM_400000_NS6detail17trampoline_kernelINS0_14default_configENS1_20scan_config_selectorIN3c104HalfEEEZZNS1_9scan_implILNS1_25lookback_scan_determinismE0ELb0ELb0ES3_PKS6_PS6_S6_ZZZN2at6native31launch_logcumsumexp_cuda_kernelERKNSD_10TensorBaseESH_lENKUlvE_clEvENKUlvE3_clEvEUlS6_S6_E_S6_EEDaPvRmT3_T4_T5_mT6_P12ihipStream_tbENKUlT_T0_E_clISt17integral_constantIbLb0EESY_EEDaST_SU_EUlST_E_NS1_11comp_targetILNS1_3genE5ELNS1_11target_archE942ELNS1_3gpuE9ELNS1_3repE0EEENS1_30default_config_static_selectorELNS0_4arch9wavefront6targetE1EEEvT1_
	.p2align	8
	.type	_ZN7rocprim17ROCPRIM_400000_NS6detail17trampoline_kernelINS0_14default_configENS1_20scan_config_selectorIN3c104HalfEEEZZNS1_9scan_implILNS1_25lookback_scan_determinismE0ELb0ELb0ES3_PKS6_PS6_S6_ZZZN2at6native31launch_logcumsumexp_cuda_kernelERKNSD_10TensorBaseESH_lENKUlvE_clEvENKUlvE3_clEvEUlS6_S6_E_S6_EEDaPvRmT3_T4_T5_mT6_P12ihipStream_tbENKUlT_T0_E_clISt17integral_constantIbLb0EESY_EEDaST_SU_EUlST_E_NS1_11comp_targetILNS1_3genE5ELNS1_11target_archE942ELNS1_3gpuE9ELNS1_3repE0EEENS1_30default_config_static_selectorELNS0_4arch9wavefront6targetE1EEEvT1_,@function
_ZN7rocprim17ROCPRIM_400000_NS6detail17trampoline_kernelINS0_14default_configENS1_20scan_config_selectorIN3c104HalfEEEZZNS1_9scan_implILNS1_25lookback_scan_determinismE0ELb0ELb0ES3_PKS6_PS6_S6_ZZZN2at6native31launch_logcumsumexp_cuda_kernelERKNSD_10TensorBaseESH_lENKUlvE_clEvENKUlvE3_clEvEUlS6_S6_E_S6_EEDaPvRmT3_T4_T5_mT6_P12ihipStream_tbENKUlT_T0_E_clISt17integral_constantIbLb0EESY_EEDaST_SU_EUlST_E_NS1_11comp_targetILNS1_3genE5ELNS1_11target_archE942ELNS1_3gpuE9ELNS1_3repE0EEENS1_30default_config_static_selectorELNS0_4arch9wavefront6targetE1EEEvT1_: ; @_ZN7rocprim17ROCPRIM_400000_NS6detail17trampoline_kernelINS0_14default_configENS1_20scan_config_selectorIN3c104HalfEEEZZNS1_9scan_implILNS1_25lookback_scan_determinismE0ELb0ELb0ES3_PKS6_PS6_S6_ZZZN2at6native31launch_logcumsumexp_cuda_kernelERKNSD_10TensorBaseESH_lENKUlvE_clEvENKUlvE3_clEvEUlS6_S6_E_S6_EEDaPvRmT3_T4_T5_mT6_P12ihipStream_tbENKUlT_T0_E_clISt17integral_constantIbLb0EESY_EEDaST_SU_EUlST_E_NS1_11comp_targetILNS1_3genE5ELNS1_11target_archE942ELNS1_3gpuE9ELNS1_3repE0EEENS1_30default_config_static_selectorELNS0_4arch9wavefront6targetE1EEEvT1_
; %bb.0:
	.section	.rodata,"a",@progbits
	.p2align	6, 0x0
	.amdhsa_kernel _ZN7rocprim17ROCPRIM_400000_NS6detail17trampoline_kernelINS0_14default_configENS1_20scan_config_selectorIN3c104HalfEEEZZNS1_9scan_implILNS1_25lookback_scan_determinismE0ELb0ELb0ES3_PKS6_PS6_S6_ZZZN2at6native31launch_logcumsumexp_cuda_kernelERKNSD_10TensorBaseESH_lENKUlvE_clEvENKUlvE3_clEvEUlS6_S6_E_S6_EEDaPvRmT3_T4_T5_mT6_P12ihipStream_tbENKUlT_T0_E_clISt17integral_constantIbLb0EESY_EEDaST_SU_EUlST_E_NS1_11comp_targetILNS1_3genE5ELNS1_11target_archE942ELNS1_3gpuE9ELNS1_3repE0EEENS1_30default_config_static_selectorELNS0_4arch9wavefront6targetE1EEEvT1_
		.amdhsa_group_segment_fixed_size 0
		.amdhsa_private_segment_fixed_size 0
		.amdhsa_kernarg_size 96
		.amdhsa_user_sgpr_count 6
		.amdhsa_user_sgpr_private_segment_buffer 1
		.amdhsa_user_sgpr_dispatch_ptr 0
		.amdhsa_user_sgpr_queue_ptr 0
		.amdhsa_user_sgpr_kernarg_segment_ptr 1
		.amdhsa_user_sgpr_dispatch_id 0
		.amdhsa_user_sgpr_flat_scratch_init 0
		.amdhsa_user_sgpr_private_segment_size 0
		.amdhsa_uses_dynamic_stack 0
		.amdhsa_system_sgpr_private_segment_wavefront_offset 0
		.amdhsa_system_sgpr_workgroup_id_x 1
		.amdhsa_system_sgpr_workgroup_id_y 0
		.amdhsa_system_sgpr_workgroup_id_z 0
		.amdhsa_system_sgpr_workgroup_info 0
		.amdhsa_system_vgpr_workitem_id 0
		.amdhsa_next_free_vgpr 1
		.amdhsa_next_free_sgpr 0
		.amdhsa_reserve_vcc 0
		.amdhsa_reserve_flat_scratch 0
		.amdhsa_float_round_mode_32 0
		.amdhsa_float_round_mode_16_64 0
		.amdhsa_float_denorm_mode_32 3
		.amdhsa_float_denorm_mode_16_64 3
		.amdhsa_dx10_clamp 1
		.amdhsa_ieee_mode 1
		.amdhsa_fp16_overflow 0
		.amdhsa_exception_fp_ieee_invalid_op 0
		.amdhsa_exception_fp_denorm_src 0
		.amdhsa_exception_fp_ieee_div_zero 0
		.amdhsa_exception_fp_ieee_overflow 0
		.amdhsa_exception_fp_ieee_underflow 0
		.amdhsa_exception_fp_ieee_inexact 0
		.amdhsa_exception_int_div_zero 0
	.end_amdhsa_kernel
	.section	.text._ZN7rocprim17ROCPRIM_400000_NS6detail17trampoline_kernelINS0_14default_configENS1_20scan_config_selectorIN3c104HalfEEEZZNS1_9scan_implILNS1_25lookback_scan_determinismE0ELb0ELb0ES3_PKS6_PS6_S6_ZZZN2at6native31launch_logcumsumexp_cuda_kernelERKNSD_10TensorBaseESH_lENKUlvE_clEvENKUlvE3_clEvEUlS6_S6_E_S6_EEDaPvRmT3_T4_T5_mT6_P12ihipStream_tbENKUlT_T0_E_clISt17integral_constantIbLb0EESY_EEDaST_SU_EUlST_E_NS1_11comp_targetILNS1_3genE5ELNS1_11target_archE942ELNS1_3gpuE9ELNS1_3repE0EEENS1_30default_config_static_selectorELNS0_4arch9wavefront6targetE1EEEvT1_,"axG",@progbits,_ZN7rocprim17ROCPRIM_400000_NS6detail17trampoline_kernelINS0_14default_configENS1_20scan_config_selectorIN3c104HalfEEEZZNS1_9scan_implILNS1_25lookback_scan_determinismE0ELb0ELb0ES3_PKS6_PS6_S6_ZZZN2at6native31launch_logcumsumexp_cuda_kernelERKNSD_10TensorBaseESH_lENKUlvE_clEvENKUlvE3_clEvEUlS6_S6_E_S6_EEDaPvRmT3_T4_T5_mT6_P12ihipStream_tbENKUlT_T0_E_clISt17integral_constantIbLb0EESY_EEDaST_SU_EUlST_E_NS1_11comp_targetILNS1_3genE5ELNS1_11target_archE942ELNS1_3gpuE9ELNS1_3repE0EEENS1_30default_config_static_selectorELNS0_4arch9wavefront6targetE1EEEvT1_,comdat
.Lfunc_end352:
	.size	_ZN7rocprim17ROCPRIM_400000_NS6detail17trampoline_kernelINS0_14default_configENS1_20scan_config_selectorIN3c104HalfEEEZZNS1_9scan_implILNS1_25lookback_scan_determinismE0ELb0ELb0ES3_PKS6_PS6_S6_ZZZN2at6native31launch_logcumsumexp_cuda_kernelERKNSD_10TensorBaseESH_lENKUlvE_clEvENKUlvE3_clEvEUlS6_S6_E_S6_EEDaPvRmT3_T4_T5_mT6_P12ihipStream_tbENKUlT_T0_E_clISt17integral_constantIbLb0EESY_EEDaST_SU_EUlST_E_NS1_11comp_targetILNS1_3genE5ELNS1_11target_archE942ELNS1_3gpuE9ELNS1_3repE0EEENS1_30default_config_static_selectorELNS0_4arch9wavefront6targetE1EEEvT1_, .Lfunc_end352-_ZN7rocprim17ROCPRIM_400000_NS6detail17trampoline_kernelINS0_14default_configENS1_20scan_config_selectorIN3c104HalfEEEZZNS1_9scan_implILNS1_25lookback_scan_determinismE0ELb0ELb0ES3_PKS6_PS6_S6_ZZZN2at6native31launch_logcumsumexp_cuda_kernelERKNSD_10TensorBaseESH_lENKUlvE_clEvENKUlvE3_clEvEUlS6_S6_E_S6_EEDaPvRmT3_T4_T5_mT6_P12ihipStream_tbENKUlT_T0_E_clISt17integral_constantIbLb0EESY_EEDaST_SU_EUlST_E_NS1_11comp_targetILNS1_3genE5ELNS1_11target_archE942ELNS1_3gpuE9ELNS1_3repE0EEENS1_30default_config_static_selectorELNS0_4arch9wavefront6targetE1EEEvT1_
                                        ; -- End function
	.set _ZN7rocprim17ROCPRIM_400000_NS6detail17trampoline_kernelINS0_14default_configENS1_20scan_config_selectorIN3c104HalfEEEZZNS1_9scan_implILNS1_25lookback_scan_determinismE0ELb0ELb0ES3_PKS6_PS6_S6_ZZZN2at6native31launch_logcumsumexp_cuda_kernelERKNSD_10TensorBaseESH_lENKUlvE_clEvENKUlvE3_clEvEUlS6_S6_E_S6_EEDaPvRmT3_T4_T5_mT6_P12ihipStream_tbENKUlT_T0_E_clISt17integral_constantIbLb0EESY_EEDaST_SU_EUlST_E_NS1_11comp_targetILNS1_3genE5ELNS1_11target_archE942ELNS1_3gpuE9ELNS1_3repE0EEENS1_30default_config_static_selectorELNS0_4arch9wavefront6targetE1EEEvT1_.num_vgpr, 0
	.set _ZN7rocprim17ROCPRIM_400000_NS6detail17trampoline_kernelINS0_14default_configENS1_20scan_config_selectorIN3c104HalfEEEZZNS1_9scan_implILNS1_25lookback_scan_determinismE0ELb0ELb0ES3_PKS6_PS6_S6_ZZZN2at6native31launch_logcumsumexp_cuda_kernelERKNSD_10TensorBaseESH_lENKUlvE_clEvENKUlvE3_clEvEUlS6_S6_E_S6_EEDaPvRmT3_T4_T5_mT6_P12ihipStream_tbENKUlT_T0_E_clISt17integral_constantIbLb0EESY_EEDaST_SU_EUlST_E_NS1_11comp_targetILNS1_3genE5ELNS1_11target_archE942ELNS1_3gpuE9ELNS1_3repE0EEENS1_30default_config_static_selectorELNS0_4arch9wavefront6targetE1EEEvT1_.num_agpr, 0
	.set _ZN7rocprim17ROCPRIM_400000_NS6detail17trampoline_kernelINS0_14default_configENS1_20scan_config_selectorIN3c104HalfEEEZZNS1_9scan_implILNS1_25lookback_scan_determinismE0ELb0ELb0ES3_PKS6_PS6_S6_ZZZN2at6native31launch_logcumsumexp_cuda_kernelERKNSD_10TensorBaseESH_lENKUlvE_clEvENKUlvE3_clEvEUlS6_S6_E_S6_EEDaPvRmT3_T4_T5_mT6_P12ihipStream_tbENKUlT_T0_E_clISt17integral_constantIbLb0EESY_EEDaST_SU_EUlST_E_NS1_11comp_targetILNS1_3genE5ELNS1_11target_archE942ELNS1_3gpuE9ELNS1_3repE0EEENS1_30default_config_static_selectorELNS0_4arch9wavefront6targetE1EEEvT1_.numbered_sgpr, 0
	.set _ZN7rocprim17ROCPRIM_400000_NS6detail17trampoline_kernelINS0_14default_configENS1_20scan_config_selectorIN3c104HalfEEEZZNS1_9scan_implILNS1_25lookback_scan_determinismE0ELb0ELb0ES3_PKS6_PS6_S6_ZZZN2at6native31launch_logcumsumexp_cuda_kernelERKNSD_10TensorBaseESH_lENKUlvE_clEvENKUlvE3_clEvEUlS6_S6_E_S6_EEDaPvRmT3_T4_T5_mT6_P12ihipStream_tbENKUlT_T0_E_clISt17integral_constantIbLb0EESY_EEDaST_SU_EUlST_E_NS1_11comp_targetILNS1_3genE5ELNS1_11target_archE942ELNS1_3gpuE9ELNS1_3repE0EEENS1_30default_config_static_selectorELNS0_4arch9wavefront6targetE1EEEvT1_.num_named_barrier, 0
	.set _ZN7rocprim17ROCPRIM_400000_NS6detail17trampoline_kernelINS0_14default_configENS1_20scan_config_selectorIN3c104HalfEEEZZNS1_9scan_implILNS1_25lookback_scan_determinismE0ELb0ELb0ES3_PKS6_PS6_S6_ZZZN2at6native31launch_logcumsumexp_cuda_kernelERKNSD_10TensorBaseESH_lENKUlvE_clEvENKUlvE3_clEvEUlS6_S6_E_S6_EEDaPvRmT3_T4_T5_mT6_P12ihipStream_tbENKUlT_T0_E_clISt17integral_constantIbLb0EESY_EEDaST_SU_EUlST_E_NS1_11comp_targetILNS1_3genE5ELNS1_11target_archE942ELNS1_3gpuE9ELNS1_3repE0EEENS1_30default_config_static_selectorELNS0_4arch9wavefront6targetE1EEEvT1_.private_seg_size, 0
	.set _ZN7rocprim17ROCPRIM_400000_NS6detail17trampoline_kernelINS0_14default_configENS1_20scan_config_selectorIN3c104HalfEEEZZNS1_9scan_implILNS1_25lookback_scan_determinismE0ELb0ELb0ES3_PKS6_PS6_S6_ZZZN2at6native31launch_logcumsumexp_cuda_kernelERKNSD_10TensorBaseESH_lENKUlvE_clEvENKUlvE3_clEvEUlS6_S6_E_S6_EEDaPvRmT3_T4_T5_mT6_P12ihipStream_tbENKUlT_T0_E_clISt17integral_constantIbLb0EESY_EEDaST_SU_EUlST_E_NS1_11comp_targetILNS1_3genE5ELNS1_11target_archE942ELNS1_3gpuE9ELNS1_3repE0EEENS1_30default_config_static_selectorELNS0_4arch9wavefront6targetE1EEEvT1_.uses_vcc, 0
	.set _ZN7rocprim17ROCPRIM_400000_NS6detail17trampoline_kernelINS0_14default_configENS1_20scan_config_selectorIN3c104HalfEEEZZNS1_9scan_implILNS1_25lookback_scan_determinismE0ELb0ELb0ES3_PKS6_PS6_S6_ZZZN2at6native31launch_logcumsumexp_cuda_kernelERKNSD_10TensorBaseESH_lENKUlvE_clEvENKUlvE3_clEvEUlS6_S6_E_S6_EEDaPvRmT3_T4_T5_mT6_P12ihipStream_tbENKUlT_T0_E_clISt17integral_constantIbLb0EESY_EEDaST_SU_EUlST_E_NS1_11comp_targetILNS1_3genE5ELNS1_11target_archE942ELNS1_3gpuE9ELNS1_3repE0EEENS1_30default_config_static_selectorELNS0_4arch9wavefront6targetE1EEEvT1_.uses_flat_scratch, 0
	.set _ZN7rocprim17ROCPRIM_400000_NS6detail17trampoline_kernelINS0_14default_configENS1_20scan_config_selectorIN3c104HalfEEEZZNS1_9scan_implILNS1_25lookback_scan_determinismE0ELb0ELb0ES3_PKS6_PS6_S6_ZZZN2at6native31launch_logcumsumexp_cuda_kernelERKNSD_10TensorBaseESH_lENKUlvE_clEvENKUlvE3_clEvEUlS6_S6_E_S6_EEDaPvRmT3_T4_T5_mT6_P12ihipStream_tbENKUlT_T0_E_clISt17integral_constantIbLb0EESY_EEDaST_SU_EUlST_E_NS1_11comp_targetILNS1_3genE5ELNS1_11target_archE942ELNS1_3gpuE9ELNS1_3repE0EEENS1_30default_config_static_selectorELNS0_4arch9wavefront6targetE1EEEvT1_.has_dyn_sized_stack, 0
	.set _ZN7rocprim17ROCPRIM_400000_NS6detail17trampoline_kernelINS0_14default_configENS1_20scan_config_selectorIN3c104HalfEEEZZNS1_9scan_implILNS1_25lookback_scan_determinismE0ELb0ELb0ES3_PKS6_PS6_S6_ZZZN2at6native31launch_logcumsumexp_cuda_kernelERKNSD_10TensorBaseESH_lENKUlvE_clEvENKUlvE3_clEvEUlS6_S6_E_S6_EEDaPvRmT3_T4_T5_mT6_P12ihipStream_tbENKUlT_T0_E_clISt17integral_constantIbLb0EESY_EEDaST_SU_EUlST_E_NS1_11comp_targetILNS1_3genE5ELNS1_11target_archE942ELNS1_3gpuE9ELNS1_3repE0EEENS1_30default_config_static_selectorELNS0_4arch9wavefront6targetE1EEEvT1_.has_recursion, 0
	.set _ZN7rocprim17ROCPRIM_400000_NS6detail17trampoline_kernelINS0_14default_configENS1_20scan_config_selectorIN3c104HalfEEEZZNS1_9scan_implILNS1_25lookback_scan_determinismE0ELb0ELb0ES3_PKS6_PS6_S6_ZZZN2at6native31launch_logcumsumexp_cuda_kernelERKNSD_10TensorBaseESH_lENKUlvE_clEvENKUlvE3_clEvEUlS6_S6_E_S6_EEDaPvRmT3_T4_T5_mT6_P12ihipStream_tbENKUlT_T0_E_clISt17integral_constantIbLb0EESY_EEDaST_SU_EUlST_E_NS1_11comp_targetILNS1_3genE5ELNS1_11target_archE942ELNS1_3gpuE9ELNS1_3repE0EEENS1_30default_config_static_selectorELNS0_4arch9wavefront6targetE1EEEvT1_.has_indirect_call, 0
	.section	.AMDGPU.csdata,"",@progbits
; Kernel info:
; codeLenInByte = 0
; TotalNumSgprs: 4
; NumVgprs: 0
; ScratchSize: 0
; MemoryBound: 0
; FloatMode: 240
; IeeeMode: 1
; LDSByteSize: 0 bytes/workgroup (compile time only)
; SGPRBlocks: 0
; VGPRBlocks: 0
; NumSGPRsForWavesPerEU: 4
; NumVGPRsForWavesPerEU: 1
; Occupancy: 10
; WaveLimiterHint : 0
; COMPUTE_PGM_RSRC2:SCRATCH_EN: 0
; COMPUTE_PGM_RSRC2:USER_SGPR: 6
; COMPUTE_PGM_RSRC2:TRAP_HANDLER: 0
; COMPUTE_PGM_RSRC2:TGID_X_EN: 1
; COMPUTE_PGM_RSRC2:TGID_Y_EN: 0
; COMPUTE_PGM_RSRC2:TGID_Z_EN: 0
; COMPUTE_PGM_RSRC2:TIDIG_COMP_CNT: 0
	.section	.text._ZN7rocprim17ROCPRIM_400000_NS6detail17trampoline_kernelINS0_14default_configENS1_20scan_config_selectorIN3c104HalfEEEZZNS1_9scan_implILNS1_25lookback_scan_determinismE0ELb0ELb0ES3_PKS6_PS6_S6_ZZZN2at6native31launch_logcumsumexp_cuda_kernelERKNSD_10TensorBaseESH_lENKUlvE_clEvENKUlvE3_clEvEUlS6_S6_E_S6_EEDaPvRmT3_T4_T5_mT6_P12ihipStream_tbENKUlT_T0_E_clISt17integral_constantIbLb0EESY_EEDaST_SU_EUlST_E_NS1_11comp_targetILNS1_3genE4ELNS1_11target_archE910ELNS1_3gpuE8ELNS1_3repE0EEENS1_30default_config_static_selectorELNS0_4arch9wavefront6targetE1EEEvT1_,"axG",@progbits,_ZN7rocprim17ROCPRIM_400000_NS6detail17trampoline_kernelINS0_14default_configENS1_20scan_config_selectorIN3c104HalfEEEZZNS1_9scan_implILNS1_25lookback_scan_determinismE0ELb0ELb0ES3_PKS6_PS6_S6_ZZZN2at6native31launch_logcumsumexp_cuda_kernelERKNSD_10TensorBaseESH_lENKUlvE_clEvENKUlvE3_clEvEUlS6_S6_E_S6_EEDaPvRmT3_T4_T5_mT6_P12ihipStream_tbENKUlT_T0_E_clISt17integral_constantIbLb0EESY_EEDaST_SU_EUlST_E_NS1_11comp_targetILNS1_3genE4ELNS1_11target_archE910ELNS1_3gpuE8ELNS1_3repE0EEENS1_30default_config_static_selectorELNS0_4arch9wavefront6targetE1EEEvT1_,comdat
	.globl	_ZN7rocprim17ROCPRIM_400000_NS6detail17trampoline_kernelINS0_14default_configENS1_20scan_config_selectorIN3c104HalfEEEZZNS1_9scan_implILNS1_25lookback_scan_determinismE0ELb0ELb0ES3_PKS6_PS6_S6_ZZZN2at6native31launch_logcumsumexp_cuda_kernelERKNSD_10TensorBaseESH_lENKUlvE_clEvENKUlvE3_clEvEUlS6_S6_E_S6_EEDaPvRmT3_T4_T5_mT6_P12ihipStream_tbENKUlT_T0_E_clISt17integral_constantIbLb0EESY_EEDaST_SU_EUlST_E_NS1_11comp_targetILNS1_3genE4ELNS1_11target_archE910ELNS1_3gpuE8ELNS1_3repE0EEENS1_30default_config_static_selectorELNS0_4arch9wavefront6targetE1EEEvT1_ ; -- Begin function _ZN7rocprim17ROCPRIM_400000_NS6detail17trampoline_kernelINS0_14default_configENS1_20scan_config_selectorIN3c104HalfEEEZZNS1_9scan_implILNS1_25lookback_scan_determinismE0ELb0ELb0ES3_PKS6_PS6_S6_ZZZN2at6native31launch_logcumsumexp_cuda_kernelERKNSD_10TensorBaseESH_lENKUlvE_clEvENKUlvE3_clEvEUlS6_S6_E_S6_EEDaPvRmT3_T4_T5_mT6_P12ihipStream_tbENKUlT_T0_E_clISt17integral_constantIbLb0EESY_EEDaST_SU_EUlST_E_NS1_11comp_targetILNS1_3genE4ELNS1_11target_archE910ELNS1_3gpuE8ELNS1_3repE0EEENS1_30default_config_static_selectorELNS0_4arch9wavefront6targetE1EEEvT1_
	.p2align	8
	.type	_ZN7rocprim17ROCPRIM_400000_NS6detail17trampoline_kernelINS0_14default_configENS1_20scan_config_selectorIN3c104HalfEEEZZNS1_9scan_implILNS1_25lookback_scan_determinismE0ELb0ELb0ES3_PKS6_PS6_S6_ZZZN2at6native31launch_logcumsumexp_cuda_kernelERKNSD_10TensorBaseESH_lENKUlvE_clEvENKUlvE3_clEvEUlS6_S6_E_S6_EEDaPvRmT3_T4_T5_mT6_P12ihipStream_tbENKUlT_T0_E_clISt17integral_constantIbLb0EESY_EEDaST_SU_EUlST_E_NS1_11comp_targetILNS1_3genE4ELNS1_11target_archE910ELNS1_3gpuE8ELNS1_3repE0EEENS1_30default_config_static_selectorELNS0_4arch9wavefront6targetE1EEEvT1_,@function
_ZN7rocprim17ROCPRIM_400000_NS6detail17trampoline_kernelINS0_14default_configENS1_20scan_config_selectorIN3c104HalfEEEZZNS1_9scan_implILNS1_25lookback_scan_determinismE0ELb0ELb0ES3_PKS6_PS6_S6_ZZZN2at6native31launch_logcumsumexp_cuda_kernelERKNSD_10TensorBaseESH_lENKUlvE_clEvENKUlvE3_clEvEUlS6_S6_E_S6_EEDaPvRmT3_T4_T5_mT6_P12ihipStream_tbENKUlT_T0_E_clISt17integral_constantIbLb0EESY_EEDaST_SU_EUlST_E_NS1_11comp_targetILNS1_3genE4ELNS1_11target_archE910ELNS1_3gpuE8ELNS1_3repE0EEENS1_30default_config_static_selectorELNS0_4arch9wavefront6targetE1EEEvT1_: ; @_ZN7rocprim17ROCPRIM_400000_NS6detail17trampoline_kernelINS0_14default_configENS1_20scan_config_selectorIN3c104HalfEEEZZNS1_9scan_implILNS1_25lookback_scan_determinismE0ELb0ELb0ES3_PKS6_PS6_S6_ZZZN2at6native31launch_logcumsumexp_cuda_kernelERKNSD_10TensorBaseESH_lENKUlvE_clEvENKUlvE3_clEvEUlS6_S6_E_S6_EEDaPvRmT3_T4_T5_mT6_P12ihipStream_tbENKUlT_T0_E_clISt17integral_constantIbLb0EESY_EEDaST_SU_EUlST_E_NS1_11comp_targetILNS1_3genE4ELNS1_11target_archE910ELNS1_3gpuE8ELNS1_3repE0EEENS1_30default_config_static_selectorELNS0_4arch9wavefront6targetE1EEEvT1_
; %bb.0:
	.section	.rodata,"a",@progbits
	.p2align	6, 0x0
	.amdhsa_kernel _ZN7rocprim17ROCPRIM_400000_NS6detail17trampoline_kernelINS0_14default_configENS1_20scan_config_selectorIN3c104HalfEEEZZNS1_9scan_implILNS1_25lookback_scan_determinismE0ELb0ELb0ES3_PKS6_PS6_S6_ZZZN2at6native31launch_logcumsumexp_cuda_kernelERKNSD_10TensorBaseESH_lENKUlvE_clEvENKUlvE3_clEvEUlS6_S6_E_S6_EEDaPvRmT3_T4_T5_mT6_P12ihipStream_tbENKUlT_T0_E_clISt17integral_constantIbLb0EESY_EEDaST_SU_EUlST_E_NS1_11comp_targetILNS1_3genE4ELNS1_11target_archE910ELNS1_3gpuE8ELNS1_3repE0EEENS1_30default_config_static_selectorELNS0_4arch9wavefront6targetE1EEEvT1_
		.amdhsa_group_segment_fixed_size 0
		.amdhsa_private_segment_fixed_size 0
		.amdhsa_kernarg_size 96
		.amdhsa_user_sgpr_count 6
		.amdhsa_user_sgpr_private_segment_buffer 1
		.amdhsa_user_sgpr_dispatch_ptr 0
		.amdhsa_user_sgpr_queue_ptr 0
		.amdhsa_user_sgpr_kernarg_segment_ptr 1
		.amdhsa_user_sgpr_dispatch_id 0
		.amdhsa_user_sgpr_flat_scratch_init 0
		.amdhsa_user_sgpr_private_segment_size 0
		.amdhsa_uses_dynamic_stack 0
		.amdhsa_system_sgpr_private_segment_wavefront_offset 0
		.amdhsa_system_sgpr_workgroup_id_x 1
		.amdhsa_system_sgpr_workgroup_id_y 0
		.amdhsa_system_sgpr_workgroup_id_z 0
		.amdhsa_system_sgpr_workgroup_info 0
		.amdhsa_system_vgpr_workitem_id 0
		.amdhsa_next_free_vgpr 1
		.amdhsa_next_free_sgpr 0
		.amdhsa_reserve_vcc 0
		.amdhsa_reserve_flat_scratch 0
		.amdhsa_float_round_mode_32 0
		.amdhsa_float_round_mode_16_64 0
		.amdhsa_float_denorm_mode_32 3
		.amdhsa_float_denorm_mode_16_64 3
		.amdhsa_dx10_clamp 1
		.amdhsa_ieee_mode 1
		.amdhsa_fp16_overflow 0
		.amdhsa_exception_fp_ieee_invalid_op 0
		.amdhsa_exception_fp_denorm_src 0
		.amdhsa_exception_fp_ieee_div_zero 0
		.amdhsa_exception_fp_ieee_overflow 0
		.amdhsa_exception_fp_ieee_underflow 0
		.amdhsa_exception_fp_ieee_inexact 0
		.amdhsa_exception_int_div_zero 0
	.end_amdhsa_kernel
	.section	.text._ZN7rocprim17ROCPRIM_400000_NS6detail17trampoline_kernelINS0_14default_configENS1_20scan_config_selectorIN3c104HalfEEEZZNS1_9scan_implILNS1_25lookback_scan_determinismE0ELb0ELb0ES3_PKS6_PS6_S6_ZZZN2at6native31launch_logcumsumexp_cuda_kernelERKNSD_10TensorBaseESH_lENKUlvE_clEvENKUlvE3_clEvEUlS6_S6_E_S6_EEDaPvRmT3_T4_T5_mT6_P12ihipStream_tbENKUlT_T0_E_clISt17integral_constantIbLb0EESY_EEDaST_SU_EUlST_E_NS1_11comp_targetILNS1_3genE4ELNS1_11target_archE910ELNS1_3gpuE8ELNS1_3repE0EEENS1_30default_config_static_selectorELNS0_4arch9wavefront6targetE1EEEvT1_,"axG",@progbits,_ZN7rocprim17ROCPRIM_400000_NS6detail17trampoline_kernelINS0_14default_configENS1_20scan_config_selectorIN3c104HalfEEEZZNS1_9scan_implILNS1_25lookback_scan_determinismE0ELb0ELb0ES3_PKS6_PS6_S6_ZZZN2at6native31launch_logcumsumexp_cuda_kernelERKNSD_10TensorBaseESH_lENKUlvE_clEvENKUlvE3_clEvEUlS6_S6_E_S6_EEDaPvRmT3_T4_T5_mT6_P12ihipStream_tbENKUlT_T0_E_clISt17integral_constantIbLb0EESY_EEDaST_SU_EUlST_E_NS1_11comp_targetILNS1_3genE4ELNS1_11target_archE910ELNS1_3gpuE8ELNS1_3repE0EEENS1_30default_config_static_selectorELNS0_4arch9wavefront6targetE1EEEvT1_,comdat
.Lfunc_end353:
	.size	_ZN7rocprim17ROCPRIM_400000_NS6detail17trampoline_kernelINS0_14default_configENS1_20scan_config_selectorIN3c104HalfEEEZZNS1_9scan_implILNS1_25lookback_scan_determinismE0ELb0ELb0ES3_PKS6_PS6_S6_ZZZN2at6native31launch_logcumsumexp_cuda_kernelERKNSD_10TensorBaseESH_lENKUlvE_clEvENKUlvE3_clEvEUlS6_S6_E_S6_EEDaPvRmT3_T4_T5_mT6_P12ihipStream_tbENKUlT_T0_E_clISt17integral_constantIbLb0EESY_EEDaST_SU_EUlST_E_NS1_11comp_targetILNS1_3genE4ELNS1_11target_archE910ELNS1_3gpuE8ELNS1_3repE0EEENS1_30default_config_static_selectorELNS0_4arch9wavefront6targetE1EEEvT1_, .Lfunc_end353-_ZN7rocprim17ROCPRIM_400000_NS6detail17trampoline_kernelINS0_14default_configENS1_20scan_config_selectorIN3c104HalfEEEZZNS1_9scan_implILNS1_25lookback_scan_determinismE0ELb0ELb0ES3_PKS6_PS6_S6_ZZZN2at6native31launch_logcumsumexp_cuda_kernelERKNSD_10TensorBaseESH_lENKUlvE_clEvENKUlvE3_clEvEUlS6_S6_E_S6_EEDaPvRmT3_T4_T5_mT6_P12ihipStream_tbENKUlT_T0_E_clISt17integral_constantIbLb0EESY_EEDaST_SU_EUlST_E_NS1_11comp_targetILNS1_3genE4ELNS1_11target_archE910ELNS1_3gpuE8ELNS1_3repE0EEENS1_30default_config_static_selectorELNS0_4arch9wavefront6targetE1EEEvT1_
                                        ; -- End function
	.set _ZN7rocprim17ROCPRIM_400000_NS6detail17trampoline_kernelINS0_14default_configENS1_20scan_config_selectorIN3c104HalfEEEZZNS1_9scan_implILNS1_25lookback_scan_determinismE0ELb0ELb0ES3_PKS6_PS6_S6_ZZZN2at6native31launch_logcumsumexp_cuda_kernelERKNSD_10TensorBaseESH_lENKUlvE_clEvENKUlvE3_clEvEUlS6_S6_E_S6_EEDaPvRmT3_T4_T5_mT6_P12ihipStream_tbENKUlT_T0_E_clISt17integral_constantIbLb0EESY_EEDaST_SU_EUlST_E_NS1_11comp_targetILNS1_3genE4ELNS1_11target_archE910ELNS1_3gpuE8ELNS1_3repE0EEENS1_30default_config_static_selectorELNS0_4arch9wavefront6targetE1EEEvT1_.num_vgpr, 0
	.set _ZN7rocprim17ROCPRIM_400000_NS6detail17trampoline_kernelINS0_14default_configENS1_20scan_config_selectorIN3c104HalfEEEZZNS1_9scan_implILNS1_25lookback_scan_determinismE0ELb0ELb0ES3_PKS6_PS6_S6_ZZZN2at6native31launch_logcumsumexp_cuda_kernelERKNSD_10TensorBaseESH_lENKUlvE_clEvENKUlvE3_clEvEUlS6_S6_E_S6_EEDaPvRmT3_T4_T5_mT6_P12ihipStream_tbENKUlT_T0_E_clISt17integral_constantIbLb0EESY_EEDaST_SU_EUlST_E_NS1_11comp_targetILNS1_3genE4ELNS1_11target_archE910ELNS1_3gpuE8ELNS1_3repE0EEENS1_30default_config_static_selectorELNS0_4arch9wavefront6targetE1EEEvT1_.num_agpr, 0
	.set _ZN7rocprim17ROCPRIM_400000_NS6detail17trampoline_kernelINS0_14default_configENS1_20scan_config_selectorIN3c104HalfEEEZZNS1_9scan_implILNS1_25lookback_scan_determinismE0ELb0ELb0ES3_PKS6_PS6_S6_ZZZN2at6native31launch_logcumsumexp_cuda_kernelERKNSD_10TensorBaseESH_lENKUlvE_clEvENKUlvE3_clEvEUlS6_S6_E_S6_EEDaPvRmT3_T4_T5_mT6_P12ihipStream_tbENKUlT_T0_E_clISt17integral_constantIbLb0EESY_EEDaST_SU_EUlST_E_NS1_11comp_targetILNS1_3genE4ELNS1_11target_archE910ELNS1_3gpuE8ELNS1_3repE0EEENS1_30default_config_static_selectorELNS0_4arch9wavefront6targetE1EEEvT1_.numbered_sgpr, 0
	.set _ZN7rocprim17ROCPRIM_400000_NS6detail17trampoline_kernelINS0_14default_configENS1_20scan_config_selectorIN3c104HalfEEEZZNS1_9scan_implILNS1_25lookback_scan_determinismE0ELb0ELb0ES3_PKS6_PS6_S6_ZZZN2at6native31launch_logcumsumexp_cuda_kernelERKNSD_10TensorBaseESH_lENKUlvE_clEvENKUlvE3_clEvEUlS6_S6_E_S6_EEDaPvRmT3_T4_T5_mT6_P12ihipStream_tbENKUlT_T0_E_clISt17integral_constantIbLb0EESY_EEDaST_SU_EUlST_E_NS1_11comp_targetILNS1_3genE4ELNS1_11target_archE910ELNS1_3gpuE8ELNS1_3repE0EEENS1_30default_config_static_selectorELNS0_4arch9wavefront6targetE1EEEvT1_.num_named_barrier, 0
	.set _ZN7rocprim17ROCPRIM_400000_NS6detail17trampoline_kernelINS0_14default_configENS1_20scan_config_selectorIN3c104HalfEEEZZNS1_9scan_implILNS1_25lookback_scan_determinismE0ELb0ELb0ES3_PKS6_PS6_S6_ZZZN2at6native31launch_logcumsumexp_cuda_kernelERKNSD_10TensorBaseESH_lENKUlvE_clEvENKUlvE3_clEvEUlS6_S6_E_S6_EEDaPvRmT3_T4_T5_mT6_P12ihipStream_tbENKUlT_T0_E_clISt17integral_constantIbLb0EESY_EEDaST_SU_EUlST_E_NS1_11comp_targetILNS1_3genE4ELNS1_11target_archE910ELNS1_3gpuE8ELNS1_3repE0EEENS1_30default_config_static_selectorELNS0_4arch9wavefront6targetE1EEEvT1_.private_seg_size, 0
	.set _ZN7rocprim17ROCPRIM_400000_NS6detail17trampoline_kernelINS0_14default_configENS1_20scan_config_selectorIN3c104HalfEEEZZNS1_9scan_implILNS1_25lookback_scan_determinismE0ELb0ELb0ES3_PKS6_PS6_S6_ZZZN2at6native31launch_logcumsumexp_cuda_kernelERKNSD_10TensorBaseESH_lENKUlvE_clEvENKUlvE3_clEvEUlS6_S6_E_S6_EEDaPvRmT3_T4_T5_mT6_P12ihipStream_tbENKUlT_T0_E_clISt17integral_constantIbLb0EESY_EEDaST_SU_EUlST_E_NS1_11comp_targetILNS1_3genE4ELNS1_11target_archE910ELNS1_3gpuE8ELNS1_3repE0EEENS1_30default_config_static_selectorELNS0_4arch9wavefront6targetE1EEEvT1_.uses_vcc, 0
	.set _ZN7rocprim17ROCPRIM_400000_NS6detail17trampoline_kernelINS0_14default_configENS1_20scan_config_selectorIN3c104HalfEEEZZNS1_9scan_implILNS1_25lookback_scan_determinismE0ELb0ELb0ES3_PKS6_PS6_S6_ZZZN2at6native31launch_logcumsumexp_cuda_kernelERKNSD_10TensorBaseESH_lENKUlvE_clEvENKUlvE3_clEvEUlS6_S6_E_S6_EEDaPvRmT3_T4_T5_mT6_P12ihipStream_tbENKUlT_T0_E_clISt17integral_constantIbLb0EESY_EEDaST_SU_EUlST_E_NS1_11comp_targetILNS1_3genE4ELNS1_11target_archE910ELNS1_3gpuE8ELNS1_3repE0EEENS1_30default_config_static_selectorELNS0_4arch9wavefront6targetE1EEEvT1_.uses_flat_scratch, 0
	.set _ZN7rocprim17ROCPRIM_400000_NS6detail17trampoline_kernelINS0_14default_configENS1_20scan_config_selectorIN3c104HalfEEEZZNS1_9scan_implILNS1_25lookback_scan_determinismE0ELb0ELb0ES3_PKS6_PS6_S6_ZZZN2at6native31launch_logcumsumexp_cuda_kernelERKNSD_10TensorBaseESH_lENKUlvE_clEvENKUlvE3_clEvEUlS6_S6_E_S6_EEDaPvRmT3_T4_T5_mT6_P12ihipStream_tbENKUlT_T0_E_clISt17integral_constantIbLb0EESY_EEDaST_SU_EUlST_E_NS1_11comp_targetILNS1_3genE4ELNS1_11target_archE910ELNS1_3gpuE8ELNS1_3repE0EEENS1_30default_config_static_selectorELNS0_4arch9wavefront6targetE1EEEvT1_.has_dyn_sized_stack, 0
	.set _ZN7rocprim17ROCPRIM_400000_NS6detail17trampoline_kernelINS0_14default_configENS1_20scan_config_selectorIN3c104HalfEEEZZNS1_9scan_implILNS1_25lookback_scan_determinismE0ELb0ELb0ES3_PKS6_PS6_S6_ZZZN2at6native31launch_logcumsumexp_cuda_kernelERKNSD_10TensorBaseESH_lENKUlvE_clEvENKUlvE3_clEvEUlS6_S6_E_S6_EEDaPvRmT3_T4_T5_mT6_P12ihipStream_tbENKUlT_T0_E_clISt17integral_constantIbLb0EESY_EEDaST_SU_EUlST_E_NS1_11comp_targetILNS1_3genE4ELNS1_11target_archE910ELNS1_3gpuE8ELNS1_3repE0EEENS1_30default_config_static_selectorELNS0_4arch9wavefront6targetE1EEEvT1_.has_recursion, 0
	.set _ZN7rocprim17ROCPRIM_400000_NS6detail17trampoline_kernelINS0_14default_configENS1_20scan_config_selectorIN3c104HalfEEEZZNS1_9scan_implILNS1_25lookback_scan_determinismE0ELb0ELb0ES3_PKS6_PS6_S6_ZZZN2at6native31launch_logcumsumexp_cuda_kernelERKNSD_10TensorBaseESH_lENKUlvE_clEvENKUlvE3_clEvEUlS6_S6_E_S6_EEDaPvRmT3_T4_T5_mT6_P12ihipStream_tbENKUlT_T0_E_clISt17integral_constantIbLb0EESY_EEDaST_SU_EUlST_E_NS1_11comp_targetILNS1_3genE4ELNS1_11target_archE910ELNS1_3gpuE8ELNS1_3repE0EEENS1_30default_config_static_selectorELNS0_4arch9wavefront6targetE1EEEvT1_.has_indirect_call, 0
	.section	.AMDGPU.csdata,"",@progbits
; Kernel info:
; codeLenInByte = 0
; TotalNumSgprs: 4
; NumVgprs: 0
; ScratchSize: 0
; MemoryBound: 0
; FloatMode: 240
; IeeeMode: 1
; LDSByteSize: 0 bytes/workgroup (compile time only)
; SGPRBlocks: 0
; VGPRBlocks: 0
; NumSGPRsForWavesPerEU: 4
; NumVGPRsForWavesPerEU: 1
; Occupancy: 10
; WaveLimiterHint : 0
; COMPUTE_PGM_RSRC2:SCRATCH_EN: 0
; COMPUTE_PGM_RSRC2:USER_SGPR: 6
; COMPUTE_PGM_RSRC2:TRAP_HANDLER: 0
; COMPUTE_PGM_RSRC2:TGID_X_EN: 1
; COMPUTE_PGM_RSRC2:TGID_Y_EN: 0
; COMPUTE_PGM_RSRC2:TGID_Z_EN: 0
; COMPUTE_PGM_RSRC2:TIDIG_COMP_CNT: 0
	.section	.text._ZN7rocprim17ROCPRIM_400000_NS6detail17trampoline_kernelINS0_14default_configENS1_20scan_config_selectorIN3c104HalfEEEZZNS1_9scan_implILNS1_25lookback_scan_determinismE0ELb0ELb0ES3_PKS6_PS6_S6_ZZZN2at6native31launch_logcumsumexp_cuda_kernelERKNSD_10TensorBaseESH_lENKUlvE_clEvENKUlvE3_clEvEUlS6_S6_E_S6_EEDaPvRmT3_T4_T5_mT6_P12ihipStream_tbENKUlT_T0_E_clISt17integral_constantIbLb0EESY_EEDaST_SU_EUlST_E_NS1_11comp_targetILNS1_3genE3ELNS1_11target_archE908ELNS1_3gpuE7ELNS1_3repE0EEENS1_30default_config_static_selectorELNS0_4arch9wavefront6targetE1EEEvT1_,"axG",@progbits,_ZN7rocprim17ROCPRIM_400000_NS6detail17trampoline_kernelINS0_14default_configENS1_20scan_config_selectorIN3c104HalfEEEZZNS1_9scan_implILNS1_25lookback_scan_determinismE0ELb0ELb0ES3_PKS6_PS6_S6_ZZZN2at6native31launch_logcumsumexp_cuda_kernelERKNSD_10TensorBaseESH_lENKUlvE_clEvENKUlvE3_clEvEUlS6_S6_E_S6_EEDaPvRmT3_T4_T5_mT6_P12ihipStream_tbENKUlT_T0_E_clISt17integral_constantIbLb0EESY_EEDaST_SU_EUlST_E_NS1_11comp_targetILNS1_3genE3ELNS1_11target_archE908ELNS1_3gpuE7ELNS1_3repE0EEENS1_30default_config_static_selectorELNS0_4arch9wavefront6targetE1EEEvT1_,comdat
	.globl	_ZN7rocprim17ROCPRIM_400000_NS6detail17trampoline_kernelINS0_14default_configENS1_20scan_config_selectorIN3c104HalfEEEZZNS1_9scan_implILNS1_25lookback_scan_determinismE0ELb0ELb0ES3_PKS6_PS6_S6_ZZZN2at6native31launch_logcumsumexp_cuda_kernelERKNSD_10TensorBaseESH_lENKUlvE_clEvENKUlvE3_clEvEUlS6_S6_E_S6_EEDaPvRmT3_T4_T5_mT6_P12ihipStream_tbENKUlT_T0_E_clISt17integral_constantIbLb0EESY_EEDaST_SU_EUlST_E_NS1_11comp_targetILNS1_3genE3ELNS1_11target_archE908ELNS1_3gpuE7ELNS1_3repE0EEENS1_30default_config_static_selectorELNS0_4arch9wavefront6targetE1EEEvT1_ ; -- Begin function _ZN7rocprim17ROCPRIM_400000_NS6detail17trampoline_kernelINS0_14default_configENS1_20scan_config_selectorIN3c104HalfEEEZZNS1_9scan_implILNS1_25lookback_scan_determinismE0ELb0ELb0ES3_PKS6_PS6_S6_ZZZN2at6native31launch_logcumsumexp_cuda_kernelERKNSD_10TensorBaseESH_lENKUlvE_clEvENKUlvE3_clEvEUlS6_S6_E_S6_EEDaPvRmT3_T4_T5_mT6_P12ihipStream_tbENKUlT_T0_E_clISt17integral_constantIbLb0EESY_EEDaST_SU_EUlST_E_NS1_11comp_targetILNS1_3genE3ELNS1_11target_archE908ELNS1_3gpuE7ELNS1_3repE0EEENS1_30default_config_static_selectorELNS0_4arch9wavefront6targetE1EEEvT1_
	.p2align	8
	.type	_ZN7rocprim17ROCPRIM_400000_NS6detail17trampoline_kernelINS0_14default_configENS1_20scan_config_selectorIN3c104HalfEEEZZNS1_9scan_implILNS1_25lookback_scan_determinismE0ELb0ELb0ES3_PKS6_PS6_S6_ZZZN2at6native31launch_logcumsumexp_cuda_kernelERKNSD_10TensorBaseESH_lENKUlvE_clEvENKUlvE3_clEvEUlS6_S6_E_S6_EEDaPvRmT3_T4_T5_mT6_P12ihipStream_tbENKUlT_T0_E_clISt17integral_constantIbLb0EESY_EEDaST_SU_EUlST_E_NS1_11comp_targetILNS1_3genE3ELNS1_11target_archE908ELNS1_3gpuE7ELNS1_3repE0EEENS1_30default_config_static_selectorELNS0_4arch9wavefront6targetE1EEEvT1_,@function
_ZN7rocprim17ROCPRIM_400000_NS6detail17trampoline_kernelINS0_14default_configENS1_20scan_config_selectorIN3c104HalfEEEZZNS1_9scan_implILNS1_25lookback_scan_determinismE0ELb0ELb0ES3_PKS6_PS6_S6_ZZZN2at6native31launch_logcumsumexp_cuda_kernelERKNSD_10TensorBaseESH_lENKUlvE_clEvENKUlvE3_clEvEUlS6_S6_E_S6_EEDaPvRmT3_T4_T5_mT6_P12ihipStream_tbENKUlT_T0_E_clISt17integral_constantIbLb0EESY_EEDaST_SU_EUlST_E_NS1_11comp_targetILNS1_3genE3ELNS1_11target_archE908ELNS1_3gpuE7ELNS1_3repE0EEENS1_30default_config_static_selectorELNS0_4arch9wavefront6targetE1EEEvT1_: ; @_ZN7rocprim17ROCPRIM_400000_NS6detail17trampoline_kernelINS0_14default_configENS1_20scan_config_selectorIN3c104HalfEEEZZNS1_9scan_implILNS1_25lookback_scan_determinismE0ELb0ELb0ES3_PKS6_PS6_S6_ZZZN2at6native31launch_logcumsumexp_cuda_kernelERKNSD_10TensorBaseESH_lENKUlvE_clEvENKUlvE3_clEvEUlS6_S6_E_S6_EEDaPvRmT3_T4_T5_mT6_P12ihipStream_tbENKUlT_T0_E_clISt17integral_constantIbLb0EESY_EEDaST_SU_EUlST_E_NS1_11comp_targetILNS1_3genE3ELNS1_11target_archE908ELNS1_3gpuE7ELNS1_3repE0EEENS1_30default_config_static_selectorELNS0_4arch9wavefront6targetE1EEEvT1_
; %bb.0:
	.section	.rodata,"a",@progbits
	.p2align	6, 0x0
	.amdhsa_kernel _ZN7rocprim17ROCPRIM_400000_NS6detail17trampoline_kernelINS0_14default_configENS1_20scan_config_selectorIN3c104HalfEEEZZNS1_9scan_implILNS1_25lookback_scan_determinismE0ELb0ELb0ES3_PKS6_PS6_S6_ZZZN2at6native31launch_logcumsumexp_cuda_kernelERKNSD_10TensorBaseESH_lENKUlvE_clEvENKUlvE3_clEvEUlS6_S6_E_S6_EEDaPvRmT3_T4_T5_mT6_P12ihipStream_tbENKUlT_T0_E_clISt17integral_constantIbLb0EESY_EEDaST_SU_EUlST_E_NS1_11comp_targetILNS1_3genE3ELNS1_11target_archE908ELNS1_3gpuE7ELNS1_3repE0EEENS1_30default_config_static_selectorELNS0_4arch9wavefront6targetE1EEEvT1_
		.amdhsa_group_segment_fixed_size 0
		.amdhsa_private_segment_fixed_size 0
		.amdhsa_kernarg_size 96
		.amdhsa_user_sgpr_count 6
		.amdhsa_user_sgpr_private_segment_buffer 1
		.amdhsa_user_sgpr_dispatch_ptr 0
		.amdhsa_user_sgpr_queue_ptr 0
		.amdhsa_user_sgpr_kernarg_segment_ptr 1
		.amdhsa_user_sgpr_dispatch_id 0
		.amdhsa_user_sgpr_flat_scratch_init 0
		.amdhsa_user_sgpr_private_segment_size 0
		.amdhsa_uses_dynamic_stack 0
		.amdhsa_system_sgpr_private_segment_wavefront_offset 0
		.amdhsa_system_sgpr_workgroup_id_x 1
		.amdhsa_system_sgpr_workgroup_id_y 0
		.amdhsa_system_sgpr_workgroup_id_z 0
		.amdhsa_system_sgpr_workgroup_info 0
		.amdhsa_system_vgpr_workitem_id 0
		.amdhsa_next_free_vgpr 1
		.amdhsa_next_free_sgpr 0
		.amdhsa_reserve_vcc 0
		.amdhsa_reserve_flat_scratch 0
		.amdhsa_float_round_mode_32 0
		.amdhsa_float_round_mode_16_64 0
		.amdhsa_float_denorm_mode_32 3
		.amdhsa_float_denorm_mode_16_64 3
		.amdhsa_dx10_clamp 1
		.amdhsa_ieee_mode 1
		.amdhsa_fp16_overflow 0
		.amdhsa_exception_fp_ieee_invalid_op 0
		.amdhsa_exception_fp_denorm_src 0
		.amdhsa_exception_fp_ieee_div_zero 0
		.amdhsa_exception_fp_ieee_overflow 0
		.amdhsa_exception_fp_ieee_underflow 0
		.amdhsa_exception_fp_ieee_inexact 0
		.amdhsa_exception_int_div_zero 0
	.end_amdhsa_kernel
	.section	.text._ZN7rocprim17ROCPRIM_400000_NS6detail17trampoline_kernelINS0_14default_configENS1_20scan_config_selectorIN3c104HalfEEEZZNS1_9scan_implILNS1_25lookback_scan_determinismE0ELb0ELb0ES3_PKS6_PS6_S6_ZZZN2at6native31launch_logcumsumexp_cuda_kernelERKNSD_10TensorBaseESH_lENKUlvE_clEvENKUlvE3_clEvEUlS6_S6_E_S6_EEDaPvRmT3_T4_T5_mT6_P12ihipStream_tbENKUlT_T0_E_clISt17integral_constantIbLb0EESY_EEDaST_SU_EUlST_E_NS1_11comp_targetILNS1_3genE3ELNS1_11target_archE908ELNS1_3gpuE7ELNS1_3repE0EEENS1_30default_config_static_selectorELNS0_4arch9wavefront6targetE1EEEvT1_,"axG",@progbits,_ZN7rocprim17ROCPRIM_400000_NS6detail17trampoline_kernelINS0_14default_configENS1_20scan_config_selectorIN3c104HalfEEEZZNS1_9scan_implILNS1_25lookback_scan_determinismE0ELb0ELb0ES3_PKS6_PS6_S6_ZZZN2at6native31launch_logcumsumexp_cuda_kernelERKNSD_10TensorBaseESH_lENKUlvE_clEvENKUlvE3_clEvEUlS6_S6_E_S6_EEDaPvRmT3_T4_T5_mT6_P12ihipStream_tbENKUlT_T0_E_clISt17integral_constantIbLb0EESY_EEDaST_SU_EUlST_E_NS1_11comp_targetILNS1_3genE3ELNS1_11target_archE908ELNS1_3gpuE7ELNS1_3repE0EEENS1_30default_config_static_selectorELNS0_4arch9wavefront6targetE1EEEvT1_,comdat
.Lfunc_end354:
	.size	_ZN7rocprim17ROCPRIM_400000_NS6detail17trampoline_kernelINS0_14default_configENS1_20scan_config_selectorIN3c104HalfEEEZZNS1_9scan_implILNS1_25lookback_scan_determinismE0ELb0ELb0ES3_PKS6_PS6_S6_ZZZN2at6native31launch_logcumsumexp_cuda_kernelERKNSD_10TensorBaseESH_lENKUlvE_clEvENKUlvE3_clEvEUlS6_S6_E_S6_EEDaPvRmT3_T4_T5_mT6_P12ihipStream_tbENKUlT_T0_E_clISt17integral_constantIbLb0EESY_EEDaST_SU_EUlST_E_NS1_11comp_targetILNS1_3genE3ELNS1_11target_archE908ELNS1_3gpuE7ELNS1_3repE0EEENS1_30default_config_static_selectorELNS0_4arch9wavefront6targetE1EEEvT1_, .Lfunc_end354-_ZN7rocprim17ROCPRIM_400000_NS6detail17trampoline_kernelINS0_14default_configENS1_20scan_config_selectorIN3c104HalfEEEZZNS1_9scan_implILNS1_25lookback_scan_determinismE0ELb0ELb0ES3_PKS6_PS6_S6_ZZZN2at6native31launch_logcumsumexp_cuda_kernelERKNSD_10TensorBaseESH_lENKUlvE_clEvENKUlvE3_clEvEUlS6_S6_E_S6_EEDaPvRmT3_T4_T5_mT6_P12ihipStream_tbENKUlT_T0_E_clISt17integral_constantIbLb0EESY_EEDaST_SU_EUlST_E_NS1_11comp_targetILNS1_3genE3ELNS1_11target_archE908ELNS1_3gpuE7ELNS1_3repE0EEENS1_30default_config_static_selectorELNS0_4arch9wavefront6targetE1EEEvT1_
                                        ; -- End function
	.set _ZN7rocprim17ROCPRIM_400000_NS6detail17trampoline_kernelINS0_14default_configENS1_20scan_config_selectorIN3c104HalfEEEZZNS1_9scan_implILNS1_25lookback_scan_determinismE0ELb0ELb0ES3_PKS6_PS6_S6_ZZZN2at6native31launch_logcumsumexp_cuda_kernelERKNSD_10TensorBaseESH_lENKUlvE_clEvENKUlvE3_clEvEUlS6_S6_E_S6_EEDaPvRmT3_T4_T5_mT6_P12ihipStream_tbENKUlT_T0_E_clISt17integral_constantIbLb0EESY_EEDaST_SU_EUlST_E_NS1_11comp_targetILNS1_3genE3ELNS1_11target_archE908ELNS1_3gpuE7ELNS1_3repE0EEENS1_30default_config_static_selectorELNS0_4arch9wavefront6targetE1EEEvT1_.num_vgpr, 0
	.set _ZN7rocprim17ROCPRIM_400000_NS6detail17trampoline_kernelINS0_14default_configENS1_20scan_config_selectorIN3c104HalfEEEZZNS1_9scan_implILNS1_25lookback_scan_determinismE0ELb0ELb0ES3_PKS6_PS6_S6_ZZZN2at6native31launch_logcumsumexp_cuda_kernelERKNSD_10TensorBaseESH_lENKUlvE_clEvENKUlvE3_clEvEUlS6_S6_E_S6_EEDaPvRmT3_T4_T5_mT6_P12ihipStream_tbENKUlT_T0_E_clISt17integral_constantIbLb0EESY_EEDaST_SU_EUlST_E_NS1_11comp_targetILNS1_3genE3ELNS1_11target_archE908ELNS1_3gpuE7ELNS1_3repE0EEENS1_30default_config_static_selectorELNS0_4arch9wavefront6targetE1EEEvT1_.num_agpr, 0
	.set _ZN7rocprim17ROCPRIM_400000_NS6detail17trampoline_kernelINS0_14default_configENS1_20scan_config_selectorIN3c104HalfEEEZZNS1_9scan_implILNS1_25lookback_scan_determinismE0ELb0ELb0ES3_PKS6_PS6_S6_ZZZN2at6native31launch_logcumsumexp_cuda_kernelERKNSD_10TensorBaseESH_lENKUlvE_clEvENKUlvE3_clEvEUlS6_S6_E_S6_EEDaPvRmT3_T4_T5_mT6_P12ihipStream_tbENKUlT_T0_E_clISt17integral_constantIbLb0EESY_EEDaST_SU_EUlST_E_NS1_11comp_targetILNS1_3genE3ELNS1_11target_archE908ELNS1_3gpuE7ELNS1_3repE0EEENS1_30default_config_static_selectorELNS0_4arch9wavefront6targetE1EEEvT1_.numbered_sgpr, 0
	.set _ZN7rocprim17ROCPRIM_400000_NS6detail17trampoline_kernelINS0_14default_configENS1_20scan_config_selectorIN3c104HalfEEEZZNS1_9scan_implILNS1_25lookback_scan_determinismE0ELb0ELb0ES3_PKS6_PS6_S6_ZZZN2at6native31launch_logcumsumexp_cuda_kernelERKNSD_10TensorBaseESH_lENKUlvE_clEvENKUlvE3_clEvEUlS6_S6_E_S6_EEDaPvRmT3_T4_T5_mT6_P12ihipStream_tbENKUlT_T0_E_clISt17integral_constantIbLb0EESY_EEDaST_SU_EUlST_E_NS1_11comp_targetILNS1_3genE3ELNS1_11target_archE908ELNS1_3gpuE7ELNS1_3repE0EEENS1_30default_config_static_selectorELNS0_4arch9wavefront6targetE1EEEvT1_.num_named_barrier, 0
	.set _ZN7rocprim17ROCPRIM_400000_NS6detail17trampoline_kernelINS0_14default_configENS1_20scan_config_selectorIN3c104HalfEEEZZNS1_9scan_implILNS1_25lookback_scan_determinismE0ELb0ELb0ES3_PKS6_PS6_S6_ZZZN2at6native31launch_logcumsumexp_cuda_kernelERKNSD_10TensorBaseESH_lENKUlvE_clEvENKUlvE3_clEvEUlS6_S6_E_S6_EEDaPvRmT3_T4_T5_mT6_P12ihipStream_tbENKUlT_T0_E_clISt17integral_constantIbLb0EESY_EEDaST_SU_EUlST_E_NS1_11comp_targetILNS1_3genE3ELNS1_11target_archE908ELNS1_3gpuE7ELNS1_3repE0EEENS1_30default_config_static_selectorELNS0_4arch9wavefront6targetE1EEEvT1_.private_seg_size, 0
	.set _ZN7rocprim17ROCPRIM_400000_NS6detail17trampoline_kernelINS0_14default_configENS1_20scan_config_selectorIN3c104HalfEEEZZNS1_9scan_implILNS1_25lookback_scan_determinismE0ELb0ELb0ES3_PKS6_PS6_S6_ZZZN2at6native31launch_logcumsumexp_cuda_kernelERKNSD_10TensorBaseESH_lENKUlvE_clEvENKUlvE3_clEvEUlS6_S6_E_S6_EEDaPvRmT3_T4_T5_mT6_P12ihipStream_tbENKUlT_T0_E_clISt17integral_constantIbLb0EESY_EEDaST_SU_EUlST_E_NS1_11comp_targetILNS1_3genE3ELNS1_11target_archE908ELNS1_3gpuE7ELNS1_3repE0EEENS1_30default_config_static_selectorELNS0_4arch9wavefront6targetE1EEEvT1_.uses_vcc, 0
	.set _ZN7rocprim17ROCPRIM_400000_NS6detail17trampoline_kernelINS0_14default_configENS1_20scan_config_selectorIN3c104HalfEEEZZNS1_9scan_implILNS1_25lookback_scan_determinismE0ELb0ELb0ES3_PKS6_PS6_S6_ZZZN2at6native31launch_logcumsumexp_cuda_kernelERKNSD_10TensorBaseESH_lENKUlvE_clEvENKUlvE3_clEvEUlS6_S6_E_S6_EEDaPvRmT3_T4_T5_mT6_P12ihipStream_tbENKUlT_T0_E_clISt17integral_constantIbLb0EESY_EEDaST_SU_EUlST_E_NS1_11comp_targetILNS1_3genE3ELNS1_11target_archE908ELNS1_3gpuE7ELNS1_3repE0EEENS1_30default_config_static_selectorELNS0_4arch9wavefront6targetE1EEEvT1_.uses_flat_scratch, 0
	.set _ZN7rocprim17ROCPRIM_400000_NS6detail17trampoline_kernelINS0_14default_configENS1_20scan_config_selectorIN3c104HalfEEEZZNS1_9scan_implILNS1_25lookback_scan_determinismE0ELb0ELb0ES3_PKS6_PS6_S6_ZZZN2at6native31launch_logcumsumexp_cuda_kernelERKNSD_10TensorBaseESH_lENKUlvE_clEvENKUlvE3_clEvEUlS6_S6_E_S6_EEDaPvRmT3_T4_T5_mT6_P12ihipStream_tbENKUlT_T0_E_clISt17integral_constantIbLb0EESY_EEDaST_SU_EUlST_E_NS1_11comp_targetILNS1_3genE3ELNS1_11target_archE908ELNS1_3gpuE7ELNS1_3repE0EEENS1_30default_config_static_selectorELNS0_4arch9wavefront6targetE1EEEvT1_.has_dyn_sized_stack, 0
	.set _ZN7rocprim17ROCPRIM_400000_NS6detail17trampoline_kernelINS0_14default_configENS1_20scan_config_selectorIN3c104HalfEEEZZNS1_9scan_implILNS1_25lookback_scan_determinismE0ELb0ELb0ES3_PKS6_PS6_S6_ZZZN2at6native31launch_logcumsumexp_cuda_kernelERKNSD_10TensorBaseESH_lENKUlvE_clEvENKUlvE3_clEvEUlS6_S6_E_S6_EEDaPvRmT3_T4_T5_mT6_P12ihipStream_tbENKUlT_T0_E_clISt17integral_constantIbLb0EESY_EEDaST_SU_EUlST_E_NS1_11comp_targetILNS1_3genE3ELNS1_11target_archE908ELNS1_3gpuE7ELNS1_3repE0EEENS1_30default_config_static_selectorELNS0_4arch9wavefront6targetE1EEEvT1_.has_recursion, 0
	.set _ZN7rocprim17ROCPRIM_400000_NS6detail17trampoline_kernelINS0_14default_configENS1_20scan_config_selectorIN3c104HalfEEEZZNS1_9scan_implILNS1_25lookback_scan_determinismE0ELb0ELb0ES3_PKS6_PS6_S6_ZZZN2at6native31launch_logcumsumexp_cuda_kernelERKNSD_10TensorBaseESH_lENKUlvE_clEvENKUlvE3_clEvEUlS6_S6_E_S6_EEDaPvRmT3_T4_T5_mT6_P12ihipStream_tbENKUlT_T0_E_clISt17integral_constantIbLb0EESY_EEDaST_SU_EUlST_E_NS1_11comp_targetILNS1_3genE3ELNS1_11target_archE908ELNS1_3gpuE7ELNS1_3repE0EEENS1_30default_config_static_selectorELNS0_4arch9wavefront6targetE1EEEvT1_.has_indirect_call, 0
	.section	.AMDGPU.csdata,"",@progbits
; Kernel info:
; codeLenInByte = 0
; TotalNumSgprs: 4
; NumVgprs: 0
; ScratchSize: 0
; MemoryBound: 0
; FloatMode: 240
; IeeeMode: 1
; LDSByteSize: 0 bytes/workgroup (compile time only)
; SGPRBlocks: 0
; VGPRBlocks: 0
; NumSGPRsForWavesPerEU: 4
; NumVGPRsForWavesPerEU: 1
; Occupancy: 10
; WaveLimiterHint : 0
; COMPUTE_PGM_RSRC2:SCRATCH_EN: 0
; COMPUTE_PGM_RSRC2:USER_SGPR: 6
; COMPUTE_PGM_RSRC2:TRAP_HANDLER: 0
; COMPUTE_PGM_RSRC2:TGID_X_EN: 1
; COMPUTE_PGM_RSRC2:TGID_Y_EN: 0
; COMPUTE_PGM_RSRC2:TGID_Z_EN: 0
; COMPUTE_PGM_RSRC2:TIDIG_COMP_CNT: 0
	.section	.text._ZN7rocprim17ROCPRIM_400000_NS6detail17trampoline_kernelINS0_14default_configENS1_20scan_config_selectorIN3c104HalfEEEZZNS1_9scan_implILNS1_25lookback_scan_determinismE0ELb0ELb0ES3_PKS6_PS6_S6_ZZZN2at6native31launch_logcumsumexp_cuda_kernelERKNSD_10TensorBaseESH_lENKUlvE_clEvENKUlvE3_clEvEUlS6_S6_E_S6_EEDaPvRmT3_T4_T5_mT6_P12ihipStream_tbENKUlT_T0_E_clISt17integral_constantIbLb0EESY_EEDaST_SU_EUlST_E_NS1_11comp_targetILNS1_3genE2ELNS1_11target_archE906ELNS1_3gpuE6ELNS1_3repE0EEENS1_30default_config_static_selectorELNS0_4arch9wavefront6targetE1EEEvT1_,"axG",@progbits,_ZN7rocprim17ROCPRIM_400000_NS6detail17trampoline_kernelINS0_14default_configENS1_20scan_config_selectorIN3c104HalfEEEZZNS1_9scan_implILNS1_25lookback_scan_determinismE0ELb0ELb0ES3_PKS6_PS6_S6_ZZZN2at6native31launch_logcumsumexp_cuda_kernelERKNSD_10TensorBaseESH_lENKUlvE_clEvENKUlvE3_clEvEUlS6_S6_E_S6_EEDaPvRmT3_T4_T5_mT6_P12ihipStream_tbENKUlT_T0_E_clISt17integral_constantIbLb0EESY_EEDaST_SU_EUlST_E_NS1_11comp_targetILNS1_3genE2ELNS1_11target_archE906ELNS1_3gpuE6ELNS1_3repE0EEENS1_30default_config_static_selectorELNS0_4arch9wavefront6targetE1EEEvT1_,comdat
	.globl	_ZN7rocprim17ROCPRIM_400000_NS6detail17trampoline_kernelINS0_14default_configENS1_20scan_config_selectorIN3c104HalfEEEZZNS1_9scan_implILNS1_25lookback_scan_determinismE0ELb0ELb0ES3_PKS6_PS6_S6_ZZZN2at6native31launch_logcumsumexp_cuda_kernelERKNSD_10TensorBaseESH_lENKUlvE_clEvENKUlvE3_clEvEUlS6_S6_E_S6_EEDaPvRmT3_T4_T5_mT6_P12ihipStream_tbENKUlT_T0_E_clISt17integral_constantIbLb0EESY_EEDaST_SU_EUlST_E_NS1_11comp_targetILNS1_3genE2ELNS1_11target_archE906ELNS1_3gpuE6ELNS1_3repE0EEENS1_30default_config_static_selectorELNS0_4arch9wavefront6targetE1EEEvT1_ ; -- Begin function _ZN7rocprim17ROCPRIM_400000_NS6detail17trampoline_kernelINS0_14default_configENS1_20scan_config_selectorIN3c104HalfEEEZZNS1_9scan_implILNS1_25lookback_scan_determinismE0ELb0ELb0ES3_PKS6_PS6_S6_ZZZN2at6native31launch_logcumsumexp_cuda_kernelERKNSD_10TensorBaseESH_lENKUlvE_clEvENKUlvE3_clEvEUlS6_S6_E_S6_EEDaPvRmT3_T4_T5_mT6_P12ihipStream_tbENKUlT_T0_E_clISt17integral_constantIbLb0EESY_EEDaST_SU_EUlST_E_NS1_11comp_targetILNS1_3genE2ELNS1_11target_archE906ELNS1_3gpuE6ELNS1_3repE0EEENS1_30default_config_static_selectorELNS0_4arch9wavefront6targetE1EEEvT1_
	.p2align	8
	.type	_ZN7rocprim17ROCPRIM_400000_NS6detail17trampoline_kernelINS0_14default_configENS1_20scan_config_selectorIN3c104HalfEEEZZNS1_9scan_implILNS1_25lookback_scan_determinismE0ELb0ELb0ES3_PKS6_PS6_S6_ZZZN2at6native31launch_logcumsumexp_cuda_kernelERKNSD_10TensorBaseESH_lENKUlvE_clEvENKUlvE3_clEvEUlS6_S6_E_S6_EEDaPvRmT3_T4_T5_mT6_P12ihipStream_tbENKUlT_T0_E_clISt17integral_constantIbLb0EESY_EEDaST_SU_EUlST_E_NS1_11comp_targetILNS1_3genE2ELNS1_11target_archE906ELNS1_3gpuE6ELNS1_3repE0EEENS1_30default_config_static_selectorELNS0_4arch9wavefront6targetE1EEEvT1_,@function
_ZN7rocprim17ROCPRIM_400000_NS6detail17trampoline_kernelINS0_14default_configENS1_20scan_config_selectorIN3c104HalfEEEZZNS1_9scan_implILNS1_25lookback_scan_determinismE0ELb0ELb0ES3_PKS6_PS6_S6_ZZZN2at6native31launch_logcumsumexp_cuda_kernelERKNSD_10TensorBaseESH_lENKUlvE_clEvENKUlvE3_clEvEUlS6_S6_E_S6_EEDaPvRmT3_T4_T5_mT6_P12ihipStream_tbENKUlT_T0_E_clISt17integral_constantIbLb0EESY_EEDaST_SU_EUlST_E_NS1_11comp_targetILNS1_3genE2ELNS1_11target_archE906ELNS1_3gpuE6ELNS1_3repE0EEENS1_30default_config_static_selectorELNS0_4arch9wavefront6targetE1EEEvT1_: ; @_ZN7rocprim17ROCPRIM_400000_NS6detail17trampoline_kernelINS0_14default_configENS1_20scan_config_selectorIN3c104HalfEEEZZNS1_9scan_implILNS1_25lookback_scan_determinismE0ELb0ELb0ES3_PKS6_PS6_S6_ZZZN2at6native31launch_logcumsumexp_cuda_kernelERKNSD_10TensorBaseESH_lENKUlvE_clEvENKUlvE3_clEvEUlS6_S6_E_S6_EEDaPvRmT3_T4_T5_mT6_P12ihipStream_tbENKUlT_T0_E_clISt17integral_constantIbLb0EESY_EEDaST_SU_EUlST_E_NS1_11comp_targetILNS1_3genE2ELNS1_11target_archE906ELNS1_3gpuE6ELNS1_3repE0EEENS1_30default_config_static_selectorELNS0_4arch9wavefront6targetE1EEEvT1_
; %bb.0:
	s_load_dwordx8 s[60:67], s[4:5], 0x0
	s_load_dword s1, s[4:5], 0x30
	s_mul_i32 s0, s6, 0x1800
	v_lshlrev_b32_e32 v19, 1, v0
	s_waitcnt lgkmcnt(0)
	s_lshl_b64 s[68:69], s[62:63], 1
	s_add_u32 s2, s60, s68
	s_addc_u32 s3, s61, s69
	s_add_i32 s7, s1, -1
	s_mul_i32 s8, s7, 0x1800
	s_sub_u32 s33, s66, s8
	s_subb_u32 s76, s67, 0
	s_mov_b32 s1, 0
	s_cmp_lg_u32 s6, s7
	s_cselect_b64 s[66:67], -1, 0
	s_lshl_b64 s[70:71], s[0:1], 1
	s_add_u32 s2, s2, s70
	s_addc_u32 s3, s3, s71
	s_mov_b64 s[0:1], -1
	s_and_b64 vcc, exec, s[66:67]
	s_cbranch_vccz .LBB355_2
; %bb.1:
	v_mov_b32_e32 v1, s3
	v_add_co_u32_e32 v3, vcc, s2, v19
	v_addc_co_u32_e32 v4, vcc, 0, v1, vcc
	v_add_co_u32_e32 v1, vcc, 0x1000, v3
	v_addc_co_u32_e32 v2, vcc, 0, v4, vcc
	global_load_ushort v5, v19, s[2:3]
	global_load_ushort v6, v19, s[2:3] offset:512
	global_load_ushort v7, v19, s[2:3] offset:1024
	;; [unrolled: 1-line block ×7, first 2 shown]
	global_load_ushort v13, v[1:2], off
	global_load_ushort v14, v[1:2], off offset:512
	global_load_ushort v15, v[1:2], off offset:1024
	;; [unrolled: 1-line block ×7, first 2 shown]
	v_add_co_u32_e32 v1, vcc, 0x2000, v3
	v_addc_co_u32_e32 v2, vcc, 0, v4, vcc
	global_load_ushort v3, v[1:2], off
	global_load_ushort v4, v[1:2], off offset:512
	global_load_ushort v22, v[1:2], off offset:1024
	global_load_ushort v23, v[1:2], off offset:1536
	global_load_ushort v24, v[1:2], off offset:2048
	global_load_ushort v25, v[1:2], off offset:2560
	global_load_ushort v26, v[1:2], off offset:3072
	global_load_ushort v27, v[1:2], off offset:3584
	s_mov_b64 s[0:1], 0
	s_waitcnt vmcnt(23)
	ds_write_b16 v19, v5
	s_waitcnt vmcnt(22)
	ds_write_b16 v19, v6 offset:512
	s_waitcnt vmcnt(21)
	ds_write_b16 v19, v7 offset:1024
	;; [unrolled: 2-line block ×23, first 2 shown]
	s_waitcnt lgkmcnt(0)
	s_barrier
.LBB355_2:
	s_load_dwordx2 s[72:73], s[4:5], 0x28
	s_andn2_b64 vcc, exec, s[0:1]
	v_cmp_gt_u32_e64 s[0:1], s33, v0
	s_cbranch_vccnz .LBB355_52
; %bb.3:
	v_mov_b32_e32 v1, 0
	global_load_ushort v1, v1, s[2:3]
	s_waitcnt vmcnt(0)
	v_mov_b32_e32 v2, v1
	s_and_saveexec_b64 s[8:9], s[0:1]
	s_cbranch_execz .LBB355_5
; %bb.4:
	global_load_ushort v2, v19, s[2:3]
.LBB355_5:
	s_or_b64 exec, exec, s[8:9]
	v_or_b32_e32 v3, 0x100, v0
	v_cmp_gt_u32_e32 vcc, s33, v3
	v_mov_b32_e32 v3, v1
	s_and_saveexec_b64 s[0:1], vcc
	s_cbranch_execz .LBB355_7
; %bb.6:
	global_load_ushort v3, v19, s[2:3] offset:512
.LBB355_7:
	s_or_b64 exec, exec, s[0:1]
	v_or_b32_e32 v4, 0x200, v0
	v_cmp_gt_u32_e32 vcc, s33, v4
	v_mov_b32_e32 v4, v1
	s_and_saveexec_b64 s[0:1], vcc
	s_cbranch_execz .LBB355_9
; %bb.8:
	global_load_ushort v4, v19, s[2:3] offset:1024
.LBB355_9:
	;; [unrolled: 9-line block ×7, first 2 shown]
	s_or_b64 exec, exec, s[0:1]
	v_or_b32_e32 v11, 0x800, v0
	v_cmp_gt_u32_e32 vcc, s33, v11
	v_mov_b32_e32 v10, v1
	s_and_saveexec_b64 s[0:1], vcc
	s_cbranch_execz .LBB355_21
; %bb.20:
	v_lshlrev_b32_e32 v10, 1, v11
	global_load_ushort v10, v10, s[2:3]
.LBB355_21:
	s_or_b64 exec, exec, s[0:1]
	v_or_b32_e32 v12, 0x900, v0
	v_cmp_gt_u32_e32 vcc, s33, v12
	v_mov_b32_e32 v11, v1
	s_and_saveexec_b64 s[0:1], vcc
	s_cbranch_execz .LBB355_23
; %bb.22:
	v_lshlrev_b32_e32 v11, 1, v12
	global_load_ushort v11, v11, s[2:3]
.LBB355_23:
	;; [unrolled: 10-line block ×15, first 2 shown]
	s_or_b64 exec, exec, s[0:1]
	v_or_b32_e32 v26, 0x1700, v0
	v_cmp_gt_u32_e32 vcc, s33, v26
	s_and_saveexec_b64 s[0:1], vcc
	s_cbranch_execz .LBB355_51
; %bb.50:
	v_lshlrev_b32_e32 v1, 1, v26
	global_load_ushort v1, v1, s[2:3]
.LBB355_51:
	s_or_b64 exec, exec, s[0:1]
	s_waitcnt vmcnt(0)
	ds_write_b16 v19, v2
	ds_write_b16 v19, v3 offset:512
	ds_write_b16 v19, v4 offset:1024
	;; [unrolled: 1-line block ×23, first 2 shown]
	s_waitcnt lgkmcnt(0)
	s_barrier
.LBB355_52:
	v_mul_u32_u24_e32 v20, 48, v0
	s_waitcnt lgkmcnt(0)
	ds_read_b128 v[9:12], v20
	ds_read_b128 v[5:8], v20 offset:16
	ds_read_b128 v[1:4], v20 offset:32
	s_cmp_lg_u32 s6, 0
	s_waitcnt lgkmcnt(0)
	v_cvt_f32_f16_sdwa v21, v9 dst_sel:DWORD dst_unused:UNUSED_PAD src0_sel:WORD_1
	v_cmp_u_f16_sdwa s[0:1], v9, v9 src0_sel:WORD_1 src1_sel:WORD_1
	s_barrier
	s_cbranch_scc0 .LBB355_206
; %bb.53:
	v_cvt_f32_f16_e32 v44, v9
	v_cmp_u_f16_e64 s[50:51], v9, v9
	s_movk_i32 s7, 0x1f8
	v_mov_b32_e32 v45, v9
	v_min_f32_e32 v13, v44, v21
	v_max_f32_e32 v14, v44, v21
	v_cndmask_b32_e64 v13, v13, v44, s[50:51]
	v_cndmask_b32_e64 v14, v14, v44, s[50:51]
	;; [unrolled: 1-line block ×4, first 2 shown]
	v_cmp_neq_f32_e32 vcc, v16, v15
	v_cmp_class_f32_e64 s[2:3], v16, s7
	s_or_b64 s[8:9], vcc, s[2:3]
	v_mov_b32_e32 v14, v44
	v_mov_b32_e32 v13, v9
	s_and_saveexec_b64 s[2:3], s[8:9]
	s_cbranch_execz .LBB355_55
; %bb.54:
	v_sub_f32_e32 v13, v16, v15
	s_mov_b32 s8, 0x3fb8aa3b
	v_mul_f32_e32 v14, 0x3fb8aa3b, v13
	v_fma_f32 v16, v13, s8, -v14
	v_rndne_f32_e32 v17, v14
	v_fmac_f32_e32 v16, 0x32a5705f, v13
	v_sub_f32_e32 v14, v14, v17
	v_add_f32_e32 v14, v14, v16
	v_exp_f32_e32 v14, v14
	v_cvt_i32_f32_e32 v16, v17
	s_mov_b32 s8, 0xc2ce8ed0
	v_cmp_ngt_f32_e32 vcc, s8, v13
	s_mov_b32 s8, 0x42b17218
	v_ldexp_f32 v14, v14, v16
	v_cndmask_b32_e32 v14, 0, v14, vcc
	v_mov_b32_e32 v16, 0x7f800000
	v_cmp_nlt_f32_e32 vcc, s8, v13
	v_cndmask_b32_e32 v17, v16, v14, vcc
	v_add_f32_e32 v18, 1.0, v17
	v_cvt_f64_f32_e32 v[13:14], v18
	v_add_f32_e32 v22, -1.0, v18
	v_sub_f32_e32 v23, v22, v18
	v_sub_f32_e32 v22, v17, v22
	v_frexp_exp_i32_f64_e32 v13, v[13:14]
	v_add_f32_e32 v14, 1.0, v23
	v_add_f32_e32 v14, v22, v14
	v_frexp_mant_f32_e32 v22, v18
	s_mov_b32 s9, 0x3f2aaaab
	v_cmp_gt_f32_e32 vcc, s9, v22
	s_mov_b32 s9, 0x3f317218
	s_mov_b32 s8, 0x7f800000
	v_subbrev_co_u32_e32 v13, vcc, 0, v13, vcc
	v_sub_u32_e32 v22, 0, v13
	v_ldexp_f32 v18, v18, v22
	v_ldexp_f32 v14, v14, v22
	v_add_f32_e32 v22, -1.0, v18
	v_add_f32_e32 v25, 1.0, v18
	v_add_f32_e32 v23, 1.0, v22
	v_add_f32_e32 v26, -1.0, v25
	v_sub_f32_e32 v23, v18, v23
	v_sub_f32_e32 v18, v18, v26
	v_add_f32_e32 v23, v14, v23
	v_add_f32_e32 v14, v14, v18
	;; [unrolled: 1-line block ×3, first 2 shown]
	v_rcp_f32_e32 v26, v18
	v_add_f32_e32 v24, v22, v23
	v_sub_f32_e32 v22, v22, v24
	v_add_f32_e32 v22, v23, v22
	v_sub_f32_e32 v23, v25, v18
	v_add_f32_e32 v14, v14, v23
	v_mul_f32_e32 v23, v24, v26
	v_mul_f32_e32 v25, v18, v23
	v_fma_f32 v27, v23, v18, -v25
	v_fmac_f32_e32 v27, v23, v14
	v_add_f32_e32 v28, v25, v27
	v_sub_f32_e32 v29, v24, v28
	v_sub_f32_e32 v24, v24, v29
	;; [unrolled: 1-line block ×4, first 2 shown]
	v_add_f32_e32 v22, v22, v24
	v_sub_f32_e32 v24, v25, v27
	v_add_f32_e32 v22, v24, v22
	v_add_f32_e32 v24, v29, v22
	v_mul_f32_e32 v25, v26, v24
	v_mul_f32_e32 v27, v18, v25
	v_fma_f32 v18, v25, v18, -v27
	v_fmac_f32_e32 v18, v25, v14
	v_sub_f32_e32 v14, v29, v24
	v_add_f32_e32 v14, v22, v14
	v_add_f32_e32 v22, v27, v18
	v_sub_f32_e32 v28, v24, v22
	v_sub_f32_e32 v24, v24, v28
	;; [unrolled: 1-line block ×4, first 2 shown]
	v_add_f32_e32 v14, v14, v22
	v_sub_f32_e32 v18, v27, v18
	v_add_f32_e32 v14, v18, v14
	v_add_f32_e32 v18, v23, v25
	;; [unrolled: 1-line block ×3, first 2 shown]
	v_sub_f32_e32 v22, v18, v23
	v_mul_f32_e32 v14, v26, v14
	v_sub_f32_e32 v22, v25, v22
	v_add_f32_e32 v14, v22, v14
	v_cvt_f32_i32_e32 v13, v13
	v_add_f32_e32 v22, v18, v14
	v_mul_f32_e32 v23, v22, v22
	v_mov_b32_e32 v24, 0x3ecc95a3
	v_fmac_f32_e32 v24, 0x3e9b6dac, v23
	v_mov_b32_e32 v25, 0x3f2aaada
	v_fmac_f32_e32 v25, v23, v24
	v_mul_f32_e32 v24, 0x3f317218, v13
	v_fma_f32 v26, v13, s9, -v24
	v_fmac_f32_e32 v26, 0xb102e308, v13
	v_sub_f32_e32 v13, v22, v18
	v_sub_f32_e32 v13, v14, v13
	v_add_f32_e32 v14, v24, v26
	v_sub_f32_e32 v18, v14, v24
	v_ldexp_f32 v24, v22, 1
	v_mul_f32_e32 v22, v22, v23
	v_mul_f32_e32 v22, v22, v25
	v_add_f32_e32 v23, v24, v22
	v_sub_f32_e32 v24, v23, v24
	v_ldexp_f32 v13, v13, 1
	v_sub_f32_e32 v22, v22, v24
	v_add_f32_e32 v13, v13, v22
	v_add_f32_e32 v22, v23, v13
	v_sub_f32_e32 v23, v22, v23
	v_sub_f32_e32 v13, v13, v23
	v_add_f32_e32 v23, v14, v22
	v_sub_f32_e32 v24, v23, v14
	v_sub_f32_e32 v25, v23, v24
	v_sub_f32_e32 v18, v26, v18
	v_sub_f32_e32 v14, v14, v25
	v_sub_f32_e32 v22, v22, v24
	v_add_f32_e32 v14, v22, v14
	v_add_f32_e32 v22, v18, v13
	v_sub_f32_e32 v24, v22, v18
	v_sub_f32_e32 v25, v22, v24
	;; [unrolled: 1-line block ×4, first 2 shown]
	v_add_f32_e32 v14, v22, v14
	v_add_f32_e32 v13, v13, v18
	;; [unrolled: 1-line block ×3, first 2 shown]
	v_sub_f32_e32 v22, v18, v23
	v_sub_f32_e32 v14, v14, v22
	v_add_f32_e32 v13, v13, v14
	v_add_f32_e32 v13, v18, v13
	v_cmp_neq_f32_e32 vcc, s8, v17
	s_mov_b32 s8, 0x33800000
	v_cndmask_b32_e32 v13, v16, v13, vcc
	v_cmp_lt_f32_e64 vcc, |v17|, s8
	v_cndmask_b32_e32 v13, v13, v17, vcc
	v_add_f32_e32 v13, v15, v13
	v_cvt_f16_f32_e32 v13, v13
	v_cvt_f32_f16_e32 v14, v13
	v_mov_b32_e32 v45, v13
.LBB355_55:
	s_or_b64 exec, exec, s[2:3]
	v_cvt_f32_f16_e32 v22, v10
	v_max_f32_e32 v15, v14, v14
	v_cmp_u_f16_e32 vcc, v13, v13
	v_cmp_u_f16_e64 s[2:3], v10, v10
	v_min_f32_e32 v16, v15, v22
	v_max_f32_e32 v15, v15, v22
	v_cndmask_b32_e32 v16, v16, v14, vcc
	v_cndmask_b32_e32 v15, v15, v14, vcc
	v_cndmask_b32_e64 v16, v16, v22, s[2:3]
	v_cndmask_b32_e64 v15, v15, v22, s[2:3]
	v_cmp_neq_f32_e32 vcc, v16, v15
	v_cmp_class_f32_e64 s[8:9], v16, s7
	s_or_b64 s[10:11], vcc, s[8:9]
	s_and_saveexec_b64 s[8:9], s[10:11]
	s_cbranch_execz .LBB355_57
; %bb.56:
	v_sub_f32_e32 v13, v16, v15
	s_mov_b32 s7, 0x3fb8aa3b
	v_mul_f32_e32 v14, 0x3fb8aa3b, v13
	v_fma_f32 v16, v13, s7, -v14
	v_rndne_f32_e32 v17, v14
	v_fmac_f32_e32 v16, 0x32a5705f, v13
	v_sub_f32_e32 v14, v14, v17
	v_add_f32_e32 v14, v14, v16
	v_exp_f32_e32 v14, v14
	v_cvt_i32_f32_e32 v16, v17
	s_mov_b32 s7, 0xc2ce8ed0
	v_cmp_ngt_f32_e32 vcc, s7, v13
	s_mov_b32 s7, 0x42b17218
	v_ldexp_f32 v14, v14, v16
	v_cndmask_b32_e32 v14, 0, v14, vcc
	v_mov_b32_e32 v16, 0x7f800000
	v_cmp_nlt_f32_e32 vcc, s7, v13
	v_cndmask_b32_e32 v17, v16, v14, vcc
	v_add_f32_e32 v18, 1.0, v17
	v_cvt_f64_f32_e32 v[13:14], v18
	v_add_f32_e32 v23, -1.0, v18
	v_sub_f32_e32 v24, v23, v18
	v_sub_f32_e32 v23, v17, v23
	v_frexp_exp_i32_f64_e32 v13, v[13:14]
	v_add_f32_e32 v14, 1.0, v24
	v_add_f32_e32 v14, v23, v14
	v_frexp_mant_f32_e32 v23, v18
	s_mov_b32 s10, 0x3f2aaaab
	v_cmp_gt_f32_e32 vcc, s10, v23
	s_mov_b32 s10, 0x3f317218
	s_mov_b32 s7, 0x7f800000
	v_subbrev_co_u32_e32 v13, vcc, 0, v13, vcc
	v_sub_u32_e32 v23, 0, v13
	v_ldexp_f32 v18, v18, v23
	v_ldexp_f32 v14, v14, v23
	v_add_f32_e32 v23, -1.0, v18
	v_add_f32_e32 v26, 1.0, v18
	v_add_f32_e32 v24, 1.0, v23
	v_add_f32_e32 v27, -1.0, v26
	v_sub_f32_e32 v24, v18, v24
	v_sub_f32_e32 v18, v18, v27
	v_add_f32_e32 v24, v14, v24
	v_add_f32_e32 v14, v14, v18
	;; [unrolled: 1-line block ×3, first 2 shown]
	v_rcp_f32_e32 v27, v18
	v_add_f32_e32 v25, v23, v24
	v_sub_f32_e32 v23, v23, v25
	v_add_f32_e32 v23, v24, v23
	v_sub_f32_e32 v24, v26, v18
	v_add_f32_e32 v14, v14, v24
	v_mul_f32_e32 v24, v25, v27
	v_mul_f32_e32 v26, v18, v24
	v_fma_f32 v28, v24, v18, -v26
	v_fmac_f32_e32 v28, v24, v14
	v_add_f32_e32 v29, v26, v28
	v_sub_f32_e32 v30, v25, v29
	v_sub_f32_e32 v25, v25, v30
	;; [unrolled: 1-line block ×4, first 2 shown]
	v_add_f32_e32 v23, v23, v25
	v_sub_f32_e32 v25, v26, v28
	v_add_f32_e32 v23, v25, v23
	v_add_f32_e32 v25, v30, v23
	v_mul_f32_e32 v26, v27, v25
	v_mul_f32_e32 v28, v18, v26
	v_fma_f32 v18, v26, v18, -v28
	v_fmac_f32_e32 v18, v26, v14
	v_sub_f32_e32 v14, v30, v25
	v_add_f32_e32 v14, v23, v14
	v_add_f32_e32 v23, v28, v18
	v_sub_f32_e32 v29, v25, v23
	v_sub_f32_e32 v25, v25, v29
	;; [unrolled: 1-line block ×4, first 2 shown]
	v_add_f32_e32 v14, v14, v23
	v_sub_f32_e32 v18, v28, v18
	v_add_f32_e32 v14, v18, v14
	v_add_f32_e32 v18, v24, v26
	;; [unrolled: 1-line block ×3, first 2 shown]
	v_sub_f32_e32 v23, v18, v24
	v_mul_f32_e32 v14, v27, v14
	v_sub_f32_e32 v23, v26, v23
	v_add_f32_e32 v14, v23, v14
	v_cvt_f32_i32_e32 v13, v13
	v_add_f32_e32 v23, v18, v14
	v_mul_f32_e32 v24, v23, v23
	v_mov_b32_e32 v25, 0x3ecc95a3
	v_fmac_f32_e32 v25, 0x3e9b6dac, v24
	v_mov_b32_e32 v26, 0x3f2aaada
	v_fmac_f32_e32 v26, v24, v25
	v_mul_f32_e32 v25, 0x3f317218, v13
	v_fma_f32 v27, v13, s10, -v25
	v_fmac_f32_e32 v27, 0xb102e308, v13
	v_sub_f32_e32 v13, v23, v18
	v_sub_f32_e32 v13, v14, v13
	v_add_f32_e32 v14, v25, v27
	v_sub_f32_e32 v18, v14, v25
	v_ldexp_f32 v25, v23, 1
	v_mul_f32_e32 v23, v23, v24
	v_mul_f32_e32 v23, v23, v26
	v_add_f32_e32 v24, v25, v23
	v_sub_f32_e32 v25, v24, v25
	v_ldexp_f32 v13, v13, 1
	v_sub_f32_e32 v23, v23, v25
	v_add_f32_e32 v13, v13, v23
	v_add_f32_e32 v23, v24, v13
	v_sub_f32_e32 v24, v23, v24
	v_sub_f32_e32 v13, v13, v24
	v_add_f32_e32 v24, v14, v23
	v_sub_f32_e32 v25, v24, v14
	v_sub_f32_e32 v26, v24, v25
	;; [unrolled: 1-line block ×5, first 2 shown]
	v_add_f32_e32 v14, v23, v14
	v_add_f32_e32 v23, v18, v13
	v_sub_f32_e32 v25, v23, v18
	v_sub_f32_e32 v26, v23, v25
	;; [unrolled: 1-line block ×4, first 2 shown]
	v_add_f32_e32 v14, v23, v14
	v_add_f32_e32 v13, v13, v18
	;; [unrolled: 1-line block ×3, first 2 shown]
	v_sub_f32_e32 v23, v18, v24
	v_sub_f32_e32 v14, v14, v23
	v_add_f32_e32 v13, v13, v14
	v_add_f32_e32 v13, v18, v13
	v_cmp_neq_f32_e32 vcc, s7, v17
	s_mov_b32 s7, 0x33800000
	v_cndmask_b32_e32 v13, v16, v13, vcc
	v_cmp_lt_f32_e64 vcc, |v17|, s7
	v_cndmask_b32_e32 v13, v13, v17, vcc
	v_add_f32_e32 v13, v15, v13
	v_cvt_f16_f32_e32 v13, v13
	v_cvt_f32_f16_e32 v14, v13
	v_mov_b32_e32 v45, v13
.LBB355_57:
	s_or_b64 exec, exec, s[8:9]
	v_cvt_f32_f16_sdwa v23, v10 dst_sel:DWORD dst_unused:UNUSED_PAD src0_sel:WORD_1
	v_max_f32_e32 v15, v14, v14
	v_cmp_u_f16_e32 vcc, v13, v13
	v_cmp_u_f16_sdwa s[58:59], v10, v10 src0_sel:WORD_1 src1_sel:WORD_1
	v_min_f32_e32 v16, v15, v23
	v_max_f32_e32 v15, v15, v23
	v_cndmask_b32_e32 v16, v16, v14, vcc
	v_cndmask_b32_e32 v15, v15, v14, vcc
	v_cndmask_b32_e64 v16, v16, v23, s[58:59]
	v_cndmask_b32_e64 v15, v15, v23, s[58:59]
	s_movk_i32 s7, 0x1f8
	v_cmp_neq_f32_e32 vcc, v16, v15
	v_cmp_class_f32_e64 s[8:9], v16, s7
	s_or_b64 s[10:11], vcc, s[8:9]
	s_and_saveexec_b64 s[8:9], s[10:11]
	s_cbranch_execz .LBB355_59
; %bb.58:
	v_sub_f32_e32 v13, v16, v15
	s_mov_b32 s10, 0x3fb8aa3b
	v_mul_f32_e32 v14, 0x3fb8aa3b, v13
	v_fma_f32 v16, v13, s10, -v14
	v_rndne_f32_e32 v17, v14
	v_fmac_f32_e32 v16, 0x32a5705f, v13
	v_sub_f32_e32 v14, v14, v17
	v_add_f32_e32 v14, v14, v16
	v_exp_f32_e32 v14, v14
	v_cvt_i32_f32_e32 v16, v17
	s_mov_b32 s10, 0xc2ce8ed0
	v_cmp_ngt_f32_e32 vcc, s10, v13
	s_mov_b32 s10, 0x42b17218
	v_ldexp_f32 v14, v14, v16
	v_cndmask_b32_e32 v14, 0, v14, vcc
	v_mov_b32_e32 v16, 0x7f800000
	v_cmp_nlt_f32_e32 vcc, s10, v13
	v_cndmask_b32_e32 v17, v16, v14, vcc
	v_add_f32_e32 v18, 1.0, v17
	v_cvt_f64_f32_e32 v[13:14], v18
	v_add_f32_e32 v24, -1.0, v18
	v_sub_f32_e32 v25, v24, v18
	v_sub_f32_e32 v24, v17, v24
	v_frexp_exp_i32_f64_e32 v13, v[13:14]
	v_add_f32_e32 v14, 1.0, v25
	v_add_f32_e32 v14, v24, v14
	v_frexp_mant_f32_e32 v24, v18
	s_mov_b32 s11, 0x3f2aaaab
	v_cmp_gt_f32_e32 vcc, s11, v24
	s_mov_b32 s11, 0x3f317218
	s_mov_b32 s10, 0x7f800000
	v_subbrev_co_u32_e32 v13, vcc, 0, v13, vcc
	v_sub_u32_e32 v24, 0, v13
	v_ldexp_f32 v18, v18, v24
	v_ldexp_f32 v14, v14, v24
	v_add_f32_e32 v24, -1.0, v18
	v_add_f32_e32 v27, 1.0, v18
	v_add_f32_e32 v25, 1.0, v24
	v_add_f32_e32 v28, -1.0, v27
	v_sub_f32_e32 v25, v18, v25
	v_sub_f32_e32 v18, v18, v28
	v_add_f32_e32 v25, v14, v25
	v_add_f32_e32 v14, v14, v18
	;; [unrolled: 1-line block ×3, first 2 shown]
	v_rcp_f32_e32 v28, v18
	v_add_f32_e32 v26, v24, v25
	v_sub_f32_e32 v24, v24, v26
	v_add_f32_e32 v24, v25, v24
	v_sub_f32_e32 v25, v27, v18
	v_add_f32_e32 v14, v14, v25
	v_mul_f32_e32 v25, v26, v28
	v_mul_f32_e32 v27, v18, v25
	v_fma_f32 v29, v25, v18, -v27
	v_fmac_f32_e32 v29, v25, v14
	v_add_f32_e32 v30, v27, v29
	v_sub_f32_e32 v31, v26, v30
	v_sub_f32_e32 v26, v26, v31
	;; [unrolled: 1-line block ×4, first 2 shown]
	v_add_f32_e32 v24, v24, v26
	v_sub_f32_e32 v26, v27, v29
	v_add_f32_e32 v24, v26, v24
	v_add_f32_e32 v26, v31, v24
	v_mul_f32_e32 v27, v28, v26
	v_mul_f32_e32 v29, v18, v27
	v_fma_f32 v18, v27, v18, -v29
	v_fmac_f32_e32 v18, v27, v14
	v_sub_f32_e32 v14, v31, v26
	v_add_f32_e32 v14, v24, v14
	v_add_f32_e32 v24, v29, v18
	v_sub_f32_e32 v30, v26, v24
	v_sub_f32_e32 v26, v26, v30
	;; [unrolled: 1-line block ×4, first 2 shown]
	v_add_f32_e32 v14, v14, v24
	v_sub_f32_e32 v18, v29, v18
	v_add_f32_e32 v14, v18, v14
	v_add_f32_e32 v18, v25, v27
	;; [unrolled: 1-line block ×3, first 2 shown]
	v_sub_f32_e32 v24, v18, v25
	v_mul_f32_e32 v14, v28, v14
	v_sub_f32_e32 v24, v27, v24
	v_add_f32_e32 v14, v24, v14
	v_cvt_f32_i32_e32 v13, v13
	v_add_f32_e32 v24, v18, v14
	v_mul_f32_e32 v25, v24, v24
	v_mov_b32_e32 v26, 0x3ecc95a3
	v_fmac_f32_e32 v26, 0x3e9b6dac, v25
	v_mov_b32_e32 v27, 0x3f2aaada
	v_fmac_f32_e32 v27, v25, v26
	v_mul_f32_e32 v26, 0x3f317218, v13
	v_fma_f32 v28, v13, s11, -v26
	v_fmac_f32_e32 v28, 0xb102e308, v13
	v_sub_f32_e32 v13, v24, v18
	v_sub_f32_e32 v13, v14, v13
	v_add_f32_e32 v14, v26, v28
	v_sub_f32_e32 v18, v14, v26
	v_ldexp_f32 v26, v24, 1
	v_mul_f32_e32 v24, v24, v25
	v_mul_f32_e32 v24, v24, v27
	v_add_f32_e32 v25, v26, v24
	v_sub_f32_e32 v26, v25, v26
	v_ldexp_f32 v13, v13, 1
	v_sub_f32_e32 v24, v24, v26
	v_add_f32_e32 v13, v13, v24
	v_add_f32_e32 v24, v25, v13
	v_sub_f32_e32 v25, v24, v25
	v_sub_f32_e32 v13, v13, v25
	v_add_f32_e32 v25, v14, v24
	v_sub_f32_e32 v26, v25, v14
	v_sub_f32_e32 v27, v25, v26
	;; [unrolled: 1-line block ×5, first 2 shown]
	v_add_f32_e32 v14, v24, v14
	v_add_f32_e32 v24, v18, v13
	v_sub_f32_e32 v26, v24, v18
	v_sub_f32_e32 v27, v24, v26
	;; [unrolled: 1-line block ×4, first 2 shown]
	v_add_f32_e32 v14, v24, v14
	v_add_f32_e32 v13, v13, v18
	;; [unrolled: 1-line block ×3, first 2 shown]
	v_sub_f32_e32 v24, v18, v25
	v_sub_f32_e32 v14, v14, v24
	v_add_f32_e32 v13, v13, v14
	v_add_f32_e32 v13, v18, v13
	v_cmp_neq_f32_e32 vcc, s10, v17
	s_mov_b32 s10, 0x33800000
	v_cndmask_b32_e32 v13, v16, v13, vcc
	v_cmp_lt_f32_e64 vcc, |v17|, s10
	v_cndmask_b32_e32 v13, v13, v17, vcc
	v_add_f32_e32 v13, v15, v13
	v_cvt_f16_f32_e32 v13, v13
	v_cvt_f32_f16_e32 v14, v13
	v_mov_b32_e32 v45, v13
.LBB355_59:
	s_or_b64 exec, exec, s[8:9]
	v_cvt_f32_f16_e32 v24, v11
	v_max_f32_e32 v15, v14, v14
	v_cmp_u_f16_e32 vcc, v13, v13
	v_cmp_u_f16_e64 s[8:9], v11, v11
	v_min_f32_e32 v16, v15, v24
	v_max_f32_e32 v15, v15, v24
	v_cndmask_b32_e32 v16, v16, v14, vcc
	v_cndmask_b32_e32 v15, v15, v14, vcc
	v_cndmask_b32_e64 v16, v16, v24, s[8:9]
	v_cndmask_b32_e64 v15, v15, v24, s[8:9]
	v_cmp_neq_f32_e32 vcc, v16, v15
	v_cmp_class_f32_e64 s[10:11], v16, s7
	s_or_b64 s[12:13], vcc, s[10:11]
	s_and_saveexec_b64 s[10:11], s[12:13]
	s_cbranch_execz .LBB355_61
; %bb.60:
	v_sub_f32_e32 v13, v16, v15
	s_mov_b32 s7, 0x3fb8aa3b
	v_mul_f32_e32 v14, 0x3fb8aa3b, v13
	v_fma_f32 v16, v13, s7, -v14
	v_rndne_f32_e32 v17, v14
	v_fmac_f32_e32 v16, 0x32a5705f, v13
	v_sub_f32_e32 v14, v14, v17
	v_add_f32_e32 v14, v14, v16
	v_exp_f32_e32 v14, v14
	v_cvt_i32_f32_e32 v16, v17
	s_mov_b32 s7, 0xc2ce8ed0
	v_cmp_ngt_f32_e32 vcc, s7, v13
	s_mov_b32 s7, 0x42b17218
	v_ldexp_f32 v14, v14, v16
	v_cndmask_b32_e32 v14, 0, v14, vcc
	v_mov_b32_e32 v16, 0x7f800000
	v_cmp_nlt_f32_e32 vcc, s7, v13
	v_cndmask_b32_e32 v17, v16, v14, vcc
	v_add_f32_e32 v18, 1.0, v17
	v_cvt_f64_f32_e32 v[13:14], v18
	v_add_f32_e32 v25, -1.0, v18
	v_sub_f32_e32 v26, v25, v18
	v_sub_f32_e32 v25, v17, v25
	v_frexp_exp_i32_f64_e32 v13, v[13:14]
	v_add_f32_e32 v14, 1.0, v26
	v_add_f32_e32 v14, v25, v14
	v_frexp_mant_f32_e32 v25, v18
	s_mov_b32 s12, 0x3f2aaaab
	v_cmp_gt_f32_e32 vcc, s12, v25
	s_mov_b32 s12, 0x3f317218
	s_mov_b32 s7, 0x7f800000
	v_subbrev_co_u32_e32 v13, vcc, 0, v13, vcc
	v_sub_u32_e32 v25, 0, v13
	v_ldexp_f32 v18, v18, v25
	v_ldexp_f32 v14, v14, v25
	v_add_f32_e32 v25, -1.0, v18
	v_add_f32_e32 v28, 1.0, v18
	v_add_f32_e32 v26, 1.0, v25
	v_add_f32_e32 v29, -1.0, v28
	v_sub_f32_e32 v26, v18, v26
	v_sub_f32_e32 v18, v18, v29
	v_add_f32_e32 v26, v14, v26
	v_add_f32_e32 v14, v14, v18
	;; [unrolled: 1-line block ×3, first 2 shown]
	v_rcp_f32_e32 v29, v18
	v_add_f32_e32 v27, v25, v26
	v_sub_f32_e32 v25, v25, v27
	v_add_f32_e32 v25, v26, v25
	v_sub_f32_e32 v26, v28, v18
	v_add_f32_e32 v14, v14, v26
	v_mul_f32_e32 v26, v27, v29
	v_mul_f32_e32 v28, v18, v26
	v_fma_f32 v30, v26, v18, -v28
	v_fmac_f32_e32 v30, v26, v14
	v_add_f32_e32 v31, v28, v30
	v_sub_f32_e32 v32, v27, v31
	v_sub_f32_e32 v27, v27, v32
	;; [unrolled: 1-line block ×4, first 2 shown]
	v_add_f32_e32 v25, v25, v27
	v_sub_f32_e32 v27, v28, v30
	v_add_f32_e32 v25, v27, v25
	v_add_f32_e32 v27, v32, v25
	v_mul_f32_e32 v28, v29, v27
	v_mul_f32_e32 v30, v18, v28
	v_fma_f32 v18, v28, v18, -v30
	v_fmac_f32_e32 v18, v28, v14
	v_sub_f32_e32 v14, v32, v27
	v_add_f32_e32 v14, v25, v14
	v_add_f32_e32 v25, v30, v18
	v_sub_f32_e32 v31, v27, v25
	v_sub_f32_e32 v27, v27, v31
	;; [unrolled: 1-line block ×4, first 2 shown]
	v_add_f32_e32 v14, v14, v25
	v_sub_f32_e32 v18, v30, v18
	v_add_f32_e32 v14, v18, v14
	v_add_f32_e32 v18, v26, v28
	;; [unrolled: 1-line block ×3, first 2 shown]
	v_sub_f32_e32 v25, v18, v26
	v_mul_f32_e32 v14, v29, v14
	v_sub_f32_e32 v25, v28, v25
	v_add_f32_e32 v14, v25, v14
	v_cvt_f32_i32_e32 v13, v13
	v_add_f32_e32 v25, v18, v14
	v_mul_f32_e32 v26, v25, v25
	v_mov_b32_e32 v27, 0x3ecc95a3
	v_fmac_f32_e32 v27, 0x3e9b6dac, v26
	v_mov_b32_e32 v28, 0x3f2aaada
	v_fmac_f32_e32 v28, v26, v27
	v_mul_f32_e32 v27, 0x3f317218, v13
	v_fma_f32 v29, v13, s12, -v27
	v_fmac_f32_e32 v29, 0xb102e308, v13
	v_sub_f32_e32 v13, v25, v18
	v_sub_f32_e32 v13, v14, v13
	v_add_f32_e32 v14, v27, v29
	v_sub_f32_e32 v18, v14, v27
	v_ldexp_f32 v27, v25, 1
	v_mul_f32_e32 v25, v25, v26
	v_mul_f32_e32 v25, v25, v28
	v_add_f32_e32 v26, v27, v25
	v_sub_f32_e32 v27, v26, v27
	v_ldexp_f32 v13, v13, 1
	v_sub_f32_e32 v25, v25, v27
	v_add_f32_e32 v13, v13, v25
	v_add_f32_e32 v25, v26, v13
	v_sub_f32_e32 v26, v25, v26
	v_sub_f32_e32 v13, v13, v26
	v_add_f32_e32 v26, v14, v25
	v_sub_f32_e32 v27, v26, v14
	v_sub_f32_e32 v28, v26, v27
	;; [unrolled: 1-line block ×5, first 2 shown]
	v_add_f32_e32 v14, v25, v14
	v_add_f32_e32 v25, v18, v13
	v_sub_f32_e32 v27, v25, v18
	v_sub_f32_e32 v28, v25, v27
	;; [unrolled: 1-line block ×4, first 2 shown]
	v_add_f32_e32 v14, v25, v14
	v_add_f32_e32 v13, v13, v18
	;; [unrolled: 1-line block ×3, first 2 shown]
	v_sub_f32_e32 v25, v18, v26
	v_sub_f32_e32 v14, v14, v25
	v_add_f32_e32 v13, v13, v14
	v_add_f32_e32 v13, v18, v13
	v_cmp_neq_f32_e32 vcc, s7, v17
	s_mov_b32 s7, 0x33800000
	v_cndmask_b32_e32 v13, v16, v13, vcc
	v_cmp_lt_f32_e64 vcc, |v17|, s7
	v_cndmask_b32_e32 v13, v13, v17, vcc
	v_add_f32_e32 v13, v15, v13
	v_cvt_f16_f32_e32 v13, v13
	v_cvt_f32_f16_e32 v14, v13
	v_mov_b32_e32 v45, v13
.LBB355_61:
	s_or_b64 exec, exec, s[10:11]
	v_cvt_f32_f16_sdwa v25, v11 dst_sel:DWORD dst_unused:UNUSED_PAD src0_sel:WORD_1
	v_max_f32_e32 v15, v14, v14
	v_cmp_u_f16_e32 vcc, v13, v13
	v_cmp_u_f16_sdwa s[10:11], v11, v11 src0_sel:WORD_1 src1_sel:WORD_1
	v_min_f32_e32 v16, v15, v25
	v_max_f32_e32 v15, v15, v25
	v_cndmask_b32_e32 v16, v16, v14, vcc
	v_cndmask_b32_e32 v15, v15, v14, vcc
	v_cndmask_b32_e64 v16, v16, v25, s[10:11]
	v_cndmask_b32_e64 v15, v15, v25, s[10:11]
	s_movk_i32 s7, 0x1f8
	v_cmp_neq_f32_e32 vcc, v16, v15
	v_cmp_class_f32_e64 s[12:13], v16, s7
	s_or_b64 s[14:15], vcc, s[12:13]
	s_and_saveexec_b64 s[12:13], s[14:15]
	s_cbranch_execz .LBB355_63
; %bb.62:
	v_sub_f32_e32 v13, v16, v15
	s_mov_b32 s14, 0x3fb8aa3b
	v_mul_f32_e32 v14, 0x3fb8aa3b, v13
	v_fma_f32 v16, v13, s14, -v14
	v_rndne_f32_e32 v17, v14
	v_fmac_f32_e32 v16, 0x32a5705f, v13
	v_sub_f32_e32 v14, v14, v17
	v_add_f32_e32 v14, v14, v16
	v_exp_f32_e32 v14, v14
	v_cvt_i32_f32_e32 v16, v17
	s_mov_b32 s14, 0xc2ce8ed0
	v_cmp_ngt_f32_e32 vcc, s14, v13
	s_mov_b32 s14, 0x42b17218
	v_ldexp_f32 v14, v14, v16
	v_cndmask_b32_e32 v14, 0, v14, vcc
	v_mov_b32_e32 v16, 0x7f800000
	v_cmp_nlt_f32_e32 vcc, s14, v13
	v_cndmask_b32_e32 v17, v16, v14, vcc
	v_add_f32_e32 v18, 1.0, v17
	v_cvt_f64_f32_e32 v[13:14], v18
	v_add_f32_e32 v26, -1.0, v18
	v_sub_f32_e32 v27, v26, v18
	v_sub_f32_e32 v26, v17, v26
	v_frexp_exp_i32_f64_e32 v13, v[13:14]
	v_add_f32_e32 v14, 1.0, v27
	v_add_f32_e32 v14, v26, v14
	v_frexp_mant_f32_e32 v26, v18
	s_mov_b32 s15, 0x3f2aaaab
	v_cmp_gt_f32_e32 vcc, s15, v26
	s_mov_b32 s15, 0x3f317218
	s_mov_b32 s14, 0x7f800000
	v_subbrev_co_u32_e32 v13, vcc, 0, v13, vcc
	v_sub_u32_e32 v26, 0, v13
	v_ldexp_f32 v18, v18, v26
	v_ldexp_f32 v14, v14, v26
	v_add_f32_e32 v26, -1.0, v18
	v_add_f32_e32 v29, 1.0, v18
	v_add_f32_e32 v27, 1.0, v26
	v_add_f32_e32 v30, -1.0, v29
	v_sub_f32_e32 v27, v18, v27
	v_sub_f32_e32 v18, v18, v30
	v_add_f32_e32 v27, v14, v27
	v_add_f32_e32 v14, v14, v18
	;; [unrolled: 1-line block ×3, first 2 shown]
	v_rcp_f32_e32 v30, v18
	v_add_f32_e32 v28, v26, v27
	v_sub_f32_e32 v26, v26, v28
	v_add_f32_e32 v26, v27, v26
	v_sub_f32_e32 v27, v29, v18
	v_add_f32_e32 v14, v14, v27
	v_mul_f32_e32 v27, v28, v30
	v_mul_f32_e32 v29, v18, v27
	v_fma_f32 v31, v27, v18, -v29
	v_fmac_f32_e32 v31, v27, v14
	v_add_f32_e32 v32, v29, v31
	v_sub_f32_e32 v33, v28, v32
	v_sub_f32_e32 v28, v28, v33
	;; [unrolled: 1-line block ×4, first 2 shown]
	v_add_f32_e32 v26, v26, v28
	v_sub_f32_e32 v28, v29, v31
	v_add_f32_e32 v26, v28, v26
	v_add_f32_e32 v28, v33, v26
	v_mul_f32_e32 v29, v30, v28
	v_mul_f32_e32 v31, v18, v29
	v_fma_f32 v18, v29, v18, -v31
	v_fmac_f32_e32 v18, v29, v14
	v_sub_f32_e32 v14, v33, v28
	v_add_f32_e32 v14, v26, v14
	v_add_f32_e32 v26, v31, v18
	v_sub_f32_e32 v32, v28, v26
	v_sub_f32_e32 v28, v28, v32
	;; [unrolled: 1-line block ×4, first 2 shown]
	v_add_f32_e32 v14, v14, v26
	v_sub_f32_e32 v18, v31, v18
	v_add_f32_e32 v14, v18, v14
	v_add_f32_e32 v18, v27, v29
	;; [unrolled: 1-line block ×3, first 2 shown]
	v_sub_f32_e32 v26, v18, v27
	v_mul_f32_e32 v14, v30, v14
	v_sub_f32_e32 v26, v29, v26
	v_add_f32_e32 v14, v26, v14
	v_cvt_f32_i32_e32 v13, v13
	v_add_f32_e32 v26, v18, v14
	v_mul_f32_e32 v27, v26, v26
	v_mov_b32_e32 v28, 0x3ecc95a3
	v_fmac_f32_e32 v28, 0x3e9b6dac, v27
	v_mov_b32_e32 v29, 0x3f2aaada
	v_fmac_f32_e32 v29, v27, v28
	v_mul_f32_e32 v28, 0x3f317218, v13
	v_fma_f32 v30, v13, s15, -v28
	v_fmac_f32_e32 v30, 0xb102e308, v13
	v_sub_f32_e32 v13, v26, v18
	v_sub_f32_e32 v13, v14, v13
	v_add_f32_e32 v14, v28, v30
	v_sub_f32_e32 v18, v14, v28
	v_ldexp_f32 v28, v26, 1
	v_mul_f32_e32 v26, v26, v27
	v_mul_f32_e32 v26, v26, v29
	v_add_f32_e32 v27, v28, v26
	v_sub_f32_e32 v28, v27, v28
	v_ldexp_f32 v13, v13, 1
	v_sub_f32_e32 v26, v26, v28
	v_add_f32_e32 v13, v13, v26
	v_add_f32_e32 v26, v27, v13
	v_sub_f32_e32 v27, v26, v27
	v_sub_f32_e32 v13, v13, v27
	v_add_f32_e32 v27, v14, v26
	v_sub_f32_e32 v28, v27, v14
	v_sub_f32_e32 v29, v27, v28
	;; [unrolled: 1-line block ×5, first 2 shown]
	v_add_f32_e32 v14, v26, v14
	v_add_f32_e32 v26, v18, v13
	v_sub_f32_e32 v28, v26, v18
	v_sub_f32_e32 v29, v26, v28
	;; [unrolled: 1-line block ×4, first 2 shown]
	v_add_f32_e32 v14, v26, v14
	v_add_f32_e32 v13, v13, v18
	;; [unrolled: 1-line block ×3, first 2 shown]
	v_sub_f32_e32 v26, v18, v27
	v_sub_f32_e32 v14, v14, v26
	v_add_f32_e32 v13, v13, v14
	v_add_f32_e32 v13, v18, v13
	v_cmp_neq_f32_e32 vcc, s14, v17
	s_mov_b32 s14, 0x33800000
	v_cndmask_b32_e32 v13, v16, v13, vcc
	v_cmp_lt_f32_e64 vcc, |v17|, s14
	v_cndmask_b32_e32 v13, v13, v17, vcc
	v_add_f32_e32 v13, v15, v13
	v_cvt_f16_f32_e32 v13, v13
	v_cvt_f32_f16_e32 v14, v13
	v_mov_b32_e32 v45, v13
.LBB355_63:
	s_or_b64 exec, exec, s[12:13]
	v_cvt_f32_f16_e32 v26, v12
	v_max_f32_e32 v15, v14, v14
	v_cmp_u_f16_e32 vcc, v13, v13
	v_cmp_u_f16_e64 s[12:13], v12, v12
	v_min_f32_e32 v16, v15, v26
	v_max_f32_e32 v15, v15, v26
	v_cndmask_b32_e32 v16, v16, v14, vcc
	v_cndmask_b32_e32 v15, v15, v14, vcc
	v_cndmask_b32_e64 v16, v16, v26, s[12:13]
	v_cndmask_b32_e64 v15, v15, v26, s[12:13]
	v_cmp_neq_f32_e32 vcc, v16, v15
	v_cmp_class_f32_e64 s[14:15], v16, s7
	s_or_b64 s[16:17], vcc, s[14:15]
	s_and_saveexec_b64 s[14:15], s[16:17]
	s_cbranch_execz .LBB355_65
; %bb.64:
	v_sub_f32_e32 v13, v16, v15
	s_mov_b32 s7, 0x3fb8aa3b
	v_mul_f32_e32 v14, 0x3fb8aa3b, v13
	v_fma_f32 v16, v13, s7, -v14
	v_rndne_f32_e32 v17, v14
	v_fmac_f32_e32 v16, 0x32a5705f, v13
	v_sub_f32_e32 v14, v14, v17
	v_add_f32_e32 v14, v14, v16
	v_exp_f32_e32 v14, v14
	v_cvt_i32_f32_e32 v16, v17
	s_mov_b32 s7, 0xc2ce8ed0
	v_cmp_ngt_f32_e32 vcc, s7, v13
	s_mov_b32 s7, 0x42b17218
	v_ldexp_f32 v14, v14, v16
	v_cndmask_b32_e32 v14, 0, v14, vcc
	v_mov_b32_e32 v16, 0x7f800000
	v_cmp_nlt_f32_e32 vcc, s7, v13
	v_cndmask_b32_e32 v17, v16, v14, vcc
	v_add_f32_e32 v18, 1.0, v17
	v_cvt_f64_f32_e32 v[13:14], v18
	v_add_f32_e32 v27, -1.0, v18
	v_sub_f32_e32 v28, v27, v18
	v_sub_f32_e32 v27, v17, v27
	v_frexp_exp_i32_f64_e32 v13, v[13:14]
	v_add_f32_e32 v14, 1.0, v28
	v_add_f32_e32 v14, v27, v14
	v_frexp_mant_f32_e32 v27, v18
	s_mov_b32 s16, 0x3f2aaaab
	v_cmp_gt_f32_e32 vcc, s16, v27
	s_mov_b32 s16, 0x3f317218
	s_mov_b32 s7, 0x7f800000
	v_subbrev_co_u32_e32 v13, vcc, 0, v13, vcc
	v_sub_u32_e32 v27, 0, v13
	v_ldexp_f32 v18, v18, v27
	v_ldexp_f32 v14, v14, v27
	v_add_f32_e32 v27, -1.0, v18
	v_add_f32_e32 v30, 1.0, v18
	v_add_f32_e32 v28, 1.0, v27
	v_add_f32_e32 v31, -1.0, v30
	v_sub_f32_e32 v28, v18, v28
	v_sub_f32_e32 v18, v18, v31
	v_add_f32_e32 v28, v14, v28
	v_add_f32_e32 v14, v14, v18
	;; [unrolled: 1-line block ×3, first 2 shown]
	v_rcp_f32_e32 v31, v18
	v_add_f32_e32 v29, v27, v28
	v_sub_f32_e32 v27, v27, v29
	v_add_f32_e32 v27, v28, v27
	v_sub_f32_e32 v28, v30, v18
	v_add_f32_e32 v14, v14, v28
	v_mul_f32_e32 v28, v29, v31
	v_mul_f32_e32 v30, v18, v28
	v_fma_f32 v32, v28, v18, -v30
	v_fmac_f32_e32 v32, v28, v14
	v_add_f32_e32 v33, v30, v32
	v_sub_f32_e32 v34, v29, v33
	v_sub_f32_e32 v29, v29, v34
	;; [unrolled: 1-line block ×4, first 2 shown]
	v_add_f32_e32 v27, v27, v29
	v_sub_f32_e32 v29, v30, v32
	v_add_f32_e32 v27, v29, v27
	v_add_f32_e32 v29, v34, v27
	v_mul_f32_e32 v30, v31, v29
	v_mul_f32_e32 v32, v18, v30
	v_fma_f32 v18, v30, v18, -v32
	v_fmac_f32_e32 v18, v30, v14
	v_sub_f32_e32 v14, v34, v29
	v_add_f32_e32 v14, v27, v14
	v_add_f32_e32 v27, v32, v18
	v_sub_f32_e32 v33, v29, v27
	v_sub_f32_e32 v29, v29, v33
	;; [unrolled: 1-line block ×4, first 2 shown]
	v_add_f32_e32 v14, v14, v27
	v_sub_f32_e32 v18, v32, v18
	v_add_f32_e32 v14, v18, v14
	v_add_f32_e32 v18, v28, v30
	;; [unrolled: 1-line block ×3, first 2 shown]
	v_sub_f32_e32 v27, v18, v28
	v_mul_f32_e32 v14, v31, v14
	v_sub_f32_e32 v27, v30, v27
	v_add_f32_e32 v14, v27, v14
	v_cvt_f32_i32_e32 v13, v13
	v_add_f32_e32 v27, v18, v14
	v_mul_f32_e32 v28, v27, v27
	v_mov_b32_e32 v29, 0x3ecc95a3
	v_fmac_f32_e32 v29, 0x3e9b6dac, v28
	v_mov_b32_e32 v30, 0x3f2aaada
	v_fmac_f32_e32 v30, v28, v29
	v_mul_f32_e32 v29, 0x3f317218, v13
	v_fma_f32 v31, v13, s16, -v29
	v_fmac_f32_e32 v31, 0xb102e308, v13
	v_sub_f32_e32 v13, v27, v18
	v_sub_f32_e32 v13, v14, v13
	v_add_f32_e32 v14, v29, v31
	v_sub_f32_e32 v18, v14, v29
	v_ldexp_f32 v29, v27, 1
	v_mul_f32_e32 v27, v27, v28
	v_mul_f32_e32 v27, v27, v30
	v_add_f32_e32 v28, v29, v27
	v_sub_f32_e32 v29, v28, v29
	v_ldexp_f32 v13, v13, 1
	v_sub_f32_e32 v27, v27, v29
	v_add_f32_e32 v13, v13, v27
	v_add_f32_e32 v27, v28, v13
	v_sub_f32_e32 v28, v27, v28
	v_sub_f32_e32 v13, v13, v28
	v_add_f32_e32 v28, v14, v27
	v_sub_f32_e32 v29, v28, v14
	v_sub_f32_e32 v30, v28, v29
	;; [unrolled: 1-line block ×5, first 2 shown]
	v_add_f32_e32 v14, v27, v14
	v_add_f32_e32 v27, v18, v13
	v_sub_f32_e32 v29, v27, v18
	v_sub_f32_e32 v30, v27, v29
	;; [unrolled: 1-line block ×4, first 2 shown]
	v_add_f32_e32 v14, v27, v14
	v_add_f32_e32 v13, v13, v18
	;; [unrolled: 1-line block ×3, first 2 shown]
	v_sub_f32_e32 v27, v18, v28
	v_sub_f32_e32 v14, v14, v27
	v_add_f32_e32 v13, v13, v14
	v_add_f32_e32 v13, v18, v13
	v_cmp_neq_f32_e32 vcc, s7, v17
	s_mov_b32 s7, 0x33800000
	v_cndmask_b32_e32 v13, v16, v13, vcc
	v_cmp_lt_f32_e64 vcc, |v17|, s7
	v_cndmask_b32_e32 v13, v13, v17, vcc
	v_add_f32_e32 v13, v15, v13
	v_cvt_f16_f32_e32 v13, v13
	v_cvt_f32_f16_e32 v14, v13
	v_mov_b32_e32 v45, v13
.LBB355_65:
	s_or_b64 exec, exec, s[14:15]
	v_cvt_f32_f16_sdwa v27, v12 dst_sel:DWORD dst_unused:UNUSED_PAD src0_sel:WORD_1
	v_max_f32_e32 v15, v14, v14
	v_cmp_u_f16_e32 vcc, v13, v13
	v_cmp_u_f16_sdwa s[14:15], v12, v12 src0_sel:WORD_1 src1_sel:WORD_1
	v_min_f32_e32 v16, v15, v27
	v_max_f32_e32 v15, v15, v27
	v_cndmask_b32_e32 v16, v16, v14, vcc
	v_cndmask_b32_e32 v15, v15, v14, vcc
	v_cndmask_b32_e64 v16, v16, v27, s[14:15]
	v_cndmask_b32_e64 v15, v15, v27, s[14:15]
	s_movk_i32 s7, 0x1f8
	v_cmp_neq_f32_e32 vcc, v16, v15
	v_cmp_class_f32_e64 s[16:17], v16, s7
	s_or_b64 s[18:19], vcc, s[16:17]
	s_and_saveexec_b64 s[16:17], s[18:19]
	s_cbranch_execz .LBB355_67
; %bb.66:
	v_sub_f32_e32 v13, v16, v15
	s_mov_b32 s18, 0x3fb8aa3b
	v_mul_f32_e32 v14, 0x3fb8aa3b, v13
	v_fma_f32 v16, v13, s18, -v14
	v_rndne_f32_e32 v17, v14
	v_fmac_f32_e32 v16, 0x32a5705f, v13
	v_sub_f32_e32 v14, v14, v17
	v_add_f32_e32 v14, v14, v16
	v_exp_f32_e32 v14, v14
	v_cvt_i32_f32_e32 v16, v17
	s_mov_b32 s18, 0xc2ce8ed0
	v_cmp_ngt_f32_e32 vcc, s18, v13
	s_mov_b32 s18, 0x42b17218
	v_ldexp_f32 v14, v14, v16
	v_cndmask_b32_e32 v14, 0, v14, vcc
	v_mov_b32_e32 v16, 0x7f800000
	v_cmp_nlt_f32_e32 vcc, s18, v13
	v_cndmask_b32_e32 v17, v16, v14, vcc
	v_add_f32_e32 v18, 1.0, v17
	v_cvt_f64_f32_e32 v[13:14], v18
	v_add_f32_e32 v28, -1.0, v18
	v_sub_f32_e32 v29, v28, v18
	v_sub_f32_e32 v28, v17, v28
	v_frexp_exp_i32_f64_e32 v13, v[13:14]
	v_add_f32_e32 v14, 1.0, v29
	v_add_f32_e32 v14, v28, v14
	v_frexp_mant_f32_e32 v28, v18
	s_mov_b32 s19, 0x3f2aaaab
	v_cmp_gt_f32_e32 vcc, s19, v28
	s_mov_b32 s19, 0x3f317218
	s_mov_b32 s18, 0x7f800000
	v_subbrev_co_u32_e32 v13, vcc, 0, v13, vcc
	v_sub_u32_e32 v28, 0, v13
	v_ldexp_f32 v18, v18, v28
	v_ldexp_f32 v14, v14, v28
	v_add_f32_e32 v28, -1.0, v18
	v_add_f32_e32 v31, 1.0, v18
	v_add_f32_e32 v29, 1.0, v28
	v_add_f32_e32 v32, -1.0, v31
	v_sub_f32_e32 v29, v18, v29
	v_sub_f32_e32 v18, v18, v32
	v_add_f32_e32 v29, v14, v29
	v_add_f32_e32 v14, v14, v18
	;; [unrolled: 1-line block ×3, first 2 shown]
	v_rcp_f32_e32 v32, v18
	v_add_f32_e32 v30, v28, v29
	v_sub_f32_e32 v28, v28, v30
	v_add_f32_e32 v28, v29, v28
	v_sub_f32_e32 v29, v31, v18
	v_add_f32_e32 v14, v14, v29
	v_mul_f32_e32 v29, v30, v32
	v_mul_f32_e32 v31, v18, v29
	v_fma_f32 v33, v29, v18, -v31
	v_fmac_f32_e32 v33, v29, v14
	v_add_f32_e32 v34, v31, v33
	v_sub_f32_e32 v35, v30, v34
	v_sub_f32_e32 v30, v30, v35
	;; [unrolled: 1-line block ×4, first 2 shown]
	v_add_f32_e32 v28, v28, v30
	v_sub_f32_e32 v30, v31, v33
	v_add_f32_e32 v28, v30, v28
	v_add_f32_e32 v30, v35, v28
	v_mul_f32_e32 v31, v32, v30
	v_mul_f32_e32 v33, v18, v31
	v_fma_f32 v18, v31, v18, -v33
	v_fmac_f32_e32 v18, v31, v14
	v_sub_f32_e32 v14, v35, v30
	v_add_f32_e32 v14, v28, v14
	v_add_f32_e32 v28, v33, v18
	v_sub_f32_e32 v34, v30, v28
	v_sub_f32_e32 v30, v30, v34
	;; [unrolled: 1-line block ×4, first 2 shown]
	v_add_f32_e32 v14, v14, v28
	v_sub_f32_e32 v18, v33, v18
	v_add_f32_e32 v14, v18, v14
	v_add_f32_e32 v18, v29, v31
	;; [unrolled: 1-line block ×3, first 2 shown]
	v_sub_f32_e32 v28, v18, v29
	v_mul_f32_e32 v14, v32, v14
	v_sub_f32_e32 v28, v31, v28
	v_add_f32_e32 v14, v28, v14
	v_cvt_f32_i32_e32 v13, v13
	v_add_f32_e32 v28, v18, v14
	v_mul_f32_e32 v29, v28, v28
	v_mov_b32_e32 v30, 0x3ecc95a3
	v_fmac_f32_e32 v30, 0x3e9b6dac, v29
	v_mov_b32_e32 v31, 0x3f2aaada
	v_fmac_f32_e32 v31, v29, v30
	v_mul_f32_e32 v30, 0x3f317218, v13
	v_fma_f32 v32, v13, s19, -v30
	v_fmac_f32_e32 v32, 0xb102e308, v13
	v_sub_f32_e32 v13, v28, v18
	v_sub_f32_e32 v13, v14, v13
	v_add_f32_e32 v14, v30, v32
	v_sub_f32_e32 v18, v14, v30
	v_ldexp_f32 v30, v28, 1
	v_mul_f32_e32 v28, v28, v29
	v_mul_f32_e32 v28, v28, v31
	v_add_f32_e32 v29, v30, v28
	v_sub_f32_e32 v30, v29, v30
	v_ldexp_f32 v13, v13, 1
	v_sub_f32_e32 v28, v28, v30
	v_add_f32_e32 v13, v13, v28
	v_add_f32_e32 v28, v29, v13
	v_sub_f32_e32 v29, v28, v29
	v_sub_f32_e32 v13, v13, v29
	v_add_f32_e32 v29, v14, v28
	v_sub_f32_e32 v30, v29, v14
	v_sub_f32_e32 v31, v29, v30
	v_sub_f32_e32 v18, v32, v18
	v_sub_f32_e32 v14, v14, v31
	v_sub_f32_e32 v28, v28, v30
	v_add_f32_e32 v14, v28, v14
	v_add_f32_e32 v28, v18, v13
	v_sub_f32_e32 v30, v28, v18
	v_sub_f32_e32 v31, v28, v30
	;; [unrolled: 1-line block ×4, first 2 shown]
	v_add_f32_e32 v14, v28, v14
	v_add_f32_e32 v13, v13, v18
	;; [unrolled: 1-line block ×3, first 2 shown]
	v_sub_f32_e32 v28, v18, v29
	v_sub_f32_e32 v14, v14, v28
	v_add_f32_e32 v13, v13, v14
	v_add_f32_e32 v13, v18, v13
	v_cmp_neq_f32_e32 vcc, s18, v17
	s_mov_b32 s18, 0x33800000
	v_cndmask_b32_e32 v13, v16, v13, vcc
	v_cmp_lt_f32_e64 vcc, |v17|, s18
	v_cndmask_b32_e32 v13, v13, v17, vcc
	v_add_f32_e32 v13, v15, v13
	v_cvt_f16_f32_e32 v13, v13
	v_cvt_f32_f16_e32 v14, v13
	v_mov_b32_e32 v45, v13
.LBB355_67:
	s_or_b64 exec, exec, s[16:17]
	v_cvt_f32_f16_e32 v28, v5
	v_max_f32_e32 v15, v14, v14
	v_cmp_u_f16_e32 vcc, v13, v13
	v_cmp_u_f16_e64 s[16:17], v5, v5
	v_min_f32_e32 v16, v15, v28
	v_max_f32_e32 v15, v15, v28
	v_cndmask_b32_e32 v16, v16, v14, vcc
	v_cndmask_b32_e32 v15, v15, v14, vcc
	v_cndmask_b32_e64 v16, v16, v28, s[16:17]
	v_cndmask_b32_e64 v15, v15, v28, s[16:17]
	v_cmp_neq_f32_e32 vcc, v16, v15
	v_cmp_class_f32_e64 s[18:19], v16, s7
	s_or_b64 s[20:21], vcc, s[18:19]
	s_and_saveexec_b64 s[18:19], s[20:21]
	s_cbranch_execz .LBB355_69
; %bb.68:
	v_sub_f32_e32 v13, v16, v15
	s_mov_b32 s7, 0x3fb8aa3b
	v_mul_f32_e32 v14, 0x3fb8aa3b, v13
	v_fma_f32 v16, v13, s7, -v14
	v_rndne_f32_e32 v17, v14
	v_fmac_f32_e32 v16, 0x32a5705f, v13
	v_sub_f32_e32 v14, v14, v17
	v_add_f32_e32 v14, v14, v16
	v_exp_f32_e32 v14, v14
	v_cvt_i32_f32_e32 v16, v17
	s_mov_b32 s7, 0xc2ce8ed0
	v_cmp_ngt_f32_e32 vcc, s7, v13
	s_mov_b32 s7, 0x42b17218
	v_ldexp_f32 v14, v14, v16
	v_cndmask_b32_e32 v14, 0, v14, vcc
	v_mov_b32_e32 v16, 0x7f800000
	v_cmp_nlt_f32_e32 vcc, s7, v13
	v_cndmask_b32_e32 v17, v16, v14, vcc
	v_add_f32_e32 v18, 1.0, v17
	v_cvt_f64_f32_e32 v[13:14], v18
	v_add_f32_e32 v29, -1.0, v18
	v_sub_f32_e32 v30, v29, v18
	v_sub_f32_e32 v29, v17, v29
	v_frexp_exp_i32_f64_e32 v13, v[13:14]
	v_add_f32_e32 v14, 1.0, v30
	v_add_f32_e32 v14, v29, v14
	v_frexp_mant_f32_e32 v29, v18
	s_mov_b32 s20, 0x3f2aaaab
	v_cmp_gt_f32_e32 vcc, s20, v29
	s_mov_b32 s20, 0x3f317218
	s_mov_b32 s7, 0x7f800000
	v_subbrev_co_u32_e32 v13, vcc, 0, v13, vcc
	v_sub_u32_e32 v29, 0, v13
	v_ldexp_f32 v18, v18, v29
	v_ldexp_f32 v14, v14, v29
	v_add_f32_e32 v29, -1.0, v18
	v_add_f32_e32 v32, 1.0, v18
	v_add_f32_e32 v30, 1.0, v29
	v_add_f32_e32 v33, -1.0, v32
	v_sub_f32_e32 v30, v18, v30
	v_sub_f32_e32 v18, v18, v33
	v_add_f32_e32 v30, v14, v30
	v_add_f32_e32 v14, v14, v18
	;; [unrolled: 1-line block ×3, first 2 shown]
	v_rcp_f32_e32 v33, v18
	v_add_f32_e32 v31, v29, v30
	v_sub_f32_e32 v29, v29, v31
	v_add_f32_e32 v29, v30, v29
	v_sub_f32_e32 v30, v32, v18
	v_add_f32_e32 v14, v14, v30
	v_mul_f32_e32 v30, v31, v33
	v_mul_f32_e32 v32, v18, v30
	v_fma_f32 v34, v30, v18, -v32
	v_fmac_f32_e32 v34, v30, v14
	v_add_f32_e32 v35, v32, v34
	v_sub_f32_e32 v36, v31, v35
	v_sub_f32_e32 v31, v31, v36
	;; [unrolled: 1-line block ×4, first 2 shown]
	v_add_f32_e32 v29, v29, v31
	v_sub_f32_e32 v31, v32, v34
	v_add_f32_e32 v29, v31, v29
	v_add_f32_e32 v31, v36, v29
	v_mul_f32_e32 v32, v33, v31
	v_mul_f32_e32 v34, v18, v32
	v_fma_f32 v18, v32, v18, -v34
	v_fmac_f32_e32 v18, v32, v14
	v_sub_f32_e32 v14, v36, v31
	v_add_f32_e32 v14, v29, v14
	v_add_f32_e32 v29, v34, v18
	v_sub_f32_e32 v35, v31, v29
	v_sub_f32_e32 v31, v31, v35
	;; [unrolled: 1-line block ×4, first 2 shown]
	v_add_f32_e32 v14, v14, v29
	v_sub_f32_e32 v18, v34, v18
	v_add_f32_e32 v14, v18, v14
	v_add_f32_e32 v18, v30, v32
	;; [unrolled: 1-line block ×3, first 2 shown]
	v_sub_f32_e32 v29, v18, v30
	v_mul_f32_e32 v14, v33, v14
	v_sub_f32_e32 v29, v32, v29
	v_add_f32_e32 v14, v29, v14
	v_cvt_f32_i32_e32 v13, v13
	v_add_f32_e32 v29, v18, v14
	v_mul_f32_e32 v30, v29, v29
	v_mov_b32_e32 v31, 0x3ecc95a3
	v_fmac_f32_e32 v31, 0x3e9b6dac, v30
	v_mov_b32_e32 v32, 0x3f2aaada
	v_fmac_f32_e32 v32, v30, v31
	v_mul_f32_e32 v31, 0x3f317218, v13
	v_fma_f32 v33, v13, s20, -v31
	v_fmac_f32_e32 v33, 0xb102e308, v13
	v_sub_f32_e32 v13, v29, v18
	v_sub_f32_e32 v13, v14, v13
	v_add_f32_e32 v14, v31, v33
	v_sub_f32_e32 v18, v14, v31
	v_ldexp_f32 v31, v29, 1
	v_mul_f32_e32 v29, v29, v30
	v_mul_f32_e32 v29, v29, v32
	v_add_f32_e32 v30, v31, v29
	v_sub_f32_e32 v31, v30, v31
	v_ldexp_f32 v13, v13, 1
	v_sub_f32_e32 v29, v29, v31
	v_add_f32_e32 v13, v13, v29
	v_add_f32_e32 v29, v30, v13
	v_sub_f32_e32 v30, v29, v30
	v_sub_f32_e32 v13, v13, v30
	v_add_f32_e32 v30, v14, v29
	v_sub_f32_e32 v31, v30, v14
	v_sub_f32_e32 v32, v30, v31
	;; [unrolled: 1-line block ×5, first 2 shown]
	v_add_f32_e32 v14, v29, v14
	v_add_f32_e32 v29, v18, v13
	v_sub_f32_e32 v31, v29, v18
	v_sub_f32_e32 v32, v29, v31
	;; [unrolled: 1-line block ×4, first 2 shown]
	v_add_f32_e32 v14, v29, v14
	v_add_f32_e32 v13, v13, v18
	;; [unrolled: 1-line block ×3, first 2 shown]
	v_sub_f32_e32 v29, v18, v30
	v_sub_f32_e32 v14, v14, v29
	v_add_f32_e32 v13, v13, v14
	v_add_f32_e32 v13, v18, v13
	v_cmp_neq_f32_e32 vcc, s7, v17
	s_mov_b32 s7, 0x33800000
	v_cndmask_b32_e32 v13, v16, v13, vcc
	v_cmp_lt_f32_e64 vcc, |v17|, s7
	v_cndmask_b32_e32 v13, v13, v17, vcc
	v_add_f32_e32 v13, v15, v13
	v_cvt_f16_f32_e32 v13, v13
	v_cvt_f32_f16_e32 v14, v13
	v_mov_b32_e32 v45, v13
.LBB355_69:
	s_or_b64 exec, exec, s[18:19]
	v_cvt_f32_f16_sdwa v29, v5 dst_sel:DWORD dst_unused:UNUSED_PAD src0_sel:WORD_1
	v_max_f32_e32 v15, v14, v14
	v_cmp_u_f16_e32 vcc, v13, v13
	v_cmp_u_f16_sdwa s[18:19], v5, v5 src0_sel:WORD_1 src1_sel:WORD_1
	v_min_f32_e32 v16, v15, v29
	v_max_f32_e32 v15, v15, v29
	v_cndmask_b32_e32 v16, v16, v14, vcc
	v_cndmask_b32_e32 v15, v15, v14, vcc
	v_cndmask_b32_e64 v16, v16, v29, s[18:19]
	v_cndmask_b32_e64 v15, v15, v29, s[18:19]
	s_movk_i32 s7, 0x1f8
	v_cmp_neq_f32_e32 vcc, v16, v15
	v_cmp_class_f32_e64 s[20:21], v16, s7
	s_or_b64 s[22:23], vcc, s[20:21]
	s_and_saveexec_b64 s[20:21], s[22:23]
	s_cbranch_execz .LBB355_71
; %bb.70:
	v_sub_f32_e32 v13, v16, v15
	s_mov_b32 s22, 0x3fb8aa3b
	v_mul_f32_e32 v14, 0x3fb8aa3b, v13
	v_fma_f32 v16, v13, s22, -v14
	v_rndne_f32_e32 v17, v14
	v_fmac_f32_e32 v16, 0x32a5705f, v13
	v_sub_f32_e32 v14, v14, v17
	v_add_f32_e32 v14, v14, v16
	v_exp_f32_e32 v14, v14
	v_cvt_i32_f32_e32 v16, v17
	s_mov_b32 s22, 0xc2ce8ed0
	v_cmp_ngt_f32_e32 vcc, s22, v13
	s_mov_b32 s22, 0x42b17218
	v_ldexp_f32 v14, v14, v16
	v_cndmask_b32_e32 v14, 0, v14, vcc
	v_mov_b32_e32 v16, 0x7f800000
	v_cmp_nlt_f32_e32 vcc, s22, v13
	v_cndmask_b32_e32 v17, v16, v14, vcc
	v_add_f32_e32 v18, 1.0, v17
	v_cvt_f64_f32_e32 v[13:14], v18
	v_add_f32_e32 v30, -1.0, v18
	v_sub_f32_e32 v31, v30, v18
	v_sub_f32_e32 v30, v17, v30
	v_frexp_exp_i32_f64_e32 v13, v[13:14]
	v_add_f32_e32 v14, 1.0, v31
	v_add_f32_e32 v14, v30, v14
	v_frexp_mant_f32_e32 v30, v18
	s_mov_b32 s23, 0x3f2aaaab
	v_cmp_gt_f32_e32 vcc, s23, v30
	s_mov_b32 s23, 0x3f317218
	s_mov_b32 s22, 0x7f800000
	v_subbrev_co_u32_e32 v13, vcc, 0, v13, vcc
	v_sub_u32_e32 v30, 0, v13
	v_ldexp_f32 v18, v18, v30
	v_ldexp_f32 v14, v14, v30
	v_add_f32_e32 v30, -1.0, v18
	v_add_f32_e32 v33, 1.0, v18
	v_add_f32_e32 v31, 1.0, v30
	v_add_f32_e32 v34, -1.0, v33
	v_sub_f32_e32 v31, v18, v31
	v_sub_f32_e32 v18, v18, v34
	v_add_f32_e32 v31, v14, v31
	v_add_f32_e32 v14, v14, v18
	;; [unrolled: 1-line block ×3, first 2 shown]
	v_rcp_f32_e32 v34, v18
	v_add_f32_e32 v32, v30, v31
	v_sub_f32_e32 v30, v30, v32
	v_add_f32_e32 v30, v31, v30
	v_sub_f32_e32 v31, v33, v18
	v_add_f32_e32 v14, v14, v31
	v_mul_f32_e32 v31, v32, v34
	v_mul_f32_e32 v33, v18, v31
	v_fma_f32 v35, v31, v18, -v33
	v_fmac_f32_e32 v35, v31, v14
	v_add_f32_e32 v36, v33, v35
	v_sub_f32_e32 v37, v32, v36
	v_sub_f32_e32 v32, v32, v37
	;; [unrolled: 1-line block ×4, first 2 shown]
	v_add_f32_e32 v30, v30, v32
	v_sub_f32_e32 v32, v33, v35
	v_add_f32_e32 v30, v32, v30
	v_add_f32_e32 v32, v37, v30
	v_mul_f32_e32 v33, v34, v32
	v_mul_f32_e32 v35, v18, v33
	v_fma_f32 v18, v33, v18, -v35
	v_fmac_f32_e32 v18, v33, v14
	v_sub_f32_e32 v14, v37, v32
	v_add_f32_e32 v14, v30, v14
	v_add_f32_e32 v30, v35, v18
	v_sub_f32_e32 v36, v32, v30
	v_sub_f32_e32 v32, v32, v36
	;; [unrolled: 1-line block ×4, first 2 shown]
	v_add_f32_e32 v14, v14, v30
	v_sub_f32_e32 v18, v35, v18
	v_add_f32_e32 v14, v18, v14
	v_add_f32_e32 v18, v31, v33
	;; [unrolled: 1-line block ×3, first 2 shown]
	v_sub_f32_e32 v30, v18, v31
	v_mul_f32_e32 v14, v34, v14
	v_sub_f32_e32 v30, v33, v30
	v_add_f32_e32 v14, v30, v14
	v_cvt_f32_i32_e32 v13, v13
	v_add_f32_e32 v30, v18, v14
	v_mul_f32_e32 v31, v30, v30
	v_mov_b32_e32 v32, 0x3ecc95a3
	v_fmac_f32_e32 v32, 0x3e9b6dac, v31
	v_mov_b32_e32 v33, 0x3f2aaada
	v_fmac_f32_e32 v33, v31, v32
	v_mul_f32_e32 v32, 0x3f317218, v13
	v_fma_f32 v34, v13, s23, -v32
	v_fmac_f32_e32 v34, 0xb102e308, v13
	v_sub_f32_e32 v13, v30, v18
	v_sub_f32_e32 v13, v14, v13
	v_add_f32_e32 v14, v32, v34
	v_sub_f32_e32 v18, v14, v32
	v_ldexp_f32 v32, v30, 1
	v_mul_f32_e32 v30, v30, v31
	v_mul_f32_e32 v30, v30, v33
	v_add_f32_e32 v31, v32, v30
	v_sub_f32_e32 v32, v31, v32
	v_ldexp_f32 v13, v13, 1
	v_sub_f32_e32 v30, v30, v32
	v_add_f32_e32 v13, v13, v30
	v_add_f32_e32 v30, v31, v13
	v_sub_f32_e32 v31, v30, v31
	v_sub_f32_e32 v13, v13, v31
	v_add_f32_e32 v31, v14, v30
	v_sub_f32_e32 v32, v31, v14
	v_sub_f32_e32 v33, v31, v32
	;; [unrolled: 1-line block ×5, first 2 shown]
	v_add_f32_e32 v14, v30, v14
	v_add_f32_e32 v30, v18, v13
	v_sub_f32_e32 v32, v30, v18
	v_sub_f32_e32 v33, v30, v32
	;; [unrolled: 1-line block ×4, first 2 shown]
	v_add_f32_e32 v14, v30, v14
	v_add_f32_e32 v13, v13, v18
	;; [unrolled: 1-line block ×3, first 2 shown]
	v_sub_f32_e32 v30, v18, v31
	v_sub_f32_e32 v14, v14, v30
	v_add_f32_e32 v13, v13, v14
	v_add_f32_e32 v13, v18, v13
	v_cmp_neq_f32_e32 vcc, s22, v17
	s_mov_b32 s22, 0x33800000
	v_cndmask_b32_e32 v13, v16, v13, vcc
	v_cmp_lt_f32_e64 vcc, |v17|, s22
	v_cndmask_b32_e32 v13, v13, v17, vcc
	v_add_f32_e32 v13, v15, v13
	v_cvt_f16_f32_e32 v13, v13
	v_cvt_f32_f16_e32 v14, v13
	v_mov_b32_e32 v45, v13
.LBB355_71:
	s_or_b64 exec, exec, s[20:21]
	v_cvt_f32_f16_e32 v30, v6
	v_max_f32_e32 v15, v14, v14
	v_cmp_u_f16_e32 vcc, v13, v13
	v_cmp_u_f16_e64 s[20:21], v6, v6
	v_min_f32_e32 v16, v15, v30
	v_max_f32_e32 v15, v15, v30
	v_cndmask_b32_e32 v16, v16, v14, vcc
	v_cndmask_b32_e32 v15, v15, v14, vcc
	v_cndmask_b32_e64 v16, v16, v30, s[20:21]
	v_cndmask_b32_e64 v15, v15, v30, s[20:21]
	v_cmp_neq_f32_e32 vcc, v16, v15
	v_cmp_class_f32_e64 s[22:23], v16, s7
	s_or_b64 s[24:25], vcc, s[22:23]
	s_and_saveexec_b64 s[22:23], s[24:25]
	s_cbranch_execz .LBB355_73
; %bb.72:
	v_sub_f32_e32 v13, v16, v15
	s_mov_b32 s7, 0x3fb8aa3b
	v_mul_f32_e32 v14, 0x3fb8aa3b, v13
	v_fma_f32 v16, v13, s7, -v14
	v_rndne_f32_e32 v17, v14
	v_fmac_f32_e32 v16, 0x32a5705f, v13
	v_sub_f32_e32 v14, v14, v17
	v_add_f32_e32 v14, v14, v16
	v_exp_f32_e32 v14, v14
	v_cvt_i32_f32_e32 v16, v17
	s_mov_b32 s7, 0xc2ce8ed0
	v_cmp_ngt_f32_e32 vcc, s7, v13
	s_mov_b32 s7, 0x42b17218
	v_ldexp_f32 v14, v14, v16
	v_cndmask_b32_e32 v14, 0, v14, vcc
	v_mov_b32_e32 v16, 0x7f800000
	v_cmp_nlt_f32_e32 vcc, s7, v13
	v_cndmask_b32_e32 v17, v16, v14, vcc
	v_add_f32_e32 v18, 1.0, v17
	v_cvt_f64_f32_e32 v[13:14], v18
	v_add_f32_e32 v31, -1.0, v18
	v_sub_f32_e32 v32, v31, v18
	v_sub_f32_e32 v31, v17, v31
	v_frexp_exp_i32_f64_e32 v13, v[13:14]
	v_add_f32_e32 v14, 1.0, v32
	v_add_f32_e32 v14, v31, v14
	v_frexp_mant_f32_e32 v31, v18
	s_mov_b32 s24, 0x3f2aaaab
	v_cmp_gt_f32_e32 vcc, s24, v31
	s_mov_b32 s24, 0x3f317218
	s_mov_b32 s7, 0x7f800000
	v_subbrev_co_u32_e32 v13, vcc, 0, v13, vcc
	v_sub_u32_e32 v31, 0, v13
	v_ldexp_f32 v18, v18, v31
	v_ldexp_f32 v14, v14, v31
	v_add_f32_e32 v31, -1.0, v18
	v_add_f32_e32 v34, 1.0, v18
	v_add_f32_e32 v32, 1.0, v31
	v_add_f32_e32 v35, -1.0, v34
	v_sub_f32_e32 v32, v18, v32
	v_sub_f32_e32 v18, v18, v35
	v_add_f32_e32 v32, v14, v32
	v_add_f32_e32 v14, v14, v18
	v_add_f32_e32 v18, v34, v14
	v_rcp_f32_e32 v35, v18
	v_add_f32_e32 v33, v31, v32
	v_sub_f32_e32 v31, v31, v33
	v_add_f32_e32 v31, v32, v31
	v_sub_f32_e32 v32, v34, v18
	v_add_f32_e32 v14, v14, v32
	v_mul_f32_e32 v32, v33, v35
	v_mul_f32_e32 v34, v18, v32
	v_fma_f32 v36, v32, v18, -v34
	v_fmac_f32_e32 v36, v32, v14
	v_add_f32_e32 v37, v34, v36
	v_sub_f32_e32 v38, v33, v37
	v_sub_f32_e32 v33, v33, v38
	;; [unrolled: 1-line block ×4, first 2 shown]
	v_add_f32_e32 v31, v31, v33
	v_sub_f32_e32 v33, v34, v36
	v_add_f32_e32 v31, v33, v31
	v_add_f32_e32 v33, v38, v31
	v_mul_f32_e32 v34, v35, v33
	v_mul_f32_e32 v36, v18, v34
	v_fma_f32 v18, v34, v18, -v36
	v_fmac_f32_e32 v18, v34, v14
	v_sub_f32_e32 v14, v38, v33
	v_add_f32_e32 v14, v31, v14
	v_add_f32_e32 v31, v36, v18
	v_sub_f32_e32 v37, v33, v31
	v_sub_f32_e32 v33, v33, v37
	;; [unrolled: 1-line block ×4, first 2 shown]
	v_add_f32_e32 v14, v14, v31
	v_sub_f32_e32 v18, v36, v18
	v_add_f32_e32 v14, v18, v14
	v_add_f32_e32 v18, v32, v34
	;; [unrolled: 1-line block ×3, first 2 shown]
	v_sub_f32_e32 v31, v18, v32
	v_mul_f32_e32 v14, v35, v14
	v_sub_f32_e32 v31, v34, v31
	v_add_f32_e32 v14, v31, v14
	v_cvt_f32_i32_e32 v13, v13
	v_add_f32_e32 v31, v18, v14
	v_mul_f32_e32 v32, v31, v31
	v_mov_b32_e32 v33, 0x3ecc95a3
	v_fmac_f32_e32 v33, 0x3e9b6dac, v32
	v_mov_b32_e32 v34, 0x3f2aaada
	v_fmac_f32_e32 v34, v32, v33
	v_mul_f32_e32 v33, 0x3f317218, v13
	v_fma_f32 v35, v13, s24, -v33
	v_fmac_f32_e32 v35, 0xb102e308, v13
	v_sub_f32_e32 v13, v31, v18
	v_sub_f32_e32 v13, v14, v13
	v_add_f32_e32 v14, v33, v35
	v_sub_f32_e32 v18, v14, v33
	v_ldexp_f32 v33, v31, 1
	v_mul_f32_e32 v31, v31, v32
	v_mul_f32_e32 v31, v31, v34
	v_add_f32_e32 v32, v33, v31
	v_sub_f32_e32 v33, v32, v33
	v_ldexp_f32 v13, v13, 1
	v_sub_f32_e32 v31, v31, v33
	v_add_f32_e32 v13, v13, v31
	v_add_f32_e32 v31, v32, v13
	v_sub_f32_e32 v32, v31, v32
	v_sub_f32_e32 v13, v13, v32
	v_add_f32_e32 v32, v14, v31
	v_sub_f32_e32 v33, v32, v14
	v_sub_f32_e32 v34, v32, v33
	;; [unrolled: 1-line block ×5, first 2 shown]
	v_add_f32_e32 v14, v31, v14
	v_add_f32_e32 v31, v18, v13
	v_sub_f32_e32 v33, v31, v18
	v_sub_f32_e32 v34, v31, v33
	;; [unrolled: 1-line block ×4, first 2 shown]
	v_add_f32_e32 v14, v31, v14
	v_add_f32_e32 v13, v13, v18
	;; [unrolled: 1-line block ×3, first 2 shown]
	v_sub_f32_e32 v31, v18, v32
	v_sub_f32_e32 v14, v14, v31
	v_add_f32_e32 v13, v13, v14
	v_add_f32_e32 v13, v18, v13
	v_cmp_neq_f32_e32 vcc, s7, v17
	s_mov_b32 s7, 0x33800000
	v_cndmask_b32_e32 v13, v16, v13, vcc
	v_cmp_lt_f32_e64 vcc, |v17|, s7
	v_cndmask_b32_e32 v13, v13, v17, vcc
	v_add_f32_e32 v13, v15, v13
	v_cvt_f16_f32_e32 v13, v13
	v_cvt_f32_f16_e32 v14, v13
	v_mov_b32_e32 v45, v13
.LBB355_73:
	s_or_b64 exec, exec, s[22:23]
	v_cvt_f32_f16_sdwa v31, v6 dst_sel:DWORD dst_unused:UNUSED_PAD src0_sel:WORD_1
	v_max_f32_e32 v15, v14, v14
	v_cmp_u_f16_e32 vcc, v13, v13
	v_cmp_u_f16_sdwa s[22:23], v6, v6 src0_sel:WORD_1 src1_sel:WORD_1
	v_min_f32_e32 v16, v15, v31
	v_max_f32_e32 v15, v15, v31
	v_cndmask_b32_e32 v16, v16, v14, vcc
	v_cndmask_b32_e32 v15, v15, v14, vcc
	v_cndmask_b32_e64 v16, v16, v31, s[22:23]
	v_cndmask_b32_e64 v15, v15, v31, s[22:23]
	s_movk_i32 s7, 0x1f8
	v_cmp_neq_f32_e32 vcc, v16, v15
	v_cmp_class_f32_e64 s[24:25], v16, s7
	s_or_b64 s[26:27], vcc, s[24:25]
	s_and_saveexec_b64 s[24:25], s[26:27]
	s_cbranch_execz .LBB355_75
; %bb.74:
	v_sub_f32_e32 v13, v16, v15
	s_mov_b32 s26, 0x3fb8aa3b
	v_mul_f32_e32 v14, 0x3fb8aa3b, v13
	v_fma_f32 v16, v13, s26, -v14
	v_rndne_f32_e32 v17, v14
	v_fmac_f32_e32 v16, 0x32a5705f, v13
	v_sub_f32_e32 v14, v14, v17
	v_add_f32_e32 v14, v14, v16
	v_exp_f32_e32 v14, v14
	v_cvt_i32_f32_e32 v16, v17
	s_mov_b32 s26, 0xc2ce8ed0
	v_cmp_ngt_f32_e32 vcc, s26, v13
	s_mov_b32 s26, 0x42b17218
	v_ldexp_f32 v14, v14, v16
	v_cndmask_b32_e32 v14, 0, v14, vcc
	v_mov_b32_e32 v16, 0x7f800000
	v_cmp_nlt_f32_e32 vcc, s26, v13
	v_cndmask_b32_e32 v17, v16, v14, vcc
	v_add_f32_e32 v18, 1.0, v17
	v_cvt_f64_f32_e32 v[13:14], v18
	v_add_f32_e32 v32, -1.0, v18
	v_sub_f32_e32 v33, v32, v18
	v_sub_f32_e32 v32, v17, v32
	v_frexp_exp_i32_f64_e32 v13, v[13:14]
	v_add_f32_e32 v14, 1.0, v33
	v_add_f32_e32 v14, v32, v14
	v_frexp_mant_f32_e32 v32, v18
	s_mov_b32 s27, 0x3f2aaaab
	v_cmp_gt_f32_e32 vcc, s27, v32
	s_mov_b32 s27, 0x3f317218
	s_mov_b32 s26, 0x7f800000
	v_subbrev_co_u32_e32 v13, vcc, 0, v13, vcc
	v_sub_u32_e32 v32, 0, v13
	v_ldexp_f32 v18, v18, v32
	v_ldexp_f32 v14, v14, v32
	v_add_f32_e32 v32, -1.0, v18
	v_add_f32_e32 v35, 1.0, v18
	v_add_f32_e32 v33, 1.0, v32
	v_add_f32_e32 v36, -1.0, v35
	v_sub_f32_e32 v33, v18, v33
	v_sub_f32_e32 v18, v18, v36
	v_add_f32_e32 v33, v14, v33
	v_add_f32_e32 v14, v14, v18
	;; [unrolled: 1-line block ×3, first 2 shown]
	v_rcp_f32_e32 v36, v18
	v_add_f32_e32 v34, v32, v33
	v_sub_f32_e32 v32, v32, v34
	v_add_f32_e32 v32, v33, v32
	v_sub_f32_e32 v33, v35, v18
	v_add_f32_e32 v14, v14, v33
	v_mul_f32_e32 v33, v34, v36
	v_mul_f32_e32 v35, v18, v33
	v_fma_f32 v37, v33, v18, -v35
	v_fmac_f32_e32 v37, v33, v14
	v_add_f32_e32 v38, v35, v37
	v_sub_f32_e32 v39, v34, v38
	v_sub_f32_e32 v34, v34, v39
	;; [unrolled: 1-line block ×4, first 2 shown]
	v_add_f32_e32 v32, v32, v34
	v_sub_f32_e32 v34, v35, v37
	v_add_f32_e32 v32, v34, v32
	v_add_f32_e32 v34, v39, v32
	v_mul_f32_e32 v35, v36, v34
	v_mul_f32_e32 v37, v18, v35
	v_fma_f32 v18, v35, v18, -v37
	v_fmac_f32_e32 v18, v35, v14
	v_sub_f32_e32 v14, v39, v34
	v_add_f32_e32 v14, v32, v14
	v_add_f32_e32 v32, v37, v18
	v_sub_f32_e32 v38, v34, v32
	v_sub_f32_e32 v34, v34, v38
	;; [unrolled: 1-line block ×4, first 2 shown]
	v_add_f32_e32 v14, v14, v32
	v_sub_f32_e32 v18, v37, v18
	v_add_f32_e32 v14, v18, v14
	v_add_f32_e32 v18, v33, v35
	;; [unrolled: 1-line block ×3, first 2 shown]
	v_sub_f32_e32 v32, v18, v33
	v_mul_f32_e32 v14, v36, v14
	v_sub_f32_e32 v32, v35, v32
	v_add_f32_e32 v14, v32, v14
	v_cvt_f32_i32_e32 v13, v13
	v_add_f32_e32 v32, v18, v14
	v_mul_f32_e32 v33, v32, v32
	v_mov_b32_e32 v34, 0x3ecc95a3
	v_fmac_f32_e32 v34, 0x3e9b6dac, v33
	v_mov_b32_e32 v35, 0x3f2aaada
	v_fmac_f32_e32 v35, v33, v34
	v_mul_f32_e32 v34, 0x3f317218, v13
	v_fma_f32 v36, v13, s27, -v34
	v_fmac_f32_e32 v36, 0xb102e308, v13
	v_sub_f32_e32 v13, v32, v18
	v_sub_f32_e32 v13, v14, v13
	v_add_f32_e32 v14, v34, v36
	v_sub_f32_e32 v18, v14, v34
	v_ldexp_f32 v34, v32, 1
	v_mul_f32_e32 v32, v32, v33
	v_mul_f32_e32 v32, v32, v35
	v_add_f32_e32 v33, v34, v32
	v_sub_f32_e32 v34, v33, v34
	v_ldexp_f32 v13, v13, 1
	v_sub_f32_e32 v32, v32, v34
	v_add_f32_e32 v13, v13, v32
	v_add_f32_e32 v32, v33, v13
	v_sub_f32_e32 v33, v32, v33
	v_sub_f32_e32 v13, v13, v33
	v_add_f32_e32 v33, v14, v32
	v_sub_f32_e32 v34, v33, v14
	v_sub_f32_e32 v35, v33, v34
	;; [unrolled: 1-line block ×5, first 2 shown]
	v_add_f32_e32 v14, v32, v14
	v_add_f32_e32 v32, v18, v13
	v_sub_f32_e32 v34, v32, v18
	v_sub_f32_e32 v35, v32, v34
	;; [unrolled: 1-line block ×4, first 2 shown]
	v_add_f32_e32 v14, v32, v14
	v_add_f32_e32 v13, v13, v18
	;; [unrolled: 1-line block ×3, first 2 shown]
	v_sub_f32_e32 v32, v18, v33
	v_sub_f32_e32 v14, v14, v32
	v_add_f32_e32 v13, v13, v14
	v_add_f32_e32 v13, v18, v13
	v_cmp_neq_f32_e32 vcc, s26, v17
	s_mov_b32 s26, 0x33800000
	v_cndmask_b32_e32 v13, v16, v13, vcc
	v_cmp_lt_f32_e64 vcc, |v17|, s26
	v_cndmask_b32_e32 v13, v13, v17, vcc
	v_add_f32_e32 v13, v15, v13
	v_cvt_f16_f32_e32 v13, v13
	v_cvt_f32_f16_e32 v14, v13
	v_mov_b32_e32 v45, v13
.LBB355_75:
	s_or_b64 exec, exec, s[24:25]
	v_cvt_f32_f16_e32 v32, v7
	v_max_f32_e32 v15, v14, v14
	v_cmp_u_f16_e32 vcc, v13, v13
	v_cmp_u_f16_e64 s[24:25], v7, v7
	v_min_f32_e32 v16, v15, v32
	v_max_f32_e32 v15, v15, v32
	v_cndmask_b32_e32 v16, v16, v14, vcc
	v_cndmask_b32_e32 v15, v15, v14, vcc
	v_cndmask_b32_e64 v16, v16, v32, s[24:25]
	v_cndmask_b32_e64 v15, v15, v32, s[24:25]
	v_cmp_neq_f32_e32 vcc, v16, v15
	v_cmp_class_f32_e64 s[26:27], v16, s7
	s_or_b64 s[28:29], vcc, s[26:27]
	s_and_saveexec_b64 s[26:27], s[28:29]
	s_cbranch_execz .LBB355_77
; %bb.76:
	v_sub_f32_e32 v13, v16, v15
	s_mov_b32 s7, 0x3fb8aa3b
	v_mul_f32_e32 v14, 0x3fb8aa3b, v13
	v_fma_f32 v16, v13, s7, -v14
	v_rndne_f32_e32 v17, v14
	v_fmac_f32_e32 v16, 0x32a5705f, v13
	v_sub_f32_e32 v14, v14, v17
	v_add_f32_e32 v14, v14, v16
	v_exp_f32_e32 v14, v14
	v_cvt_i32_f32_e32 v16, v17
	s_mov_b32 s7, 0xc2ce8ed0
	v_cmp_ngt_f32_e32 vcc, s7, v13
	s_mov_b32 s7, 0x42b17218
	v_ldexp_f32 v14, v14, v16
	v_cndmask_b32_e32 v14, 0, v14, vcc
	v_mov_b32_e32 v16, 0x7f800000
	v_cmp_nlt_f32_e32 vcc, s7, v13
	v_cndmask_b32_e32 v17, v16, v14, vcc
	v_add_f32_e32 v18, 1.0, v17
	v_cvt_f64_f32_e32 v[13:14], v18
	v_add_f32_e32 v33, -1.0, v18
	v_sub_f32_e32 v34, v33, v18
	v_sub_f32_e32 v33, v17, v33
	v_frexp_exp_i32_f64_e32 v13, v[13:14]
	v_add_f32_e32 v14, 1.0, v34
	v_add_f32_e32 v14, v33, v14
	v_frexp_mant_f32_e32 v33, v18
	s_mov_b32 s28, 0x3f2aaaab
	v_cmp_gt_f32_e32 vcc, s28, v33
	s_mov_b32 s28, 0x3f317218
	s_mov_b32 s7, 0x7f800000
	v_subbrev_co_u32_e32 v13, vcc, 0, v13, vcc
	v_sub_u32_e32 v33, 0, v13
	v_ldexp_f32 v18, v18, v33
	v_ldexp_f32 v14, v14, v33
	v_add_f32_e32 v33, -1.0, v18
	v_add_f32_e32 v36, 1.0, v18
	v_add_f32_e32 v34, 1.0, v33
	v_add_f32_e32 v37, -1.0, v36
	v_sub_f32_e32 v34, v18, v34
	v_sub_f32_e32 v18, v18, v37
	v_add_f32_e32 v34, v14, v34
	v_add_f32_e32 v14, v14, v18
	;; [unrolled: 1-line block ×3, first 2 shown]
	v_rcp_f32_e32 v37, v18
	v_add_f32_e32 v35, v33, v34
	v_sub_f32_e32 v33, v33, v35
	v_add_f32_e32 v33, v34, v33
	v_sub_f32_e32 v34, v36, v18
	v_add_f32_e32 v14, v14, v34
	v_mul_f32_e32 v34, v35, v37
	v_mul_f32_e32 v36, v18, v34
	v_fma_f32 v38, v34, v18, -v36
	v_fmac_f32_e32 v38, v34, v14
	v_add_f32_e32 v39, v36, v38
	v_sub_f32_e32 v40, v35, v39
	v_sub_f32_e32 v35, v35, v40
	;; [unrolled: 1-line block ×4, first 2 shown]
	v_add_f32_e32 v33, v33, v35
	v_sub_f32_e32 v35, v36, v38
	v_add_f32_e32 v33, v35, v33
	v_add_f32_e32 v35, v40, v33
	v_mul_f32_e32 v36, v37, v35
	v_mul_f32_e32 v38, v18, v36
	v_fma_f32 v18, v36, v18, -v38
	v_fmac_f32_e32 v18, v36, v14
	v_sub_f32_e32 v14, v40, v35
	v_add_f32_e32 v14, v33, v14
	v_add_f32_e32 v33, v38, v18
	v_sub_f32_e32 v39, v35, v33
	v_sub_f32_e32 v35, v35, v39
	;; [unrolled: 1-line block ×4, first 2 shown]
	v_add_f32_e32 v14, v14, v33
	v_sub_f32_e32 v18, v38, v18
	v_add_f32_e32 v14, v18, v14
	v_add_f32_e32 v18, v34, v36
	;; [unrolled: 1-line block ×3, first 2 shown]
	v_sub_f32_e32 v33, v18, v34
	v_mul_f32_e32 v14, v37, v14
	v_sub_f32_e32 v33, v36, v33
	v_add_f32_e32 v14, v33, v14
	v_cvt_f32_i32_e32 v13, v13
	v_add_f32_e32 v33, v18, v14
	v_mul_f32_e32 v34, v33, v33
	v_mov_b32_e32 v35, 0x3ecc95a3
	v_fmac_f32_e32 v35, 0x3e9b6dac, v34
	v_mov_b32_e32 v36, 0x3f2aaada
	v_fmac_f32_e32 v36, v34, v35
	v_mul_f32_e32 v35, 0x3f317218, v13
	v_fma_f32 v37, v13, s28, -v35
	v_fmac_f32_e32 v37, 0xb102e308, v13
	v_sub_f32_e32 v13, v33, v18
	v_sub_f32_e32 v13, v14, v13
	v_add_f32_e32 v14, v35, v37
	v_sub_f32_e32 v18, v14, v35
	v_ldexp_f32 v35, v33, 1
	v_mul_f32_e32 v33, v33, v34
	v_mul_f32_e32 v33, v33, v36
	v_add_f32_e32 v34, v35, v33
	v_sub_f32_e32 v35, v34, v35
	v_ldexp_f32 v13, v13, 1
	v_sub_f32_e32 v33, v33, v35
	v_add_f32_e32 v13, v13, v33
	v_add_f32_e32 v33, v34, v13
	v_sub_f32_e32 v34, v33, v34
	v_sub_f32_e32 v13, v13, v34
	v_add_f32_e32 v34, v14, v33
	v_sub_f32_e32 v35, v34, v14
	v_sub_f32_e32 v36, v34, v35
	;; [unrolled: 1-line block ×5, first 2 shown]
	v_add_f32_e32 v14, v33, v14
	v_add_f32_e32 v33, v18, v13
	v_sub_f32_e32 v35, v33, v18
	v_sub_f32_e32 v36, v33, v35
	;; [unrolled: 1-line block ×4, first 2 shown]
	v_add_f32_e32 v14, v33, v14
	v_add_f32_e32 v13, v13, v18
	;; [unrolled: 1-line block ×3, first 2 shown]
	v_sub_f32_e32 v33, v18, v34
	v_sub_f32_e32 v14, v14, v33
	v_add_f32_e32 v13, v13, v14
	v_add_f32_e32 v13, v18, v13
	v_cmp_neq_f32_e32 vcc, s7, v17
	s_mov_b32 s7, 0x33800000
	v_cndmask_b32_e32 v13, v16, v13, vcc
	v_cmp_lt_f32_e64 vcc, |v17|, s7
	v_cndmask_b32_e32 v13, v13, v17, vcc
	v_add_f32_e32 v13, v15, v13
	v_cvt_f16_f32_e32 v13, v13
	v_cvt_f32_f16_e32 v14, v13
	v_mov_b32_e32 v45, v13
.LBB355_77:
	s_or_b64 exec, exec, s[26:27]
	v_cvt_f32_f16_sdwa v33, v7 dst_sel:DWORD dst_unused:UNUSED_PAD src0_sel:WORD_1
	v_max_f32_e32 v15, v14, v14
	v_cmp_u_f16_e32 vcc, v13, v13
	v_cmp_u_f16_sdwa s[26:27], v7, v7 src0_sel:WORD_1 src1_sel:WORD_1
	v_min_f32_e32 v16, v15, v33
	v_max_f32_e32 v15, v15, v33
	v_cndmask_b32_e32 v16, v16, v14, vcc
	v_cndmask_b32_e32 v15, v15, v14, vcc
	v_cndmask_b32_e64 v16, v16, v33, s[26:27]
	v_cndmask_b32_e64 v15, v15, v33, s[26:27]
	s_movk_i32 s7, 0x1f8
	v_cmp_neq_f32_e32 vcc, v16, v15
	v_cmp_class_f32_e64 s[28:29], v16, s7
	s_or_b64 s[30:31], vcc, s[28:29]
	s_and_saveexec_b64 s[28:29], s[30:31]
	s_cbranch_execz .LBB355_79
; %bb.78:
	v_sub_f32_e32 v13, v16, v15
	s_mov_b32 s30, 0x3fb8aa3b
	v_mul_f32_e32 v14, 0x3fb8aa3b, v13
	v_fma_f32 v16, v13, s30, -v14
	v_rndne_f32_e32 v17, v14
	v_fmac_f32_e32 v16, 0x32a5705f, v13
	v_sub_f32_e32 v14, v14, v17
	v_add_f32_e32 v14, v14, v16
	v_exp_f32_e32 v14, v14
	v_cvt_i32_f32_e32 v16, v17
	s_mov_b32 s30, 0xc2ce8ed0
	v_cmp_ngt_f32_e32 vcc, s30, v13
	s_mov_b32 s30, 0x42b17218
	v_ldexp_f32 v14, v14, v16
	v_cndmask_b32_e32 v14, 0, v14, vcc
	v_mov_b32_e32 v16, 0x7f800000
	v_cmp_nlt_f32_e32 vcc, s30, v13
	v_cndmask_b32_e32 v17, v16, v14, vcc
	v_add_f32_e32 v18, 1.0, v17
	v_cvt_f64_f32_e32 v[13:14], v18
	v_add_f32_e32 v34, -1.0, v18
	v_sub_f32_e32 v35, v34, v18
	v_sub_f32_e32 v34, v17, v34
	v_frexp_exp_i32_f64_e32 v13, v[13:14]
	v_add_f32_e32 v14, 1.0, v35
	v_add_f32_e32 v14, v34, v14
	v_frexp_mant_f32_e32 v34, v18
	s_mov_b32 s31, 0x3f2aaaab
	v_cmp_gt_f32_e32 vcc, s31, v34
	s_mov_b32 s31, 0x3f317218
	s_mov_b32 s30, 0x7f800000
	v_subbrev_co_u32_e32 v13, vcc, 0, v13, vcc
	v_sub_u32_e32 v34, 0, v13
	v_ldexp_f32 v18, v18, v34
	v_ldexp_f32 v14, v14, v34
	v_add_f32_e32 v34, -1.0, v18
	v_add_f32_e32 v37, 1.0, v18
	v_add_f32_e32 v35, 1.0, v34
	v_add_f32_e32 v38, -1.0, v37
	v_sub_f32_e32 v35, v18, v35
	v_sub_f32_e32 v18, v18, v38
	v_add_f32_e32 v35, v14, v35
	v_add_f32_e32 v14, v14, v18
	;; [unrolled: 1-line block ×3, first 2 shown]
	v_rcp_f32_e32 v38, v18
	v_add_f32_e32 v36, v34, v35
	v_sub_f32_e32 v34, v34, v36
	v_add_f32_e32 v34, v35, v34
	v_sub_f32_e32 v35, v37, v18
	v_add_f32_e32 v14, v14, v35
	v_mul_f32_e32 v35, v36, v38
	v_mul_f32_e32 v37, v18, v35
	v_fma_f32 v39, v35, v18, -v37
	v_fmac_f32_e32 v39, v35, v14
	v_add_f32_e32 v40, v37, v39
	v_sub_f32_e32 v41, v36, v40
	v_sub_f32_e32 v36, v36, v41
	v_sub_f32_e32 v37, v40, v37
	v_sub_f32_e32 v36, v36, v40
	v_add_f32_e32 v34, v34, v36
	v_sub_f32_e32 v36, v37, v39
	v_add_f32_e32 v34, v36, v34
	v_add_f32_e32 v36, v41, v34
	v_mul_f32_e32 v37, v38, v36
	v_mul_f32_e32 v39, v18, v37
	v_fma_f32 v18, v37, v18, -v39
	v_fmac_f32_e32 v18, v37, v14
	v_sub_f32_e32 v14, v41, v36
	v_add_f32_e32 v14, v34, v14
	v_add_f32_e32 v34, v39, v18
	v_sub_f32_e32 v40, v36, v34
	v_sub_f32_e32 v36, v36, v40
	;; [unrolled: 1-line block ×4, first 2 shown]
	v_add_f32_e32 v14, v14, v34
	v_sub_f32_e32 v18, v39, v18
	v_add_f32_e32 v14, v18, v14
	v_add_f32_e32 v18, v35, v37
	;; [unrolled: 1-line block ×3, first 2 shown]
	v_sub_f32_e32 v34, v18, v35
	v_mul_f32_e32 v14, v38, v14
	v_sub_f32_e32 v34, v37, v34
	v_add_f32_e32 v14, v34, v14
	v_cvt_f32_i32_e32 v13, v13
	v_add_f32_e32 v34, v18, v14
	v_mul_f32_e32 v35, v34, v34
	v_mov_b32_e32 v36, 0x3ecc95a3
	v_fmac_f32_e32 v36, 0x3e9b6dac, v35
	v_mov_b32_e32 v37, 0x3f2aaada
	v_fmac_f32_e32 v37, v35, v36
	v_mul_f32_e32 v36, 0x3f317218, v13
	v_fma_f32 v38, v13, s31, -v36
	v_fmac_f32_e32 v38, 0xb102e308, v13
	v_sub_f32_e32 v13, v34, v18
	v_sub_f32_e32 v13, v14, v13
	v_add_f32_e32 v14, v36, v38
	v_sub_f32_e32 v18, v14, v36
	v_ldexp_f32 v36, v34, 1
	v_mul_f32_e32 v34, v34, v35
	v_mul_f32_e32 v34, v34, v37
	v_add_f32_e32 v35, v36, v34
	v_sub_f32_e32 v36, v35, v36
	v_ldexp_f32 v13, v13, 1
	v_sub_f32_e32 v34, v34, v36
	v_add_f32_e32 v13, v13, v34
	v_add_f32_e32 v34, v35, v13
	v_sub_f32_e32 v35, v34, v35
	v_sub_f32_e32 v13, v13, v35
	v_add_f32_e32 v35, v14, v34
	v_sub_f32_e32 v36, v35, v14
	v_sub_f32_e32 v37, v35, v36
	;; [unrolled: 1-line block ×5, first 2 shown]
	v_add_f32_e32 v14, v34, v14
	v_add_f32_e32 v34, v18, v13
	v_sub_f32_e32 v36, v34, v18
	v_sub_f32_e32 v37, v34, v36
	;; [unrolled: 1-line block ×4, first 2 shown]
	v_add_f32_e32 v14, v34, v14
	v_add_f32_e32 v13, v13, v18
	;; [unrolled: 1-line block ×3, first 2 shown]
	v_sub_f32_e32 v34, v18, v35
	v_sub_f32_e32 v14, v14, v34
	v_add_f32_e32 v13, v13, v14
	v_add_f32_e32 v13, v18, v13
	v_cmp_neq_f32_e32 vcc, s30, v17
	s_mov_b32 s30, 0x33800000
	v_cndmask_b32_e32 v13, v16, v13, vcc
	v_cmp_lt_f32_e64 vcc, |v17|, s30
	v_cndmask_b32_e32 v13, v13, v17, vcc
	v_add_f32_e32 v13, v15, v13
	v_cvt_f16_f32_e32 v13, v13
	v_cvt_f32_f16_e32 v14, v13
	v_mov_b32_e32 v45, v13
.LBB355_79:
	s_or_b64 exec, exec, s[28:29]
	v_cvt_f32_f16_e32 v34, v8
	v_max_f32_e32 v15, v14, v14
	v_cmp_u_f16_e32 vcc, v13, v13
	v_cmp_u_f16_e64 s[28:29], v8, v8
	v_min_f32_e32 v16, v15, v34
	v_max_f32_e32 v15, v15, v34
	v_cndmask_b32_e32 v16, v16, v14, vcc
	v_cndmask_b32_e32 v15, v15, v14, vcc
	v_cndmask_b32_e64 v16, v16, v34, s[28:29]
	v_cndmask_b32_e64 v15, v15, v34, s[28:29]
	v_cmp_neq_f32_e32 vcc, v16, v15
	v_cmp_class_f32_e64 s[30:31], v16, s7
	s_or_b64 s[34:35], vcc, s[30:31]
	s_and_saveexec_b64 s[30:31], s[34:35]
	s_cbranch_execz .LBB355_81
; %bb.80:
	v_sub_f32_e32 v13, v16, v15
	s_mov_b32 s7, 0x3fb8aa3b
	v_mul_f32_e32 v14, 0x3fb8aa3b, v13
	v_fma_f32 v16, v13, s7, -v14
	v_rndne_f32_e32 v17, v14
	v_fmac_f32_e32 v16, 0x32a5705f, v13
	v_sub_f32_e32 v14, v14, v17
	v_add_f32_e32 v14, v14, v16
	v_exp_f32_e32 v14, v14
	v_cvt_i32_f32_e32 v16, v17
	s_mov_b32 s7, 0xc2ce8ed0
	v_cmp_ngt_f32_e32 vcc, s7, v13
	s_mov_b32 s7, 0x42b17218
	v_ldexp_f32 v14, v14, v16
	v_cndmask_b32_e32 v14, 0, v14, vcc
	v_mov_b32_e32 v16, 0x7f800000
	v_cmp_nlt_f32_e32 vcc, s7, v13
	v_cndmask_b32_e32 v17, v16, v14, vcc
	v_add_f32_e32 v18, 1.0, v17
	v_cvt_f64_f32_e32 v[13:14], v18
	v_add_f32_e32 v35, -1.0, v18
	v_sub_f32_e32 v36, v35, v18
	v_sub_f32_e32 v35, v17, v35
	v_frexp_exp_i32_f64_e32 v13, v[13:14]
	v_add_f32_e32 v14, 1.0, v36
	v_add_f32_e32 v14, v35, v14
	v_frexp_mant_f32_e32 v35, v18
	s_mov_b32 s34, 0x3f2aaaab
	v_cmp_gt_f32_e32 vcc, s34, v35
	s_mov_b32 s34, 0x3f317218
	s_mov_b32 s7, 0x7f800000
	v_subbrev_co_u32_e32 v13, vcc, 0, v13, vcc
	v_sub_u32_e32 v35, 0, v13
	v_ldexp_f32 v18, v18, v35
	v_ldexp_f32 v14, v14, v35
	v_add_f32_e32 v35, -1.0, v18
	v_add_f32_e32 v38, 1.0, v18
	v_add_f32_e32 v36, 1.0, v35
	v_add_f32_e32 v39, -1.0, v38
	v_sub_f32_e32 v36, v18, v36
	v_sub_f32_e32 v18, v18, v39
	v_add_f32_e32 v36, v14, v36
	v_add_f32_e32 v14, v14, v18
	;; [unrolled: 1-line block ×3, first 2 shown]
	v_rcp_f32_e32 v39, v18
	v_add_f32_e32 v37, v35, v36
	v_sub_f32_e32 v35, v35, v37
	v_add_f32_e32 v35, v36, v35
	v_sub_f32_e32 v36, v38, v18
	v_add_f32_e32 v14, v14, v36
	v_mul_f32_e32 v36, v37, v39
	v_mul_f32_e32 v38, v18, v36
	v_fma_f32 v40, v36, v18, -v38
	v_fmac_f32_e32 v40, v36, v14
	v_add_f32_e32 v41, v38, v40
	v_sub_f32_e32 v42, v37, v41
	v_sub_f32_e32 v37, v37, v42
	;; [unrolled: 1-line block ×4, first 2 shown]
	v_add_f32_e32 v35, v35, v37
	v_sub_f32_e32 v37, v38, v40
	v_add_f32_e32 v35, v37, v35
	v_add_f32_e32 v37, v42, v35
	v_mul_f32_e32 v38, v39, v37
	v_mul_f32_e32 v40, v18, v38
	v_fma_f32 v18, v38, v18, -v40
	v_fmac_f32_e32 v18, v38, v14
	v_sub_f32_e32 v14, v42, v37
	v_add_f32_e32 v14, v35, v14
	v_add_f32_e32 v35, v40, v18
	v_sub_f32_e32 v41, v37, v35
	v_sub_f32_e32 v37, v37, v41
	;; [unrolled: 1-line block ×4, first 2 shown]
	v_add_f32_e32 v14, v14, v35
	v_sub_f32_e32 v18, v40, v18
	v_add_f32_e32 v14, v18, v14
	v_add_f32_e32 v18, v36, v38
	;; [unrolled: 1-line block ×3, first 2 shown]
	v_sub_f32_e32 v35, v18, v36
	v_mul_f32_e32 v14, v39, v14
	v_sub_f32_e32 v35, v38, v35
	v_add_f32_e32 v14, v35, v14
	v_cvt_f32_i32_e32 v13, v13
	v_add_f32_e32 v35, v18, v14
	v_mul_f32_e32 v36, v35, v35
	v_mov_b32_e32 v37, 0x3ecc95a3
	v_fmac_f32_e32 v37, 0x3e9b6dac, v36
	v_mov_b32_e32 v38, 0x3f2aaada
	v_fmac_f32_e32 v38, v36, v37
	v_mul_f32_e32 v37, 0x3f317218, v13
	v_fma_f32 v39, v13, s34, -v37
	v_fmac_f32_e32 v39, 0xb102e308, v13
	v_sub_f32_e32 v13, v35, v18
	v_sub_f32_e32 v13, v14, v13
	v_add_f32_e32 v14, v37, v39
	v_sub_f32_e32 v18, v14, v37
	v_ldexp_f32 v37, v35, 1
	v_mul_f32_e32 v35, v35, v36
	v_mul_f32_e32 v35, v35, v38
	v_add_f32_e32 v36, v37, v35
	v_sub_f32_e32 v37, v36, v37
	v_ldexp_f32 v13, v13, 1
	v_sub_f32_e32 v35, v35, v37
	v_add_f32_e32 v13, v13, v35
	v_add_f32_e32 v35, v36, v13
	v_sub_f32_e32 v36, v35, v36
	v_sub_f32_e32 v13, v13, v36
	v_add_f32_e32 v36, v14, v35
	v_sub_f32_e32 v37, v36, v14
	v_sub_f32_e32 v38, v36, v37
	;; [unrolled: 1-line block ×5, first 2 shown]
	v_add_f32_e32 v14, v35, v14
	v_add_f32_e32 v35, v18, v13
	v_sub_f32_e32 v37, v35, v18
	v_sub_f32_e32 v38, v35, v37
	;; [unrolled: 1-line block ×4, first 2 shown]
	v_add_f32_e32 v14, v35, v14
	v_add_f32_e32 v13, v13, v18
	;; [unrolled: 1-line block ×3, first 2 shown]
	v_sub_f32_e32 v35, v18, v36
	v_sub_f32_e32 v14, v14, v35
	v_add_f32_e32 v13, v13, v14
	v_add_f32_e32 v13, v18, v13
	v_cmp_neq_f32_e32 vcc, s7, v17
	s_mov_b32 s7, 0x33800000
	v_cndmask_b32_e32 v13, v16, v13, vcc
	v_cmp_lt_f32_e64 vcc, |v17|, s7
	v_cndmask_b32_e32 v13, v13, v17, vcc
	v_add_f32_e32 v13, v15, v13
	v_cvt_f16_f32_e32 v13, v13
	v_cvt_f32_f16_e32 v14, v13
	v_mov_b32_e32 v45, v13
.LBB355_81:
	s_or_b64 exec, exec, s[30:31]
	v_cvt_f32_f16_sdwa v35, v8 dst_sel:DWORD dst_unused:UNUSED_PAD src0_sel:WORD_1
	v_max_f32_e32 v15, v14, v14
	v_cmp_u_f16_e32 vcc, v13, v13
	v_cmp_u_f16_sdwa s[30:31], v8, v8 src0_sel:WORD_1 src1_sel:WORD_1
	v_min_f32_e32 v16, v15, v35
	v_max_f32_e32 v15, v15, v35
	v_cndmask_b32_e32 v16, v16, v14, vcc
	v_cndmask_b32_e32 v15, v15, v14, vcc
	v_cndmask_b32_e64 v16, v16, v35, s[30:31]
	v_cndmask_b32_e64 v15, v15, v35, s[30:31]
	s_movk_i32 s7, 0x1f8
	v_cmp_neq_f32_e32 vcc, v16, v15
	v_cmp_class_f32_e64 s[34:35], v16, s7
	s_or_b64 s[36:37], vcc, s[34:35]
	s_and_saveexec_b64 s[34:35], s[36:37]
	s_cbranch_execz .LBB355_83
; %bb.82:
	v_sub_f32_e32 v13, v16, v15
	s_mov_b32 s36, 0x3fb8aa3b
	v_mul_f32_e32 v14, 0x3fb8aa3b, v13
	v_fma_f32 v16, v13, s36, -v14
	v_rndne_f32_e32 v17, v14
	v_fmac_f32_e32 v16, 0x32a5705f, v13
	v_sub_f32_e32 v14, v14, v17
	v_add_f32_e32 v14, v14, v16
	v_exp_f32_e32 v14, v14
	v_cvt_i32_f32_e32 v16, v17
	s_mov_b32 s36, 0xc2ce8ed0
	v_cmp_ngt_f32_e32 vcc, s36, v13
	s_mov_b32 s36, 0x42b17218
	v_ldexp_f32 v14, v14, v16
	v_cndmask_b32_e32 v14, 0, v14, vcc
	v_mov_b32_e32 v16, 0x7f800000
	v_cmp_nlt_f32_e32 vcc, s36, v13
	v_cndmask_b32_e32 v17, v16, v14, vcc
	v_add_f32_e32 v18, 1.0, v17
	v_cvt_f64_f32_e32 v[13:14], v18
	v_add_f32_e32 v36, -1.0, v18
	v_sub_f32_e32 v37, v36, v18
	v_sub_f32_e32 v36, v17, v36
	v_frexp_exp_i32_f64_e32 v13, v[13:14]
	v_add_f32_e32 v14, 1.0, v37
	v_add_f32_e32 v14, v36, v14
	v_frexp_mant_f32_e32 v36, v18
	s_mov_b32 s37, 0x3f2aaaab
	v_cmp_gt_f32_e32 vcc, s37, v36
	s_mov_b32 s37, 0x3f317218
	s_mov_b32 s36, 0x7f800000
	v_subbrev_co_u32_e32 v13, vcc, 0, v13, vcc
	v_sub_u32_e32 v36, 0, v13
	v_ldexp_f32 v18, v18, v36
	v_ldexp_f32 v14, v14, v36
	v_add_f32_e32 v36, -1.0, v18
	v_add_f32_e32 v39, 1.0, v18
	v_add_f32_e32 v37, 1.0, v36
	v_add_f32_e32 v40, -1.0, v39
	v_sub_f32_e32 v37, v18, v37
	v_sub_f32_e32 v18, v18, v40
	v_add_f32_e32 v37, v14, v37
	v_add_f32_e32 v14, v14, v18
	;; [unrolled: 1-line block ×3, first 2 shown]
	v_rcp_f32_e32 v40, v18
	v_add_f32_e32 v38, v36, v37
	v_sub_f32_e32 v36, v36, v38
	v_add_f32_e32 v36, v37, v36
	v_sub_f32_e32 v37, v39, v18
	v_add_f32_e32 v14, v14, v37
	v_mul_f32_e32 v37, v38, v40
	v_mul_f32_e32 v39, v18, v37
	v_fma_f32 v41, v37, v18, -v39
	v_fmac_f32_e32 v41, v37, v14
	v_add_f32_e32 v42, v39, v41
	v_sub_f32_e32 v43, v38, v42
	v_sub_f32_e32 v38, v38, v43
	;; [unrolled: 1-line block ×4, first 2 shown]
	v_add_f32_e32 v36, v36, v38
	v_sub_f32_e32 v38, v39, v41
	v_add_f32_e32 v36, v38, v36
	v_add_f32_e32 v38, v43, v36
	v_mul_f32_e32 v39, v40, v38
	v_mul_f32_e32 v41, v18, v39
	v_fma_f32 v18, v39, v18, -v41
	v_fmac_f32_e32 v18, v39, v14
	v_sub_f32_e32 v14, v43, v38
	v_add_f32_e32 v14, v36, v14
	v_add_f32_e32 v36, v41, v18
	v_sub_f32_e32 v42, v38, v36
	v_sub_f32_e32 v38, v38, v42
	v_sub_f32_e32 v41, v36, v41
	v_sub_f32_e32 v36, v38, v36
	v_add_f32_e32 v14, v14, v36
	v_sub_f32_e32 v18, v41, v18
	v_add_f32_e32 v14, v18, v14
	v_add_f32_e32 v18, v37, v39
	;; [unrolled: 1-line block ×3, first 2 shown]
	v_sub_f32_e32 v36, v18, v37
	v_mul_f32_e32 v14, v40, v14
	v_sub_f32_e32 v36, v39, v36
	v_add_f32_e32 v14, v36, v14
	v_cvt_f32_i32_e32 v13, v13
	v_add_f32_e32 v36, v18, v14
	v_mul_f32_e32 v37, v36, v36
	v_mov_b32_e32 v38, 0x3ecc95a3
	v_fmac_f32_e32 v38, 0x3e9b6dac, v37
	v_mov_b32_e32 v39, 0x3f2aaada
	v_fmac_f32_e32 v39, v37, v38
	v_mul_f32_e32 v38, 0x3f317218, v13
	v_fma_f32 v40, v13, s37, -v38
	v_fmac_f32_e32 v40, 0xb102e308, v13
	v_sub_f32_e32 v13, v36, v18
	v_sub_f32_e32 v13, v14, v13
	v_add_f32_e32 v14, v38, v40
	v_sub_f32_e32 v18, v14, v38
	v_ldexp_f32 v38, v36, 1
	v_mul_f32_e32 v36, v36, v37
	v_mul_f32_e32 v36, v36, v39
	v_add_f32_e32 v37, v38, v36
	v_sub_f32_e32 v38, v37, v38
	v_ldexp_f32 v13, v13, 1
	v_sub_f32_e32 v36, v36, v38
	v_add_f32_e32 v13, v13, v36
	v_add_f32_e32 v36, v37, v13
	v_sub_f32_e32 v37, v36, v37
	v_sub_f32_e32 v13, v13, v37
	v_add_f32_e32 v37, v14, v36
	v_sub_f32_e32 v38, v37, v14
	v_sub_f32_e32 v39, v37, v38
	;; [unrolled: 1-line block ×5, first 2 shown]
	v_add_f32_e32 v14, v36, v14
	v_add_f32_e32 v36, v18, v13
	v_sub_f32_e32 v38, v36, v18
	v_sub_f32_e32 v39, v36, v38
	v_sub_f32_e32 v18, v18, v39
	v_sub_f32_e32 v13, v13, v38
	v_add_f32_e32 v14, v36, v14
	v_add_f32_e32 v13, v13, v18
	;; [unrolled: 1-line block ×3, first 2 shown]
	v_sub_f32_e32 v36, v18, v37
	v_sub_f32_e32 v14, v14, v36
	v_add_f32_e32 v13, v13, v14
	v_add_f32_e32 v13, v18, v13
	v_cmp_neq_f32_e32 vcc, s36, v17
	s_mov_b32 s36, 0x33800000
	v_cndmask_b32_e32 v13, v16, v13, vcc
	v_cmp_lt_f32_e64 vcc, |v17|, s36
	v_cndmask_b32_e32 v13, v13, v17, vcc
	v_add_f32_e32 v13, v15, v13
	v_cvt_f16_f32_e32 v13, v13
	v_cvt_f32_f16_e32 v14, v13
	v_mov_b32_e32 v45, v13
.LBB355_83:
	s_or_b64 exec, exec, s[34:35]
	v_cvt_f32_f16_e32 v36, v1
	v_max_f32_e32 v15, v14, v14
	v_cmp_u_f16_e32 vcc, v13, v13
	v_cmp_u_f16_e64 s[34:35], v1, v1
	v_min_f32_e32 v16, v15, v36
	v_max_f32_e32 v15, v15, v36
	v_cndmask_b32_e32 v16, v16, v14, vcc
	v_cndmask_b32_e32 v15, v15, v14, vcc
	v_cndmask_b32_e64 v16, v16, v36, s[34:35]
	v_cndmask_b32_e64 v15, v15, v36, s[34:35]
	v_cmp_neq_f32_e32 vcc, v16, v15
	v_cmp_class_f32_e64 s[36:37], v16, s7
	s_or_b64 s[38:39], vcc, s[36:37]
	s_and_saveexec_b64 s[36:37], s[38:39]
	s_cbranch_execz .LBB355_85
; %bb.84:
	v_sub_f32_e32 v13, v16, v15
	s_mov_b32 s7, 0x3fb8aa3b
	v_mul_f32_e32 v14, 0x3fb8aa3b, v13
	v_fma_f32 v16, v13, s7, -v14
	v_rndne_f32_e32 v17, v14
	v_fmac_f32_e32 v16, 0x32a5705f, v13
	v_sub_f32_e32 v14, v14, v17
	v_add_f32_e32 v14, v14, v16
	v_exp_f32_e32 v14, v14
	v_cvt_i32_f32_e32 v16, v17
	s_mov_b32 s7, 0xc2ce8ed0
	v_cmp_ngt_f32_e32 vcc, s7, v13
	s_mov_b32 s7, 0x42b17218
	v_ldexp_f32 v14, v14, v16
	v_cndmask_b32_e32 v14, 0, v14, vcc
	v_mov_b32_e32 v16, 0x7f800000
	v_cmp_nlt_f32_e32 vcc, s7, v13
	v_cndmask_b32_e32 v17, v16, v14, vcc
	v_add_f32_e32 v18, 1.0, v17
	v_cvt_f64_f32_e32 v[13:14], v18
	v_add_f32_e32 v37, -1.0, v18
	v_sub_f32_e32 v38, v37, v18
	v_sub_f32_e32 v37, v17, v37
	v_frexp_exp_i32_f64_e32 v13, v[13:14]
	v_add_f32_e32 v14, 1.0, v38
	v_add_f32_e32 v14, v37, v14
	v_frexp_mant_f32_e32 v37, v18
	s_mov_b32 s38, 0x3f2aaaab
	v_cmp_gt_f32_e32 vcc, s38, v37
	s_mov_b32 s38, 0x3f317218
	s_mov_b32 s7, 0x7f800000
	v_subbrev_co_u32_e32 v13, vcc, 0, v13, vcc
	v_sub_u32_e32 v37, 0, v13
	v_ldexp_f32 v18, v18, v37
	v_ldexp_f32 v14, v14, v37
	v_add_f32_e32 v37, -1.0, v18
	v_add_f32_e32 v40, 1.0, v18
	v_add_f32_e32 v38, 1.0, v37
	v_add_f32_e32 v41, -1.0, v40
	v_sub_f32_e32 v38, v18, v38
	v_sub_f32_e32 v18, v18, v41
	v_add_f32_e32 v38, v14, v38
	v_add_f32_e32 v14, v14, v18
	;; [unrolled: 1-line block ×3, first 2 shown]
	v_rcp_f32_e32 v41, v18
	v_add_f32_e32 v39, v37, v38
	v_sub_f32_e32 v37, v37, v39
	v_add_f32_e32 v37, v38, v37
	v_sub_f32_e32 v38, v40, v18
	v_add_f32_e32 v14, v14, v38
	v_mul_f32_e32 v38, v39, v41
	v_mul_f32_e32 v40, v18, v38
	v_fma_f32 v42, v38, v18, -v40
	v_fmac_f32_e32 v42, v38, v14
	v_add_f32_e32 v43, v40, v42
	v_sub_f32_e32 v45, v39, v43
	v_sub_f32_e32 v39, v39, v45
	;; [unrolled: 1-line block ×4, first 2 shown]
	v_add_f32_e32 v37, v37, v39
	v_sub_f32_e32 v39, v40, v42
	v_add_f32_e32 v37, v39, v37
	v_add_f32_e32 v39, v45, v37
	v_mul_f32_e32 v40, v41, v39
	v_mul_f32_e32 v42, v18, v40
	v_fma_f32 v18, v40, v18, -v42
	v_fmac_f32_e32 v18, v40, v14
	v_sub_f32_e32 v14, v45, v39
	v_add_f32_e32 v14, v37, v14
	v_add_f32_e32 v37, v42, v18
	v_sub_f32_e32 v43, v39, v37
	v_sub_f32_e32 v39, v39, v43
	;; [unrolled: 1-line block ×4, first 2 shown]
	v_add_f32_e32 v14, v14, v37
	v_sub_f32_e32 v18, v42, v18
	v_add_f32_e32 v14, v18, v14
	v_add_f32_e32 v18, v38, v40
	;; [unrolled: 1-line block ×3, first 2 shown]
	v_sub_f32_e32 v37, v18, v38
	v_mul_f32_e32 v14, v41, v14
	v_sub_f32_e32 v37, v40, v37
	v_add_f32_e32 v14, v37, v14
	v_cvt_f32_i32_e32 v13, v13
	v_add_f32_e32 v37, v18, v14
	v_mul_f32_e32 v38, v37, v37
	v_mov_b32_e32 v39, 0x3ecc95a3
	v_fmac_f32_e32 v39, 0x3e9b6dac, v38
	v_mov_b32_e32 v40, 0x3f2aaada
	v_fmac_f32_e32 v40, v38, v39
	v_mul_f32_e32 v39, 0x3f317218, v13
	v_fma_f32 v41, v13, s38, -v39
	v_fmac_f32_e32 v41, 0xb102e308, v13
	v_sub_f32_e32 v13, v37, v18
	v_sub_f32_e32 v13, v14, v13
	v_add_f32_e32 v14, v39, v41
	v_sub_f32_e32 v18, v14, v39
	v_ldexp_f32 v39, v37, 1
	v_mul_f32_e32 v37, v37, v38
	v_mul_f32_e32 v37, v37, v40
	v_add_f32_e32 v38, v39, v37
	v_sub_f32_e32 v39, v38, v39
	v_ldexp_f32 v13, v13, 1
	v_sub_f32_e32 v37, v37, v39
	v_add_f32_e32 v13, v13, v37
	v_add_f32_e32 v37, v38, v13
	v_sub_f32_e32 v38, v37, v38
	v_sub_f32_e32 v13, v13, v38
	v_add_f32_e32 v38, v14, v37
	v_sub_f32_e32 v39, v38, v14
	v_sub_f32_e32 v40, v38, v39
	;; [unrolled: 1-line block ×5, first 2 shown]
	v_add_f32_e32 v14, v37, v14
	v_add_f32_e32 v37, v18, v13
	v_sub_f32_e32 v39, v37, v18
	v_sub_f32_e32 v40, v37, v39
	;; [unrolled: 1-line block ×4, first 2 shown]
	v_add_f32_e32 v14, v37, v14
	v_add_f32_e32 v13, v13, v18
	;; [unrolled: 1-line block ×3, first 2 shown]
	v_sub_f32_e32 v37, v18, v38
	v_sub_f32_e32 v14, v14, v37
	v_add_f32_e32 v13, v13, v14
	v_add_f32_e32 v13, v18, v13
	v_cmp_neq_f32_e32 vcc, s7, v17
	s_mov_b32 s7, 0x33800000
	v_cndmask_b32_e32 v13, v16, v13, vcc
	v_cmp_lt_f32_e64 vcc, |v17|, s7
	v_cndmask_b32_e32 v13, v13, v17, vcc
	v_add_f32_e32 v13, v15, v13
	v_cvt_f16_f32_e32 v13, v13
	v_cvt_f32_f16_e32 v14, v13
	v_mov_b32_e32 v45, v13
.LBB355_85:
	s_or_b64 exec, exec, s[36:37]
	v_cvt_f32_f16_sdwa v37, v1 dst_sel:DWORD dst_unused:UNUSED_PAD src0_sel:WORD_1
	v_max_f32_e32 v15, v14, v14
	v_cmp_u_f16_e32 vcc, v13, v13
	v_cmp_u_f16_sdwa s[36:37], v1, v1 src0_sel:WORD_1 src1_sel:WORD_1
	v_min_f32_e32 v16, v15, v37
	v_max_f32_e32 v15, v15, v37
	v_cndmask_b32_e32 v16, v16, v14, vcc
	v_cndmask_b32_e32 v15, v15, v14, vcc
	v_cndmask_b32_e64 v16, v16, v37, s[36:37]
	v_cndmask_b32_e64 v15, v15, v37, s[36:37]
	s_movk_i32 s7, 0x1f8
	v_cmp_neq_f32_e32 vcc, v16, v15
	v_cmp_class_f32_e64 s[38:39], v16, s7
	s_or_b64 s[40:41], vcc, s[38:39]
	s_and_saveexec_b64 s[38:39], s[40:41]
	s_cbranch_execz .LBB355_87
; %bb.86:
	v_sub_f32_e32 v13, v16, v15
	s_mov_b32 s40, 0x3fb8aa3b
	v_mul_f32_e32 v14, 0x3fb8aa3b, v13
	v_fma_f32 v16, v13, s40, -v14
	v_rndne_f32_e32 v17, v14
	v_fmac_f32_e32 v16, 0x32a5705f, v13
	v_sub_f32_e32 v14, v14, v17
	v_add_f32_e32 v14, v14, v16
	v_exp_f32_e32 v14, v14
	v_cvt_i32_f32_e32 v16, v17
	s_mov_b32 s40, 0xc2ce8ed0
	v_cmp_ngt_f32_e32 vcc, s40, v13
	s_mov_b32 s40, 0x42b17218
	v_ldexp_f32 v14, v14, v16
	v_cndmask_b32_e32 v14, 0, v14, vcc
	v_mov_b32_e32 v16, 0x7f800000
	v_cmp_nlt_f32_e32 vcc, s40, v13
	v_cndmask_b32_e32 v17, v16, v14, vcc
	v_add_f32_e32 v18, 1.0, v17
	v_cvt_f64_f32_e32 v[13:14], v18
	v_add_f32_e32 v38, -1.0, v18
	v_sub_f32_e32 v39, v38, v18
	v_sub_f32_e32 v38, v17, v38
	v_frexp_exp_i32_f64_e32 v13, v[13:14]
	v_add_f32_e32 v14, 1.0, v39
	v_add_f32_e32 v14, v38, v14
	v_frexp_mant_f32_e32 v38, v18
	s_mov_b32 s41, 0x3f2aaaab
	v_cmp_gt_f32_e32 vcc, s41, v38
	s_mov_b32 s41, 0x3f317218
	s_mov_b32 s40, 0x7f800000
	v_subbrev_co_u32_e32 v13, vcc, 0, v13, vcc
	v_sub_u32_e32 v38, 0, v13
	v_ldexp_f32 v18, v18, v38
	v_ldexp_f32 v14, v14, v38
	v_add_f32_e32 v38, -1.0, v18
	v_add_f32_e32 v41, 1.0, v18
	v_add_f32_e32 v39, 1.0, v38
	v_add_f32_e32 v42, -1.0, v41
	v_sub_f32_e32 v39, v18, v39
	v_sub_f32_e32 v18, v18, v42
	v_add_f32_e32 v39, v14, v39
	v_add_f32_e32 v14, v14, v18
	;; [unrolled: 1-line block ×3, first 2 shown]
	v_rcp_f32_e32 v42, v18
	v_add_f32_e32 v40, v38, v39
	v_sub_f32_e32 v38, v38, v40
	v_add_f32_e32 v38, v39, v38
	v_sub_f32_e32 v39, v41, v18
	v_add_f32_e32 v14, v14, v39
	v_mul_f32_e32 v39, v40, v42
	v_mul_f32_e32 v41, v18, v39
	v_fma_f32 v43, v39, v18, -v41
	v_fmac_f32_e32 v43, v39, v14
	v_add_f32_e32 v45, v41, v43
	v_sub_f32_e32 v46, v40, v45
	v_sub_f32_e32 v40, v40, v46
	;; [unrolled: 1-line block ×4, first 2 shown]
	v_add_f32_e32 v38, v38, v40
	v_sub_f32_e32 v40, v41, v43
	v_add_f32_e32 v38, v40, v38
	v_add_f32_e32 v40, v46, v38
	v_mul_f32_e32 v41, v42, v40
	v_mul_f32_e32 v43, v18, v41
	v_fma_f32 v18, v41, v18, -v43
	v_fmac_f32_e32 v18, v41, v14
	v_sub_f32_e32 v14, v46, v40
	v_add_f32_e32 v14, v38, v14
	v_add_f32_e32 v38, v43, v18
	v_sub_f32_e32 v45, v40, v38
	v_sub_f32_e32 v40, v40, v45
	;; [unrolled: 1-line block ×4, first 2 shown]
	v_add_f32_e32 v14, v14, v38
	v_sub_f32_e32 v18, v43, v18
	v_add_f32_e32 v14, v18, v14
	v_add_f32_e32 v18, v39, v41
	;; [unrolled: 1-line block ×3, first 2 shown]
	v_sub_f32_e32 v38, v18, v39
	v_mul_f32_e32 v14, v42, v14
	v_sub_f32_e32 v38, v41, v38
	v_add_f32_e32 v14, v38, v14
	v_cvt_f32_i32_e32 v13, v13
	v_add_f32_e32 v38, v18, v14
	v_mul_f32_e32 v39, v38, v38
	v_mov_b32_e32 v40, 0x3ecc95a3
	v_fmac_f32_e32 v40, 0x3e9b6dac, v39
	v_mov_b32_e32 v41, 0x3f2aaada
	v_fmac_f32_e32 v41, v39, v40
	v_mul_f32_e32 v40, 0x3f317218, v13
	v_fma_f32 v42, v13, s41, -v40
	v_fmac_f32_e32 v42, 0xb102e308, v13
	v_sub_f32_e32 v13, v38, v18
	v_sub_f32_e32 v13, v14, v13
	v_add_f32_e32 v14, v40, v42
	v_sub_f32_e32 v18, v14, v40
	v_ldexp_f32 v40, v38, 1
	v_mul_f32_e32 v38, v38, v39
	v_mul_f32_e32 v38, v38, v41
	v_add_f32_e32 v39, v40, v38
	v_sub_f32_e32 v40, v39, v40
	v_ldexp_f32 v13, v13, 1
	v_sub_f32_e32 v38, v38, v40
	v_add_f32_e32 v13, v13, v38
	v_add_f32_e32 v38, v39, v13
	v_sub_f32_e32 v39, v38, v39
	v_sub_f32_e32 v13, v13, v39
	v_add_f32_e32 v39, v14, v38
	v_sub_f32_e32 v40, v39, v14
	v_sub_f32_e32 v41, v39, v40
	;; [unrolled: 1-line block ×5, first 2 shown]
	v_add_f32_e32 v14, v38, v14
	v_add_f32_e32 v38, v18, v13
	v_sub_f32_e32 v40, v38, v18
	v_sub_f32_e32 v41, v38, v40
	;; [unrolled: 1-line block ×4, first 2 shown]
	v_add_f32_e32 v14, v38, v14
	v_add_f32_e32 v13, v13, v18
	v_add_f32_e32 v18, v39, v14
	v_sub_f32_e32 v38, v18, v39
	v_sub_f32_e32 v14, v14, v38
	v_add_f32_e32 v13, v13, v14
	v_add_f32_e32 v13, v18, v13
	v_cmp_neq_f32_e32 vcc, s40, v17
	s_mov_b32 s40, 0x33800000
	v_cndmask_b32_e32 v13, v16, v13, vcc
	v_cmp_lt_f32_e64 vcc, |v17|, s40
	v_cndmask_b32_e32 v13, v13, v17, vcc
	v_add_f32_e32 v13, v15, v13
	v_cvt_f16_f32_e32 v13, v13
	v_cvt_f32_f16_e32 v14, v13
	v_mov_b32_e32 v45, v13
.LBB355_87:
	s_or_b64 exec, exec, s[38:39]
	v_cvt_f32_f16_e32 v38, v2
	v_max_f32_e32 v15, v14, v14
	v_cmp_u_f16_e32 vcc, v13, v13
	v_cmp_u_f16_e64 s[38:39], v2, v2
	v_min_f32_e32 v16, v15, v38
	v_max_f32_e32 v15, v15, v38
	v_cndmask_b32_e32 v16, v16, v14, vcc
	v_cndmask_b32_e32 v15, v15, v14, vcc
	v_cndmask_b32_e64 v16, v16, v38, s[38:39]
	v_cndmask_b32_e64 v15, v15, v38, s[38:39]
	v_cmp_neq_f32_e32 vcc, v16, v15
	v_cmp_class_f32_e64 s[40:41], v16, s7
	s_or_b64 s[42:43], vcc, s[40:41]
	s_and_saveexec_b64 s[40:41], s[42:43]
	s_cbranch_execz .LBB355_89
; %bb.88:
	v_sub_f32_e32 v13, v16, v15
	s_mov_b32 s7, 0x3fb8aa3b
	v_mul_f32_e32 v14, 0x3fb8aa3b, v13
	v_fma_f32 v16, v13, s7, -v14
	v_rndne_f32_e32 v17, v14
	v_fmac_f32_e32 v16, 0x32a5705f, v13
	v_sub_f32_e32 v14, v14, v17
	v_add_f32_e32 v14, v14, v16
	v_exp_f32_e32 v14, v14
	v_cvt_i32_f32_e32 v16, v17
	s_mov_b32 s7, 0xc2ce8ed0
	v_cmp_ngt_f32_e32 vcc, s7, v13
	s_mov_b32 s7, 0x42b17218
	v_ldexp_f32 v14, v14, v16
	v_cndmask_b32_e32 v14, 0, v14, vcc
	v_mov_b32_e32 v16, 0x7f800000
	v_cmp_nlt_f32_e32 vcc, s7, v13
	v_cndmask_b32_e32 v17, v16, v14, vcc
	v_add_f32_e32 v18, 1.0, v17
	v_cvt_f64_f32_e32 v[13:14], v18
	v_add_f32_e32 v39, -1.0, v18
	v_sub_f32_e32 v40, v39, v18
	v_sub_f32_e32 v39, v17, v39
	v_frexp_exp_i32_f64_e32 v13, v[13:14]
	v_add_f32_e32 v14, 1.0, v40
	v_add_f32_e32 v14, v39, v14
	v_frexp_mant_f32_e32 v39, v18
	s_mov_b32 s42, 0x3f2aaaab
	v_cmp_gt_f32_e32 vcc, s42, v39
	s_mov_b32 s42, 0x3f317218
	s_mov_b32 s7, 0x7f800000
	v_subbrev_co_u32_e32 v13, vcc, 0, v13, vcc
	v_sub_u32_e32 v39, 0, v13
	v_ldexp_f32 v18, v18, v39
	v_ldexp_f32 v14, v14, v39
	v_add_f32_e32 v39, -1.0, v18
	v_add_f32_e32 v42, 1.0, v18
	v_add_f32_e32 v40, 1.0, v39
	v_add_f32_e32 v43, -1.0, v42
	v_sub_f32_e32 v40, v18, v40
	v_sub_f32_e32 v18, v18, v43
	v_add_f32_e32 v40, v14, v40
	v_add_f32_e32 v14, v14, v18
	;; [unrolled: 1-line block ×3, first 2 shown]
	v_rcp_f32_e32 v43, v18
	v_add_f32_e32 v41, v39, v40
	v_sub_f32_e32 v39, v39, v41
	v_add_f32_e32 v39, v40, v39
	v_sub_f32_e32 v40, v42, v18
	v_add_f32_e32 v14, v14, v40
	v_mul_f32_e32 v40, v41, v43
	v_mul_f32_e32 v42, v18, v40
	v_fma_f32 v45, v40, v18, -v42
	v_fmac_f32_e32 v45, v40, v14
	v_add_f32_e32 v46, v42, v45
	v_sub_f32_e32 v47, v41, v46
	v_sub_f32_e32 v41, v41, v47
	;; [unrolled: 1-line block ×4, first 2 shown]
	v_add_f32_e32 v39, v39, v41
	v_sub_f32_e32 v41, v42, v45
	v_add_f32_e32 v39, v41, v39
	v_add_f32_e32 v41, v47, v39
	v_mul_f32_e32 v42, v43, v41
	v_mul_f32_e32 v45, v18, v42
	v_fma_f32 v18, v42, v18, -v45
	v_fmac_f32_e32 v18, v42, v14
	v_sub_f32_e32 v14, v47, v41
	v_add_f32_e32 v14, v39, v14
	v_add_f32_e32 v39, v45, v18
	v_sub_f32_e32 v46, v41, v39
	v_sub_f32_e32 v41, v41, v46
	;; [unrolled: 1-line block ×4, first 2 shown]
	v_add_f32_e32 v14, v14, v39
	v_sub_f32_e32 v18, v45, v18
	v_add_f32_e32 v14, v18, v14
	v_add_f32_e32 v18, v40, v42
	;; [unrolled: 1-line block ×3, first 2 shown]
	v_sub_f32_e32 v39, v18, v40
	v_mul_f32_e32 v14, v43, v14
	v_sub_f32_e32 v39, v42, v39
	v_add_f32_e32 v14, v39, v14
	v_cvt_f32_i32_e32 v13, v13
	v_add_f32_e32 v39, v18, v14
	v_mul_f32_e32 v40, v39, v39
	v_mov_b32_e32 v41, 0x3ecc95a3
	v_fmac_f32_e32 v41, 0x3e9b6dac, v40
	v_mov_b32_e32 v42, 0x3f2aaada
	v_fmac_f32_e32 v42, v40, v41
	v_mul_f32_e32 v41, 0x3f317218, v13
	v_fma_f32 v43, v13, s42, -v41
	v_fmac_f32_e32 v43, 0xb102e308, v13
	v_sub_f32_e32 v13, v39, v18
	v_sub_f32_e32 v13, v14, v13
	v_add_f32_e32 v14, v41, v43
	v_sub_f32_e32 v18, v14, v41
	v_ldexp_f32 v41, v39, 1
	v_mul_f32_e32 v39, v39, v40
	v_mul_f32_e32 v39, v39, v42
	v_add_f32_e32 v40, v41, v39
	v_sub_f32_e32 v41, v40, v41
	v_ldexp_f32 v13, v13, 1
	v_sub_f32_e32 v39, v39, v41
	v_add_f32_e32 v13, v13, v39
	v_add_f32_e32 v39, v40, v13
	v_sub_f32_e32 v40, v39, v40
	v_sub_f32_e32 v13, v13, v40
	v_add_f32_e32 v40, v14, v39
	v_sub_f32_e32 v41, v40, v14
	v_sub_f32_e32 v42, v40, v41
	;; [unrolled: 1-line block ×5, first 2 shown]
	v_add_f32_e32 v14, v39, v14
	v_add_f32_e32 v39, v18, v13
	v_sub_f32_e32 v41, v39, v18
	v_sub_f32_e32 v42, v39, v41
	;; [unrolled: 1-line block ×4, first 2 shown]
	v_add_f32_e32 v14, v39, v14
	v_add_f32_e32 v13, v13, v18
	;; [unrolled: 1-line block ×3, first 2 shown]
	v_sub_f32_e32 v39, v18, v40
	v_sub_f32_e32 v14, v14, v39
	v_add_f32_e32 v13, v13, v14
	v_add_f32_e32 v13, v18, v13
	v_cmp_neq_f32_e32 vcc, s7, v17
	s_mov_b32 s7, 0x33800000
	v_cndmask_b32_e32 v13, v16, v13, vcc
	v_cmp_lt_f32_e64 vcc, |v17|, s7
	v_cndmask_b32_e32 v13, v13, v17, vcc
	v_add_f32_e32 v13, v15, v13
	v_cvt_f16_f32_e32 v13, v13
	v_cvt_f32_f16_e32 v14, v13
	v_mov_b32_e32 v45, v13
.LBB355_89:
	s_or_b64 exec, exec, s[40:41]
	v_cvt_f32_f16_sdwa v39, v2 dst_sel:DWORD dst_unused:UNUSED_PAD src0_sel:WORD_1
	v_max_f32_e32 v15, v14, v14
	v_cmp_u_f16_e32 vcc, v13, v13
	v_cmp_u_f16_sdwa s[40:41], v2, v2 src0_sel:WORD_1 src1_sel:WORD_1
	v_min_f32_e32 v16, v15, v39
	v_max_f32_e32 v15, v15, v39
	v_cndmask_b32_e32 v16, v16, v14, vcc
	v_cndmask_b32_e32 v15, v15, v14, vcc
	v_cndmask_b32_e64 v16, v16, v39, s[40:41]
	v_cndmask_b32_e64 v15, v15, v39, s[40:41]
	s_movk_i32 s7, 0x1f8
	v_cmp_neq_f32_e32 vcc, v16, v15
	v_cmp_class_f32_e64 s[42:43], v16, s7
	s_or_b64 s[44:45], vcc, s[42:43]
	s_and_saveexec_b64 s[42:43], s[44:45]
	s_cbranch_execz .LBB355_91
; %bb.90:
	v_sub_f32_e32 v13, v16, v15
	s_mov_b32 s44, 0x3fb8aa3b
	v_mul_f32_e32 v14, 0x3fb8aa3b, v13
	v_fma_f32 v16, v13, s44, -v14
	v_rndne_f32_e32 v17, v14
	v_fmac_f32_e32 v16, 0x32a5705f, v13
	v_sub_f32_e32 v14, v14, v17
	v_add_f32_e32 v14, v14, v16
	v_exp_f32_e32 v14, v14
	v_cvt_i32_f32_e32 v16, v17
	s_mov_b32 s44, 0xc2ce8ed0
	v_cmp_ngt_f32_e32 vcc, s44, v13
	s_mov_b32 s44, 0x42b17218
	v_ldexp_f32 v14, v14, v16
	v_cndmask_b32_e32 v14, 0, v14, vcc
	v_mov_b32_e32 v16, 0x7f800000
	v_cmp_nlt_f32_e32 vcc, s44, v13
	v_cndmask_b32_e32 v17, v16, v14, vcc
	v_add_f32_e32 v18, 1.0, v17
	v_cvt_f64_f32_e32 v[13:14], v18
	v_add_f32_e32 v40, -1.0, v18
	v_sub_f32_e32 v41, v40, v18
	v_sub_f32_e32 v40, v17, v40
	v_frexp_exp_i32_f64_e32 v13, v[13:14]
	v_add_f32_e32 v14, 1.0, v41
	v_add_f32_e32 v14, v40, v14
	v_frexp_mant_f32_e32 v40, v18
	s_mov_b32 s45, 0x3f2aaaab
	v_cmp_gt_f32_e32 vcc, s45, v40
	s_mov_b32 s45, 0x3f317218
	s_mov_b32 s44, 0x7f800000
	v_subbrev_co_u32_e32 v13, vcc, 0, v13, vcc
	v_sub_u32_e32 v40, 0, v13
	v_ldexp_f32 v18, v18, v40
	v_ldexp_f32 v14, v14, v40
	v_add_f32_e32 v40, -1.0, v18
	v_add_f32_e32 v43, 1.0, v18
	v_add_f32_e32 v41, 1.0, v40
	v_add_f32_e32 v45, -1.0, v43
	v_sub_f32_e32 v41, v18, v41
	v_sub_f32_e32 v18, v18, v45
	v_add_f32_e32 v41, v14, v41
	v_add_f32_e32 v14, v14, v18
	;; [unrolled: 1-line block ×3, first 2 shown]
	v_rcp_f32_e32 v45, v18
	v_add_f32_e32 v42, v40, v41
	v_sub_f32_e32 v40, v40, v42
	v_add_f32_e32 v40, v41, v40
	v_sub_f32_e32 v41, v43, v18
	v_add_f32_e32 v14, v14, v41
	v_mul_f32_e32 v41, v42, v45
	v_mul_f32_e32 v43, v18, v41
	v_fma_f32 v46, v41, v18, -v43
	v_fmac_f32_e32 v46, v41, v14
	v_add_f32_e32 v47, v43, v46
	v_sub_f32_e32 v48, v42, v47
	v_sub_f32_e32 v42, v42, v48
	v_sub_f32_e32 v43, v47, v43
	v_sub_f32_e32 v42, v42, v47
	v_add_f32_e32 v40, v40, v42
	v_sub_f32_e32 v42, v43, v46
	v_add_f32_e32 v40, v42, v40
	v_add_f32_e32 v42, v48, v40
	v_mul_f32_e32 v43, v45, v42
	v_mul_f32_e32 v46, v18, v43
	v_fma_f32 v18, v43, v18, -v46
	v_fmac_f32_e32 v18, v43, v14
	v_sub_f32_e32 v14, v48, v42
	v_add_f32_e32 v14, v40, v14
	v_add_f32_e32 v40, v46, v18
	v_sub_f32_e32 v47, v42, v40
	v_sub_f32_e32 v42, v42, v47
	;; [unrolled: 1-line block ×4, first 2 shown]
	v_add_f32_e32 v14, v14, v40
	v_sub_f32_e32 v18, v46, v18
	v_add_f32_e32 v14, v18, v14
	v_add_f32_e32 v18, v41, v43
	v_add_f32_e32 v14, v47, v14
	v_sub_f32_e32 v40, v18, v41
	v_mul_f32_e32 v14, v45, v14
	v_sub_f32_e32 v40, v43, v40
	v_add_f32_e32 v14, v40, v14
	v_cvt_f32_i32_e32 v13, v13
	v_add_f32_e32 v40, v18, v14
	v_mul_f32_e32 v41, v40, v40
	v_mov_b32_e32 v42, 0x3ecc95a3
	v_fmac_f32_e32 v42, 0x3e9b6dac, v41
	v_mov_b32_e32 v43, 0x3f2aaada
	v_fmac_f32_e32 v43, v41, v42
	v_mul_f32_e32 v42, 0x3f317218, v13
	v_fma_f32 v45, v13, s45, -v42
	v_fmac_f32_e32 v45, 0xb102e308, v13
	v_sub_f32_e32 v13, v40, v18
	v_sub_f32_e32 v13, v14, v13
	v_add_f32_e32 v14, v42, v45
	v_sub_f32_e32 v18, v14, v42
	v_ldexp_f32 v42, v40, 1
	v_mul_f32_e32 v40, v40, v41
	v_mul_f32_e32 v40, v40, v43
	v_add_f32_e32 v41, v42, v40
	v_sub_f32_e32 v42, v41, v42
	v_ldexp_f32 v13, v13, 1
	v_sub_f32_e32 v40, v40, v42
	v_add_f32_e32 v13, v13, v40
	v_add_f32_e32 v40, v41, v13
	v_sub_f32_e32 v41, v40, v41
	v_sub_f32_e32 v13, v13, v41
	v_add_f32_e32 v41, v14, v40
	v_sub_f32_e32 v42, v41, v14
	v_sub_f32_e32 v43, v41, v42
	;; [unrolled: 1-line block ×5, first 2 shown]
	v_add_f32_e32 v14, v40, v14
	v_add_f32_e32 v40, v18, v13
	v_sub_f32_e32 v42, v40, v18
	v_sub_f32_e32 v43, v40, v42
	;; [unrolled: 1-line block ×4, first 2 shown]
	v_add_f32_e32 v14, v40, v14
	v_add_f32_e32 v13, v13, v18
	;; [unrolled: 1-line block ×3, first 2 shown]
	v_sub_f32_e32 v40, v18, v41
	v_sub_f32_e32 v14, v14, v40
	v_add_f32_e32 v13, v13, v14
	v_add_f32_e32 v13, v18, v13
	v_cmp_neq_f32_e32 vcc, s44, v17
	s_mov_b32 s44, 0x33800000
	v_cndmask_b32_e32 v13, v16, v13, vcc
	v_cmp_lt_f32_e64 vcc, |v17|, s44
	v_cndmask_b32_e32 v13, v13, v17, vcc
	v_add_f32_e32 v13, v15, v13
	v_cvt_f16_f32_e32 v13, v13
	v_cvt_f32_f16_e32 v14, v13
	v_mov_b32_e32 v45, v13
.LBB355_91:
	s_or_b64 exec, exec, s[42:43]
	v_cvt_f32_f16_e32 v40, v3
	v_max_f32_e32 v15, v14, v14
	v_cmp_u_f16_e32 vcc, v13, v13
	v_cmp_u_f16_e64 s[42:43], v3, v3
	v_min_f32_e32 v16, v15, v40
	v_max_f32_e32 v15, v15, v40
	v_cndmask_b32_e32 v16, v16, v14, vcc
	v_cndmask_b32_e32 v15, v15, v14, vcc
	v_cndmask_b32_e64 v16, v16, v40, s[42:43]
	v_cndmask_b32_e64 v15, v15, v40, s[42:43]
	v_cmp_neq_f32_e32 vcc, v16, v15
	v_cmp_class_f32_e64 s[44:45], v16, s7
	s_or_b64 s[46:47], vcc, s[44:45]
	s_and_saveexec_b64 s[44:45], s[46:47]
	s_cbranch_execz .LBB355_93
; %bb.92:
	v_sub_f32_e32 v13, v16, v15
	s_mov_b32 s7, 0x3fb8aa3b
	v_mul_f32_e32 v14, 0x3fb8aa3b, v13
	v_fma_f32 v16, v13, s7, -v14
	v_rndne_f32_e32 v17, v14
	v_fmac_f32_e32 v16, 0x32a5705f, v13
	v_sub_f32_e32 v14, v14, v17
	v_add_f32_e32 v14, v14, v16
	v_exp_f32_e32 v14, v14
	v_cvt_i32_f32_e32 v16, v17
	s_mov_b32 s7, 0xc2ce8ed0
	v_cmp_ngt_f32_e32 vcc, s7, v13
	s_mov_b32 s7, 0x42b17218
	v_ldexp_f32 v14, v14, v16
	v_cndmask_b32_e32 v14, 0, v14, vcc
	v_mov_b32_e32 v16, 0x7f800000
	v_cmp_nlt_f32_e32 vcc, s7, v13
	v_cndmask_b32_e32 v17, v16, v14, vcc
	v_add_f32_e32 v18, 1.0, v17
	v_cvt_f64_f32_e32 v[13:14], v18
	v_add_f32_e32 v41, -1.0, v18
	v_sub_f32_e32 v42, v41, v18
	v_sub_f32_e32 v41, v17, v41
	v_frexp_exp_i32_f64_e32 v13, v[13:14]
	v_add_f32_e32 v14, 1.0, v42
	v_add_f32_e32 v14, v41, v14
	v_frexp_mant_f32_e32 v41, v18
	s_mov_b32 s46, 0x3f2aaaab
	v_cmp_gt_f32_e32 vcc, s46, v41
	s_mov_b32 s46, 0x3f317218
	s_mov_b32 s7, 0x7f800000
	v_subbrev_co_u32_e32 v13, vcc, 0, v13, vcc
	v_sub_u32_e32 v41, 0, v13
	v_ldexp_f32 v18, v18, v41
	v_ldexp_f32 v14, v14, v41
	v_add_f32_e32 v41, -1.0, v18
	v_add_f32_e32 v45, 1.0, v18
	v_add_f32_e32 v42, 1.0, v41
	v_add_f32_e32 v46, -1.0, v45
	v_sub_f32_e32 v42, v18, v42
	v_sub_f32_e32 v18, v18, v46
	v_add_f32_e32 v42, v14, v42
	v_add_f32_e32 v14, v14, v18
	;; [unrolled: 1-line block ×3, first 2 shown]
	v_rcp_f32_e32 v46, v18
	v_add_f32_e32 v43, v41, v42
	v_sub_f32_e32 v41, v41, v43
	v_add_f32_e32 v41, v42, v41
	v_sub_f32_e32 v42, v45, v18
	v_add_f32_e32 v14, v14, v42
	v_mul_f32_e32 v42, v43, v46
	v_mul_f32_e32 v45, v18, v42
	v_fma_f32 v47, v42, v18, -v45
	v_fmac_f32_e32 v47, v42, v14
	v_add_f32_e32 v48, v45, v47
	v_sub_f32_e32 v49, v43, v48
	v_sub_f32_e32 v43, v43, v49
	;; [unrolled: 1-line block ×4, first 2 shown]
	v_add_f32_e32 v41, v41, v43
	v_sub_f32_e32 v43, v45, v47
	v_add_f32_e32 v41, v43, v41
	v_add_f32_e32 v43, v49, v41
	v_mul_f32_e32 v45, v46, v43
	v_mul_f32_e32 v47, v18, v45
	v_fma_f32 v18, v45, v18, -v47
	v_fmac_f32_e32 v18, v45, v14
	v_sub_f32_e32 v14, v49, v43
	v_add_f32_e32 v14, v41, v14
	v_add_f32_e32 v41, v47, v18
	v_sub_f32_e32 v48, v43, v41
	v_sub_f32_e32 v43, v43, v48
	;; [unrolled: 1-line block ×4, first 2 shown]
	v_add_f32_e32 v14, v14, v41
	v_sub_f32_e32 v18, v47, v18
	v_add_f32_e32 v14, v18, v14
	v_add_f32_e32 v18, v42, v45
	;; [unrolled: 1-line block ×3, first 2 shown]
	v_sub_f32_e32 v41, v18, v42
	v_mul_f32_e32 v14, v46, v14
	v_sub_f32_e32 v41, v45, v41
	v_add_f32_e32 v14, v41, v14
	v_cvt_f32_i32_e32 v13, v13
	v_add_f32_e32 v41, v18, v14
	v_mul_f32_e32 v42, v41, v41
	v_mov_b32_e32 v43, 0x3ecc95a3
	v_fmac_f32_e32 v43, 0x3e9b6dac, v42
	v_mov_b32_e32 v45, 0x3f2aaada
	v_fmac_f32_e32 v45, v42, v43
	v_mul_f32_e32 v43, 0x3f317218, v13
	v_fma_f32 v46, v13, s46, -v43
	v_fmac_f32_e32 v46, 0xb102e308, v13
	v_sub_f32_e32 v13, v41, v18
	v_sub_f32_e32 v13, v14, v13
	v_add_f32_e32 v14, v43, v46
	v_sub_f32_e32 v18, v14, v43
	v_ldexp_f32 v43, v41, 1
	v_mul_f32_e32 v41, v41, v42
	v_mul_f32_e32 v41, v41, v45
	v_add_f32_e32 v42, v43, v41
	v_sub_f32_e32 v43, v42, v43
	v_ldexp_f32 v13, v13, 1
	v_sub_f32_e32 v41, v41, v43
	v_add_f32_e32 v13, v13, v41
	v_add_f32_e32 v41, v42, v13
	v_sub_f32_e32 v42, v41, v42
	v_sub_f32_e32 v13, v13, v42
	v_add_f32_e32 v42, v14, v41
	v_sub_f32_e32 v43, v42, v14
	v_sub_f32_e32 v45, v42, v43
	;; [unrolled: 1-line block ×5, first 2 shown]
	v_add_f32_e32 v14, v41, v14
	v_add_f32_e32 v41, v18, v13
	v_sub_f32_e32 v43, v41, v18
	v_sub_f32_e32 v45, v41, v43
	;; [unrolled: 1-line block ×4, first 2 shown]
	v_add_f32_e32 v14, v41, v14
	v_add_f32_e32 v13, v13, v18
	;; [unrolled: 1-line block ×3, first 2 shown]
	v_sub_f32_e32 v41, v18, v42
	v_sub_f32_e32 v14, v14, v41
	v_add_f32_e32 v13, v13, v14
	v_add_f32_e32 v13, v18, v13
	v_cmp_neq_f32_e32 vcc, s7, v17
	s_mov_b32 s7, 0x33800000
	v_cndmask_b32_e32 v13, v16, v13, vcc
	v_cmp_lt_f32_e64 vcc, |v17|, s7
	v_cndmask_b32_e32 v13, v13, v17, vcc
	v_add_f32_e32 v13, v15, v13
	v_cvt_f16_f32_e32 v13, v13
	v_cvt_f32_f16_e32 v14, v13
	v_mov_b32_e32 v45, v13
.LBB355_93:
	s_or_b64 exec, exec, s[44:45]
	v_cvt_f32_f16_sdwa v41, v3 dst_sel:DWORD dst_unused:UNUSED_PAD src0_sel:WORD_1
	v_max_f32_e32 v15, v14, v14
	v_cmp_u_f16_e32 vcc, v13, v13
	v_cmp_u_f16_sdwa s[44:45], v3, v3 src0_sel:WORD_1 src1_sel:WORD_1
	v_min_f32_e32 v16, v15, v41
	v_max_f32_e32 v15, v15, v41
	v_cndmask_b32_e32 v16, v16, v14, vcc
	v_cndmask_b32_e32 v15, v15, v14, vcc
	v_cndmask_b32_e64 v16, v16, v41, s[44:45]
	v_cndmask_b32_e64 v15, v15, v41, s[44:45]
	s_movk_i32 s7, 0x1f8
	v_cmp_neq_f32_e32 vcc, v16, v15
	v_cmp_class_f32_e64 s[46:47], v16, s7
	s_or_b64 s[48:49], vcc, s[46:47]
	s_and_saveexec_b64 s[46:47], s[48:49]
	s_cbranch_execz .LBB355_95
; %bb.94:
	v_sub_f32_e32 v13, v16, v15
	s_mov_b32 s48, 0x3fb8aa3b
	v_mul_f32_e32 v14, 0x3fb8aa3b, v13
	v_fma_f32 v16, v13, s48, -v14
	v_rndne_f32_e32 v17, v14
	v_fmac_f32_e32 v16, 0x32a5705f, v13
	v_sub_f32_e32 v14, v14, v17
	v_add_f32_e32 v14, v14, v16
	v_exp_f32_e32 v14, v14
	v_cvt_i32_f32_e32 v16, v17
	s_mov_b32 s48, 0xc2ce8ed0
	v_cmp_ngt_f32_e32 vcc, s48, v13
	s_mov_b32 s48, 0x42b17218
	v_ldexp_f32 v14, v14, v16
	v_cndmask_b32_e32 v14, 0, v14, vcc
	v_mov_b32_e32 v16, 0x7f800000
	v_cmp_nlt_f32_e32 vcc, s48, v13
	v_cndmask_b32_e32 v17, v16, v14, vcc
	v_add_f32_e32 v18, 1.0, v17
	v_cvt_f64_f32_e32 v[13:14], v18
	v_add_f32_e32 v42, -1.0, v18
	v_sub_f32_e32 v43, v42, v18
	v_sub_f32_e32 v42, v17, v42
	v_frexp_exp_i32_f64_e32 v13, v[13:14]
	v_add_f32_e32 v14, 1.0, v43
	v_add_f32_e32 v14, v42, v14
	v_frexp_mant_f32_e32 v42, v18
	s_mov_b32 s49, 0x3f2aaaab
	v_cmp_gt_f32_e32 vcc, s49, v42
	s_mov_b32 s49, 0x3f317218
	s_mov_b32 s48, 0x7f800000
	v_subbrev_co_u32_e32 v13, vcc, 0, v13, vcc
	v_sub_u32_e32 v42, 0, v13
	v_ldexp_f32 v18, v18, v42
	v_ldexp_f32 v14, v14, v42
	v_add_f32_e32 v42, -1.0, v18
	v_add_f32_e32 v46, 1.0, v18
	v_add_f32_e32 v43, 1.0, v42
	v_add_f32_e32 v47, -1.0, v46
	v_sub_f32_e32 v43, v18, v43
	v_sub_f32_e32 v18, v18, v47
	v_add_f32_e32 v43, v14, v43
	v_add_f32_e32 v14, v14, v18
	;; [unrolled: 1-line block ×3, first 2 shown]
	v_rcp_f32_e32 v47, v18
	v_add_f32_e32 v45, v42, v43
	v_sub_f32_e32 v42, v42, v45
	v_add_f32_e32 v42, v43, v42
	v_sub_f32_e32 v43, v46, v18
	v_add_f32_e32 v14, v14, v43
	v_mul_f32_e32 v43, v45, v47
	v_mul_f32_e32 v46, v18, v43
	v_fma_f32 v48, v43, v18, -v46
	v_fmac_f32_e32 v48, v43, v14
	v_add_f32_e32 v49, v46, v48
	v_sub_f32_e32 v50, v45, v49
	v_sub_f32_e32 v45, v45, v50
	v_sub_f32_e32 v46, v49, v46
	v_sub_f32_e32 v45, v45, v49
	v_add_f32_e32 v42, v42, v45
	v_sub_f32_e32 v45, v46, v48
	v_add_f32_e32 v42, v45, v42
	v_add_f32_e32 v45, v50, v42
	v_mul_f32_e32 v46, v47, v45
	v_mul_f32_e32 v48, v18, v46
	v_fma_f32 v18, v46, v18, -v48
	v_fmac_f32_e32 v18, v46, v14
	v_sub_f32_e32 v14, v50, v45
	v_add_f32_e32 v14, v42, v14
	v_add_f32_e32 v42, v48, v18
	v_sub_f32_e32 v49, v45, v42
	v_sub_f32_e32 v45, v45, v49
	v_sub_f32_e32 v48, v42, v48
	v_sub_f32_e32 v42, v45, v42
	v_add_f32_e32 v14, v14, v42
	v_sub_f32_e32 v18, v48, v18
	v_add_f32_e32 v14, v18, v14
	v_add_f32_e32 v18, v43, v46
	;; [unrolled: 1-line block ×3, first 2 shown]
	v_sub_f32_e32 v42, v18, v43
	v_mul_f32_e32 v14, v47, v14
	v_sub_f32_e32 v42, v46, v42
	v_add_f32_e32 v14, v42, v14
	v_cvt_f32_i32_e32 v13, v13
	v_add_f32_e32 v42, v18, v14
	v_mul_f32_e32 v43, v42, v42
	v_mov_b32_e32 v45, 0x3ecc95a3
	v_fmac_f32_e32 v45, 0x3e9b6dac, v43
	v_mov_b32_e32 v46, 0x3f2aaada
	v_fmac_f32_e32 v46, v43, v45
	v_mul_f32_e32 v45, 0x3f317218, v13
	v_fma_f32 v47, v13, s49, -v45
	v_fmac_f32_e32 v47, 0xb102e308, v13
	v_sub_f32_e32 v13, v42, v18
	v_sub_f32_e32 v13, v14, v13
	v_add_f32_e32 v14, v45, v47
	v_sub_f32_e32 v18, v14, v45
	v_ldexp_f32 v45, v42, 1
	v_mul_f32_e32 v42, v42, v43
	v_mul_f32_e32 v42, v42, v46
	v_add_f32_e32 v43, v45, v42
	v_sub_f32_e32 v45, v43, v45
	v_ldexp_f32 v13, v13, 1
	v_sub_f32_e32 v42, v42, v45
	v_add_f32_e32 v13, v13, v42
	v_add_f32_e32 v42, v43, v13
	v_sub_f32_e32 v43, v42, v43
	v_sub_f32_e32 v13, v13, v43
	v_add_f32_e32 v43, v14, v42
	v_sub_f32_e32 v45, v43, v14
	v_sub_f32_e32 v46, v43, v45
	v_sub_f32_e32 v18, v47, v18
	v_sub_f32_e32 v14, v14, v46
	v_sub_f32_e32 v42, v42, v45
	v_add_f32_e32 v14, v42, v14
	v_add_f32_e32 v42, v18, v13
	v_sub_f32_e32 v45, v42, v18
	v_sub_f32_e32 v46, v42, v45
	;; [unrolled: 1-line block ×4, first 2 shown]
	v_add_f32_e32 v14, v42, v14
	v_add_f32_e32 v13, v13, v18
	;; [unrolled: 1-line block ×3, first 2 shown]
	v_sub_f32_e32 v42, v18, v43
	v_sub_f32_e32 v14, v14, v42
	v_add_f32_e32 v13, v13, v14
	v_add_f32_e32 v13, v18, v13
	v_cmp_neq_f32_e32 vcc, s48, v17
	s_mov_b32 s48, 0x33800000
	v_cndmask_b32_e32 v13, v16, v13, vcc
	v_cmp_lt_f32_e64 vcc, |v17|, s48
	v_cndmask_b32_e32 v13, v13, v17, vcc
	v_add_f32_e32 v13, v15, v13
	v_cvt_f16_f32_e32 v13, v13
	v_cvt_f32_f16_e32 v14, v13
	v_mov_b32_e32 v45, v13
.LBB355_95:
	s_or_b64 exec, exec, s[46:47]
	v_cvt_f32_f16_e32 v42, v4
	v_max_f32_e32 v15, v14, v14
	v_cmp_u_f16_e32 vcc, v13, v13
	v_cmp_u_f16_e64 s[46:47], v4, v4
	v_min_f32_e32 v16, v15, v42
	v_max_f32_e32 v15, v15, v42
	v_cndmask_b32_e32 v16, v16, v14, vcc
	v_cndmask_b32_e32 v15, v15, v14, vcc
	v_cndmask_b32_e64 v16, v16, v42, s[46:47]
	v_cndmask_b32_e64 v15, v15, v42, s[46:47]
	v_cmp_neq_f32_e32 vcc, v16, v15
	v_cmp_class_f32_e64 s[48:49], v16, s7
	s_or_b64 s[52:53], vcc, s[48:49]
	s_and_saveexec_b64 s[48:49], s[52:53]
	s_cbranch_execz .LBB355_97
; %bb.96:
	v_sub_f32_e32 v13, v16, v15
	s_mov_b32 s7, 0x3fb8aa3b
	v_mul_f32_e32 v14, 0x3fb8aa3b, v13
	v_fma_f32 v16, v13, s7, -v14
	v_rndne_f32_e32 v17, v14
	v_fmac_f32_e32 v16, 0x32a5705f, v13
	v_sub_f32_e32 v14, v14, v17
	v_add_f32_e32 v14, v14, v16
	v_exp_f32_e32 v14, v14
	v_cvt_i32_f32_e32 v16, v17
	s_mov_b32 s7, 0xc2ce8ed0
	v_cmp_ngt_f32_e32 vcc, s7, v13
	s_mov_b32 s7, 0x42b17218
	v_ldexp_f32 v14, v14, v16
	v_cndmask_b32_e32 v14, 0, v14, vcc
	v_mov_b32_e32 v16, 0x7f800000
	v_cmp_nlt_f32_e32 vcc, s7, v13
	v_cndmask_b32_e32 v17, v16, v14, vcc
	v_add_f32_e32 v18, 1.0, v17
	v_cvt_f64_f32_e32 v[13:14], v18
	v_add_f32_e32 v43, -1.0, v18
	v_sub_f32_e32 v45, v43, v18
	v_sub_f32_e32 v43, v17, v43
	v_frexp_exp_i32_f64_e32 v13, v[13:14]
	v_add_f32_e32 v14, 1.0, v45
	v_add_f32_e32 v14, v43, v14
	v_frexp_mant_f32_e32 v43, v18
	s_mov_b32 s52, 0x3f2aaaab
	v_cmp_gt_f32_e32 vcc, s52, v43
	s_mov_b32 s52, 0x3f317218
	s_mov_b32 s7, 0x7f800000
	v_subbrev_co_u32_e32 v13, vcc, 0, v13, vcc
	v_sub_u32_e32 v43, 0, v13
	v_ldexp_f32 v18, v18, v43
	v_ldexp_f32 v14, v14, v43
	v_add_f32_e32 v43, -1.0, v18
	v_add_f32_e32 v47, 1.0, v18
	v_add_f32_e32 v45, 1.0, v43
	v_add_f32_e32 v48, -1.0, v47
	v_sub_f32_e32 v45, v18, v45
	v_sub_f32_e32 v18, v18, v48
	v_add_f32_e32 v45, v14, v45
	v_add_f32_e32 v14, v14, v18
	;; [unrolled: 1-line block ×3, first 2 shown]
	v_rcp_f32_e32 v48, v18
	v_add_f32_e32 v46, v43, v45
	v_sub_f32_e32 v43, v43, v46
	v_add_f32_e32 v43, v45, v43
	v_sub_f32_e32 v45, v47, v18
	v_add_f32_e32 v14, v14, v45
	v_mul_f32_e32 v45, v46, v48
	v_mul_f32_e32 v47, v18, v45
	v_fma_f32 v49, v45, v18, -v47
	v_fmac_f32_e32 v49, v45, v14
	v_add_f32_e32 v50, v47, v49
	v_sub_f32_e32 v51, v46, v50
	v_sub_f32_e32 v46, v46, v51
	v_sub_f32_e32 v47, v50, v47
	v_sub_f32_e32 v46, v46, v50
	v_add_f32_e32 v43, v43, v46
	v_sub_f32_e32 v46, v47, v49
	v_add_f32_e32 v43, v46, v43
	v_add_f32_e32 v46, v51, v43
	v_mul_f32_e32 v47, v48, v46
	v_mul_f32_e32 v49, v18, v47
	v_fma_f32 v18, v47, v18, -v49
	v_fmac_f32_e32 v18, v47, v14
	v_sub_f32_e32 v14, v51, v46
	v_add_f32_e32 v14, v43, v14
	v_add_f32_e32 v43, v49, v18
	v_sub_f32_e32 v50, v46, v43
	v_sub_f32_e32 v46, v46, v50
	;; [unrolled: 1-line block ×4, first 2 shown]
	v_add_f32_e32 v14, v14, v43
	v_sub_f32_e32 v18, v49, v18
	v_add_f32_e32 v14, v18, v14
	v_add_f32_e32 v18, v45, v47
	;; [unrolled: 1-line block ×3, first 2 shown]
	v_sub_f32_e32 v43, v18, v45
	v_mul_f32_e32 v14, v48, v14
	v_sub_f32_e32 v43, v47, v43
	v_add_f32_e32 v14, v43, v14
	v_cvt_f32_i32_e32 v13, v13
	v_add_f32_e32 v43, v18, v14
	v_mul_f32_e32 v45, v43, v43
	v_mov_b32_e32 v46, 0x3ecc95a3
	v_fmac_f32_e32 v46, 0x3e9b6dac, v45
	v_mov_b32_e32 v47, 0x3f2aaada
	v_fmac_f32_e32 v47, v45, v46
	v_mul_f32_e32 v46, 0x3f317218, v13
	v_fma_f32 v48, v13, s52, -v46
	v_fmac_f32_e32 v48, 0xb102e308, v13
	v_sub_f32_e32 v13, v43, v18
	v_sub_f32_e32 v13, v14, v13
	v_add_f32_e32 v14, v46, v48
	v_sub_f32_e32 v18, v14, v46
	v_ldexp_f32 v46, v43, 1
	v_mul_f32_e32 v43, v43, v45
	v_mul_f32_e32 v43, v43, v47
	v_add_f32_e32 v45, v46, v43
	v_sub_f32_e32 v46, v45, v46
	v_ldexp_f32 v13, v13, 1
	v_sub_f32_e32 v43, v43, v46
	v_add_f32_e32 v13, v13, v43
	v_add_f32_e32 v43, v45, v13
	v_sub_f32_e32 v45, v43, v45
	v_sub_f32_e32 v13, v13, v45
	v_add_f32_e32 v45, v14, v43
	v_sub_f32_e32 v46, v45, v14
	v_sub_f32_e32 v47, v45, v46
	;; [unrolled: 1-line block ×5, first 2 shown]
	v_add_f32_e32 v14, v43, v14
	v_add_f32_e32 v43, v18, v13
	v_sub_f32_e32 v46, v43, v18
	v_sub_f32_e32 v47, v43, v46
	;; [unrolled: 1-line block ×4, first 2 shown]
	v_add_f32_e32 v14, v43, v14
	v_add_f32_e32 v13, v13, v18
	;; [unrolled: 1-line block ×3, first 2 shown]
	v_sub_f32_e32 v43, v18, v45
	v_sub_f32_e32 v14, v14, v43
	v_add_f32_e32 v13, v13, v14
	v_add_f32_e32 v13, v18, v13
	v_cmp_neq_f32_e32 vcc, s7, v17
	s_mov_b32 s7, 0x33800000
	v_cndmask_b32_e32 v13, v16, v13, vcc
	v_cmp_lt_f32_e64 vcc, |v17|, s7
	v_cndmask_b32_e32 v13, v13, v17, vcc
	v_add_f32_e32 v13, v15, v13
	v_cvt_f16_f32_e32 v13, v13
	v_cvt_f32_f16_e32 v14, v13
	v_mov_b32_e32 v45, v13
.LBB355_97:
	s_or_b64 exec, exec, s[48:49]
	v_cvt_f32_f16_sdwa v43, v4 dst_sel:DWORD dst_unused:UNUSED_PAD src0_sel:WORD_1
	v_max_f32_e32 v16, v14, v14
	v_cmp_u_f16_e32 vcc, v13, v13
	v_cmp_u_f16_sdwa s[48:49], v4, v4 src0_sel:WORD_1 src1_sel:WORD_1
	v_min_f32_e32 v15, v16, v43
	v_cndmask_b32_e32 v13, v15, v14, vcc
	v_cndmask_b32_e64 v15, v13, v43, s[48:49]
	v_max_f32_e32 v13, v16, v43
	v_cndmask_b32_e32 v13, v13, v14, vcc
	v_cndmask_b32_e64 v13, v13, v43, s[48:49]
	s_movk_i32 s7, 0x1f8
	v_cmp_neq_f32_e32 vcc, v15, v13
	v_cmp_class_f32_e64 s[52:53], v15, s7
	s_or_b64 s[54:55], vcc, s[52:53]
	s_and_saveexec_b64 s[52:53], s[54:55]
	s_cbranch_execz .LBB355_99
; %bb.98:
	v_sub_f32_e32 v14, v15, v13
	s_mov_b32 s7, 0x3fb8aa3b
	v_mul_f32_e32 v15, 0x3fb8aa3b, v14
	v_fma_f32 v16, v14, s7, -v15
	v_rndne_f32_e32 v17, v15
	v_fmac_f32_e32 v16, 0x32a5705f, v14
	v_sub_f32_e32 v15, v15, v17
	v_add_f32_e32 v15, v15, v16
	v_exp_f32_e32 v15, v15
	v_cvt_i32_f32_e32 v16, v17
	s_mov_b32 s7, 0xc2ce8ed0
	v_cmp_ngt_f32_e32 vcc, s7, v14
	s_mov_b32 s7, 0x42b17218
	v_ldexp_f32 v15, v15, v16
	v_cndmask_b32_e32 v15, 0, v15, vcc
	v_mov_b32_e32 v16, 0x7f800000
	v_cmp_nlt_f32_e32 vcc, s7, v14
	v_cndmask_b32_e32 v17, v16, v15, vcc
	v_add_f32_e32 v18, 1.0, v17
	v_cvt_f64_f32_e32 v[14:15], v18
	v_add_f32_e32 v45, -1.0, v18
	v_sub_f32_e32 v46, v45, v18
	v_sub_f32_e32 v45, v17, v45
	v_frexp_exp_i32_f64_e32 v14, v[14:15]
	v_add_f32_e32 v15, 1.0, v46
	v_add_f32_e32 v15, v45, v15
	v_frexp_mant_f32_e32 v45, v18
	s_mov_b32 s54, 0x3f2aaaab
	v_cmp_gt_f32_e32 vcc, s54, v45
	s_mov_b32 s54, 0x3f317218
	s_mov_b32 s7, 0x7f800000
	v_subbrev_co_u32_e32 v14, vcc, 0, v14, vcc
	v_sub_u32_e32 v45, 0, v14
	v_ldexp_f32 v18, v18, v45
	v_ldexp_f32 v15, v15, v45
	v_add_f32_e32 v45, -1.0, v18
	v_add_f32_e32 v48, 1.0, v18
	v_add_f32_e32 v46, 1.0, v45
	v_add_f32_e32 v49, -1.0, v48
	v_sub_f32_e32 v46, v18, v46
	v_sub_f32_e32 v18, v18, v49
	v_add_f32_e32 v46, v15, v46
	v_add_f32_e32 v15, v15, v18
	v_add_f32_e32 v18, v48, v15
	v_rcp_f32_e32 v49, v18
	v_add_f32_e32 v47, v45, v46
	v_sub_f32_e32 v45, v45, v47
	v_add_f32_e32 v45, v46, v45
	v_sub_f32_e32 v46, v48, v18
	v_add_f32_e32 v15, v15, v46
	v_mul_f32_e32 v46, v47, v49
	v_mul_f32_e32 v48, v18, v46
	v_fma_f32 v50, v46, v18, -v48
	v_fmac_f32_e32 v50, v46, v15
	v_add_f32_e32 v51, v48, v50
	v_sub_f32_e32 v52, v47, v51
	v_sub_f32_e32 v47, v47, v52
	;; [unrolled: 1-line block ×4, first 2 shown]
	v_add_f32_e32 v45, v45, v47
	v_sub_f32_e32 v47, v48, v50
	v_add_f32_e32 v45, v47, v45
	v_add_f32_e32 v47, v52, v45
	v_mul_f32_e32 v48, v49, v47
	v_mul_f32_e32 v50, v18, v48
	v_fma_f32 v18, v48, v18, -v50
	v_fmac_f32_e32 v18, v48, v15
	v_sub_f32_e32 v15, v52, v47
	v_add_f32_e32 v15, v45, v15
	v_add_f32_e32 v45, v50, v18
	v_sub_f32_e32 v51, v47, v45
	v_sub_f32_e32 v47, v47, v51
	;; [unrolled: 1-line block ×4, first 2 shown]
	v_add_f32_e32 v15, v15, v45
	v_sub_f32_e32 v18, v50, v18
	v_add_f32_e32 v15, v18, v15
	v_add_f32_e32 v18, v46, v48
	;; [unrolled: 1-line block ×3, first 2 shown]
	v_sub_f32_e32 v45, v18, v46
	v_mul_f32_e32 v15, v49, v15
	v_sub_f32_e32 v45, v48, v45
	v_add_f32_e32 v15, v45, v15
	v_cvt_f32_i32_e32 v14, v14
	v_add_f32_e32 v45, v18, v15
	v_mul_f32_e32 v46, v45, v45
	v_mov_b32_e32 v47, 0x3ecc95a3
	v_fmac_f32_e32 v47, 0x3e9b6dac, v46
	v_mov_b32_e32 v48, 0x3f2aaada
	v_fmac_f32_e32 v48, v46, v47
	v_mul_f32_e32 v47, 0x3f317218, v14
	v_fma_f32 v49, v14, s54, -v47
	v_fmac_f32_e32 v49, 0xb102e308, v14
	v_sub_f32_e32 v14, v45, v18
	v_sub_f32_e32 v14, v15, v14
	v_add_f32_e32 v15, v47, v49
	v_sub_f32_e32 v18, v15, v47
	v_ldexp_f32 v47, v45, 1
	v_mul_f32_e32 v45, v45, v46
	v_mul_f32_e32 v45, v45, v48
	v_add_f32_e32 v46, v47, v45
	v_sub_f32_e32 v47, v46, v47
	v_ldexp_f32 v14, v14, 1
	v_sub_f32_e32 v45, v45, v47
	v_add_f32_e32 v14, v14, v45
	v_add_f32_e32 v45, v46, v14
	v_sub_f32_e32 v46, v45, v46
	v_sub_f32_e32 v14, v14, v46
	v_add_f32_e32 v46, v15, v45
	v_sub_f32_e32 v47, v46, v15
	v_sub_f32_e32 v48, v46, v47
	;; [unrolled: 1-line block ×5, first 2 shown]
	v_add_f32_e32 v15, v45, v15
	v_add_f32_e32 v45, v18, v14
	v_sub_f32_e32 v47, v45, v18
	v_sub_f32_e32 v48, v45, v47
	;; [unrolled: 1-line block ×4, first 2 shown]
	v_add_f32_e32 v15, v45, v15
	v_add_f32_e32 v14, v14, v18
	;; [unrolled: 1-line block ×3, first 2 shown]
	v_sub_f32_e32 v45, v18, v46
	v_sub_f32_e32 v15, v15, v45
	v_add_f32_e32 v14, v14, v15
	v_add_f32_e32 v14, v18, v14
	v_cmp_neq_f32_e32 vcc, s7, v17
	s_mov_b32 s7, 0x33800000
	v_cndmask_b32_e32 v14, v16, v14, vcc
	v_cmp_lt_f32_e64 vcc, |v17|, s7
	v_cndmask_b32_e32 v14, v14, v17, vcc
	v_add_f32_e32 v13, v13, v14
	v_cvt_f16_f32_e32 v45, v13
.LBB355_99:
	s_or_b64 exec, exec, s[52:53]
	v_lshrrev_b32_e32 v13, 4, v0
	v_and_b32_e32 v13, 14, v13
	v_lshl_add_u32 v13, v0, 1, v13
	v_cmp_gt_u32_e32 vcc, 64, v0
	ds_write_b16 v13, v45
	s_waitcnt lgkmcnt(0)
	s_barrier
	s_and_saveexec_b64 s[60:61], vcc
	s_cbranch_execz .LBB355_139
; %bb.100:
	v_lshrrev_b32_e32 v13, 2, v0
	v_and_b32_e32 v13, 62, v13
	v_lshlrev_b32_e32 v14, 3, v0
	v_add_u32_e32 v13, v13, v14
	ds_read_u16 v17, v13
	ds_read_u16 v15, v13 offset:2
	s_movk_i32 s7, 0x1f8
	s_waitcnt lgkmcnt(1)
	v_cvt_f32_f16_e32 v14, v17
	s_waitcnt lgkmcnt(0)
	v_cvt_f32_f16_e32 v16, v15
	v_cmp_u_f16_e64 s[52:53], v17, v17
	v_cmp_u_f16_e64 s[54:55], v15, v15
	v_min_f32_e32 v18, v14, v16
	v_max_f32_e32 v46, v14, v16
	v_cndmask_b32_e64 v18, v18, v14, s[52:53]
	v_cndmask_b32_e64 v46, v46, v14, s[52:53]
	;; [unrolled: 1-line block ×4, first 2 shown]
	v_cmp_neq_f32_e64 s[54:55], v18, v15
	v_cmp_class_f32_e64 s[56:57], v18, s7
	s_or_b64 s[54:55], s[54:55], s[56:57]
	v_mov_b32_e32 v16, v14
	s_and_saveexec_b64 s[56:57], s[54:55]
	s_cbranch_execz .LBB355_102
; %bb.101:
	v_sub_f32_e32 v16, v18, v15
	s_mov_b32 s54, 0x3fb8aa3b
	v_mul_f32_e32 v17, 0x3fb8aa3b, v16
	v_fma_f32 v18, v16, s54, -v17
	v_rndne_f32_e32 v46, v17
	v_fmac_f32_e32 v18, 0x32a5705f, v16
	v_sub_f32_e32 v17, v17, v46
	v_add_f32_e32 v17, v17, v18
	v_exp_f32_e32 v17, v17
	v_cvt_i32_f32_e32 v18, v46
	s_mov_b32 s54, 0xc2ce8ed0
	v_cmp_ngt_f32_e64 s[54:55], s54, v16
	s_mov_b32 s62, 0x7f800000
	v_ldexp_f32 v17, v17, v18
	v_cndmask_b32_e64 v17, 0, v17, s[54:55]
	s_mov_b32 s54, 0x42b17218
	v_mov_b32_e32 v18, 0x7f800000
	v_cmp_nlt_f32_e64 s[54:55], s54, v16
	v_cndmask_b32_e64 v46, v18, v17, s[54:55]
	v_add_f32_e32 v47, 1.0, v46
	v_cvt_f64_f32_e32 v[16:17], v47
	v_add_f32_e32 v48, -1.0, v47
	v_sub_f32_e32 v49, v48, v47
	v_sub_f32_e32 v48, v46, v48
	v_frexp_exp_i32_f64_e32 v16, v[16:17]
	v_add_f32_e32 v17, 1.0, v49
	v_add_f32_e32 v17, v48, v17
	v_frexp_mant_f32_e32 v48, v47
	s_mov_b32 s54, 0x3f2aaaab
	v_cmp_gt_f32_e64 s[54:55], s54, v48
	v_subbrev_co_u32_e64 v16, s[54:55], 0, v16, s[54:55]
	v_sub_u32_e32 v48, 0, v16
	v_ldexp_f32 v47, v47, v48
	v_ldexp_f32 v17, v17, v48
	v_add_f32_e32 v48, -1.0, v47
	v_add_f32_e32 v51, 1.0, v47
	v_add_f32_e32 v49, 1.0, v48
	v_add_f32_e32 v52, -1.0, v51
	v_sub_f32_e32 v49, v47, v49
	v_sub_f32_e32 v47, v47, v52
	v_add_f32_e32 v49, v17, v49
	v_add_f32_e32 v17, v17, v47
	v_add_f32_e32 v47, v51, v17
	v_rcp_f32_e32 v52, v47
	v_add_f32_e32 v50, v48, v49
	v_sub_f32_e32 v48, v48, v50
	v_add_f32_e32 v48, v49, v48
	v_sub_f32_e32 v49, v51, v47
	v_add_f32_e32 v17, v17, v49
	v_mul_f32_e32 v49, v50, v52
	v_mul_f32_e32 v51, v47, v49
	v_fma_f32 v53, v49, v47, -v51
	v_fmac_f32_e32 v53, v49, v17
	v_add_f32_e32 v54, v51, v53
	v_sub_f32_e32 v55, v50, v54
	v_sub_f32_e32 v50, v50, v55
	;; [unrolled: 1-line block ×4, first 2 shown]
	v_add_f32_e32 v48, v48, v50
	v_sub_f32_e32 v50, v51, v53
	v_add_f32_e32 v48, v50, v48
	v_add_f32_e32 v50, v55, v48
	v_mul_f32_e32 v51, v52, v50
	v_mul_f32_e32 v53, v47, v51
	v_fma_f32 v47, v51, v47, -v53
	v_fmac_f32_e32 v47, v51, v17
	v_sub_f32_e32 v17, v55, v50
	v_add_f32_e32 v17, v48, v17
	v_add_f32_e32 v48, v53, v47
	v_sub_f32_e32 v54, v50, v48
	v_sub_f32_e32 v50, v50, v54
	;; [unrolled: 1-line block ×4, first 2 shown]
	v_add_f32_e32 v17, v17, v48
	v_sub_f32_e32 v47, v53, v47
	v_add_f32_e32 v17, v47, v17
	v_add_f32_e32 v47, v49, v51
	;; [unrolled: 1-line block ×3, first 2 shown]
	v_sub_f32_e32 v48, v47, v49
	v_mul_f32_e32 v17, v52, v17
	v_sub_f32_e32 v48, v51, v48
	v_add_f32_e32 v17, v48, v17
	v_cvt_f32_i32_e32 v16, v16
	v_add_f32_e32 v48, v47, v17
	v_mul_f32_e32 v49, v48, v48
	v_mov_b32_e32 v50, 0x3ecc95a3
	v_fmac_f32_e32 v50, 0x3e9b6dac, v49
	v_mov_b32_e32 v51, 0x3f2aaada
	v_fmac_f32_e32 v51, v49, v50
	s_mov_b32 s54, 0x3f317218
	v_mul_f32_e32 v50, 0x3f317218, v16
	v_fma_f32 v52, v16, s54, -v50
	v_fmac_f32_e32 v52, 0xb102e308, v16
	v_sub_f32_e32 v16, v48, v47
	v_sub_f32_e32 v16, v17, v16
	v_add_f32_e32 v17, v50, v52
	v_sub_f32_e32 v47, v17, v50
	v_ldexp_f32 v50, v48, 1
	v_mul_f32_e32 v48, v48, v49
	v_mul_f32_e32 v48, v48, v51
	v_add_f32_e32 v49, v50, v48
	v_sub_f32_e32 v50, v49, v50
	v_ldexp_f32 v16, v16, 1
	v_sub_f32_e32 v48, v48, v50
	v_add_f32_e32 v16, v16, v48
	v_add_f32_e32 v48, v49, v16
	v_sub_f32_e32 v49, v48, v49
	v_sub_f32_e32 v16, v16, v49
	v_add_f32_e32 v49, v17, v48
	v_sub_f32_e32 v50, v49, v17
	v_sub_f32_e32 v51, v49, v50
	v_sub_f32_e32 v47, v52, v47
	v_sub_f32_e32 v17, v17, v51
	v_sub_f32_e32 v48, v48, v50
	v_add_f32_e32 v17, v48, v17
	v_add_f32_e32 v48, v47, v16
	v_sub_f32_e32 v50, v48, v47
	v_sub_f32_e32 v51, v48, v50
	;; [unrolled: 1-line block ×4, first 2 shown]
	v_add_f32_e32 v17, v48, v17
	v_add_f32_e32 v16, v16, v47
	;; [unrolled: 1-line block ×3, first 2 shown]
	v_sub_f32_e32 v48, v47, v49
	v_sub_f32_e32 v17, v17, v48
	v_add_f32_e32 v16, v16, v17
	v_add_f32_e32 v16, v47, v16
	v_cmp_neq_f32_e64 s[54:55], s62, v46
	v_cndmask_b32_e64 v16, v18, v16, s[54:55]
	s_mov_b32 s54, 0x33800000
	v_cmp_lt_f32_e64 s[54:55], |v46|, s54
	v_cndmask_b32_e64 v16, v16, v46, s[54:55]
	v_add_f32_e32 v15, v15, v16
	v_cvt_f16_f32_e32 v17, v15
	v_cvt_f32_f16_e32 v16, v17
.LBB355_102:
	s_or_b64 exec, exec, s[56:57]
	ds_read_u16 v15, v13 offset:4
	v_max_f32_e32 v18, v16, v16
	v_cmp_u_f16_e64 s[54:55], v17, v17
	s_waitcnt lgkmcnt(0)
	v_cvt_f32_f16_e32 v46, v15
	v_min_f32_e32 v47, v18, v46
	v_max_f32_e32 v18, v18, v46
	v_cndmask_b32_e64 v47, v47, v16, s[54:55]
	v_cndmask_b32_e64 v48, v18, v16, s[54:55]
	v_cmp_u_f16_e64 s[54:55], v15, v15
	v_cndmask_b32_e64 v18, v47, v46, s[54:55]
	v_cndmask_b32_e64 v15, v48, v46, s[54:55]
	v_cmp_neq_f32_e64 s[54:55], v18, v15
	v_cmp_class_f32_e64 s[56:57], v18, s7
	s_or_b64 s[54:55], s[54:55], s[56:57]
	s_and_saveexec_b64 s[56:57], s[54:55]
	s_cbranch_execz .LBB355_104
; %bb.103:
	v_sub_f32_e32 v16, v18, v15
	s_mov_b32 s7, 0x3fb8aa3b
	v_mul_f32_e32 v17, 0x3fb8aa3b, v16
	v_fma_f32 v18, v16, s7, -v17
	v_rndne_f32_e32 v46, v17
	v_fmac_f32_e32 v18, 0x32a5705f, v16
	v_sub_f32_e32 v17, v17, v46
	v_add_f32_e32 v17, v17, v18
	v_exp_f32_e32 v17, v17
	v_cvt_i32_f32_e32 v18, v46
	s_mov_b32 s7, 0xc2ce8ed0
	v_cmp_ngt_f32_e64 s[54:55], s7, v16
	s_mov_b32 s7, 0x42b17218
	v_ldexp_f32 v17, v17, v18
	v_cndmask_b32_e64 v17, 0, v17, s[54:55]
	v_mov_b32_e32 v18, 0x7f800000
	v_cmp_nlt_f32_e64 s[54:55], s7, v16
	v_cndmask_b32_e64 v46, v18, v17, s[54:55]
	v_add_f32_e32 v47, 1.0, v46
	v_cvt_f64_f32_e32 v[16:17], v47
	v_add_f32_e32 v48, -1.0, v47
	v_sub_f32_e32 v49, v48, v47
	v_sub_f32_e32 v48, v46, v48
	v_frexp_exp_i32_f64_e32 v16, v[16:17]
	v_add_f32_e32 v17, 1.0, v49
	v_add_f32_e32 v17, v48, v17
	v_frexp_mant_f32_e32 v48, v47
	s_mov_b32 s54, 0x3f2aaaab
	v_cmp_gt_f32_e64 s[54:55], s54, v48
	s_mov_b32 s7, 0x7f800000
	v_subbrev_co_u32_e64 v16, s[54:55], 0, v16, s[54:55]
	v_sub_u32_e32 v48, 0, v16
	v_ldexp_f32 v47, v47, v48
	v_ldexp_f32 v17, v17, v48
	v_add_f32_e32 v48, -1.0, v47
	v_add_f32_e32 v51, 1.0, v47
	v_add_f32_e32 v49, 1.0, v48
	v_add_f32_e32 v52, -1.0, v51
	v_sub_f32_e32 v49, v47, v49
	v_sub_f32_e32 v47, v47, v52
	v_add_f32_e32 v49, v17, v49
	v_add_f32_e32 v17, v17, v47
	;; [unrolled: 1-line block ×3, first 2 shown]
	v_rcp_f32_e32 v52, v47
	v_add_f32_e32 v50, v48, v49
	v_sub_f32_e32 v48, v48, v50
	v_add_f32_e32 v48, v49, v48
	v_sub_f32_e32 v49, v51, v47
	v_add_f32_e32 v17, v17, v49
	v_mul_f32_e32 v49, v50, v52
	v_mul_f32_e32 v51, v47, v49
	v_fma_f32 v53, v49, v47, -v51
	v_fmac_f32_e32 v53, v49, v17
	v_add_f32_e32 v54, v51, v53
	v_sub_f32_e32 v55, v50, v54
	v_sub_f32_e32 v50, v50, v55
	;; [unrolled: 1-line block ×4, first 2 shown]
	v_add_f32_e32 v48, v48, v50
	v_sub_f32_e32 v50, v51, v53
	v_add_f32_e32 v48, v50, v48
	v_add_f32_e32 v50, v55, v48
	v_mul_f32_e32 v51, v52, v50
	v_mul_f32_e32 v53, v47, v51
	v_fma_f32 v47, v51, v47, -v53
	v_fmac_f32_e32 v47, v51, v17
	v_sub_f32_e32 v17, v55, v50
	v_add_f32_e32 v17, v48, v17
	v_add_f32_e32 v48, v53, v47
	v_sub_f32_e32 v54, v50, v48
	v_sub_f32_e32 v50, v50, v54
	;; [unrolled: 1-line block ×4, first 2 shown]
	v_add_f32_e32 v17, v17, v48
	v_sub_f32_e32 v47, v53, v47
	v_add_f32_e32 v17, v47, v17
	v_add_f32_e32 v47, v49, v51
	;; [unrolled: 1-line block ×3, first 2 shown]
	v_sub_f32_e32 v48, v47, v49
	v_mul_f32_e32 v17, v52, v17
	v_sub_f32_e32 v48, v51, v48
	v_add_f32_e32 v17, v48, v17
	v_cvt_f32_i32_e32 v16, v16
	v_add_f32_e32 v48, v47, v17
	v_mul_f32_e32 v49, v48, v48
	v_mov_b32_e32 v50, 0x3ecc95a3
	v_fmac_f32_e32 v50, 0x3e9b6dac, v49
	v_mov_b32_e32 v51, 0x3f2aaada
	v_fmac_f32_e32 v51, v49, v50
	s_mov_b32 s54, 0x3f317218
	v_mul_f32_e32 v50, 0x3f317218, v16
	v_fma_f32 v52, v16, s54, -v50
	v_fmac_f32_e32 v52, 0xb102e308, v16
	v_sub_f32_e32 v16, v48, v47
	v_sub_f32_e32 v16, v17, v16
	v_add_f32_e32 v17, v50, v52
	v_sub_f32_e32 v47, v17, v50
	v_ldexp_f32 v50, v48, 1
	v_mul_f32_e32 v48, v48, v49
	v_mul_f32_e32 v48, v48, v51
	v_add_f32_e32 v49, v50, v48
	v_sub_f32_e32 v50, v49, v50
	v_ldexp_f32 v16, v16, 1
	v_sub_f32_e32 v48, v48, v50
	v_add_f32_e32 v16, v16, v48
	v_add_f32_e32 v48, v49, v16
	v_sub_f32_e32 v49, v48, v49
	v_sub_f32_e32 v16, v16, v49
	v_add_f32_e32 v49, v17, v48
	v_sub_f32_e32 v50, v49, v17
	v_sub_f32_e32 v51, v49, v50
	;; [unrolled: 1-line block ×5, first 2 shown]
	v_add_f32_e32 v17, v48, v17
	v_add_f32_e32 v48, v47, v16
	v_sub_f32_e32 v50, v48, v47
	v_sub_f32_e32 v51, v48, v50
	;; [unrolled: 1-line block ×4, first 2 shown]
	v_add_f32_e32 v17, v48, v17
	v_add_f32_e32 v16, v16, v47
	;; [unrolled: 1-line block ×3, first 2 shown]
	v_sub_f32_e32 v48, v47, v49
	v_sub_f32_e32 v17, v17, v48
	v_add_f32_e32 v16, v16, v17
	v_add_f32_e32 v16, v47, v16
	v_cmp_neq_f32_e64 s[54:55], s7, v46
	s_mov_b32 s7, 0x33800000
	v_cndmask_b32_e64 v16, v18, v16, s[54:55]
	v_cmp_lt_f32_e64 s[54:55], |v46|, s7
	v_cndmask_b32_e64 v16, v16, v46, s[54:55]
	v_add_f32_e32 v15, v15, v16
	v_cvt_f16_f32_e32 v17, v15
	v_cvt_f32_f16_e32 v16, v17
.LBB355_104:
	s_or_b64 exec, exec, s[56:57]
	ds_read_u16 v15, v13 offset:6
	v_max_f32_e32 v46, v16, v16
	v_cmp_u_f16_e64 s[54:55], v17, v17
	s_movk_i32 s7, 0x1f8
	s_waitcnt lgkmcnt(0)
	v_cvt_f32_f16_e32 v18, v15
	v_min_f32_e32 v47, v46, v18
	v_max_f32_e32 v46, v46, v18
	v_cndmask_b32_e64 v47, v47, v16, s[54:55]
	v_cndmask_b32_e64 v46, v46, v16, s[54:55]
	v_cmp_u_f16_e64 s[54:55], v15, v15
	v_cndmask_b32_e64 v16, v47, v18, s[54:55]
	v_cndmask_b32_e64 v15, v46, v18, s[54:55]
	v_cmp_neq_f32_e64 s[54:55], v16, v15
	v_cmp_class_f32_e64 s[56:57], v16, s7
	s_or_b64 s[54:55], s[54:55], s[56:57]
	s_and_saveexec_b64 s[56:57], s[54:55]
	s_cbranch_execz .LBB355_106
; %bb.105:
	v_sub_f32_e32 v16, v16, v15
	s_mov_b32 s7, 0x3fb8aa3b
	v_mul_f32_e32 v17, 0x3fb8aa3b, v16
	v_fma_f32 v18, v16, s7, -v17
	v_rndne_f32_e32 v46, v17
	v_fmac_f32_e32 v18, 0x32a5705f, v16
	v_sub_f32_e32 v17, v17, v46
	v_add_f32_e32 v17, v17, v18
	v_exp_f32_e32 v17, v17
	v_cvt_i32_f32_e32 v18, v46
	s_mov_b32 s7, 0xc2ce8ed0
	v_cmp_ngt_f32_e64 s[54:55], s7, v16
	s_mov_b32 s7, 0x42b17218
	v_ldexp_f32 v17, v17, v18
	v_cndmask_b32_e64 v17, 0, v17, s[54:55]
	v_mov_b32_e32 v18, 0x7f800000
	v_cmp_nlt_f32_e64 s[54:55], s7, v16
	v_cndmask_b32_e64 v46, v18, v17, s[54:55]
	v_add_f32_e32 v47, 1.0, v46
	v_cvt_f64_f32_e32 v[16:17], v47
	v_add_f32_e32 v48, -1.0, v47
	v_sub_f32_e32 v49, v48, v47
	v_sub_f32_e32 v48, v46, v48
	v_frexp_exp_i32_f64_e32 v16, v[16:17]
	v_add_f32_e32 v17, 1.0, v49
	v_add_f32_e32 v17, v48, v17
	v_frexp_mant_f32_e32 v48, v47
	s_mov_b32 s54, 0x3f2aaaab
	v_cmp_gt_f32_e64 s[54:55], s54, v48
	s_mov_b32 s7, 0x7f800000
	v_subbrev_co_u32_e64 v16, s[54:55], 0, v16, s[54:55]
	v_sub_u32_e32 v48, 0, v16
	v_ldexp_f32 v47, v47, v48
	v_ldexp_f32 v17, v17, v48
	v_add_f32_e32 v48, -1.0, v47
	v_add_f32_e32 v51, 1.0, v47
	v_add_f32_e32 v49, 1.0, v48
	v_add_f32_e32 v52, -1.0, v51
	v_sub_f32_e32 v49, v47, v49
	v_sub_f32_e32 v47, v47, v52
	v_add_f32_e32 v49, v17, v49
	v_add_f32_e32 v17, v17, v47
	;; [unrolled: 1-line block ×3, first 2 shown]
	v_rcp_f32_e32 v52, v47
	v_add_f32_e32 v50, v48, v49
	v_sub_f32_e32 v48, v48, v50
	v_add_f32_e32 v48, v49, v48
	v_sub_f32_e32 v49, v51, v47
	v_add_f32_e32 v17, v17, v49
	v_mul_f32_e32 v49, v50, v52
	v_mul_f32_e32 v51, v47, v49
	v_fma_f32 v53, v49, v47, -v51
	v_fmac_f32_e32 v53, v49, v17
	v_add_f32_e32 v54, v51, v53
	v_sub_f32_e32 v55, v50, v54
	v_sub_f32_e32 v50, v50, v55
	;; [unrolled: 1-line block ×4, first 2 shown]
	v_add_f32_e32 v48, v48, v50
	v_sub_f32_e32 v50, v51, v53
	v_add_f32_e32 v48, v50, v48
	v_add_f32_e32 v50, v55, v48
	v_mul_f32_e32 v51, v52, v50
	v_mul_f32_e32 v53, v47, v51
	v_fma_f32 v47, v51, v47, -v53
	v_fmac_f32_e32 v47, v51, v17
	v_sub_f32_e32 v17, v55, v50
	v_add_f32_e32 v17, v48, v17
	v_add_f32_e32 v48, v53, v47
	v_sub_f32_e32 v54, v50, v48
	v_sub_f32_e32 v50, v50, v54
	;; [unrolled: 1-line block ×4, first 2 shown]
	v_add_f32_e32 v17, v17, v48
	v_sub_f32_e32 v47, v53, v47
	v_add_f32_e32 v17, v47, v17
	v_add_f32_e32 v47, v49, v51
	;; [unrolled: 1-line block ×3, first 2 shown]
	v_sub_f32_e32 v48, v47, v49
	v_mul_f32_e32 v17, v52, v17
	v_sub_f32_e32 v48, v51, v48
	v_add_f32_e32 v17, v48, v17
	v_cvt_f32_i32_e32 v16, v16
	v_add_f32_e32 v48, v47, v17
	v_mul_f32_e32 v49, v48, v48
	v_mov_b32_e32 v50, 0x3ecc95a3
	v_fmac_f32_e32 v50, 0x3e9b6dac, v49
	v_mov_b32_e32 v51, 0x3f2aaada
	v_fmac_f32_e32 v51, v49, v50
	s_mov_b32 s54, 0x3f317218
	v_mul_f32_e32 v50, 0x3f317218, v16
	v_fma_f32 v52, v16, s54, -v50
	v_fmac_f32_e32 v52, 0xb102e308, v16
	v_sub_f32_e32 v16, v48, v47
	v_sub_f32_e32 v16, v17, v16
	v_add_f32_e32 v17, v50, v52
	v_sub_f32_e32 v47, v17, v50
	v_ldexp_f32 v50, v48, 1
	v_mul_f32_e32 v48, v48, v49
	v_mul_f32_e32 v48, v48, v51
	v_add_f32_e32 v49, v50, v48
	v_sub_f32_e32 v50, v49, v50
	v_ldexp_f32 v16, v16, 1
	v_sub_f32_e32 v48, v48, v50
	v_add_f32_e32 v16, v16, v48
	v_add_f32_e32 v48, v49, v16
	v_sub_f32_e32 v49, v48, v49
	v_sub_f32_e32 v16, v16, v49
	v_add_f32_e32 v49, v17, v48
	v_sub_f32_e32 v50, v49, v17
	v_sub_f32_e32 v51, v49, v50
	;; [unrolled: 1-line block ×5, first 2 shown]
	v_add_f32_e32 v17, v48, v17
	v_add_f32_e32 v48, v47, v16
	v_sub_f32_e32 v50, v48, v47
	v_sub_f32_e32 v51, v48, v50
	;; [unrolled: 1-line block ×4, first 2 shown]
	v_add_f32_e32 v17, v48, v17
	v_add_f32_e32 v16, v16, v47
	;; [unrolled: 1-line block ×3, first 2 shown]
	v_sub_f32_e32 v48, v47, v49
	v_sub_f32_e32 v17, v17, v48
	v_add_f32_e32 v16, v16, v17
	v_add_f32_e32 v16, v47, v16
	v_cmp_neq_f32_e64 s[54:55], s7, v46
	s_mov_b32 s7, 0x33800000
	v_cndmask_b32_e64 v16, v18, v16, s[54:55]
	v_cmp_lt_f32_e64 s[54:55], |v46|, s7
	v_cndmask_b32_e64 v16, v16, v46, s[54:55]
	v_add_f32_e32 v15, v15, v16
	v_cvt_f16_f32_e32 v17, v15
.LBB355_106:
	s_or_b64 exec, exec, s[56:57]
	v_mbcnt_lo_u32_b32 v15, -1, 0
	v_mbcnt_hi_u32_b32 v15, -1, v15
	v_and_b32_e32 v16, 15, v15
	v_and_b32_e32 v18, 0xffff, v17
	v_cmp_ne_u32_e64 s[54:55], 0, v16
	s_nop 0
	v_mov_b32_dpp v46, v18 row_shr:1 row_mask:0xf bank_mask:0xf
	s_and_saveexec_b64 s[56:57], s[54:55]
	s_xor_b64 s[62:63], exec, s[56:57]
	s_cbranch_execz .LBB355_110
; %bb.107:
	v_cvt_f32_f16_e32 v47, v46
	v_cvt_f32_f16_e32 v48, v17
	v_cmp_u_f16_e64 s[54:55], v46, v46
	v_cmp_u_f16_e64 s[56:57], v17, v17
	s_movk_i32 s7, 0x1f8
	v_min_f32_e32 v18, v47, v48
	v_max_f32_e32 v17, v47, v48
	v_cndmask_b32_e64 v18, v18, v47, s[54:55]
	v_cndmask_b32_e64 v17, v17, v47, s[54:55]
	;; [unrolled: 1-line block ×4, first 2 shown]
	v_cmp_neq_f32_e64 s[54:55], v18, v17
	v_cmp_class_f32_e64 s[56:57], v18, s7
	s_or_b64 s[54:55], s[54:55], s[56:57]
	s_and_saveexec_b64 s[56:57], s[54:55]
	s_cbranch_execz .LBB355_109
; %bb.108:
	v_sub_f32_e32 v18, v18, v17
	s_mov_b32 s7, 0x3fb8aa3b
	v_mul_f32_e32 v46, 0x3fb8aa3b, v18
	v_fma_f32 v47, v18, s7, -v46
	v_rndne_f32_e32 v48, v46
	v_fmac_f32_e32 v47, 0x32a5705f, v18
	v_sub_f32_e32 v46, v46, v48
	v_add_f32_e32 v46, v46, v47
	v_exp_f32_e32 v46, v46
	v_cvt_i32_f32_e32 v47, v48
	s_mov_b32 s7, 0xc2ce8ed0
	v_cmp_ngt_f32_e64 s[54:55], s7, v18
	s_mov_b32 s7, 0x42b17218
	v_ldexp_f32 v46, v46, v47
	v_cndmask_b32_e64 v46, 0, v46, s[54:55]
	v_mov_b32_e32 v48, 0x7f800000
	v_cmp_nlt_f32_e64 s[54:55], s7, v18
	v_cndmask_b32_e64 v18, v48, v46, s[54:55]
	v_add_f32_e32 v49, 1.0, v18
	v_cvt_f64_f32_e32 v[46:47], v49
	v_add_f32_e32 v50, -1.0, v49
	v_sub_f32_e32 v51, v50, v49
	v_sub_f32_e32 v50, v18, v50
	v_frexp_exp_i32_f64_e32 v46, v[46:47]
	v_add_f32_e32 v47, 1.0, v51
	v_add_f32_e32 v47, v50, v47
	v_frexp_mant_f32_e32 v50, v49
	s_mov_b32 s54, 0x3f2aaaab
	v_cmp_gt_f32_e64 s[54:55], s54, v50
	s_mov_b32 s7, 0x7f800000
	v_subbrev_co_u32_e64 v46, s[54:55], 0, v46, s[54:55]
	v_sub_u32_e32 v50, 0, v46
	v_ldexp_f32 v49, v49, v50
	v_ldexp_f32 v47, v47, v50
	v_add_f32_e32 v50, -1.0, v49
	v_add_f32_e32 v53, 1.0, v49
	v_add_f32_e32 v51, 1.0, v50
	v_add_f32_e32 v54, -1.0, v53
	v_sub_f32_e32 v51, v49, v51
	v_sub_f32_e32 v49, v49, v54
	v_add_f32_e32 v51, v47, v51
	v_add_f32_e32 v47, v47, v49
	;; [unrolled: 1-line block ×3, first 2 shown]
	v_rcp_f32_e32 v54, v49
	v_add_f32_e32 v52, v50, v51
	v_sub_f32_e32 v50, v50, v52
	v_add_f32_e32 v50, v51, v50
	v_sub_f32_e32 v51, v53, v49
	v_add_f32_e32 v47, v47, v51
	v_mul_f32_e32 v51, v52, v54
	v_mul_f32_e32 v53, v49, v51
	v_fma_f32 v55, v51, v49, -v53
	v_fmac_f32_e32 v55, v51, v47
	v_add_f32_e32 v56, v53, v55
	v_sub_f32_e32 v57, v52, v56
	v_sub_f32_e32 v52, v52, v57
	;; [unrolled: 1-line block ×4, first 2 shown]
	v_add_f32_e32 v50, v50, v52
	v_sub_f32_e32 v52, v53, v55
	v_add_f32_e32 v50, v52, v50
	v_add_f32_e32 v52, v57, v50
	v_mul_f32_e32 v53, v54, v52
	v_mul_f32_e32 v55, v49, v53
	v_fma_f32 v49, v53, v49, -v55
	v_fmac_f32_e32 v49, v53, v47
	v_sub_f32_e32 v47, v57, v52
	v_add_f32_e32 v47, v50, v47
	v_add_f32_e32 v50, v55, v49
	v_sub_f32_e32 v56, v52, v50
	v_sub_f32_e32 v52, v52, v56
	;; [unrolled: 1-line block ×4, first 2 shown]
	v_add_f32_e32 v47, v47, v50
	v_sub_f32_e32 v49, v55, v49
	v_add_f32_e32 v47, v49, v47
	v_add_f32_e32 v49, v51, v53
	;; [unrolled: 1-line block ×3, first 2 shown]
	v_sub_f32_e32 v50, v49, v51
	v_mul_f32_e32 v47, v54, v47
	v_sub_f32_e32 v50, v53, v50
	v_add_f32_e32 v47, v50, v47
	v_cvt_f32_i32_e32 v46, v46
	v_add_f32_e32 v50, v49, v47
	v_mul_f32_e32 v51, v50, v50
	v_mov_b32_e32 v52, 0x3ecc95a3
	v_fmac_f32_e32 v52, 0x3e9b6dac, v51
	v_mov_b32_e32 v53, 0x3f2aaada
	v_fmac_f32_e32 v53, v51, v52
	s_mov_b32 s54, 0x3f317218
	v_mul_f32_e32 v52, 0x3f317218, v46
	v_fma_f32 v54, v46, s54, -v52
	v_fmac_f32_e32 v54, 0xb102e308, v46
	v_sub_f32_e32 v46, v50, v49
	v_sub_f32_e32 v46, v47, v46
	v_add_f32_e32 v47, v52, v54
	v_sub_f32_e32 v49, v47, v52
	v_ldexp_f32 v52, v50, 1
	v_mul_f32_e32 v50, v50, v51
	v_mul_f32_e32 v50, v50, v53
	v_add_f32_e32 v51, v52, v50
	v_sub_f32_e32 v52, v51, v52
	v_ldexp_f32 v46, v46, 1
	v_sub_f32_e32 v50, v50, v52
	v_add_f32_e32 v46, v46, v50
	v_add_f32_e32 v50, v51, v46
	v_sub_f32_e32 v51, v50, v51
	v_sub_f32_e32 v46, v46, v51
	v_add_f32_e32 v51, v47, v50
	v_sub_f32_e32 v52, v51, v47
	v_sub_f32_e32 v53, v51, v52
	;; [unrolled: 1-line block ×5, first 2 shown]
	v_add_f32_e32 v47, v50, v47
	v_add_f32_e32 v50, v49, v46
	v_sub_f32_e32 v52, v50, v49
	v_sub_f32_e32 v53, v50, v52
	;; [unrolled: 1-line block ×4, first 2 shown]
	v_add_f32_e32 v47, v50, v47
	v_add_f32_e32 v46, v46, v49
	;; [unrolled: 1-line block ×3, first 2 shown]
	v_sub_f32_e32 v50, v49, v51
	v_sub_f32_e32 v47, v47, v50
	v_add_f32_e32 v46, v46, v47
	v_add_f32_e32 v46, v49, v46
	v_cmp_neq_f32_e64 s[54:55], s7, v18
	s_mov_b32 s7, 0x33800000
	v_cndmask_b32_e64 v46, v48, v46, s[54:55]
	v_cmp_lt_f32_e64 s[54:55], |v18|, s7
	v_cndmask_b32_e64 v18, v46, v18, s[54:55]
	v_add_f32_e32 v17, v17, v18
	v_cvt_f16_f32_e32 v46, v17
.LBB355_109:
	s_or_b64 exec, exec, s[56:57]
	v_and_b32_e32 v18, 0xffff, v46
	v_mov_b32_e32 v17, v46
.LBB355_110:
	s_or_b64 exec, exec, s[62:63]
	v_mov_b32_dpp v46, v18 row_shr:2 row_mask:0xf bank_mask:0xf
	v_cmp_lt_u32_e64 s[54:55], 1, v16
	s_and_saveexec_b64 s[62:63], s[54:55]
	s_cbranch_execz .LBB355_114
; %bb.111:
	v_cvt_f32_f16_e32 v47, v46
	v_cvt_f32_f16_e32 v48, v17
	v_cmp_u_f16_e64 s[54:55], v46, v46
	v_cmp_u_f16_e64 s[56:57], v17, v17
	s_movk_i32 s7, 0x1f8
	v_min_f32_e32 v18, v47, v48
	v_max_f32_e32 v17, v47, v48
	v_cndmask_b32_e64 v18, v18, v47, s[54:55]
	v_cndmask_b32_e64 v17, v17, v47, s[54:55]
	;; [unrolled: 1-line block ×4, first 2 shown]
	v_cmp_neq_f32_e64 s[54:55], v18, v17
	v_cmp_class_f32_e64 s[56:57], v18, s7
	s_or_b64 s[54:55], s[54:55], s[56:57]
	s_and_saveexec_b64 s[56:57], s[54:55]
	s_cbranch_execz .LBB355_113
; %bb.112:
	v_sub_f32_e32 v18, v18, v17
	s_mov_b32 s7, 0x3fb8aa3b
	v_mul_f32_e32 v46, 0x3fb8aa3b, v18
	v_fma_f32 v47, v18, s7, -v46
	v_rndne_f32_e32 v48, v46
	v_fmac_f32_e32 v47, 0x32a5705f, v18
	v_sub_f32_e32 v46, v46, v48
	v_add_f32_e32 v46, v46, v47
	v_exp_f32_e32 v46, v46
	v_cvt_i32_f32_e32 v47, v48
	s_mov_b32 s7, 0xc2ce8ed0
	v_cmp_ngt_f32_e64 s[54:55], s7, v18
	s_mov_b32 s7, 0x42b17218
	v_ldexp_f32 v46, v46, v47
	v_cndmask_b32_e64 v46, 0, v46, s[54:55]
	v_mov_b32_e32 v48, 0x7f800000
	v_cmp_nlt_f32_e64 s[54:55], s7, v18
	v_cndmask_b32_e64 v18, v48, v46, s[54:55]
	v_add_f32_e32 v49, 1.0, v18
	v_cvt_f64_f32_e32 v[46:47], v49
	v_add_f32_e32 v50, -1.0, v49
	v_sub_f32_e32 v51, v50, v49
	v_sub_f32_e32 v50, v18, v50
	v_frexp_exp_i32_f64_e32 v46, v[46:47]
	v_add_f32_e32 v47, 1.0, v51
	v_add_f32_e32 v47, v50, v47
	v_frexp_mant_f32_e32 v50, v49
	s_mov_b32 s54, 0x3f2aaaab
	v_cmp_gt_f32_e64 s[54:55], s54, v50
	s_mov_b32 s7, 0x7f800000
	v_subbrev_co_u32_e64 v46, s[54:55], 0, v46, s[54:55]
	v_sub_u32_e32 v50, 0, v46
	v_ldexp_f32 v49, v49, v50
	v_ldexp_f32 v47, v47, v50
	v_add_f32_e32 v50, -1.0, v49
	v_add_f32_e32 v53, 1.0, v49
	v_add_f32_e32 v51, 1.0, v50
	v_add_f32_e32 v54, -1.0, v53
	v_sub_f32_e32 v51, v49, v51
	v_sub_f32_e32 v49, v49, v54
	v_add_f32_e32 v51, v47, v51
	v_add_f32_e32 v47, v47, v49
	;; [unrolled: 1-line block ×3, first 2 shown]
	v_rcp_f32_e32 v54, v49
	v_add_f32_e32 v52, v50, v51
	v_sub_f32_e32 v50, v50, v52
	v_add_f32_e32 v50, v51, v50
	v_sub_f32_e32 v51, v53, v49
	v_add_f32_e32 v47, v47, v51
	v_mul_f32_e32 v51, v52, v54
	v_mul_f32_e32 v53, v49, v51
	v_fma_f32 v55, v51, v49, -v53
	v_fmac_f32_e32 v55, v51, v47
	v_add_f32_e32 v56, v53, v55
	v_sub_f32_e32 v57, v52, v56
	v_sub_f32_e32 v52, v52, v57
	;; [unrolled: 1-line block ×4, first 2 shown]
	v_add_f32_e32 v50, v50, v52
	v_sub_f32_e32 v52, v53, v55
	v_add_f32_e32 v50, v52, v50
	v_add_f32_e32 v52, v57, v50
	v_mul_f32_e32 v53, v54, v52
	v_mul_f32_e32 v55, v49, v53
	v_fma_f32 v49, v53, v49, -v55
	v_fmac_f32_e32 v49, v53, v47
	v_sub_f32_e32 v47, v57, v52
	v_add_f32_e32 v47, v50, v47
	v_add_f32_e32 v50, v55, v49
	v_sub_f32_e32 v56, v52, v50
	v_sub_f32_e32 v52, v52, v56
	;; [unrolled: 1-line block ×4, first 2 shown]
	v_add_f32_e32 v47, v47, v50
	v_sub_f32_e32 v49, v55, v49
	v_add_f32_e32 v47, v49, v47
	v_add_f32_e32 v49, v51, v53
	;; [unrolled: 1-line block ×3, first 2 shown]
	v_sub_f32_e32 v50, v49, v51
	v_mul_f32_e32 v47, v54, v47
	v_sub_f32_e32 v50, v53, v50
	v_add_f32_e32 v47, v50, v47
	v_cvt_f32_i32_e32 v46, v46
	v_add_f32_e32 v50, v49, v47
	v_mul_f32_e32 v51, v50, v50
	v_mov_b32_e32 v52, 0x3ecc95a3
	v_fmac_f32_e32 v52, 0x3e9b6dac, v51
	v_mov_b32_e32 v53, 0x3f2aaada
	v_fmac_f32_e32 v53, v51, v52
	s_mov_b32 s54, 0x3f317218
	v_mul_f32_e32 v52, 0x3f317218, v46
	v_fma_f32 v54, v46, s54, -v52
	v_fmac_f32_e32 v54, 0xb102e308, v46
	v_sub_f32_e32 v46, v50, v49
	v_sub_f32_e32 v46, v47, v46
	v_add_f32_e32 v47, v52, v54
	v_sub_f32_e32 v49, v47, v52
	v_ldexp_f32 v52, v50, 1
	v_mul_f32_e32 v50, v50, v51
	v_mul_f32_e32 v50, v50, v53
	v_add_f32_e32 v51, v52, v50
	v_sub_f32_e32 v52, v51, v52
	v_ldexp_f32 v46, v46, 1
	v_sub_f32_e32 v50, v50, v52
	v_add_f32_e32 v46, v46, v50
	v_add_f32_e32 v50, v51, v46
	v_sub_f32_e32 v51, v50, v51
	v_sub_f32_e32 v46, v46, v51
	v_add_f32_e32 v51, v47, v50
	v_sub_f32_e32 v52, v51, v47
	v_sub_f32_e32 v53, v51, v52
	;; [unrolled: 1-line block ×5, first 2 shown]
	v_add_f32_e32 v47, v50, v47
	v_add_f32_e32 v50, v49, v46
	v_sub_f32_e32 v52, v50, v49
	v_sub_f32_e32 v53, v50, v52
	;; [unrolled: 1-line block ×4, first 2 shown]
	v_add_f32_e32 v47, v50, v47
	v_add_f32_e32 v46, v46, v49
	;; [unrolled: 1-line block ×3, first 2 shown]
	v_sub_f32_e32 v50, v49, v51
	v_sub_f32_e32 v47, v47, v50
	v_add_f32_e32 v46, v46, v47
	v_add_f32_e32 v46, v49, v46
	v_cmp_neq_f32_e64 s[54:55], s7, v18
	s_mov_b32 s7, 0x33800000
	v_cndmask_b32_e64 v46, v48, v46, s[54:55]
	v_cmp_lt_f32_e64 s[54:55], |v18|, s7
	v_cndmask_b32_e64 v18, v46, v18, s[54:55]
	v_add_f32_e32 v17, v17, v18
	v_cvt_f16_f32_e32 v46, v17
.LBB355_113:
	s_or_b64 exec, exec, s[56:57]
	v_and_b32_e32 v18, 0xffff, v46
	v_mov_b32_e32 v17, v46
.LBB355_114:
	s_or_b64 exec, exec, s[62:63]
	v_mov_b32_dpp v46, v18 row_shr:4 row_mask:0xf bank_mask:0xf
	v_cmp_lt_u32_e64 s[54:55], 3, v16
	s_and_saveexec_b64 s[62:63], s[54:55]
	s_cbranch_execz .LBB355_118
; %bb.115:
	v_cvt_f32_f16_e32 v47, v46
	v_cvt_f32_f16_e32 v48, v17
	v_cmp_u_f16_e64 s[54:55], v46, v46
	v_cmp_u_f16_e64 s[56:57], v17, v17
	s_movk_i32 s7, 0x1f8
	v_min_f32_e32 v18, v47, v48
	v_max_f32_e32 v17, v47, v48
	v_cndmask_b32_e64 v18, v18, v47, s[54:55]
	v_cndmask_b32_e64 v17, v17, v47, s[54:55]
	;; [unrolled: 1-line block ×4, first 2 shown]
	v_cmp_neq_f32_e64 s[54:55], v18, v17
	v_cmp_class_f32_e64 s[56:57], v18, s7
	s_or_b64 s[54:55], s[54:55], s[56:57]
	s_and_saveexec_b64 s[56:57], s[54:55]
	s_cbranch_execz .LBB355_117
; %bb.116:
	v_sub_f32_e32 v18, v18, v17
	s_mov_b32 s7, 0x3fb8aa3b
	v_mul_f32_e32 v46, 0x3fb8aa3b, v18
	v_fma_f32 v47, v18, s7, -v46
	v_rndne_f32_e32 v48, v46
	v_fmac_f32_e32 v47, 0x32a5705f, v18
	v_sub_f32_e32 v46, v46, v48
	v_add_f32_e32 v46, v46, v47
	v_exp_f32_e32 v46, v46
	v_cvt_i32_f32_e32 v47, v48
	s_mov_b32 s7, 0xc2ce8ed0
	v_cmp_ngt_f32_e64 s[54:55], s7, v18
	s_mov_b32 s7, 0x42b17218
	v_ldexp_f32 v46, v46, v47
	v_cndmask_b32_e64 v46, 0, v46, s[54:55]
	v_mov_b32_e32 v48, 0x7f800000
	v_cmp_nlt_f32_e64 s[54:55], s7, v18
	v_cndmask_b32_e64 v18, v48, v46, s[54:55]
	v_add_f32_e32 v49, 1.0, v18
	v_cvt_f64_f32_e32 v[46:47], v49
	v_add_f32_e32 v50, -1.0, v49
	v_sub_f32_e32 v51, v50, v49
	v_sub_f32_e32 v50, v18, v50
	v_frexp_exp_i32_f64_e32 v46, v[46:47]
	v_add_f32_e32 v47, 1.0, v51
	v_add_f32_e32 v47, v50, v47
	v_frexp_mant_f32_e32 v50, v49
	s_mov_b32 s54, 0x3f2aaaab
	v_cmp_gt_f32_e64 s[54:55], s54, v50
	s_mov_b32 s7, 0x7f800000
	v_subbrev_co_u32_e64 v46, s[54:55], 0, v46, s[54:55]
	v_sub_u32_e32 v50, 0, v46
	v_ldexp_f32 v49, v49, v50
	v_ldexp_f32 v47, v47, v50
	v_add_f32_e32 v50, -1.0, v49
	v_add_f32_e32 v53, 1.0, v49
	v_add_f32_e32 v51, 1.0, v50
	v_add_f32_e32 v54, -1.0, v53
	v_sub_f32_e32 v51, v49, v51
	v_sub_f32_e32 v49, v49, v54
	v_add_f32_e32 v51, v47, v51
	v_add_f32_e32 v47, v47, v49
	;; [unrolled: 1-line block ×3, first 2 shown]
	v_rcp_f32_e32 v54, v49
	v_add_f32_e32 v52, v50, v51
	v_sub_f32_e32 v50, v50, v52
	v_add_f32_e32 v50, v51, v50
	v_sub_f32_e32 v51, v53, v49
	v_add_f32_e32 v47, v47, v51
	v_mul_f32_e32 v51, v52, v54
	v_mul_f32_e32 v53, v49, v51
	v_fma_f32 v55, v51, v49, -v53
	v_fmac_f32_e32 v55, v51, v47
	v_add_f32_e32 v56, v53, v55
	v_sub_f32_e32 v57, v52, v56
	v_sub_f32_e32 v52, v52, v57
	;; [unrolled: 1-line block ×4, first 2 shown]
	v_add_f32_e32 v50, v50, v52
	v_sub_f32_e32 v52, v53, v55
	v_add_f32_e32 v50, v52, v50
	v_add_f32_e32 v52, v57, v50
	v_mul_f32_e32 v53, v54, v52
	v_mul_f32_e32 v55, v49, v53
	v_fma_f32 v49, v53, v49, -v55
	v_fmac_f32_e32 v49, v53, v47
	v_sub_f32_e32 v47, v57, v52
	v_add_f32_e32 v47, v50, v47
	v_add_f32_e32 v50, v55, v49
	v_sub_f32_e32 v56, v52, v50
	v_sub_f32_e32 v52, v52, v56
	;; [unrolled: 1-line block ×4, first 2 shown]
	v_add_f32_e32 v47, v47, v50
	v_sub_f32_e32 v49, v55, v49
	v_add_f32_e32 v47, v49, v47
	v_add_f32_e32 v49, v51, v53
	;; [unrolled: 1-line block ×3, first 2 shown]
	v_sub_f32_e32 v50, v49, v51
	v_mul_f32_e32 v47, v54, v47
	v_sub_f32_e32 v50, v53, v50
	v_add_f32_e32 v47, v50, v47
	v_cvt_f32_i32_e32 v46, v46
	v_add_f32_e32 v50, v49, v47
	v_mul_f32_e32 v51, v50, v50
	v_mov_b32_e32 v52, 0x3ecc95a3
	v_fmac_f32_e32 v52, 0x3e9b6dac, v51
	v_mov_b32_e32 v53, 0x3f2aaada
	v_fmac_f32_e32 v53, v51, v52
	s_mov_b32 s54, 0x3f317218
	v_mul_f32_e32 v52, 0x3f317218, v46
	v_fma_f32 v54, v46, s54, -v52
	v_fmac_f32_e32 v54, 0xb102e308, v46
	v_sub_f32_e32 v46, v50, v49
	v_sub_f32_e32 v46, v47, v46
	v_add_f32_e32 v47, v52, v54
	v_sub_f32_e32 v49, v47, v52
	v_ldexp_f32 v52, v50, 1
	v_mul_f32_e32 v50, v50, v51
	v_mul_f32_e32 v50, v50, v53
	v_add_f32_e32 v51, v52, v50
	v_sub_f32_e32 v52, v51, v52
	v_ldexp_f32 v46, v46, 1
	v_sub_f32_e32 v50, v50, v52
	v_add_f32_e32 v46, v46, v50
	v_add_f32_e32 v50, v51, v46
	v_sub_f32_e32 v51, v50, v51
	v_sub_f32_e32 v46, v46, v51
	v_add_f32_e32 v51, v47, v50
	v_sub_f32_e32 v52, v51, v47
	v_sub_f32_e32 v53, v51, v52
	;; [unrolled: 1-line block ×5, first 2 shown]
	v_add_f32_e32 v47, v50, v47
	v_add_f32_e32 v50, v49, v46
	v_sub_f32_e32 v52, v50, v49
	v_sub_f32_e32 v53, v50, v52
	;; [unrolled: 1-line block ×4, first 2 shown]
	v_add_f32_e32 v47, v50, v47
	v_add_f32_e32 v46, v46, v49
	;; [unrolled: 1-line block ×3, first 2 shown]
	v_sub_f32_e32 v50, v49, v51
	v_sub_f32_e32 v47, v47, v50
	v_add_f32_e32 v46, v46, v47
	v_add_f32_e32 v46, v49, v46
	v_cmp_neq_f32_e64 s[54:55], s7, v18
	s_mov_b32 s7, 0x33800000
	v_cndmask_b32_e64 v46, v48, v46, s[54:55]
	v_cmp_lt_f32_e64 s[54:55], |v18|, s7
	v_cndmask_b32_e64 v18, v46, v18, s[54:55]
	v_add_f32_e32 v17, v17, v18
	v_cvt_f16_f32_e32 v46, v17
.LBB355_117:
	s_or_b64 exec, exec, s[56:57]
	v_and_b32_e32 v18, 0xffff, v46
	v_mov_b32_e32 v17, v46
.LBB355_118:
	s_or_b64 exec, exec, s[62:63]
	v_mov_b32_dpp v46, v18 row_shr:8 row_mask:0xf bank_mask:0xf
	v_cmp_lt_u32_e64 s[54:55], 7, v16
	s_and_saveexec_b64 s[62:63], s[54:55]
	s_cbranch_execz .LBB355_122
; %bb.119:
	v_cvt_f32_f16_e32 v16, v46
	v_cvt_f32_f16_e32 v18, v17
	v_cmp_u_f16_e64 s[54:55], v46, v46
	v_cmp_u_f16_e64 s[56:57], v17, v17
	s_movk_i32 s7, 0x1f8
	v_min_f32_e32 v47, v16, v18
	v_cndmask_b32_e64 v47, v47, v16, s[54:55]
	v_cndmask_b32_e64 v17, v47, v18, s[56:57]
	v_max_f32_e32 v47, v16, v18
	v_cndmask_b32_e64 v16, v47, v16, s[54:55]
	v_cndmask_b32_e64 v16, v16, v18, s[56:57]
	v_cmp_neq_f32_e64 s[54:55], v17, v16
	v_cmp_class_f32_e64 s[56:57], v17, s7
	s_or_b64 s[54:55], s[54:55], s[56:57]
	s_and_saveexec_b64 s[56:57], s[54:55]
	s_cbranch_execz .LBB355_121
; %bb.120:
	v_sub_f32_e32 v17, v17, v16
	s_mov_b32 s7, 0x3fb8aa3b
	v_mul_f32_e32 v18, 0x3fb8aa3b, v17
	v_fma_f32 v46, v17, s7, -v18
	v_rndne_f32_e32 v47, v18
	v_fmac_f32_e32 v46, 0x32a5705f, v17
	v_sub_f32_e32 v18, v18, v47
	v_add_f32_e32 v18, v18, v46
	v_exp_f32_e32 v18, v18
	v_cvt_i32_f32_e32 v46, v47
	s_mov_b32 s7, 0xc2ce8ed0
	v_cmp_ngt_f32_e64 s[54:55], s7, v17
	s_mov_b32 s7, 0x42b17218
	v_ldexp_f32 v18, v18, v46
	v_cndmask_b32_e64 v18, 0, v18, s[54:55]
	v_mov_b32_e32 v46, 0x7f800000
	v_cmp_nlt_f32_e64 s[54:55], s7, v17
	v_cndmask_b32_e64 v47, v46, v18, s[54:55]
	v_add_f32_e32 v48, 1.0, v47
	v_cvt_f64_f32_e32 v[17:18], v48
	v_add_f32_e32 v49, -1.0, v48
	v_sub_f32_e32 v50, v49, v48
	v_sub_f32_e32 v49, v47, v49
	v_frexp_exp_i32_f64_e32 v17, v[17:18]
	v_add_f32_e32 v18, 1.0, v50
	v_add_f32_e32 v18, v49, v18
	v_frexp_mant_f32_e32 v49, v48
	s_mov_b32 s54, 0x3f2aaaab
	v_cmp_gt_f32_e64 s[54:55], s54, v49
	s_mov_b32 s7, 0x7f800000
	v_subbrev_co_u32_e64 v17, s[54:55], 0, v17, s[54:55]
	v_sub_u32_e32 v49, 0, v17
	v_ldexp_f32 v48, v48, v49
	v_ldexp_f32 v18, v18, v49
	v_add_f32_e32 v49, -1.0, v48
	v_add_f32_e32 v52, 1.0, v48
	v_add_f32_e32 v50, 1.0, v49
	v_add_f32_e32 v53, -1.0, v52
	v_sub_f32_e32 v50, v48, v50
	v_sub_f32_e32 v48, v48, v53
	v_add_f32_e32 v50, v18, v50
	v_add_f32_e32 v18, v18, v48
	;; [unrolled: 1-line block ×3, first 2 shown]
	v_rcp_f32_e32 v53, v48
	v_add_f32_e32 v51, v49, v50
	v_sub_f32_e32 v49, v49, v51
	v_add_f32_e32 v49, v50, v49
	v_sub_f32_e32 v50, v52, v48
	v_add_f32_e32 v18, v18, v50
	v_mul_f32_e32 v50, v51, v53
	v_mul_f32_e32 v52, v48, v50
	v_fma_f32 v54, v50, v48, -v52
	v_fmac_f32_e32 v54, v50, v18
	v_add_f32_e32 v55, v52, v54
	v_sub_f32_e32 v56, v51, v55
	v_sub_f32_e32 v51, v51, v56
	v_sub_f32_e32 v52, v55, v52
	v_sub_f32_e32 v51, v51, v55
	v_add_f32_e32 v49, v49, v51
	v_sub_f32_e32 v51, v52, v54
	v_add_f32_e32 v49, v51, v49
	v_add_f32_e32 v51, v56, v49
	v_mul_f32_e32 v52, v53, v51
	v_mul_f32_e32 v54, v48, v52
	v_fma_f32 v48, v52, v48, -v54
	v_fmac_f32_e32 v48, v52, v18
	v_sub_f32_e32 v18, v56, v51
	v_add_f32_e32 v18, v49, v18
	v_add_f32_e32 v49, v54, v48
	v_sub_f32_e32 v55, v51, v49
	v_sub_f32_e32 v51, v51, v55
	v_sub_f32_e32 v54, v49, v54
	v_sub_f32_e32 v49, v51, v49
	v_add_f32_e32 v18, v18, v49
	v_sub_f32_e32 v48, v54, v48
	v_add_f32_e32 v18, v48, v18
	v_add_f32_e32 v48, v50, v52
	;; [unrolled: 1-line block ×3, first 2 shown]
	v_sub_f32_e32 v49, v48, v50
	v_mul_f32_e32 v18, v53, v18
	v_sub_f32_e32 v49, v52, v49
	v_add_f32_e32 v18, v49, v18
	v_cvt_f32_i32_e32 v17, v17
	v_add_f32_e32 v49, v48, v18
	v_mul_f32_e32 v50, v49, v49
	v_mov_b32_e32 v51, 0x3ecc95a3
	v_fmac_f32_e32 v51, 0x3e9b6dac, v50
	v_mov_b32_e32 v52, 0x3f2aaada
	v_fmac_f32_e32 v52, v50, v51
	s_mov_b32 s54, 0x3f317218
	v_mul_f32_e32 v51, 0x3f317218, v17
	v_fma_f32 v53, v17, s54, -v51
	v_fmac_f32_e32 v53, 0xb102e308, v17
	v_sub_f32_e32 v17, v49, v48
	v_sub_f32_e32 v17, v18, v17
	v_add_f32_e32 v18, v51, v53
	v_sub_f32_e32 v48, v18, v51
	v_ldexp_f32 v51, v49, 1
	v_mul_f32_e32 v49, v49, v50
	v_mul_f32_e32 v49, v49, v52
	v_add_f32_e32 v50, v51, v49
	v_sub_f32_e32 v51, v50, v51
	v_ldexp_f32 v17, v17, 1
	v_sub_f32_e32 v49, v49, v51
	v_add_f32_e32 v17, v17, v49
	v_add_f32_e32 v49, v50, v17
	v_sub_f32_e32 v50, v49, v50
	v_sub_f32_e32 v17, v17, v50
	v_add_f32_e32 v50, v18, v49
	v_sub_f32_e32 v51, v50, v18
	v_sub_f32_e32 v52, v50, v51
	;; [unrolled: 1-line block ×5, first 2 shown]
	v_add_f32_e32 v18, v49, v18
	v_add_f32_e32 v49, v48, v17
	v_sub_f32_e32 v51, v49, v48
	v_sub_f32_e32 v52, v49, v51
	;; [unrolled: 1-line block ×4, first 2 shown]
	v_add_f32_e32 v18, v49, v18
	v_add_f32_e32 v17, v17, v48
	;; [unrolled: 1-line block ×3, first 2 shown]
	v_sub_f32_e32 v49, v48, v50
	v_sub_f32_e32 v18, v18, v49
	v_add_f32_e32 v17, v17, v18
	v_add_f32_e32 v17, v48, v17
	v_cmp_neq_f32_e64 s[54:55], s7, v47
	s_mov_b32 s7, 0x33800000
	v_cndmask_b32_e64 v17, v46, v17, s[54:55]
	v_cmp_lt_f32_e64 s[54:55], |v47|, s7
	v_cndmask_b32_e64 v17, v17, v47, s[54:55]
	v_add_f32_e32 v16, v16, v17
	v_cvt_f16_f32_e32 v46, v16
.LBB355_121:
	s_or_b64 exec, exec, s[56:57]
	v_and_b32_e32 v18, 0xffff, v46
	v_mov_b32_e32 v17, v46
.LBB355_122:
	s_or_b64 exec, exec, s[62:63]
	v_and_b32_e32 v16, 16, v15
	v_mov_b32_dpp v46, v18 row_bcast:15 row_mask:0xf bank_mask:0xf
	v_cmp_ne_u32_e64 s[54:55], 0, v16
	s_and_saveexec_b64 s[62:63], s[54:55]
	s_cbranch_execz .LBB355_126
; %bb.123:
	v_cvt_f32_f16_e32 v16, v46
	v_cvt_f32_f16_e32 v18, v17
	v_cmp_u_f16_e64 s[54:55], v46, v46
	v_cmp_u_f16_e64 s[56:57], v17, v17
	s_movk_i32 s7, 0x1f8
	v_min_f32_e32 v47, v16, v18
	v_cndmask_b32_e64 v47, v47, v16, s[54:55]
	v_cndmask_b32_e64 v17, v47, v18, s[56:57]
	v_max_f32_e32 v47, v16, v18
	v_cndmask_b32_e64 v16, v47, v16, s[54:55]
	v_cndmask_b32_e64 v16, v16, v18, s[56:57]
	v_cmp_neq_f32_e64 s[54:55], v17, v16
	v_cmp_class_f32_e64 s[56:57], v17, s7
	s_or_b64 s[54:55], s[54:55], s[56:57]
	s_and_saveexec_b64 s[56:57], s[54:55]
	s_cbranch_execz .LBB355_125
; %bb.124:
	v_sub_f32_e32 v17, v17, v16
	s_mov_b32 s7, 0x3fb8aa3b
	v_mul_f32_e32 v18, 0x3fb8aa3b, v17
	v_fma_f32 v46, v17, s7, -v18
	v_rndne_f32_e32 v47, v18
	v_fmac_f32_e32 v46, 0x32a5705f, v17
	v_sub_f32_e32 v18, v18, v47
	v_add_f32_e32 v18, v18, v46
	v_exp_f32_e32 v18, v18
	v_cvt_i32_f32_e32 v46, v47
	s_mov_b32 s7, 0xc2ce8ed0
	v_cmp_ngt_f32_e64 s[54:55], s7, v17
	s_mov_b32 s7, 0x42b17218
	v_ldexp_f32 v18, v18, v46
	v_cndmask_b32_e64 v18, 0, v18, s[54:55]
	v_mov_b32_e32 v46, 0x7f800000
	v_cmp_nlt_f32_e64 s[54:55], s7, v17
	v_cndmask_b32_e64 v47, v46, v18, s[54:55]
	v_add_f32_e32 v48, 1.0, v47
	v_cvt_f64_f32_e32 v[17:18], v48
	v_add_f32_e32 v49, -1.0, v48
	v_sub_f32_e32 v50, v49, v48
	v_sub_f32_e32 v49, v47, v49
	v_frexp_exp_i32_f64_e32 v17, v[17:18]
	v_add_f32_e32 v18, 1.0, v50
	v_add_f32_e32 v18, v49, v18
	v_frexp_mant_f32_e32 v49, v48
	s_mov_b32 s54, 0x3f2aaaab
	v_cmp_gt_f32_e64 s[54:55], s54, v49
	s_mov_b32 s7, 0x7f800000
	v_subbrev_co_u32_e64 v17, s[54:55], 0, v17, s[54:55]
	v_sub_u32_e32 v49, 0, v17
	v_ldexp_f32 v48, v48, v49
	v_ldexp_f32 v18, v18, v49
	v_add_f32_e32 v49, -1.0, v48
	v_add_f32_e32 v52, 1.0, v48
	v_add_f32_e32 v50, 1.0, v49
	v_add_f32_e32 v53, -1.0, v52
	v_sub_f32_e32 v50, v48, v50
	v_sub_f32_e32 v48, v48, v53
	v_add_f32_e32 v50, v18, v50
	v_add_f32_e32 v18, v18, v48
	;; [unrolled: 1-line block ×3, first 2 shown]
	v_rcp_f32_e32 v53, v48
	v_add_f32_e32 v51, v49, v50
	v_sub_f32_e32 v49, v49, v51
	v_add_f32_e32 v49, v50, v49
	v_sub_f32_e32 v50, v52, v48
	v_add_f32_e32 v18, v18, v50
	v_mul_f32_e32 v50, v51, v53
	v_mul_f32_e32 v52, v48, v50
	v_fma_f32 v54, v50, v48, -v52
	v_fmac_f32_e32 v54, v50, v18
	v_add_f32_e32 v55, v52, v54
	v_sub_f32_e32 v56, v51, v55
	v_sub_f32_e32 v51, v51, v56
	;; [unrolled: 1-line block ×4, first 2 shown]
	v_add_f32_e32 v49, v49, v51
	v_sub_f32_e32 v51, v52, v54
	v_add_f32_e32 v49, v51, v49
	v_add_f32_e32 v51, v56, v49
	v_mul_f32_e32 v52, v53, v51
	v_mul_f32_e32 v54, v48, v52
	v_fma_f32 v48, v52, v48, -v54
	v_fmac_f32_e32 v48, v52, v18
	v_sub_f32_e32 v18, v56, v51
	v_add_f32_e32 v18, v49, v18
	v_add_f32_e32 v49, v54, v48
	v_sub_f32_e32 v55, v51, v49
	v_sub_f32_e32 v51, v51, v55
	;; [unrolled: 1-line block ×4, first 2 shown]
	v_add_f32_e32 v18, v18, v49
	v_sub_f32_e32 v48, v54, v48
	v_add_f32_e32 v18, v48, v18
	v_add_f32_e32 v48, v50, v52
	;; [unrolled: 1-line block ×3, first 2 shown]
	v_sub_f32_e32 v49, v48, v50
	v_mul_f32_e32 v18, v53, v18
	v_sub_f32_e32 v49, v52, v49
	v_add_f32_e32 v18, v49, v18
	v_cvt_f32_i32_e32 v17, v17
	v_add_f32_e32 v49, v48, v18
	v_mul_f32_e32 v50, v49, v49
	v_mov_b32_e32 v51, 0x3ecc95a3
	v_fmac_f32_e32 v51, 0x3e9b6dac, v50
	v_mov_b32_e32 v52, 0x3f2aaada
	v_fmac_f32_e32 v52, v50, v51
	s_mov_b32 s54, 0x3f317218
	v_mul_f32_e32 v51, 0x3f317218, v17
	v_fma_f32 v53, v17, s54, -v51
	v_fmac_f32_e32 v53, 0xb102e308, v17
	v_sub_f32_e32 v17, v49, v48
	v_sub_f32_e32 v17, v18, v17
	v_add_f32_e32 v18, v51, v53
	v_sub_f32_e32 v48, v18, v51
	v_ldexp_f32 v51, v49, 1
	v_mul_f32_e32 v49, v49, v50
	v_mul_f32_e32 v49, v49, v52
	v_add_f32_e32 v50, v51, v49
	v_sub_f32_e32 v51, v50, v51
	v_ldexp_f32 v17, v17, 1
	v_sub_f32_e32 v49, v49, v51
	v_add_f32_e32 v17, v17, v49
	v_add_f32_e32 v49, v50, v17
	v_sub_f32_e32 v50, v49, v50
	v_sub_f32_e32 v17, v17, v50
	v_add_f32_e32 v50, v18, v49
	v_sub_f32_e32 v51, v50, v18
	v_sub_f32_e32 v52, v50, v51
	;; [unrolled: 1-line block ×5, first 2 shown]
	v_add_f32_e32 v18, v49, v18
	v_add_f32_e32 v49, v48, v17
	v_sub_f32_e32 v51, v49, v48
	v_sub_f32_e32 v52, v49, v51
	;; [unrolled: 1-line block ×4, first 2 shown]
	v_add_f32_e32 v18, v49, v18
	v_add_f32_e32 v17, v17, v48
	;; [unrolled: 1-line block ×3, first 2 shown]
	v_sub_f32_e32 v49, v48, v50
	v_sub_f32_e32 v18, v18, v49
	v_add_f32_e32 v17, v17, v18
	v_add_f32_e32 v17, v48, v17
	v_cmp_neq_f32_e64 s[54:55], s7, v47
	s_mov_b32 s7, 0x33800000
	v_cndmask_b32_e64 v17, v46, v17, s[54:55]
	v_cmp_lt_f32_e64 s[54:55], |v47|, s7
	v_cndmask_b32_e64 v17, v17, v47, s[54:55]
	v_add_f32_e32 v16, v16, v17
	v_cvt_f16_f32_e32 v46, v16
.LBB355_125:
	s_or_b64 exec, exec, s[56:57]
	v_and_b32_e32 v18, 0xffff, v46
	v_mov_b32_e32 v17, v46
.LBB355_126:
	s_or_b64 exec, exec, s[62:63]
	v_mov_b32_dpp v18, v18 row_bcast:31 row_mask:0xf bank_mask:0xf
	v_cmp_lt_u32_e64 s[54:55], 31, v15
	s_and_saveexec_b64 s[62:63], s[54:55]
	s_cbranch_execz .LBB355_130
; %bb.127:
	v_cvt_f32_f16_e32 v16, v18
	v_cvt_f32_f16_e32 v46, v17
	v_cmp_u_f16_e64 s[54:55], v18, v18
	v_cmp_u_f16_e64 s[56:57], v17, v17
	s_movk_i32 s7, 0x1f8
	v_min_f32_e32 v47, v16, v46
	v_cndmask_b32_e64 v47, v47, v16, s[54:55]
	v_cndmask_b32_e64 v17, v47, v46, s[56:57]
	v_max_f32_e32 v47, v16, v46
	v_cndmask_b32_e64 v16, v47, v16, s[54:55]
	v_cndmask_b32_e64 v16, v16, v46, s[56:57]
	v_cmp_neq_f32_e64 s[54:55], v17, v16
	v_cmp_class_f32_e64 s[56:57], v17, s7
	s_or_b64 s[54:55], s[54:55], s[56:57]
	s_and_saveexec_b64 s[56:57], s[54:55]
	s_cbranch_execz .LBB355_129
; %bb.128:
	v_sub_f32_e32 v17, v17, v16
	s_mov_b32 s7, 0x3fb8aa3b
	v_mul_f32_e32 v18, 0x3fb8aa3b, v17
	v_fma_f32 v46, v17, s7, -v18
	v_rndne_f32_e32 v47, v18
	v_fmac_f32_e32 v46, 0x32a5705f, v17
	v_sub_f32_e32 v18, v18, v47
	v_add_f32_e32 v18, v18, v46
	v_exp_f32_e32 v18, v18
	v_cvt_i32_f32_e32 v46, v47
	s_mov_b32 s7, 0xc2ce8ed0
	v_cmp_ngt_f32_e64 s[54:55], s7, v17
	s_mov_b32 s7, 0x42b17218
	v_ldexp_f32 v18, v18, v46
	v_cndmask_b32_e64 v18, 0, v18, s[54:55]
	v_mov_b32_e32 v46, 0x7f800000
	v_cmp_nlt_f32_e64 s[54:55], s7, v17
	v_cndmask_b32_e64 v47, v46, v18, s[54:55]
	v_add_f32_e32 v48, 1.0, v47
	v_cvt_f64_f32_e32 v[17:18], v48
	v_add_f32_e32 v49, -1.0, v48
	v_sub_f32_e32 v50, v49, v48
	v_sub_f32_e32 v49, v47, v49
	v_frexp_exp_i32_f64_e32 v17, v[17:18]
	v_add_f32_e32 v18, 1.0, v50
	v_add_f32_e32 v18, v49, v18
	v_frexp_mant_f32_e32 v49, v48
	s_mov_b32 s54, 0x3f2aaaab
	v_cmp_gt_f32_e64 s[54:55], s54, v49
	s_mov_b32 s7, 0x7f800000
	v_subbrev_co_u32_e64 v17, s[54:55], 0, v17, s[54:55]
	v_sub_u32_e32 v49, 0, v17
	v_ldexp_f32 v48, v48, v49
	v_ldexp_f32 v18, v18, v49
	v_add_f32_e32 v49, -1.0, v48
	v_add_f32_e32 v52, 1.0, v48
	v_add_f32_e32 v50, 1.0, v49
	v_add_f32_e32 v53, -1.0, v52
	v_sub_f32_e32 v50, v48, v50
	v_sub_f32_e32 v48, v48, v53
	v_add_f32_e32 v50, v18, v50
	v_add_f32_e32 v18, v18, v48
	;; [unrolled: 1-line block ×3, first 2 shown]
	v_rcp_f32_e32 v53, v48
	v_add_f32_e32 v51, v49, v50
	v_sub_f32_e32 v49, v49, v51
	v_add_f32_e32 v49, v50, v49
	v_sub_f32_e32 v50, v52, v48
	v_add_f32_e32 v18, v18, v50
	v_mul_f32_e32 v50, v51, v53
	v_mul_f32_e32 v52, v48, v50
	v_fma_f32 v54, v50, v48, -v52
	v_fmac_f32_e32 v54, v50, v18
	v_add_f32_e32 v55, v52, v54
	v_sub_f32_e32 v56, v51, v55
	v_sub_f32_e32 v51, v51, v56
	v_sub_f32_e32 v52, v55, v52
	v_sub_f32_e32 v51, v51, v55
	v_add_f32_e32 v49, v49, v51
	v_sub_f32_e32 v51, v52, v54
	v_add_f32_e32 v49, v51, v49
	v_add_f32_e32 v51, v56, v49
	v_mul_f32_e32 v52, v53, v51
	v_mul_f32_e32 v54, v48, v52
	v_fma_f32 v48, v52, v48, -v54
	v_fmac_f32_e32 v48, v52, v18
	v_sub_f32_e32 v18, v56, v51
	v_add_f32_e32 v18, v49, v18
	v_add_f32_e32 v49, v54, v48
	v_sub_f32_e32 v55, v51, v49
	v_sub_f32_e32 v51, v51, v55
	;; [unrolled: 1-line block ×4, first 2 shown]
	v_add_f32_e32 v18, v18, v49
	v_sub_f32_e32 v48, v54, v48
	v_add_f32_e32 v18, v48, v18
	v_add_f32_e32 v48, v50, v52
	;; [unrolled: 1-line block ×3, first 2 shown]
	v_sub_f32_e32 v49, v48, v50
	v_mul_f32_e32 v18, v53, v18
	v_sub_f32_e32 v49, v52, v49
	v_add_f32_e32 v18, v49, v18
	v_cvt_f32_i32_e32 v17, v17
	v_add_f32_e32 v49, v48, v18
	v_mul_f32_e32 v50, v49, v49
	v_mov_b32_e32 v51, 0x3ecc95a3
	v_fmac_f32_e32 v51, 0x3e9b6dac, v50
	v_mov_b32_e32 v52, 0x3f2aaada
	v_fmac_f32_e32 v52, v50, v51
	s_mov_b32 s54, 0x3f317218
	v_mul_f32_e32 v51, 0x3f317218, v17
	v_fma_f32 v53, v17, s54, -v51
	v_fmac_f32_e32 v53, 0xb102e308, v17
	v_sub_f32_e32 v17, v49, v48
	v_sub_f32_e32 v17, v18, v17
	v_add_f32_e32 v18, v51, v53
	v_sub_f32_e32 v48, v18, v51
	v_ldexp_f32 v51, v49, 1
	v_mul_f32_e32 v49, v49, v50
	v_mul_f32_e32 v49, v49, v52
	v_add_f32_e32 v50, v51, v49
	v_sub_f32_e32 v51, v50, v51
	v_ldexp_f32 v17, v17, 1
	v_sub_f32_e32 v49, v49, v51
	v_add_f32_e32 v17, v17, v49
	v_add_f32_e32 v49, v50, v17
	v_sub_f32_e32 v50, v49, v50
	v_sub_f32_e32 v17, v17, v50
	v_add_f32_e32 v50, v18, v49
	v_sub_f32_e32 v51, v50, v18
	v_sub_f32_e32 v52, v50, v51
	;; [unrolled: 1-line block ×5, first 2 shown]
	v_add_f32_e32 v18, v49, v18
	v_add_f32_e32 v49, v48, v17
	v_sub_f32_e32 v51, v49, v48
	v_sub_f32_e32 v52, v49, v51
	v_sub_f32_e32 v48, v48, v52
	v_sub_f32_e32 v17, v17, v51
	v_add_f32_e32 v18, v49, v18
	v_add_f32_e32 v17, v17, v48
	;; [unrolled: 1-line block ×3, first 2 shown]
	v_sub_f32_e32 v49, v48, v50
	v_sub_f32_e32 v18, v18, v49
	v_add_f32_e32 v17, v17, v18
	v_add_f32_e32 v17, v48, v17
	v_cmp_neq_f32_e64 s[54:55], s7, v47
	s_mov_b32 s7, 0x33800000
	v_cndmask_b32_e64 v17, v46, v17, s[54:55]
	v_cmp_lt_f32_e64 s[54:55], |v47|, s7
	v_cndmask_b32_e64 v17, v17, v47, s[54:55]
	v_add_f32_e32 v16, v16, v17
	v_cvt_f16_f32_e32 v18, v16
.LBB355_129:
	s_or_b64 exec, exec, s[56:57]
	v_mov_b32_e32 v17, v18
.LBB355_130:
	s_or_b64 exec, exec, s[62:63]
	v_add_u32_e32 v16, -1, v15
	v_and_b32_e32 v18, 64, v15
	v_cmp_lt_i32_e64 s[54:55], v16, v18
	v_cndmask_b32_e64 v15, v16, v15, s[54:55]
	v_lshlrev_b32_e32 v15, 2, v15
	v_and_b32_e32 v16, 0xffff, v17
	ds_bpermute_b32 v15, v15, v16
	v_max_f32_e32 v17, v14, v14
	s_movk_i32 s7, 0x1f8
	s_waitcnt lgkmcnt(0)
	v_cvt_f32_f16_e32 v16, v15
	v_cmp_u_f16_e64 s[54:55], v15, v15
	v_min_f32_e32 v18, v16, v17
	v_max_f32_e32 v17, v16, v17
	v_cndmask_b32_e64 v18, v18, v16, s[54:55]
	v_cndmask_b32_e64 v17, v17, v16, s[54:55]
	;; [unrolled: 1-line block ×4, first 2 shown]
	v_cmp_neq_f32_e64 s[52:53], v16, v14
	v_cmp_class_f32_e64 s[54:55], v16, s7
	s_or_b64 s[52:53], s[52:53], s[54:55]
	s_and_saveexec_b64 s[54:55], s[52:53]
	s_cbranch_execz .LBB355_132
; %bb.131:
	v_sub_f32_e32 v15, v16, v14
	s_mov_b32 s52, 0x3fb8aa3b
	v_mul_f32_e32 v16, 0x3fb8aa3b, v15
	v_fma_f32 v17, v15, s52, -v16
	v_rndne_f32_e32 v18, v16
	v_fmac_f32_e32 v17, 0x32a5705f, v15
	v_sub_f32_e32 v16, v16, v18
	v_add_f32_e32 v16, v16, v17
	v_exp_f32_e32 v16, v16
	v_cvt_i32_f32_e32 v17, v18
	s_mov_b32 s52, 0xc2ce8ed0
	v_cmp_ngt_f32_e64 s[52:53], s52, v15
	s_mov_b32 s56, 0x7f800000
	v_ldexp_f32 v16, v16, v17
	v_cndmask_b32_e64 v16, 0, v16, s[52:53]
	s_mov_b32 s52, 0x42b17218
	v_mov_b32_e32 v17, 0x7f800000
	v_cmp_nlt_f32_e64 s[52:53], s52, v15
	v_cndmask_b32_e64 v18, v17, v16, s[52:53]
	v_add_f32_e32 v46, 1.0, v18
	v_cvt_f64_f32_e32 v[15:16], v46
	v_add_f32_e32 v47, -1.0, v46
	v_sub_f32_e32 v48, v47, v46
	v_sub_f32_e32 v47, v18, v47
	v_frexp_exp_i32_f64_e32 v15, v[15:16]
	v_add_f32_e32 v16, 1.0, v48
	v_add_f32_e32 v16, v47, v16
	v_frexp_mant_f32_e32 v47, v46
	s_mov_b32 s52, 0x3f2aaaab
	v_cmp_gt_f32_e64 s[52:53], s52, v47
	v_subbrev_co_u32_e64 v15, s[52:53], 0, v15, s[52:53]
	v_sub_u32_e32 v47, 0, v15
	v_ldexp_f32 v46, v46, v47
	v_ldexp_f32 v16, v16, v47
	v_add_f32_e32 v47, -1.0, v46
	v_add_f32_e32 v50, 1.0, v46
	v_add_f32_e32 v48, 1.0, v47
	v_add_f32_e32 v51, -1.0, v50
	v_sub_f32_e32 v48, v46, v48
	v_sub_f32_e32 v46, v46, v51
	v_add_f32_e32 v48, v16, v48
	v_add_f32_e32 v16, v16, v46
	;; [unrolled: 1-line block ×3, first 2 shown]
	v_rcp_f32_e32 v51, v46
	v_add_f32_e32 v49, v47, v48
	v_sub_f32_e32 v47, v47, v49
	v_add_f32_e32 v47, v48, v47
	v_sub_f32_e32 v48, v50, v46
	v_add_f32_e32 v16, v16, v48
	v_mul_f32_e32 v48, v49, v51
	v_mul_f32_e32 v50, v46, v48
	v_fma_f32 v52, v48, v46, -v50
	v_fmac_f32_e32 v52, v48, v16
	v_add_f32_e32 v53, v50, v52
	v_sub_f32_e32 v54, v49, v53
	v_sub_f32_e32 v49, v49, v54
	v_sub_f32_e32 v50, v53, v50
	v_sub_f32_e32 v49, v49, v53
	v_add_f32_e32 v47, v47, v49
	v_sub_f32_e32 v49, v50, v52
	v_add_f32_e32 v47, v49, v47
	v_add_f32_e32 v49, v54, v47
	v_mul_f32_e32 v50, v51, v49
	v_mul_f32_e32 v52, v46, v50
	v_fma_f32 v46, v50, v46, -v52
	v_fmac_f32_e32 v46, v50, v16
	v_sub_f32_e32 v16, v54, v49
	v_add_f32_e32 v16, v47, v16
	v_add_f32_e32 v47, v52, v46
	v_sub_f32_e32 v53, v49, v47
	v_sub_f32_e32 v49, v49, v53
	;; [unrolled: 1-line block ×4, first 2 shown]
	v_add_f32_e32 v16, v16, v47
	v_sub_f32_e32 v46, v52, v46
	v_add_f32_e32 v16, v46, v16
	v_add_f32_e32 v46, v48, v50
	v_add_f32_e32 v16, v53, v16
	v_sub_f32_e32 v47, v46, v48
	v_mul_f32_e32 v16, v51, v16
	v_sub_f32_e32 v47, v50, v47
	v_add_f32_e32 v16, v47, v16
	v_cvt_f32_i32_e32 v15, v15
	v_add_f32_e32 v47, v46, v16
	v_mul_f32_e32 v48, v47, v47
	v_mov_b32_e32 v49, 0x3ecc95a3
	v_fmac_f32_e32 v49, 0x3e9b6dac, v48
	v_mov_b32_e32 v50, 0x3f2aaada
	v_fmac_f32_e32 v50, v48, v49
	s_mov_b32 s52, 0x3f317218
	v_mul_f32_e32 v49, 0x3f317218, v15
	v_fma_f32 v51, v15, s52, -v49
	v_fmac_f32_e32 v51, 0xb102e308, v15
	v_sub_f32_e32 v15, v47, v46
	v_sub_f32_e32 v15, v16, v15
	v_add_f32_e32 v16, v49, v51
	v_sub_f32_e32 v46, v16, v49
	v_ldexp_f32 v49, v47, 1
	v_mul_f32_e32 v47, v47, v48
	v_mul_f32_e32 v47, v47, v50
	v_add_f32_e32 v48, v49, v47
	v_sub_f32_e32 v49, v48, v49
	v_ldexp_f32 v15, v15, 1
	v_sub_f32_e32 v47, v47, v49
	v_add_f32_e32 v15, v15, v47
	v_add_f32_e32 v47, v48, v15
	v_sub_f32_e32 v48, v47, v48
	v_sub_f32_e32 v15, v15, v48
	v_add_f32_e32 v48, v16, v47
	v_sub_f32_e32 v49, v48, v16
	v_sub_f32_e32 v50, v48, v49
	;; [unrolled: 1-line block ×5, first 2 shown]
	v_add_f32_e32 v16, v47, v16
	v_add_f32_e32 v47, v46, v15
	v_sub_f32_e32 v49, v47, v46
	v_sub_f32_e32 v50, v47, v49
	;; [unrolled: 1-line block ×4, first 2 shown]
	v_add_f32_e32 v16, v47, v16
	v_add_f32_e32 v15, v15, v46
	;; [unrolled: 1-line block ×3, first 2 shown]
	v_sub_f32_e32 v47, v46, v48
	v_sub_f32_e32 v16, v16, v47
	v_add_f32_e32 v15, v15, v16
	v_add_f32_e32 v15, v46, v15
	v_cmp_neq_f32_e64 s[52:53], s56, v18
	v_cndmask_b32_e64 v15, v17, v15, s[52:53]
	s_mov_b32 s52, 0x33800000
	v_cmp_lt_f32_e64 s[52:53], |v18|, s52
	v_cndmask_b32_e64 v15, v15, v18, s[52:53]
	v_add_f32_e32 v14, v14, v15
	v_cvt_f16_f32_e32 v15, v14
.LBB355_132:
	s_or_b64 exec, exec, s[54:55]
	v_cmp_eq_u32_e64 s[52:53], 0, v0
	v_cndmask_b32_e64 v15, v15, v45, s[52:53]
	; wave barrier
	ds_write_b16 v13, v15
	; wave barrier
	ds_read_u16 v14, v13 offset:2
	v_cvt_f32_f16_e32 v16, v15
	v_cmp_u_f16_e64 s[52:53], v15, v15
	s_waitcnt lgkmcnt(0)
	v_cvt_f32_f16_e32 v18, v14
	v_cmp_u_f16_e64 s[54:55], v14, v14
	v_min_f32_e32 v17, v16, v18
	v_max_f32_e32 v14, v16, v18
	v_cndmask_b32_e64 v17, v17, v16, s[52:53]
	v_cndmask_b32_e64 v14, v14, v16, s[52:53]
	;; [unrolled: 1-line block ×4, first 2 shown]
	v_cmp_neq_f32_e64 s[52:53], v17, v14
	v_cmp_class_f32_e64 s[54:55], v17, s7
	s_or_b64 s[52:53], s[52:53], s[54:55]
	s_and_saveexec_b64 s[54:55], s[52:53]
	s_cbranch_execz .LBB355_134
; %bb.133:
	v_sub_f32_e32 v15, v17, v14
	s_mov_b32 s7, 0x3fb8aa3b
	v_mul_f32_e32 v16, 0x3fb8aa3b, v15
	v_fma_f32 v17, v15, s7, -v16
	v_rndne_f32_e32 v18, v16
	v_fmac_f32_e32 v17, 0x32a5705f, v15
	v_sub_f32_e32 v16, v16, v18
	v_add_f32_e32 v16, v16, v17
	v_exp_f32_e32 v16, v16
	v_cvt_i32_f32_e32 v17, v18
	s_mov_b32 s7, 0xc2ce8ed0
	v_cmp_ngt_f32_e64 s[52:53], s7, v15
	s_mov_b32 s7, 0x42b17218
	v_ldexp_f32 v16, v16, v17
	v_cndmask_b32_e64 v16, 0, v16, s[52:53]
	v_mov_b32_e32 v17, 0x7f800000
	v_cmp_nlt_f32_e64 s[52:53], s7, v15
	v_cndmask_b32_e64 v18, v17, v16, s[52:53]
	v_add_f32_e32 v46, 1.0, v18
	v_cvt_f64_f32_e32 v[15:16], v46
	v_add_f32_e32 v47, -1.0, v46
	v_sub_f32_e32 v48, v47, v46
	v_sub_f32_e32 v47, v18, v47
	v_frexp_exp_i32_f64_e32 v15, v[15:16]
	v_add_f32_e32 v16, 1.0, v48
	v_add_f32_e32 v16, v47, v16
	v_frexp_mant_f32_e32 v47, v46
	s_mov_b32 s52, 0x3f2aaaab
	v_cmp_gt_f32_e64 s[52:53], s52, v47
	s_mov_b32 s7, 0x7f800000
	v_subbrev_co_u32_e64 v15, s[52:53], 0, v15, s[52:53]
	v_sub_u32_e32 v47, 0, v15
	v_ldexp_f32 v46, v46, v47
	v_ldexp_f32 v16, v16, v47
	v_add_f32_e32 v47, -1.0, v46
	v_add_f32_e32 v50, 1.0, v46
	v_add_f32_e32 v48, 1.0, v47
	v_add_f32_e32 v51, -1.0, v50
	v_sub_f32_e32 v48, v46, v48
	v_sub_f32_e32 v46, v46, v51
	v_add_f32_e32 v48, v16, v48
	v_add_f32_e32 v16, v16, v46
	;; [unrolled: 1-line block ×3, first 2 shown]
	v_rcp_f32_e32 v51, v46
	v_add_f32_e32 v49, v47, v48
	v_sub_f32_e32 v47, v47, v49
	v_add_f32_e32 v47, v48, v47
	v_sub_f32_e32 v48, v50, v46
	v_add_f32_e32 v16, v16, v48
	v_mul_f32_e32 v48, v49, v51
	v_mul_f32_e32 v50, v46, v48
	v_fma_f32 v52, v48, v46, -v50
	v_fmac_f32_e32 v52, v48, v16
	v_add_f32_e32 v53, v50, v52
	v_sub_f32_e32 v54, v49, v53
	v_sub_f32_e32 v49, v49, v54
	;; [unrolled: 1-line block ×4, first 2 shown]
	v_add_f32_e32 v47, v47, v49
	v_sub_f32_e32 v49, v50, v52
	v_add_f32_e32 v47, v49, v47
	v_add_f32_e32 v49, v54, v47
	v_mul_f32_e32 v50, v51, v49
	v_mul_f32_e32 v52, v46, v50
	v_fma_f32 v46, v50, v46, -v52
	v_fmac_f32_e32 v46, v50, v16
	v_sub_f32_e32 v16, v54, v49
	v_add_f32_e32 v16, v47, v16
	v_add_f32_e32 v47, v52, v46
	v_sub_f32_e32 v53, v49, v47
	v_sub_f32_e32 v49, v49, v53
	v_sub_f32_e32 v52, v47, v52
	v_sub_f32_e32 v47, v49, v47
	v_add_f32_e32 v16, v16, v47
	v_sub_f32_e32 v46, v52, v46
	v_add_f32_e32 v16, v46, v16
	v_add_f32_e32 v46, v48, v50
	v_add_f32_e32 v16, v53, v16
	v_sub_f32_e32 v47, v46, v48
	v_mul_f32_e32 v16, v51, v16
	v_sub_f32_e32 v47, v50, v47
	v_add_f32_e32 v16, v47, v16
	v_cvt_f32_i32_e32 v15, v15
	v_add_f32_e32 v47, v46, v16
	v_mul_f32_e32 v48, v47, v47
	v_mov_b32_e32 v49, 0x3ecc95a3
	v_fmac_f32_e32 v49, 0x3e9b6dac, v48
	v_mov_b32_e32 v50, 0x3f2aaada
	v_fmac_f32_e32 v50, v48, v49
	s_mov_b32 s52, 0x3f317218
	v_mul_f32_e32 v49, 0x3f317218, v15
	v_fma_f32 v51, v15, s52, -v49
	v_fmac_f32_e32 v51, 0xb102e308, v15
	v_sub_f32_e32 v15, v47, v46
	v_sub_f32_e32 v15, v16, v15
	v_add_f32_e32 v16, v49, v51
	v_sub_f32_e32 v46, v16, v49
	v_ldexp_f32 v49, v47, 1
	v_mul_f32_e32 v47, v47, v48
	v_mul_f32_e32 v47, v47, v50
	v_add_f32_e32 v48, v49, v47
	v_sub_f32_e32 v49, v48, v49
	v_ldexp_f32 v15, v15, 1
	v_sub_f32_e32 v47, v47, v49
	v_add_f32_e32 v15, v15, v47
	v_add_f32_e32 v47, v48, v15
	v_sub_f32_e32 v48, v47, v48
	v_sub_f32_e32 v15, v15, v48
	v_add_f32_e32 v48, v16, v47
	v_sub_f32_e32 v49, v48, v16
	v_sub_f32_e32 v50, v48, v49
	;; [unrolled: 1-line block ×5, first 2 shown]
	v_add_f32_e32 v16, v47, v16
	v_add_f32_e32 v47, v46, v15
	v_sub_f32_e32 v49, v47, v46
	v_sub_f32_e32 v50, v47, v49
	;; [unrolled: 1-line block ×4, first 2 shown]
	v_add_f32_e32 v16, v47, v16
	v_add_f32_e32 v15, v15, v46
	;; [unrolled: 1-line block ×3, first 2 shown]
	v_sub_f32_e32 v47, v46, v48
	v_sub_f32_e32 v16, v16, v47
	v_add_f32_e32 v15, v15, v16
	v_add_f32_e32 v15, v46, v15
	v_cmp_neq_f32_e64 s[52:53], s7, v18
	s_mov_b32 s7, 0x33800000
	v_cndmask_b32_e64 v15, v17, v15, s[52:53]
	v_cmp_lt_f32_e64 s[52:53], |v18|, s7
	v_cndmask_b32_e64 v15, v15, v18, s[52:53]
	v_add_f32_e32 v14, v14, v15
	v_cvt_f16_f32_e32 v15, v14
	v_cvt_f32_f16_e32 v16, v15
.LBB355_134:
	s_or_b64 exec, exec, s[54:55]
	ds_read_u16 v14, v13 offset:4
	v_max_f32_e32 v17, v16, v16
	v_cmp_u_f16_e64 s[52:53], v15, v15
	s_movk_i32 s7, 0x1f8
	ds_write_b16 v13, v15 offset:2
	s_waitcnt lgkmcnt(1)
	v_cvt_f32_f16_e32 v18, v14
	v_min_f32_e32 v46, v17, v18
	v_max_f32_e32 v17, v17, v18
	v_cndmask_b32_e64 v46, v46, v16, s[52:53]
	v_cndmask_b32_e64 v47, v17, v16, s[52:53]
	v_cmp_u_f16_e64 s[52:53], v14, v14
	v_cndmask_b32_e64 v17, v46, v18, s[52:53]
	v_cndmask_b32_e64 v14, v47, v18, s[52:53]
	v_cmp_neq_f32_e64 s[52:53], v17, v14
	v_cmp_class_f32_e64 s[54:55], v17, s7
	s_or_b64 s[52:53], s[52:53], s[54:55]
	s_and_saveexec_b64 s[54:55], s[52:53]
	s_cbranch_execz .LBB355_136
; %bb.135:
	v_sub_f32_e32 v15, v17, v14
	s_mov_b32 s52, 0x3fb8aa3b
	v_mul_f32_e32 v16, 0x3fb8aa3b, v15
	v_fma_f32 v17, v15, s52, -v16
	v_rndne_f32_e32 v18, v16
	v_fmac_f32_e32 v17, 0x32a5705f, v15
	v_sub_f32_e32 v16, v16, v18
	v_add_f32_e32 v16, v16, v17
	v_exp_f32_e32 v16, v16
	v_cvt_i32_f32_e32 v17, v18
	s_mov_b32 s52, 0xc2ce8ed0
	v_cmp_ngt_f32_e64 s[52:53], s52, v15
	s_mov_b32 s56, 0x7f800000
	v_ldexp_f32 v16, v16, v17
	v_cndmask_b32_e64 v16, 0, v16, s[52:53]
	s_mov_b32 s52, 0x42b17218
	v_mov_b32_e32 v17, 0x7f800000
	v_cmp_nlt_f32_e64 s[52:53], s52, v15
	v_cndmask_b32_e64 v18, v17, v16, s[52:53]
	v_add_f32_e32 v46, 1.0, v18
	v_cvt_f64_f32_e32 v[15:16], v46
	v_add_f32_e32 v47, -1.0, v46
	v_sub_f32_e32 v48, v47, v46
	v_sub_f32_e32 v47, v18, v47
	v_frexp_exp_i32_f64_e32 v15, v[15:16]
	v_add_f32_e32 v16, 1.0, v48
	v_add_f32_e32 v16, v47, v16
	v_frexp_mant_f32_e32 v47, v46
	s_mov_b32 s52, 0x3f2aaaab
	v_cmp_gt_f32_e64 s[52:53], s52, v47
	v_subbrev_co_u32_e64 v15, s[52:53], 0, v15, s[52:53]
	v_sub_u32_e32 v47, 0, v15
	v_ldexp_f32 v46, v46, v47
	v_ldexp_f32 v16, v16, v47
	v_add_f32_e32 v47, -1.0, v46
	v_add_f32_e32 v50, 1.0, v46
	v_add_f32_e32 v48, 1.0, v47
	v_add_f32_e32 v51, -1.0, v50
	v_sub_f32_e32 v48, v46, v48
	v_sub_f32_e32 v46, v46, v51
	v_add_f32_e32 v48, v16, v48
	v_add_f32_e32 v16, v16, v46
	;; [unrolled: 1-line block ×3, first 2 shown]
	v_rcp_f32_e32 v51, v46
	v_add_f32_e32 v49, v47, v48
	v_sub_f32_e32 v47, v47, v49
	v_add_f32_e32 v47, v48, v47
	v_sub_f32_e32 v48, v50, v46
	v_add_f32_e32 v16, v16, v48
	v_mul_f32_e32 v48, v49, v51
	v_mul_f32_e32 v50, v46, v48
	v_fma_f32 v52, v48, v46, -v50
	v_fmac_f32_e32 v52, v48, v16
	v_add_f32_e32 v53, v50, v52
	v_sub_f32_e32 v54, v49, v53
	v_sub_f32_e32 v49, v49, v54
	;; [unrolled: 1-line block ×4, first 2 shown]
	v_add_f32_e32 v47, v47, v49
	v_sub_f32_e32 v49, v50, v52
	v_add_f32_e32 v47, v49, v47
	v_add_f32_e32 v49, v54, v47
	v_mul_f32_e32 v50, v51, v49
	v_mul_f32_e32 v52, v46, v50
	v_fma_f32 v46, v50, v46, -v52
	v_fmac_f32_e32 v46, v50, v16
	v_sub_f32_e32 v16, v54, v49
	v_add_f32_e32 v16, v47, v16
	v_add_f32_e32 v47, v52, v46
	v_sub_f32_e32 v53, v49, v47
	v_sub_f32_e32 v49, v49, v53
	;; [unrolled: 1-line block ×4, first 2 shown]
	v_add_f32_e32 v16, v16, v47
	v_sub_f32_e32 v46, v52, v46
	v_add_f32_e32 v16, v46, v16
	v_add_f32_e32 v46, v48, v50
	;; [unrolled: 1-line block ×3, first 2 shown]
	v_sub_f32_e32 v47, v46, v48
	v_mul_f32_e32 v16, v51, v16
	v_sub_f32_e32 v47, v50, v47
	v_add_f32_e32 v16, v47, v16
	v_cvt_f32_i32_e32 v15, v15
	v_add_f32_e32 v47, v46, v16
	v_mul_f32_e32 v48, v47, v47
	v_mov_b32_e32 v49, 0x3ecc95a3
	v_fmac_f32_e32 v49, 0x3e9b6dac, v48
	v_mov_b32_e32 v50, 0x3f2aaada
	v_fmac_f32_e32 v50, v48, v49
	s_mov_b32 s52, 0x3f317218
	v_mul_f32_e32 v49, 0x3f317218, v15
	v_fma_f32 v51, v15, s52, -v49
	v_fmac_f32_e32 v51, 0xb102e308, v15
	v_sub_f32_e32 v15, v47, v46
	v_sub_f32_e32 v15, v16, v15
	v_add_f32_e32 v16, v49, v51
	v_sub_f32_e32 v46, v16, v49
	v_ldexp_f32 v49, v47, 1
	v_mul_f32_e32 v47, v47, v48
	v_mul_f32_e32 v47, v47, v50
	v_add_f32_e32 v48, v49, v47
	v_sub_f32_e32 v49, v48, v49
	v_ldexp_f32 v15, v15, 1
	v_sub_f32_e32 v47, v47, v49
	v_add_f32_e32 v15, v15, v47
	v_add_f32_e32 v47, v48, v15
	v_sub_f32_e32 v48, v47, v48
	v_sub_f32_e32 v15, v15, v48
	v_add_f32_e32 v48, v16, v47
	v_sub_f32_e32 v49, v48, v16
	v_sub_f32_e32 v50, v48, v49
	;; [unrolled: 1-line block ×5, first 2 shown]
	v_add_f32_e32 v16, v47, v16
	v_add_f32_e32 v47, v46, v15
	v_sub_f32_e32 v49, v47, v46
	v_sub_f32_e32 v50, v47, v49
	;; [unrolled: 1-line block ×4, first 2 shown]
	v_add_f32_e32 v16, v47, v16
	v_add_f32_e32 v15, v15, v46
	;; [unrolled: 1-line block ×3, first 2 shown]
	v_sub_f32_e32 v47, v46, v48
	v_sub_f32_e32 v16, v16, v47
	v_add_f32_e32 v15, v15, v16
	v_add_f32_e32 v15, v46, v15
	v_cmp_neq_f32_e64 s[52:53], s56, v18
	v_cndmask_b32_e64 v15, v17, v15, s[52:53]
	s_mov_b32 s52, 0x33800000
	v_cmp_lt_f32_e64 s[52:53], |v18|, s52
	v_cndmask_b32_e64 v15, v15, v18, s[52:53]
	v_add_f32_e32 v14, v14, v15
	v_cvt_f16_f32_e32 v15, v14
	v_cvt_f32_f16_e32 v16, v15
.LBB355_136:
	s_or_b64 exec, exec, s[54:55]
	ds_read_u16 v14, v13 offset:6
	v_max_f32_e32 v18, v16, v16
	v_cmp_u_f16_e64 s[52:53], v15, v15
	ds_write_b16 v13, v15 offset:4
	s_waitcnt lgkmcnt(1)
	v_cvt_f32_f16_e32 v17, v14
	v_min_f32_e32 v46, v18, v17
	v_max_f32_e32 v18, v18, v17
	v_cndmask_b32_e64 v46, v46, v16, s[52:53]
	v_cndmask_b32_e64 v18, v18, v16, s[52:53]
	v_cmp_u_f16_e64 s[52:53], v14, v14
	v_cndmask_b32_e64 v16, v46, v17, s[52:53]
	v_cndmask_b32_e64 v14, v18, v17, s[52:53]
	v_cmp_neq_f32_e64 s[52:53], v16, v14
	v_cmp_class_f32_e64 s[54:55], v16, s7
	s_or_b64 s[52:53], s[52:53], s[54:55]
	s_and_saveexec_b64 s[54:55], s[52:53]
	s_cbranch_execz .LBB355_138
; %bb.137:
	v_sub_f32_e32 v15, v16, v14
	s_mov_b32 s7, 0x3fb8aa3b
	v_mul_f32_e32 v16, 0x3fb8aa3b, v15
	v_fma_f32 v17, v15, s7, -v16
	v_rndne_f32_e32 v18, v16
	v_fmac_f32_e32 v17, 0x32a5705f, v15
	v_sub_f32_e32 v16, v16, v18
	v_add_f32_e32 v16, v16, v17
	v_exp_f32_e32 v16, v16
	v_cvt_i32_f32_e32 v17, v18
	s_mov_b32 s7, 0xc2ce8ed0
	v_cmp_ngt_f32_e64 s[52:53], s7, v15
	s_mov_b32 s7, 0x42b17218
	v_ldexp_f32 v16, v16, v17
	v_cndmask_b32_e64 v16, 0, v16, s[52:53]
	v_mov_b32_e32 v17, 0x7f800000
	v_cmp_nlt_f32_e64 s[52:53], s7, v15
	v_cndmask_b32_e64 v18, v17, v16, s[52:53]
	v_add_f32_e32 v46, 1.0, v18
	v_cvt_f64_f32_e32 v[15:16], v46
	v_add_f32_e32 v47, -1.0, v46
	v_sub_f32_e32 v48, v47, v46
	v_sub_f32_e32 v47, v18, v47
	v_frexp_exp_i32_f64_e32 v15, v[15:16]
	v_add_f32_e32 v16, 1.0, v48
	v_add_f32_e32 v16, v47, v16
	v_frexp_mant_f32_e32 v47, v46
	s_mov_b32 s52, 0x3f2aaaab
	v_cmp_gt_f32_e64 s[52:53], s52, v47
	s_mov_b32 s7, 0x7f800000
	v_subbrev_co_u32_e64 v15, s[52:53], 0, v15, s[52:53]
	v_sub_u32_e32 v47, 0, v15
	v_ldexp_f32 v46, v46, v47
	v_ldexp_f32 v16, v16, v47
	v_add_f32_e32 v47, -1.0, v46
	v_add_f32_e32 v50, 1.0, v46
	v_add_f32_e32 v48, 1.0, v47
	v_add_f32_e32 v51, -1.0, v50
	v_sub_f32_e32 v48, v46, v48
	v_sub_f32_e32 v46, v46, v51
	v_add_f32_e32 v48, v16, v48
	v_add_f32_e32 v16, v16, v46
	;; [unrolled: 1-line block ×3, first 2 shown]
	v_rcp_f32_e32 v51, v46
	v_add_f32_e32 v49, v47, v48
	v_sub_f32_e32 v47, v47, v49
	v_add_f32_e32 v47, v48, v47
	v_sub_f32_e32 v48, v50, v46
	v_add_f32_e32 v16, v16, v48
	v_mul_f32_e32 v48, v49, v51
	v_mul_f32_e32 v50, v46, v48
	v_fma_f32 v52, v48, v46, -v50
	v_fmac_f32_e32 v52, v48, v16
	v_add_f32_e32 v53, v50, v52
	v_sub_f32_e32 v54, v49, v53
	v_sub_f32_e32 v49, v49, v54
	;; [unrolled: 1-line block ×4, first 2 shown]
	v_add_f32_e32 v47, v47, v49
	v_sub_f32_e32 v49, v50, v52
	v_add_f32_e32 v47, v49, v47
	v_add_f32_e32 v49, v54, v47
	v_mul_f32_e32 v50, v51, v49
	v_mul_f32_e32 v52, v46, v50
	v_fma_f32 v46, v50, v46, -v52
	v_fmac_f32_e32 v46, v50, v16
	v_sub_f32_e32 v16, v54, v49
	v_add_f32_e32 v16, v47, v16
	v_add_f32_e32 v47, v52, v46
	v_sub_f32_e32 v53, v49, v47
	v_sub_f32_e32 v49, v49, v53
	;; [unrolled: 1-line block ×4, first 2 shown]
	v_add_f32_e32 v16, v16, v47
	v_sub_f32_e32 v46, v52, v46
	v_add_f32_e32 v16, v46, v16
	v_add_f32_e32 v46, v48, v50
	;; [unrolled: 1-line block ×3, first 2 shown]
	v_sub_f32_e32 v47, v46, v48
	v_mul_f32_e32 v16, v51, v16
	v_sub_f32_e32 v47, v50, v47
	v_add_f32_e32 v16, v47, v16
	v_cvt_f32_i32_e32 v15, v15
	v_add_f32_e32 v47, v46, v16
	v_mul_f32_e32 v48, v47, v47
	v_mov_b32_e32 v49, 0x3ecc95a3
	v_fmac_f32_e32 v49, 0x3e9b6dac, v48
	v_mov_b32_e32 v50, 0x3f2aaada
	v_fmac_f32_e32 v50, v48, v49
	s_mov_b32 s52, 0x3f317218
	v_mul_f32_e32 v49, 0x3f317218, v15
	v_fma_f32 v51, v15, s52, -v49
	v_fmac_f32_e32 v51, 0xb102e308, v15
	v_sub_f32_e32 v15, v47, v46
	v_sub_f32_e32 v15, v16, v15
	v_add_f32_e32 v16, v49, v51
	v_sub_f32_e32 v46, v16, v49
	v_ldexp_f32 v49, v47, 1
	v_mul_f32_e32 v47, v47, v48
	v_mul_f32_e32 v47, v47, v50
	v_add_f32_e32 v48, v49, v47
	v_sub_f32_e32 v49, v48, v49
	v_ldexp_f32 v15, v15, 1
	v_sub_f32_e32 v47, v47, v49
	v_add_f32_e32 v15, v15, v47
	v_add_f32_e32 v47, v48, v15
	v_sub_f32_e32 v48, v47, v48
	v_sub_f32_e32 v15, v15, v48
	v_add_f32_e32 v48, v16, v47
	v_sub_f32_e32 v49, v48, v16
	v_sub_f32_e32 v50, v48, v49
	;; [unrolled: 1-line block ×5, first 2 shown]
	v_add_f32_e32 v16, v47, v16
	v_add_f32_e32 v47, v46, v15
	v_sub_f32_e32 v49, v47, v46
	v_sub_f32_e32 v50, v47, v49
	;; [unrolled: 1-line block ×4, first 2 shown]
	v_add_f32_e32 v16, v47, v16
	v_add_f32_e32 v15, v15, v46
	;; [unrolled: 1-line block ×3, first 2 shown]
	v_sub_f32_e32 v47, v46, v48
	v_sub_f32_e32 v16, v16, v47
	v_add_f32_e32 v15, v15, v16
	v_add_f32_e32 v15, v46, v15
	v_cmp_neq_f32_e64 s[52:53], s7, v18
	s_mov_b32 s7, 0x33800000
	v_cndmask_b32_e64 v15, v17, v15, s[52:53]
	v_cmp_lt_f32_e64 s[52:53], |v18|, s7
	v_cndmask_b32_e64 v15, v15, v18, s[52:53]
	v_add_f32_e32 v14, v14, v15
	v_cvt_f16_f32_e32 v15, v14
.LBB355_138:
	s_or_b64 exec, exec, s[54:55]
	ds_write_b16 v13, v15 offset:6
.LBB355_139:
	s_or_b64 exec, exec, s[60:61]
	v_cmp_eq_u32_e64 s[54:55], 0, v0
	v_cmp_ne_u32_e64 s[52:53], 0, v0
	s_waitcnt lgkmcnt(0)
	s_barrier
	s_and_saveexec_b64 s[56:57], s[52:53]
; %bb.140:
	v_add_u32_e32 v13, -1, v0
	v_lshrrev_b32_e32 v14, 4, v13
	v_and_b32_e32 v14, 0xffffffe, v14
	v_lshl_add_u32 v13, v13, 1, v14
	ds_read_u16 v45, v13
; %bb.141:
	s_or_b64 exec, exec, s[56:57]
	s_and_saveexec_b64 s[62:63], vcc
	s_cbranch_execz .LBB355_213
; %bb.142:
	v_mov_b32_e32 v15, 0
	ds_read_u16 v46, v15 offset:524
	v_mbcnt_lo_u32_b32 v13, -1, 0
	v_mbcnt_hi_u32_b32 v18, -1, v13
	s_mov_b32 s75, 0
	v_cmp_eq_u32_e64 s[56:57], 0, v18
	s_and_saveexec_b64 s[60:61], s[56:57]
	s_cbranch_execz .LBB355_144
; %bb.143:
	s_add_i32 s74, s6, 64
	s_lshl_b64 s[74:75], s[74:75], 2
	s_add_u32 s74, s72, s74
	s_addc_u32 s75, s73, s75
	s_waitcnt lgkmcnt(0)
	v_or_b32_e32 v13, 0x10000, v46
	global_store_dword v15, v13, s[74:75]
.LBB355_144:
	s_or_b64 exec, exec, s[60:61]
	v_xad_u32 v13, v18, -1, s6
	v_add_u32_e32 v14, 64, v13
	v_lshlrev_b64 v[16:17], 2, v[14:15]
	v_mov_b32_e32 v14, s73
	v_add_co_u32_e32 v16, vcc, s72, v16
	v_addc_co_u32_e32 v17, vcc, v14, v17, vcc
	global_load_dword v64, v[16:17], off glc
	s_waitcnt vmcnt(0)
	v_lshrrev_b32_e32 v47, 16, v64
	v_cmp_eq_u16_sdwa s[74:75], v47, v15 src0_sel:BYTE_0 src1_sel:DWORD
	s_and_saveexec_b64 s[60:61], s[74:75]
	s_cbranch_execz .LBB355_148
; %bb.145:
	s_mov_b64 s[74:75], 0
	v_mov_b32_e32 v14, 0
.LBB355_146:                            ; =>This Inner Loop Header: Depth=1
	global_load_dword v64, v[16:17], off glc
	s_waitcnt vmcnt(0)
	v_lshrrev_b32_e32 v47, 16, v64
	v_cmp_ne_u16_sdwa s[78:79], v47, v14 src0_sel:BYTE_0 src1_sel:DWORD
	s_or_b64 s[74:75], s[78:79], s[74:75]
	s_andn2_b64 exec, exec, s[74:75]
	s_cbranch_execnz .LBB355_146
; %bb.147:
	s_or_b64 exec, exec, s[74:75]
.LBB355_148:
	s_or_b64 exec, exec, s[60:61]
	v_and_b32_e32 v48, 63, v18
	v_mov_b32_e32 v14, 2
	v_lshlrev_b64 v[15:16], v18, -1
	v_cmp_ne_u32_e32 vcc, 63, v48
	v_cmp_eq_u16_sdwa s[60:61], v47, v14 src0_sel:BYTE_0 src1_sel:DWORD
	v_addc_co_u32_e32 v17, vcc, 0, v18, vcc
	v_and_b32_e32 v14, s61, v16
	v_lshlrev_b32_e32 v49, 2, v17
	v_and_b32_e32 v17, 0xffff, v64
	v_or_b32_e32 v14, 0x80000000, v14
	ds_bpermute_b32 v50, v49, v17
	v_and_b32_e32 v51, s60, v15
	v_ffbl_b32_e32 v14, v14
	v_add_u32_e32 v14, 32, v14
	v_ffbl_b32_e32 v51, v51
	v_min_u32_e32 v14, v51, v14
	v_cmp_lt_u32_e32 vcc, v48, v14
	s_and_saveexec_b64 s[74:75], vcc
	s_cbranch_execz .LBB355_152
; %bb.149:
	s_waitcnt lgkmcnt(0)
	v_cvt_f32_f16_e32 v17, v50
	v_cvt_f32_f16_e32 v52, v64
	v_cmp_u_f16_e32 vcc, v50, v50
	v_cmp_u_f16_e64 s[60:61], v64, v64
	s_movk_i32 s7, 0x1f8
	v_min_f32_e32 v51, v17, v52
	v_max_f32_e32 v53, v17, v52
	v_cndmask_b32_e32 v51, v51, v17, vcc
	v_cndmask_b32_e32 v17, v53, v17, vcc
	v_cndmask_b32_e64 v51, v51, v52, s[60:61]
	v_cndmask_b32_e64 v17, v17, v52, s[60:61]
	v_cmp_neq_f32_e32 vcc, v51, v17
	v_cmp_class_f32_e64 s[60:61], v51, s7
	s_or_b64 s[78:79], vcc, s[60:61]
	s_and_saveexec_b64 s[60:61], s[78:79]
	s_cbranch_execz .LBB355_151
; %bb.150:
	v_sub_f32_e32 v50, v51, v17
	s_mov_b32 s7, 0x3fb8aa3b
	v_mul_f32_e32 v51, 0x3fb8aa3b, v50
	v_fma_f32 v52, v50, s7, -v51
	v_rndne_f32_e32 v53, v51
	v_fmac_f32_e32 v52, 0x32a5705f, v50
	v_sub_f32_e32 v51, v51, v53
	v_add_f32_e32 v51, v51, v52
	v_exp_f32_e32 v51, v51
	v_cvt_i32_f32_e32 v52, v53
	s_mov_b32 s7, 0xc2ce8ed0
	v_cmp_ngt_f32_e32 vcc, s7, v50
	s_mov_b32 s7, 0x42b17218
	v_ldexp_f32 v51, v51, v52
	v_cndmask_b32_e32 v51, 0, v51, vcc
	v_mov_b32_e32 v52, 0x7f800000
	v_cmp_nlt_f32_e32 vcc, s7, v50
	v_cndmask_b32_e32 v53, v52, v51, vcc
	v_add_f32_e32 v54, 1.0, v53
	v_cvt_f64_f32_e32 v[50:51], v54
	v_add_f32_e32 v55, -1.0, v54
	v_sub_f32_e32 v56, v55, v54
	v_sub_f32_e32 v55, v53, v55
	v_frexp_exp_i32_f64_e32 v50, v[50:51]
	v_add_f32_e32 v51, 1.0, v56
	v_add_f32_e32 v51, v55, v51
	v_frexp_mant_f32_e32 v55, v54
	s_mov_b32 s77, 0x3f2aaaab
	v_cmp_gt_f32_e32 vcc, s77, v55
	s_mov_b32 s77, 0x3f317218
	s_mov_b32 s7, 0x7f800000
	v_subbrev_co_u32_e32 v50, vcc, 0, v50, vcc
	v_sub_u32_e32 v55, 0, v50
	v_ldexp_f32 v54, v54, v55
	v_ldexp_f32 v51, v51, v55
	v_add_f32_e32 v55, -1.0, v54
	v_add_f32_e32 v58, 1.0, v54
	v_add_f32_e32 v56, 1.0, v55
	v_add_f32_e32 v59, -1.0, v58
	v_sub_f32_e32 v56, v54, v56
	v_sub_f32_e32 v54, v54, v59
	v_add_f32_e32 v56, v51, v56
	v_add_f32_e32 v51, v51, v54
	;; [unrolled: 1-line block ×3, first 2 shown]
	v_rcp_f32_e32 v59, v54
	v_add_f32_e32 v57, v55, v56
	v_sub_f32_e32 v55, v55, v57
	v_add_f32_e32 v55, v56, v55
	v_sub_f32_e32 v56, v58, v54
	v_add_f32_e32 v51, v51, v56
	v_mul_f32_e32 v56, v57, v59
	v_mul_f32_e32 v58, v54, v56
	v_fma_f32 v60, v56, v54, -v58
	v_fmac_f32_e32 v60, v56, v51
	v_add_f32_e32 v61, v58, v60
	v_sub_f32_e32 v62, v57, v61
	v_sub_f32_e32 v57, v57, v62
	;; [unrolled: 1-line block ×4, first 2 shown]
	v_add_f32_e32 v55, v55, v57
	v_sub_f32_e32 v57, v58, v60
	v_add_f32_e32 v55, v57, v55
	v_add_f32_e32 v57, v62, v55
	v_mul_f32_e32 v58, v59, v57
	v_mul_f32_e32 v60, v54, v58
	v_fma_f32 v54, v58, v54, -v60
	v_fmac_f32_e32 v54, v58, v51
	v_sub_f32_e32 v51, v62, v57
	v_add_f32_e32 v51, v55, v51
	v_add_f32_e32 v55, v60, v54
	v_sub_f32_e32 v61, v57, v55
	v_sub_f32_e32 v57, v57, v61
	;; [unrolled: 1-line block ×4, first 2 shown]
	v_add_f32_e32 v51, v51, v55
	v_sub_f32_e32 v54, v60, v54
	v_add_f32_e32 v51, v54, v51
	v_add_f32_e32 v54, v56, v58
	;; [unrolled: 1-line block ×3, first 2 shown]
	v_sub_f32_e32 v55, v54, v56
	v_mul_f32_e32 v51, v59, v51
	v_sub_f32_e32 v55, v58, v55
	v_add_f32_e32 v51, v55, v51
	v_cvt_f32_i32_e32 v50, v50
	v_add_f32_e32 v55, v54, v51
	v_mul_f32_e32 v56, v55, v55
	v_mov_b32_e32 v57, 0x3ecc95a3
	v_fmac_f32_e32 v57, 0x3e9b6dac, v56
	v_mov_b32_e32 v58, 0x3f2aaada
	v_fmac_f32_e32 v58, v56, v57
	v_mul_f32_e32 v57, 0x3f317218, v50
	v_fma_f32 v59, v50, s77, -v57
	v_fmac_f32_e32 v59, 0xb102e308, v50
	v_sub_f32_e32 v50, v55, v54
	v_sub_f32_e32 v50, v51, v50
	v_add_f32_e32 v51, v57, v59
	v_sub_f32_e32 v54, v51, v57
	v_ldexp_f32 v57, v55, 1
	v_mul_f32_e32 v55, v55, v56
	v_mul_f32_e32 v55, v55, v58
	v_add_f32_e32 v56, v57, v55
	v_sub_f32_e32 v57, v56, v57
	v_ldexp_f32 v50, v50, 1
	v_sub_f32_e32 v55, v55, v57
	v_add_f32_e32 v50, v50, v55
	v_add_f32_e32 v55, v56, v50
	v_sub_f32_e32 v56, v55, v56
	v_sub_f32_e32 v50, v50, v56
	v_add_f32_e32 v56, v51, v55
	v_sub_f32_e32 v57, v56, v51
	v_sub_f32_e32 v58, v56, v57
	v_sub_f32_e32 v54, v59, v54
	v_sub_f32_e32 v51, v51, v58
	v_sub_f32_e32 v55, v55, v57
	v_add_f32_e32 v51, v55, v51
	v_add_f32_e32 v55, v54, v50
	v_sub_f32_e32 v57, v55, v54
	v_sub_f32_e32 v58, v55, v57
	;; [unrolled: 1-line block ×4, first 2 shown]
	v_add_f32_e32 v51, v55, v51
	v_add_f32_e32 v50, v50, v54
	;; [unrolled: 1-line block ×3, first 2 shown]
	v_sub_f32_e32 v55, v54, v56
	v_sub_f32_e32 v51, v51, v55
	v_add_f32_e32 v50, v50, v51
	v_add_f32_e32 v50, v54, v50
	v_cmp_neq_f32_e32 vcc, s7, v53
	s_mov_b32 s7, 0x33800000
	v_cndmask_b32_e32 v50, v52, v50, vcc
	v_cmp_lt_f32_e64 vcc, |v53|, s7
	v_cndmask_b32_e32 v50, v50, v53, vcc
	v_add_f32_e32 v17, v17, v50
	v_cvt_f16_f32_e32 v50, v17
.LBB355_151:
	s_or_b64 exec, exec, s[60:61]
	v_and_b32_e32 v17, 0xffff, v50
	v_mov_b32_e32 v64, v50
.LBB355_152:
	s_or_b64 exec, exec, s[74:75]
	v_cmp_gt_u32_e32 vcc, 62, v48
	s_waitcnt lgkmcnt(0)
	v_cndmask_b32_e64 v50, 0, 2, vcc
	v_add_lshl_u32 v50, v50, v18, 2
	ds_bpermute_b32 v52, v50, v17
	v_add_u32_e32 v51, 2, v48
	v_cmp_le_u32_e32 vcc, v51, v14
	s_and_saveexec_b64 s[74:75], vcc
	s_cbranch_execz .LBB355_156
; %bb.153:
	s_waitcnt lgkmcnt(0)
	v_cvt_f32_f16_e32 v17, v52
	v_cvt_f32_f16_e32 v54, v64
	v_cmp_u_f16_e32 vcc, v52, v52
	v_cmp_u_f16_e64 s[60:61], v64, v64
	s_movk_i32 s7, 0x1f8
	v_min_f32_e32 v53, v17, v54
	v_max_f32_e32 v55, v17, v54
	v_cndmask_b32_e32 v53, v53, v17, vcc
	v_cndmask_b32_e32 v17, v55, v17, vcc
	v_cndmask_b32_e64 v53, v53, v54, s[60:61]
	v_cndmask_b32_e64 v17, v17, v54, s[60:61]
	v_cmp_neq_f32_e32 vcc, v53, v17
	v_cmp_class_f32_e64 s[60:61], v53, s7
	s_or_b64 s[78:79], vcc, s[60:61]
	s_and_saveexec_b64 s[60:61], s[78:79]
	s_cbranch_execz .LBB355_155
; %bb.154:
	v_sub_f32_e32 v52, v53, v17
	s_mov_b32 s7, 0x3fb8aa3b
	v_mul_f32_e32 v53, 0x3fb8aa3b, v52
	v_fma_f32 v54, v52, s7, -v53
	v_rndne_f32_e32 v55, v53
	v_fmac_f32_e32 v54, 0x32a5705f, v52
	v_sub_f32_e32 v53, v53, v55
	v_add_f32_e32 v53, v53, v54
	v_exp_f32_e32 v53, v53
	v_cvt_i32_f32_e32 v54, v55
	s_mov_b32 s7, 0xc2ce8ed0
	v_cmp_ngt_f32_e32 vcc, s7, v52
	s_mov_b32 s7, 0x42b17218
	v_ldexp_f32 v53, v53, v54
	v_cndmask_b32_e32 v53, 0, v53, vcc
	v_mov_b32_e32 v54, 0x7f800000
	v_cmp_nlt_f32_e32 vcc, s7, v52
	v_cndmask_b32_e32 v55, v54, v53, vcc
	v_add_f32_e32 v56, 1.0, v55
	v_cvt_f64_f32_e32 v[52:53], v56
	v_add_f32_e32 v57, -1.0, v56
	v_sub_f32_e32 v58, v57, v56
	v_sub_f32_e32 v57, v55, v57
	v_frexp_exp_i32_f64_e32 v52, v[52:53]
	v_add_f32_e32 v53, 1.0, v58
	v_add_f32_e32 v53, v57, v53
	v_frexp_mant_f32_e32 v57, v56
	s_mov_b32 s77, 0x3f2aaaab
	v_cmp_gt_f32_e32 vcc, s77, v57
	s_mov_b32 s77, 0x3f317218
	s_mov_b32 s7, 0x7f800000
	v_subbrev_co_u32_e32 v52, vcc, 0, v52, vcc
	v_sub_u32_e32 v57, 0, v52
	v_ldexp_f32 v56, v56, v57
	v_ldexp_f32 v53, v53, v57
	v_add_f32_e32 v57, -1.0, v56
	v_add_f32_e32 v60, 1.0, v56
	v_add_f32_e32 v58, 1.0, v57
	v_add_f32_e32 v61, -1.0, v60
	v_sub_f32_e32 v58, v56, v58
	v_sub_f32_e32 v56, v56, v61
	v_add_f32_e32 v58, v53, v58
	v_add_f32_e32 v53, v53, v56
	;; [unrolled: 1-line block ×3, first 2 shown]
	v_rcp_f32_e32 v61, v56
	v_add_f32_e32 v59, v57, v58
	v_sub_f32_e32 v57, v57, v59
	v_add_f32_e32 v57, v58, v57
	v_sub_f32_e32 v58, v60, v56
	v_add_f32_e32 v53, v53, v58
	v_mul_f32_e32 v58, v59, v61
	v_mul_f32_e32 v60, v56, v58
	v_fma_f32 v62, v58, v56, -v60
	v_fmac_f32_e32 v62, v58, v53
	v_add_f32_e32 v63, v60, v62
	v_sub_f32_e32 v64, v59, v63
	v_sub_f32_e32 v59, v59, v64
	;; [unrolled: 1-line block ×4, first 2 shown]
	v_add_f32_e32 v57, v57, v59
	v_sub_f32_e32 v59, v60, v62
	v_add_f32_e32 v57, v59, v57
	v_add_f32_e32 v59, v64, v57
	v_mul_f32_e32 v60, v61, v59
	v_mul_f32_e32 v62, v56, v60
	v_fma_f32 v56, v60, v56, -v62
	v_fmac_f32_e32 v56, v60, v53
	v_sub_f32_e32 v53, v64, v59
	v_add_f32_e32 v53, v57, v53
	v_add_f32_e32 v57, v62, v56
	v_sub_f32_e32 v63, v59, v57
	v_sub_f32_e32 v59, v59, v63
	;; [unrolled: 1-line block ×4, first 2 shown]
	v_add_f32_e32 v53, v53, v57
	v_sub_f32_e32 v56, v62, v56
	v_add_f32_e32 v53, v56, v53
	v_add_f32_e32 v56, v58, v60
	v_add_f32_e32 v53, v63, v53
	v_sub_f32_e32 v57, v56, v58
	v_mul_f32_e32 v53, v61, v53
	v_sub_f32_e32 v57, v60, v57
	v_add_f32_e32 v53, v57, v53
	v_cvt_f32_i32_e32 v52, v52
	v_add_f32_e32 v57, v56, v53
	v_mul_f32_e32 v58, v57, v57
	v_mov_b32_e32 v59, 0x3ecc95a3
	v_fmac_f32_e32 v59, 0x3e9b6dac, v58
	v_mov_b32_e32 v60, 0x3f2aaada
	v_fmac_f32_e32 v60, v58, v59
	v_mul_f32_e32 v59, 0x3f317218, v52
	v_fma_f32 v61, v52, s77, -v59
	v_fmac_f32_e32 v61, 0xb102e308, v52
	v_sub_f32_e32 v52, v57, v56
	v_sub_f32_e32 v52, v53, v52
	v_add_f32_e32 v53, v59, v61
	v_sub_f32_e32 v56, v53, v59
	v_ldexp_f32 v59, v57, 1
	v_mul_f32_e32 v57, v57, v58
	v_mul_f32_e32 v57, v57, v60
	v_add_f32_e32 v58, v59, v57
	v_sub_f32_e32 v59, v58, v59
	v_ldexp_f32 v52, v52, 1
	v_sub_f32_e32 v57, v57, v59
	v_add_f32_e32 v52, v52, v57
	v_add_f32_e32 v57, v58, v52
	v_sub_f32_e32 v58, v57, v58
	v_sub_f32_e32 v52, v52, v58
	v_add_f32_e32 v58, v53, v57
	v_sub_f32_e32 v59, v58, v53
	v_sub_f32_e32 v60, v58, v59
	;; [unrolled: 1-line block ×5, first 2 shown]
	v_add_f32_e32 v53, v57, v53
	v_add_f32_e32 v57, v56, v52
	v_sub_f32_e32 v59, v57, v56
	v_sub_f32_e32 v60, v57, v59
	;; [unrolled: 1-line block ×4, first 2 shown]
	v_add_f32_e32 v53, v57, v53
	v_add_f32_e32 v52, v52, v56
	;; [unrolled: 1-line block ×3, first 2 shown]
	v_sub_f32_e32 v57, v56, v58
	v_sub_f32_e32 v53, v53, v57
	v_add_f32_e32 v52, v52, v53
	v_add_f32_e32 v52, v56, v52
	v_cmp_neq_f32_e32 vcc, s7, v55
	s_mov_b32 s7, 0x33800000
	v_cndmask_b32_e32 v52, v54, v52, vcc
	v_cmp_lt_f32_e64 vcc, |v55|, s7
	v_cndmask_b32_e32 v52, v52, v55, vcc
	v_add_f32_e32 v17, v17, v52
	v_cvt_f16_f32_e32 v52, v17
.LBB355_155:
	s_or_b64 exec, exec, s[60:61]
	v_and_b32_e32 v17, 0xffff, v52
	v_mov_b32_e32 v64, v52
.LBB355_156:
	s_or_b64 exec, exec, s[74:75]
	v_cmp_gt_u32_e32 vcc, 60, v48
	s_waitcnt lgkmcnt(0)
	v_cndmask_b32_e64 v52, 0, 4, vcc
	v_add_lshl_u32 v52, v52, v18, 2
	ds_bpermute_b32 v54, v52, v17
	v_add_u32_e32 v53, 4, v48
	v_cmp_le_u32_e32 vcc, v53, v14
	s_and_saveexec_b64 s[74:75], vcc
	s_cbranch_execz .LBB355_160
; %bb.157:
	s_waitcnt lgkmcnt(0)
	v_cvt_f32_f16_e32 v17, v54
	v_cvt_f32_f16_e32 v56, v64
	v_cmp_u_f16_e32 vcc, v54, v54
	v_cmp_u_f16_e64 s[60:61], v64, v64
	s_movk_i32 s7, 0x1f8
	v_min_f32_e32 v55, v17, v56
	v_max_f32_e32 v57, v17, v56
	v_cndmask_b32_e32 v55, v55, v17, vcc
	v_cndmask_b32_e32 v17, v57, v17, vcc
	v_cndmask_b32_e64 v55, v55, v56, s[60:61]
	v_cndmask_b32_e64 v17, v17, v56, s[60:61]
	v_cmp_neq_f32_e32 vcc, v55, v17
	v_cmp_class_f32_e64 s[60:61], v55, s7
	s_or_b64 s[78:79], vcc, s[60:61]
	s_and_saveexec_b64 s[60:61], s[78:79]
	s_cbranch_execz .LBB355_159
; %bb.158:
	v_sub_f32_e32 v54, v55, v17
	s_mov_b32 s7, 0x3fb8aa3b
	v_mul_f32_e32 v55, 0x3fb8aa3b, v54
	v_fma_f32 v56, v54, s7, -v55
	v_rndne_f32_e32 v57, v55
	v_fmac_f32_e32 v56, 0x32a5705f, v54
	v_sub_f32_e32 v55, v55, v57
	v_add_f32_e32 v55, v55, v56
	v_exp_f32_e32 v55, v55
	v_cvt_i32_f32_e32 v56, v57
	s_mov_b32 s7, 0xc2ce8ed0
	v_cmp_ngt_f32_e32 vcc, s7, v54
	s_mov_b32 s7, 0x42b17218
	v_ldexp_f32 v55, v55, v56
	v_cndmask_b32_e32 v55, 0, v55, vcc
	v_mov_b32_e32 v56, 0x7f800000
	v_cmp_nlt_f32_e32 vcc, s7, v54
	v_cndmask_b32_e32 v57, v56, v55, vcc
	v_add_f32_e32 v58, 1.0, v57
	v_cvt_f64_f32_e32 v[54:55], v58
	v_add_f32_e32 v59, -1.0, v58
	v_sub_f32_e32 v60, v59, v58
	v_sub_f32_e32 v59, v57, v59
	v_frexp_exp_i32_f64_e32 v54, v[54:55]
	v_add_f32_e32 v55, 1.0, v60
	v_add_f32_e32 v55, v59, v55
	v_frexp_mant_f32_e32 v59, v58
	s_mov_b32 s77, 0x3f2aaaab
	v_cmp_gt_f32_e32 vcc, s77, v59
	s_mov_b32 s77, 0x3f317218
	s_mov_b32 s7, 0x7f800000
	v_subbrev_co_u32_e32 v54, vcc, 0, v54, vcc
	v_sub_u32_e32 v59, 0, v54
	v_ldexp_f32 v58, v58, v59
	v_ldexp_f32 v55, v55, v59
	v_add_f32_e32 v59, -1.0, v58
	v_add_f32_e32 v62, 1.0, v58
	v_add_f32_e32 v60, 1.0, v59
	v_add_f32_e32 v63, -1.0, v62
	v_sub_f32_e32 v60, v58, v60
	v_sub_f32_e32 v58, v58, v63
	v_add_f32_e32 v60, v55, v60
	v_add_f32_e32 v55, v55, v58
	;; [unrolled: 1-line block ×3, first 2 shown]
	v_rcp_f32_e32 v63, v58
	v_add_f32_e32 v61, v59, v60
	v_sub_f32_e32 v59, v59, v61
	v_add_f32_e32 v59, v60, v59
	v_sub_f32_e32 v60, v62, v58
	v_add_f32_e32 v55, v55, v60
	v_mul_f32_e32 v60, v61, v63
	v_mul_f32_e32 v62, v58, v60
	v_fma_f32 v64, v60, v58, -v62
	v_fmac_f32_e32 v64, v60, v55
	v_add_f32_e32 v65, v62, v64
	v_sub_f32_e32 v66, v61, v65
	v_sub_f32_e32 v61, v61, v66
	;; [unrolled: 1-line block ×4, first 2 shown]
	v_add_f32_e32 v59, v59, v61
	v_sub_f32_e32 v61, v62, v64
	v_add_f32_e32 v59, v61, v59
	v_add_f32_e32 v61, v66, v59
	v_mul_f32_e32 v62, v63, v61
	v_mul_f32_e32 v64, v58, v62
	v_fma_f32 v58, v62, v58, -v64
	v_fmac_f32_e32 v58, v62, v55
	v_sub_f32_e32 v55, v66, v61
	v_add_f32_e32 v55, v59, v55
	v_add_f32_e32 v59, v64, v58
	v_sub_f32_e32 v65, v61, v59
	v_sub_f32_e32 v61, v61, v65
	;; [unrolled: 1-line block ×4, first 2 shown]
	v_add_f32_e32 v55, v55, v59
	v_sub_f32_e32 v58, v64, v58
	v_add_f32_e32 v55, v58, v55
	v_add_f32_e32 v58, v60, v62
	;; [unrolled: 1-line block ×3, first 2 shown]
	v_sub_f32_e32 v59, v58, v60
	v_mul_f32_e32 v55, v63, v55
	v_sub_f32_e32 v59, v62, v59
	v_add_f32_e32 v55, v59, v55
	v_cvt_f32_i32_e32 v54, v54
	v_add_f32_e32 v59, v58, v55
	v_mul_f32_e32 v60, v59, v59
	v_mov_b32_e32 v61, 0x3ecc95a3
	v_fmac_f32_e32 v61, 0x3e9b6dac, v60
	v_mov_b32_e32 v62, 0x3f2aaada
	v_fmac_f32_e32 v62, v60, v61
	v_mul_f32_e32 v61, 0x3f317218, v54
	v_fma_f32 v63, v54, s77, -v61
	v_fmac_f32_e32 v63, 0xb102e308, v54
	v_sub_f32_e32 v54, v59, v58
	v_sub_f32_e32 v54, v55, v54
	v_add_f32_e32 v55, v61, v63
	v_sub_f32_e32 v58, v55, v61
	v_ldexp_f32 v61, v59, 1
	v_mul_f32_e32 v59, v59, v60
	v_mul_f32_e32 v59, v59, v62
	v_add_f32_e32 v60, v61, v59
	v_sub_f32_e32 v61, v60, v61
	v_ldexp_f32 v54, v54, 1
	v_sub_f32_e32 v59, v59, v61
	v_add_f32_e32 v54, v54, v59
	v_add_f32_e32 v59, v60, v54
	v_sub_f32_e32 v60, v59, v60
	v_sub_f32_e32 v54, v54, v60
	v_add_f32_e32 v60, v55, v59
	v_sub_f32_e32 v61, v60, v55
	v_sub_f32_e32 v62, v60, v61
	;; [unrolled: 1-line block ×5, first 2 shown]
	v_add_f32_e32 v55, v59, v55
	v_add_f32_e32 v59, v58, v54
	v_sub_f32_e32 v61, v59, v58
	v_sub_f32_e32 v62, v59, v61
	;; [unrolled: 1-line block ×4, first 2 shown]
	v_add_f32_e32 v55, v59, v55
	v_add_f32_e32 v54, v54, v58
	;; [unrolled: 1-line block ×3, first 2 shown]
	v_sub_f32_e32 v59, v58, v60
	v_sub_f32_e32 v55, v55, v59
	v_add_f32_e32 v54, v54, v55
	v_add_f32_e32 v54, v58, v54
	v_cmp_neq_f32_e32 vcc, s7, v57
	s_mov_b32 s7, 0x33800000
	v_cndmask_b32_e32 v54, v56, v54, vcc
	v_cmp_lt_f32_e64 vcc, |v57|, s7
	v_cndmask_b32_e32 v54, v54, v57, vcc
	v_add_f32_e32 v17, v17, v54
	v_cvt_f16_f32_e32 v54, v17
.LBB355_159:
	s_or_b64 exec, exec, s[60:61]
	v_and_b32_e32 v17, 0xffff, v54
	v_mov_b32_e32 v64, v54
.LBB355_160:
	s_or_b64 exec, exec, s[74:75]
	v_cmp_gt_u32_e32 vcc, 56, v48
	s_waitcnt lgkmcnt(0)
	v_cndmask_b32_e64 v54, 0, 8, vcc
	v_add_lshl_u32 v54, v54, v18, 2
	ds_bpermute_b32 v56, v54, v17
	v_add_u32_e32 v55, 8, v48
	v_cmp_le_u32_e32 vcc, v55, v14
	s_and_saveexec_b64 s[74:75], vcc
	s_cbranch_execz .LBB355_164
; %bb.161:
	s_waitcnt lgkmcnt(0)
	v_cvt_f32_f16_e32 v17, v56
	v_cvt_f32_f16_e32 v58, v64
	v_cmp_u_f16_e32 vcc, v56, v56
	v_cmp_u_f16_e64 s[60:61], v64, v64
	s_movk_i32 s7, 0x1f8
	v_min_f32_e32 v57, v17, v58
	v_max_f32_e32 v59, v17, v58
	v_cndmask_b32_e32 v57, v57, v17, vcc
	v_cndmask_b32_e32 v17, v59, v17, vcc
	v_cndmask_b32_e64 v57, v57, v58, s[60:61]
	v_cndmask_b32_e64 v17, v17, v58, s[60:61]
	v_cmp_neq_f32_e32 vcc, v57, v17
	v_cmp_class_f32_e64 s[60:61], v57, s7
	s_or_b64 s[78:79], vcc, s[60:61]
	s_and_saveexec_b64 s[60:61], s[78:79]
	s_cbranch_execz .LBB355_163
; %bb.162:
	v_sub_f32_e32 v56, v57, v17
	s_mov_b32 s7, 0x3fb8aa3b
	v_mul_f32_e32 v57, 0x3fb8aa3b, v56
	v_fma_f32 v58, v56, s7, -v57
	v_rndne_f32_e32 v59, v57
	v_fmac_f32_e32 v58, 0x32a5705f, v56
	v_sub_f32_e32 v57, v57, v59
	v_add_f32_e32 v57, v57, v58
	v_exp_f32_e32 v57, v57
	v_cvt_i32_f32_e32 v58, v59
	s_mov_b32 s7, 0xc2ce8ed0
	v_cmp_ngt_f32_e32 vcc, s7, v56
	s_mov_b32 s7, 0x42b17218
	v_ldexp_f32 v57, v57, v58
	v_cndmask_b32_e32 v57, 0, v57, vcc
	v_mov_b32_e32 v58, 0x7f800000
	v_cmp_nlt_f32_e32 vcc, s7, v56
	v_cndmask_b32_e32 v59, v58, v57, vcc
	v_add_f32_e32 v60, 1.0, v59
	v_cvt_f64_f32_e32 v[56:57], v60
	v_add_f32_e32 v61, -1.0, v60
	v_sub_f32_e32 v62, v61, v60
	v_sub_f32_e32 v61, v59, v61
	v_frexp_exp_i32_f64_e32 v56, v[56:57]
	v_add_f32_e32 v57, 1.0, v62
	v_add_f32_e32 v57, v61, v57
	v_frexp_mant_f32_e32 v61, v60
	s_mov_b32 s77, 0x3f2aaaab
	v_cmp_gt_f32_e32 vcc, s77, v61
	s_mov_b32 s77, 0x3f317218
	s_mov_b32 s7, 0x7f800000
	v_subbrev_co_u32_e32 v56, vcc, 0, v56, vcc
	v_sub_u32_e32 v61, 0, v56
	v_ldexp_f32 v60, v60, v61
	v_ldexp_f32 v57, v57, v61
	v_add_f32_e32 v61, -1.0, v60
	v_add_f32_e32 v64, 1.0, v60
	v_add_f32_e32 v62, 1.0, v61
	v_add_f32_e32 v65, -1.0, v64
	v_sub_f32_e32 v62, v60, v62
	v_sub_f32_e32 v60, v60, v65
	v_add_f32_e32 v62, v57, v62
	v_add_f32_e32 v57, v57, v60
	;; [unrolled: 1-line block ×3, first 2 shown]
	v_rcp_f32_e32 v65, v60
	v_add_f32_e32 v63, v61, v62
	v_sub_f32_e32 v61, v61, v63
	v_add_f32_e32 v61, v62, v61
	v_sub_f32_e32 v62, v64, v60
	v_add_f32_e32 v57, v57, v62
	v_mul_f32_e32 v62, v63, v65
	v_mul_f32_e32 v64, v60, v62
	v_fma_f32 v66, v62, v60, -v64
	v_fmac_f32_e32 v66, v62, v57
	v_add_f32_e32 v67, v64, v66
	v_sub_f32_e32 v68, v63, v67
	v_sub_f32_e32 v63, v63, v68
	;; [unrolled: 1-line block ×4, first 2 shown]
	v_add_f32_e32 v61, v61, v63
	v_sub_f32_e32 v63, v64, v66
	v_add_f32_e32 v61, v63, v61
	v_add_f32_e32 v63, v68, v61
	v_mul_f32_e32 v64, v65, v63
	v_mul_f32_e32 v66, v60, v64
	v_fma_f32 v60, v64, v60, -v66
	v_fmac_f32_e32 v60, v64, v57
	v_sub_f32_e32 v57, v68, v63
	v_add_f32_e32 v57, v61, v57
	v_add_f32_e32 v61, v66, v60
	v_sub_f32_e32 v67, v63, v61
	v_sub_f32_e32 v63, v63, v67
	;; [unrolled: 1-line block ×4, first 2 shown]
	v_add_f32_e32 v57, v57, v61
	v_sub_f32_e32 v60, v66, v60
	v_add_f32_e32 v57, v60, v57
	v_add_f32_e32 v60, v62, v64
	;; [unrolled: 1-line block ×3, first 2 shown]
	v_sub_f32_e32 v61, v60, v62
	v_mul_f32_e32 v57, v65, v57
	v_sub_f32_e32 v61, v64, v61
	v_add_f32_e32 v57, v61, v57
	v_cvt_f32_i32_e32 v56, v56
	v_add_f32_e32 v61, v60, v57
	v_mul_f32_e32 v62, v61, v61
	v_mov_b32_e32 v63, 0x3ecc95a3
	v_fmac_f32_e32 v63, 0x3e9b6dac, v62
	v_mov_b32_e32 v64, 0x3f2aaada
	v_fmac_f32_e32 v64, v62, v63
	v_mul_f32_e32 v63, 0x3f317218, v56
	v_fma_f32 v65, v56, s77, -v63
	v_fmac_f32_e32 v65, 0xb102e308, v56
	v_sub_f32_e32 v56, v61, v60
	v_sub_f32_e32 v56, v57, v56
	v_add_f32_e32 v57, v63, v65
	v_sub_f32_e32 v60, v57, v63
	v_ldexp_f32 v63, v61, 1
	v_mul_f32_e32 v61, v61, v62
	v_mul_f32_e32 v61, v61, v64
	v_add_f32_e32 v62, v63, v61
	v_sub_f32_e32 v63, v62, v63
	v_ldexp_f32 v56, v56, 1
	v_sub_f32_e32 v61, v61, v63
	v_add_f32_e32 v56, v56, v61
	v_add_f32_e32 v61, v62, v56
	v_sub_f32_e32 v62, v61, v62
	v_sub_f32_e32 v56, v56, v62
	v_add_f32_e32 v62, v57, v61
	v_sub_f32_e32 v63, v62, v57
	v_sub_f32_e32 v64, v62, v63
	;; [unrolled: 1-line block ×5, first 2 shown]
	v_add_f32_e32 v57, v61, v57
	v_add_f32_e32 v61, v60, v56
	v_sub_f32_e32 v63, v61, v60
	v_sub_f32_e32 v64, v61, v63
	;; [unrolled: 1-line block ×4, first 2 shown]
	v_add_f32_e32 v57, v61, v57
	v_add_f32_e32 v56, v56, v60
	;; [unrolled: 1-line block ×3, first 2 shown]
	v_sub_f32_e32 v61, v60, v62
	v_sub_f32_e32 v57, v57, v61
	v_add_f32_e32 v56, v56, v57
	v_add_f32_e32 v56, v60, v56
	v_cmp_neq_f32_e32 vcc, s7, v59
	s_mov_b32 s7, 0x33800000
	v_cndmask_b32_e32 v56, v58, v56, vcc
	v_cmp_lt_f32_e64 vcc, |v59|, s7
	v_cndmask_b32_e32 v56, v56, v59, vcc
	v_add_f32_e32 v17, v17, v56
	v_cvt_f16_f32_e32 v56, v17
.LBB355_163:
	s_or_b64 exec, exec, s[60:61]
	v_and_b32_e32 v17, 0xffff, v56
	v_mov_b32_e32 v64, v56
.LBB355_164:
	s_or_b64 exec, exec, s[74:75]
	v_cmp_gt_u32_e32 vcc, 48, v48
	s_waitcnt lgkmcnt(0)
	v_cndmask_b32_e64 v56, 0, 16, vcc
	v_add_lshl_u32 v56, v56, v18, 2
	ds_bpermute_b32 v58, v56, v17
	v_add_u32_e32 v57, 16, v48
	v_cmp_le_u32_e32 vcc, v57, v14
	s_and_saveexec_b64 s[74:75], vcc
	s_cbranch_execz .LBB355_168
; %bb.165:
	s_waitcnt lgkmcnt(0)
	v_cvt_f32_f16_e32 v17, v58
	v_cvt_f32_f16_e32 v60, v64
	v_cmp_u_f16_e32 vcc, v58, v58
	v_cmp_u_f16_e64 s[60:61], v64, v64
	s_movk_i32 s7, 0x1f8
	v_min_f32_e32 v59, v17, v60
	v_max_f32_e32 v61, v17, v60
	v_cndmask_b32_e32 v59, v59, v17, vcc
	v_cndmask_b32_e32 v17, v61, v17, vcc
	v_cndmask_b32_e64 v59, v59, v60, s[60:61]
	v_cndmask_b32_e64 v17, v17, v60, s[60:61]
	v_cmp_neq_f32_e32 vcc, v59, v17
	v_cmp_class_f32_e64 s[60:61], v59, s7
	s_or_b64 s[78:79], vcc, s[60:61]
	s_and_saveexec_b64 s[60:61], s[78:79]
	s_cbranch_execz .LBB355_167
; %bb.166:
	v_sub_f32_e32 v58, v59, v17
	s_mov_b32 s7, 0x3fb8aa3b
	v_mul_f32_e32 v59, 0x3fb8aa3b, v58
	v_fma_f32 v60, v58, s7, -v59
	v_rndne_f32_e32 v61, v59
	v_fmac_f32_e32 v60, 0x32a5705f, v58
	v_sub_f32_e32 v59, v59, v61
	v_add_f32_e32 v59, v59, v60
	v_exp_f32_e32 v59, v59
	v_cvt_i32_f32_e32 v60, v61
	s_mov_b32 s7, 0xc2ce8ed0
	v_cmp_ngt_f32_e32 vcc, s7, v58
	s_mov_b32 s7, 0x42b17218
	v_ldexp_f32 v59, v59, v60
	v_cndmask_b32_e32 v59, 0, v59, vcc
	v_mov_b32_e32 v60, 0x7f800000
	v_cmp_nlt_f32_e32 vcc, s7, v58
	v_cndmask_b32_e32 v61, v60, v59, vcc
	v_add_f32_e32 v62, 1.0, v61
	v_cvt_f64_f32_e32 v[58:59], v62
	v_add_f32_e32 v63, -1.0, v62
	v_sub_f32_e32 v64, v63, v62
	v_sub_f32_e32 v63, v61, v63
	v_frexp_exp_i32_f64_e32 v58, v[58:59]
	v_add_f32_e32 v59, 1.0, v64
	v_add_f32_e32 v59, v63, v59
	v_frexp_mant_f32_e32 v63, v62
	s_mov_b32 s77, 0x3f2aaaab
	v_cmp_gt_f32_e32 vcc, s77, v63
	s_mov_b32 s77, 0x3f317218
	s_mov_b32 s7, 0x7f800000
	v_subbrev_co_u32_e32 v58, vcc, 0, v58, vcc
	v_sub_u32_e32 v63, 0, v58
	v_ldexp_f32 v62, v62, v63
	v_ldexp_f32 v59, v59, v63
	v_add_f32_e32 v63, -1.0, v62
	v_add_f32_e32 v66, 1.0, v62
	v_add_f32_e32 v64, 1.0, v63
	v_add_f32_e32 v67, -1.0, v66
	v_sub_f32_e32 v64, v62, v64
	v_sub_f32_e32 v62, v62, v67
	v_add_f32_e32 v64, v59, v64
	v_add_f32_e32 v59, v59, v62
	;; [unrolled: 1-line block ×3, first 2 shown]
	v_rcp_f32_e32 v67, v62
	v_add_f32_e32 v65, v63, v64
	v_sub_f32_e32 v63, v63, v65
	v_add_f32_e32 v63, v64, v63
	v_sub_f32_e32 v64, v66, v62
	v_add_f32_e32 v59, v59, v64
	v_mul_f32_e32 v64, v65, v67
	v_mul_f32_e32 v66, v62, v64
	v_fma_f32 v68, v64, v62, -v66
	v_fmac_f32_e32 v68, v64, v59
	v_add_f32_e32 v69, v66, v68
	v_sub_f32_e32 v70, v65, v69
	v_sub_f32_e32 v65, v65, v70
	;; [unrolled: 1-line block ×4, first 2 shown]
	v_add_f32_e32 v63, v63, v65
	v_sub_f32_e32 v65, v66, v68
	v_add_f32_e32 v63, v65, v63
	v_add_f32_e32 v65, v70, v63
	v_mul_f32_e32 v66, v67, v65
	v_mul_f32_e32 v68, v62, v66
	v_fma_f32 v62, v66, v62, -v68
	v_fmac_f32_e32 v62, v66, v59
	v_sub_f32_e32 v59, v70, v65
	v_add_f32_e32 v59, v63, v59
	v_add_f32_e32 v63, v68, v62
	v_sub_f32_e32 v69, v65, v63
	v_sub_f32_e32 v65, v65, v69
	;; [unrolled: 1-line block ×4, first 2 shown]
	v_add_f32_e32 v59, v59, v63
	v_sub_f32_e32 v62, v68, v62
	v_add_f32_e32 v59, v62, v59
	v_add_f32_e32 v62, v64, v66
	;; [unrolled: 1-line block ×3, first 2 shown]
	v_sub_f32_e32 v63, v62, v64
	v_mul_f32_e32 v59, v67, v59
	v_sub_f32_e32 v63, v66, v63
	v_add_f32_e32 v59, v63, v59
	v_cvt_f32_i32_e32 v58, v58
	v_add_f32_e32 v63, v62, v59
	v_mul_f32_e32 v64, v63, v63
	v_mov_b32_e32 v65, 0x3ecc95a3
	v_fmac_f32_e32 v65, 0x3e9b6dac, v64
	v_mov_b32_e32 v66, 0x3f2aaada
	v_fmac_f32_e32 v66, v64, v65
	v_mul_f32_e32 v65, 0x3f317218, v58
	v_fma_f32 v67, v58, s77, -v65
	v_fmac_f32_e32 v67, 0xb102e308, v58
	v_sub_f32_e32 v58, v63, v62
	v_sub_f32_e32 v58, v59, v58
	v_add_f32_e32 v59, v65, v67
	v_sub_f32_e32 v62, v59, v65
	v_ldexp_f32 v65, v63, 1
	v_mul_f32_e32 v63, v63, v64
	v_mul_f32_e32 v63, v63, v66
	v_add_f32_e32 v64, v65, v63
	v_sub_f32_e32 v65, v64, v65
	v_ldexp_f32 v58, v58, 1
	v_sub_f32_e32 v63, v63, v65
	v_add_f32_e32 v58, v58, v63
	v_add_f32_e32 v63, v64, v58
	v_sub_f32_e32 v64, v63, v64
	v_sub_f32_e32 v58, v58, v64
	v_add_f32_e32 v64, v59, v63
	v_sub_f32_e32 v65, v64, v59
	v_sub_f32_e32 v66, v64, v65
	;; [unrolled: 1-line block ×5, first 2 shown]
	v_add_f32_e32 v59, v63, v59
	v_add_f32_e32 v63, v62, v58
	v_sub_f32_e32 v65, v63, v62
	v_sub_f32_e32 v66, v63, v65
	;; [unrolled: 1-line block ×4, first 2 shown]
	v_add_f32_e32 v59, v63, v59
	v_add_f32_e32 v58, v58, v62
	;; [unrolled: 1-line block ×3, first 2 shown]
	v_sub_f32_e32 v63, v62, v64
	v_sub_f32_e32 v59, v59, v63
	v_add_f32_e32 v58, v58, v59
	v_add_f32_e32 v58, v62, v58
	v_cmp_neq_f32_e32 vcc, s7, v61
	s_mov_b32 s7, 0x33800000
	v_cndmask_b32_e32 v58, v60, v58, vcc
	v_cmp_lt_f32_e64 vcc, |v61|, s7
	v_cndmask_b32_e32 v58, v58, v61, vcc
	v_add_f32_e32 v17, v17, v58
	v_cvt_f16_f32_e32 v58, v17
.LBB355_167:
	s_or_b64 exec, exec, s[60:61]
	v_and_b32_e32 v17, 0xffff, v58
	v_mov_b32_e32 v64, v58
.LBB355_168:
	s_or_b64 exec, exec, s[74:75]
	s_waitcnt lgkmcnt(0)
	v_mov_b32_e32 v58, 0x80
	v_lshl_or_b32 v58, v18, 2, v58
	ds_bpermute_b32 v17, v58, v17
	v_add_u32_e32 v60, 32, v48
	v_cmp_le_u32_e32 vcc, v60, v14
	s_and_saveexec_b64 s[74:75], vcc
	s_cbranch_execz .LBB355_172
; %bb.169:
	s_waitcnt lgkmcnt(0)
	v_cvt_f32_f16_e32 v14, v17
	v_cvt_f32_f16_e32 v59, v64
	v_cmp_u_f16_e32 vcc, v17, v17
	v_cmp_u_f16_e64 s[60:61], v64, v64
	s_movk_i32 s7, 0x1f8
	v_min_f32_e32 v18, v14, v59
	v_max_f32_e32 v61, v14, v59
	v_cndmask_b32_e32 v18, v18, v14, vcc
	v_cndmask_b32_e32 v14, v61, v14, vcc
	v_cndmask_b32_e64 v18, v18, v59, s[60:61]
	v_cndmask_b32_e64 v14, v14, v59, s[60:61]
	v_cmp_neq_f32_e32 vcc, v18, v14
	v_cmp_class_f32_e64 s[60:61], v18, s7
	s_or_b64 s[78:79], vcc, s[60:61]
	s_and_saveexec_b64 s[60:61], s[78:79]
	s_cbranch_execz .LBB355_171
; %bb.170:
	v_sub_f32_e32 v17, v18, v14
	s_mov_b32 s7, 0x3fb8aa3b
	v_mul_f32_e32 v18, 0x3fb8aa3b, v17
	v_fma_f32 v59, v17, s7, -v18
	v_rndne_f32_e32 v61, v18
	v_fmac_f32_e32 v59, 0x32a5705f, v17
	v_sub_f32_e32 v18, v18, v61
	v_add_f32_e32 v18, v18, v59
	v_exp_f32_e32 v18, v18
	v_cvt_i32_f32_e32 v59, v61
	s_mov_b32 s7, 0xc2ce8ed0
	v_cmp_ngt_f32_e32 vcc, s7, v17
	s_mov_b32 s7, 0x42b17218
	v_ldexp_f32 v18, v18, v59
	v_cndmask_b32_e32 v18, 0, v18, vcc
	v_mov_b32_e32 v59, 0x7f800000
	v_cmp_nlt_f32_e32 vcc, s7, v17
	v_cndmask_b32_e32 v61, v59, v18, vcc
	v_add_f32_e32 v62, 1.0, v61
	v_cvt_f64_f32_e32 v[17:18], v62
	v_add_f32_e32 v63, -1.0, v62
	v_sub_f32_e32 v64, v63, v62
	v_sub_f32_e32 v63, v61, v63
	v_frexp_exp_i32_f64_e32 v17, v[17:18]
	v_add_f32_e32 v18, 1.0, v64
	v_add_f32_e32 v18, v63, v18
	v_frexp_mant_f32_e32 v63, v62
	s_mov_b32 s77, 0x3f2aaaab
	v_cmp_gt_f32_e32 vcc, s77, v63
	s_mov_b32 s77, 0x3f317218
	s_mov_b32 s7, 0x7f800000
	v_subbrev_co_u32_e32 v17, vcc, 0, v17, vcc
	v_sub_u32_e32 v63, 0, v17
	v_ldexp_f32 v62, v62, v63
	v_ldexp_f32 v18, v18, v63
	v_add_f32_e32 v63, -1.0, v62
	v_add_f32_e32 v66, 1.0, v62
	v_add_f32_e32 v64, 1.0, v63
	v_add_f32_e32 v67, -1.0, v66
	v_sub_f32_e32 v64, v62, v64
	v_sub_f32_e32 v62, v62, v67
	v_add_f32_e32 v64, v18, v64
	v_add_f32_e32 v18, v18, v62
	;; [unrolled: 1-line block ×3, first 2 shown]
	v_rcp_f32_e32 v67, v62
	v_add_f32_e32 v65, v63, v64
	v_sub_f32_e32 v63, v63, v65
	v_add_f32_e32 v63, v64, v63
	v_sub_f32_e32 v64, v66, v62
	v_add_f32_e32 v18, v18, v64
	v_mul_f32_e32 v64, v65, v67
	v_mul_f32_e32 v66, v62, v64
	v_fma_f32 v68, v64, v62, -v66
	v_fmac_f32_e32 v68, v64, v18
	v_add_f32_e32 v69, v66, v68
	v_sub_f32_e32 v70, v65, v69
	v_sub_f32_e32 v65, v65, v70
	;; [unrolled: 1-line block ×4, first 2 shown]
	v_add_f32_e32 v63, v63, v65
	v_sub_f32_e32 v65, v66, v68
	v_add_f32_e32 v63, v65, v63
	v_add_f32_e32 v65, v70, v63
	v_mul_f32_e32 v66, v67, v65
	v_mul_f32_e32 v68, v62, v66
	v_fma_f32 v62, v66, v62, -v68
	v_fmac_f32_e32 v62, v66, v18
	v_sub_f32_e32 v18, v70, v65
	v_add_f32_e32 v18, v63, v18
	v_add_f32_e32 v63, v68, v62
	v_sub_f32_e32 v69, v65, v63
	v_sub_f32_e32 v65, v65, v69
	;; [unrolled: 1-line block ×4, first 2 shown]
	v_add_f32_e32 v18, v18, v63
	v_sub_f32_e32 v62, v68, v62
	v_add_f32_e32 v18, v62, v18
	v_add_f32_e32 v62, v64, v66
	;; [unrolled: 1-line block ×3, first 2 shown]
	v_sub_f32_e32 v63, v62, v64
	v_mul_f32_e32 v18, v67, v18
	v_sub_f32_e32 v63, v66, v63
	v_add_f32_e32 v18, v63, v18
	v_cvt_f32_i32_e32 v17, v17
	v_add_f32_e32 v63, v62, v18
	v_mul_f32_e32 v64, v63, v63
	v_mov_b32_e32 v65, 0x3ecc95a3
	v_fmac_f32_e32 v65, 0x3e9b6dac, v64
	v_mov_b32_e32 v66, 0x3f2aaada
	v_fmac_f32_e32 v66, v64, v65
	v_mul_f32_e32 v65, 0x3f317218, v17
	v_fma_f32 v67, v17, s77, -v65
	v_fmac_f32_e32 v67, 0xb102e308, v17
	v_sub_f32_e32 v17, v63, v62
	v_sub_f32_e32 v17, v18, v17
	v_add_f32_e32 v18, v65, v67
	v_sub_f32_e32 v62, v18, v65
	v_ldexp_f32 v65, v63, 1
	v_mul_f32_e32 v63, v63, v64
	v_mul_f32_e32 v63, v63, v66
	v_add_f32_e32 v64, v65, v63
	v_sub_f32_e32 v65, v64, v65
	v_ldexp_f32 v17, v17, 1
	v_sub_f32_e32 v63, v63, v65
	v_add_f32_e32 v17, v17, v63
	v_add_f32_e32 v63, v64, v17
	v_sub_f32_e32 v64, v63, v64
	v_sub_f32_e32 v17, v17, v64
	v_add_f32_e32 v64, v18, v63
	v_sub_f32_e32 v65, v64, v18
	v_sub_f32_e32 v66, v64, v65
	v_sub_f32_e32 v62, v67, v62
	v_sub_f32_e32 v18, v18, v66
	v_sub_f32_e32 v63, v63, v65
	v_add_f32_e32 v18, v63, v18
	v_add_f32_e32 v63, v62, v17
	v_sub_f32_e32 v65, v63, v62
	v_sub_f32_e32 v66, v63, v65
	;; [unrolled: 1-line block ×4, first 2 shown]
	v_add_f32_e32 v18, v63, v18
	v_add_f32_e32 v17, v17, v62
	;; [unrolled: 1-line block ×3, first 2 shown]
	v_sub_f32_e32 v63, v62, v64
	v_sub_f32_e32 v18, v18, v63
	v_add_f32_e32 v17, v17, v18
	v_add_f32_e32 v17, v62, v17
	v_cmp_neq_f32_e32 vcc, s7, v61
	s_mov_b32 s7, 0x33800000
	v_cndmask_b32_e32 v17, v59, v17, vcc
	v_cmp_lt_f32_e64 vcc, |v61|, s7
	v_cndmask_b32_e32 v17, v17, v61, vcc
	v_add_f32_e32 v14, v14, v17
	v_cvt_f16_f32_e32 v17, v14
.LBB355_171:
	s_or_b64 exec, exec, s[60:61]
	v_mov_b32_e32 v64, v17
.LBB355_172:
	s_or_b64 exec, exec, s[74:75]
	v_mov_b32_e32 v14, 0
	s_movk_i32 s7, 0x1f8
	s_mov_b32 s77, 0x3fb8aa3b
	s_mov_b32 s78, 0xc2ce8ed0
	;; [unrolled: 1-line block ×5, first 2 shown]
	v_mov_b32_e32 v61, 0x3f2aaada
	s_mov_b32 s82, 0x3f317218
	s_mov_b32 s83, 0x33800000
	v_mov_b32_e32 v62, 2
	v_mov_b32_e32 v63, 0x7f800000
	s_branch .LBB355_175
.LBB355_173:                            ;   in Loop: Header=BB355_175 Depth=1
	s_or_b64 exec, exec, s[60:61]
	v_subrev_u32_e32 v13, 64, v13
	s_mov_b64 s[60:61], 0
.LBB355_174:                            ;   in Loop: Header=BB355_175 Depth=1
	s_and_b64 vcc, exec, s[60:61]
	s_cbranch_vccnz .LBB355_207
.LBB355_175:                            ; =>This Loop Header: Depth=1
                                        ;     Child Loop BB355_178 Depth 2
	v_cmp_ne_u16_sdwa s[60:61], v47, v62 src0_sel:BYTE_0 src1_sel:DWORD
	v_mov_b32_e32 v59, v64
	s_cmp_lg_u64 s[60:61], exec
	s_mov_b64 s[60:61], -1
                                        ; implicit-def: $vgpr64
                                        ; implicit-def: $vgpr47
	s_cbranch_scc1 .LBB355_174
; %bb.176:                              ;   in Loop: Header=BB355_175 Depth=1
	s_waitcnt lgkmcnt(0)
	v_lshlrev_b64 v[17:18], 2, v[13:14]
	v_mov_b32_e32 v47, s73
	v_add_co_u32_e32 v17, vcc, s72, v17
	v_addc_co_u32_e32 v18, vcc, v47, v18, vcc
	global_load_dword v64, v[17:18], off glc
	s_waitcnt vmcnt(0)
	v_lshrrev_b32_e32 v47, 16, v64
	v_cmp_eq_u16_sdwa s[74:75], v47, v14 src0_sel:BYTE_0 src1_sel:DWORD
	s_and_saveexec_b64 s[60:61], s[74:75]
	s_cbranch_execz .LBB355_180
; %bb.177:                              ;   in Loop: Header=BB355_175 Depth=1
	s_mov_b64 s[74:75], 0
.LBB355_178:                            ;   Parent Loop BB355_175 Depth=1
                                        ; =>  This Inner Loop Header: Depth=2
	global_load_dword v64, v[17:18], off glc
	s_waitcnt vmcnt(0)
	v_lshrrev_b32_e32 v47, 16, v64
	v_cmp_ne_u16_sdwa s[84:85], v47, v14 src0_sel:BYTE_0 src1_sel:DWORD
	s_or_b64 s[74:75], s[84:85], s[74:75]
	s_andn2_b64 exec, exec, s[74:75]
	s_cbranch_execnz .LBB355_178
; %bb.179:                              ;   in Loop: Header=BB355_175 Depth=1
	s_or_b64 exec, exec, s[74:75]
.LBB355_180:                            ;   in Loop: Header=BB355_175 Depth=1
	s_or_b64 exec, exec, s[60:61]
	v_cmp_eq_u16_sdwa s[60:61], v47, v62 src0_sel:BYTE_0 src1_sel:DWORD
	v_and_b32_e32 v17, s61, v16
	v_and_b32_e32 v18, 0xffff, v64
	v_or_b32_e32 v17, 0x80000000, v17
	ds_bpermute_b32 v65, v49, v18
	v_and_b32_e32 v66, s60, v15
	v_ffbl_b32_e32 v17, v17
	v_add_u32_e32 v17, 32, v17
	v_ffbl_b32_e32 v66, v66
	v_min_u32_e32 v17, v66, v17
	v_cmp_lt_u32_e32 vcc, v48, v17
	s_and_saveexec_b64 s[74:75], vcc
	s_cbranch_execz .LBB355_184
; %bb.181:                              ;   in Loop: Header=BB355_175 Depth=1
	s_waitcnt lgkmcnt(0)
	v_cvt_f32_f16_e32 v18, v65
	v_cvt_f32_f16_e32 v66, v64
	v_cmp_u_f16_e32 vcc, v65, v65
	v_cmp_u_f16_e64 s[60:61], v64, v64
	v_min_f32_e32 v67, v18, v66
	v_cndmask_b32_e32 v67, v67, v18, vcc
	v_cndmask_b32_e64 v64, v67, v66, s[60:61]
	v_max_f32_e32 v67, v18, v66
	v_cndmask_b32_e32 v18, v67, v18, vcc
	v_cndmask_b32_e64 v18, v18, v66, s[60:61]
	v_cmp_neq_f32_e32 vcc, v64, v18
	v_cmp_class_f32_e64 s[60:61], v64, s7
	s_or_b64 s[84:85], vcc, s[60:61]
	s_and_saveexec_b64 s[60:61], s[84:85]
	s_cbranch_execz .LBB355_183
; %bb.182:                              ;   in Loop: Header=BB355_175 Depth=1
	v_sub_f32_e32 v64, v64, v18
	v_mul_f32_e32 v65, 0x3fb8aa3b, v64
	v_fma_f32 v66, v64, s77, -v65
	v_rndne_f32_e32 v67, v65
	v_fmac_f32_e32 v66, 0x32a5705f, v64
	v_sub_f32_e32 v65, v65, v67
	v_add_f32_e32 v65, v65, v66
	v_cvt_i32_f32_e32 v66, v67
	v_exp_f32_e32 v65, v65
	v_cmp_ngt_f32_e32 vcc, s78, v64
	v_ldexp_f32 v65, v65, v66
	v_cndmask_b32_e32 v65, 0, v65, vcc
	v_cmp_nlt_f32_e32 vcc, s79, v64
	v_cndmask_b32_e32 v66, v63, v65, vcc
	v_add_f32_e32 v67, 1.0, v66
	v_cvt_f64_f32_e32 v[64:65], v67
	v_add_f32_e32 v68, -1.0, v67
	v_sub_f32_e32 v69, v68, v67
	v_sub_f32_e32 v68, v66, v68
	v_frexp_exp_i32_f64_e32 v64, v[64:65]
	v_frexp_mant_f32_e32 v65, v67
	v_cmp_gt_f32_e32 vcc, s81, v65
	v_add_f32_e32 v69, 1.0, v69
	v_add_f32_e32 v68, v68, v69
	v_subbrev_co_u32_e32 v64, vcc, 0, v64, vcc
	v_sub_u32_e32 v65, 0, v64
	v_ldexp_f32 v67, v67, v65
	v_ldexp_f32 v65, v68, v65
	v_add_f32_e32 v68, -1.0, v67
	v_add_f32_e32 v71, 1.0, v67
	v_add_f32_e32 v69, 1.0, v68
	v_add_f32_e32 v72, -1.0, v71
	v_sub_f32_e32 v69, v67, v69
	v_sub_f32_e32 v67, v67, v72
	v_add_f32_e32 v69, v65, v69
	v_add_f32_e32 v65, v65, v67
	;; [unrolled: 1-line block ×3, first 2 shown]
	v_rcp_f32_e32 v72, v67
	v_add_f32_e32 v70, v68, v69
	v_sub_f32_e32 v68, v68, v70
	v_add_f32_e32 v68, v69, v68
	v_sub_f32_e32 v69, v71, v67
	v_add_f32_e32 v65, v65, v69
	v_mul_f32_e32 v69, v70, v72
	v_mul_f32_e32 v71, v67, v69
	v_fma_f32 v73, v69, v67, -v71
	v_fmac_f32_e32 v73, v69, v65
	v_add_f32_e32 v74, v71, v73
	v_sub_f32_e32 v75, v70, v74
	v_sub_f32_e32 v70, v70, v75
	;; [unrolled: 1-line block ×4, first 2 shown]
	v_add_f32_e32 v68, v68, v70
	v_sub_f32_e32 v70, v71, v73
	v_add_f32_e32 v68, v70, v68
	v_add_f32_e32 v70, v75, v68
	v_mul_f32_e32 v71, v72, v70
	v_mul_f32_e32 v73, v67, v71
	v_fma_f32 v67, v71, v67, -v73
	v_fmac_f32_e32 v67, v71, v65
	v_sub_f32_e32 v65, v75, v70
	v_add_f32_e32 v65, v68, v65
	v_add_f32_e32 v68, v73, v67
	v_sub_f32_e32 v74, v70, v68
	v_sub_f32_e32 v70, v70, v74
	;; [unrolled: 1-line block ×4, first 2 shown]
	v_add_f32_e32 v65, v65, v68
	v_sub_f32_e32 v67, v73, v67
	v_cvt_f32_i32_e32 v64, v64
	v_add_f32_e32 v65, v67, v65
	v_add_f32_e32 v67, v69, v71
	;; [unrolled: 1-line block ×3, first 2 shown]
	v_sub_f32_e32 v68, v67, v69
	v_mul_f32_e32 v65, v72, v65
	v_sub_f32_e32 v68, v71, v68
	v_add_f32_e32 v65, v68, v65
	v_mul_f32_e32 v71, 0x3f317218, v64
	v_add_f32_e32 v68, v67, v65
	v_fma_f32 v72, v64, s82, -v71
	v_mul_f32_e32 v69, v68, v68
	v_mov_b32_e32 v70, 0x3ecc95a3
	v_fmac_f32_e32 v72, 0xb102e308, v64
	v_sub_f32_e32 v64, v68, v67
	v_fmac_f32_e32 v70, 0x3e9b6dac, v69
	v_sub_f32_e32 v64, v65, v64
	v_add_f32_e32 v65, v71, v72
	v_fma_f32 v70, v69, v70, v61
	v_sub_f32_e32 v67, v65, v71
	v_ldexp_f32 v71, v68, 1
	v_mul_f32_e32 v68, v68, v69
	v_mul_f32_e32 v68, v68, v70
	v_add_f32_e32 v69, v71, v68
	v_sub_f32_e32 v70, v69, v71
	v_ldexp_f32 v64, v64, 1
	v_sub_f32_e32 v68, v68, v70
	v_add_f32_e32 v64, v64, v68
	v_add_f32_e32 v68, v69, v64
	v_sub_f32_e32 v69, v68, v69
	v_sub_f32_e32 v64, v64, v69
	v_add_f32_e32 v69, v65, v68
	v_sub_f32_e32 v70, v69, v65
	v_sub_f32_e32 v71, v69, v70
	;; [unrolled: 1-line block ×5, first 2 shown]
	v_add_f32_e32 v65, v68, v65
	v_add_f32_e32 v68, v67, v64
	v_sub_f32_e32 v70, v68, v67
	v_sub_f32_e32 v71, v68, v70
	;; [unrolled: 1-line block ×4, first 2 shown]
	v_add_f32_e32 v65, v68, v65
	v_add_f32_e32 v64, v64, v67
	;; [unrolled: 1-line block ×3, first 2 shown]
	v_sub_f32_e32 v68, v67, v69
	v_sub_f32_e32 v65, v65, v68
	v_add_f32_e32 v64, v64, v65
	v_add_f32_e32 v64, v67, v64
	v_cmp_neq_f32_e32 vcc, s80, v66
	v_cndmask_b32_e32 v64, v63, v64, vcc
	v_cmp_lt_f32_e64 vcc, |v66|, s83
	v_cndmask_b32_e32 v64, v64, v66, vcc
	v_add_f32_e32 v18, v18, v64
	v_cvt_f16_f32_e32 v65, v18
.LBB355_183:                            ;   in Loop: Header=BB355_175 Depth=1
	s_or_b64 exec, exec, s[60:61]
	v_and_b32_e32 v18, 0xffff, v65
	v_mov_b32_e32 v64, v65
.LBB355_184:                            ;   in Loop: Header=BB355_175 Depth=1
	s_or_b64 exec, exec, s[74:75]
	s_waitcnt lgkmcnt(0)
	ds_bpermute_b32 v65, v50, v18
	v_cmp_le_u32_e32 vcc, v51, v17
	s_and_saveexec_b64 s[74:75], vcc
	s_cbranch_execz .LBB355_188
; %bb.185:                              ;   in Loop: Header=BB355_175 Depth=1
	s_waitcnt lgkmcnt(0)
	v_cvt_f32_f16_e32 v18, v65
	v_cvt_f32_f16_e32 v66, v64
	v_cmp_u_f16_e32 vcc, v65, v65
	v_cmp_u_f16_e64 s[60:61], v64, v64
	v_min_f32_e32 v67, v18, v66
	v_cndmask_b32_e32 v67, v67, v18, vcc
	v_cndmask_b32_e64 v64, v67, v66, s[60:61]
	v_max_f32_e32 v67, v18, v66
	v_cndmask_b32_e32 v18, v67, v18, vcc
	v_cndmask_b32_e64 v18, v18, v66, s[60:61]
	v_cmp_neq_f32_e32 vcc, v64, v18
	v_cmp_class_f32_e64 s[60:61], v64, s7
	s_or_b64 s[84:85], vcc, s[60:61]
	s_and_saveexec_b64 s[60:61], s[84:85]
	s_cbranch_execz .LBB355_187
; %bb.186:                              ;   in Loop: Header=BB355_175 Depth=1
	v_sub_f32_e32 v64, v64, v18
	v_mul_f32_e32 v65, 0x3fb8aa3b, v64
	v_fma_f32 v66, v64, s77, -v65
	v_rndne_f32_e32 v67, v65
	v_fmac_f32_e32 v66, 0x32a5705f, v64
	v_sub_f32_e32 v65, v65, v67
	v_add_f32_e32 v65, v65, v66
	v_cvt_i32_f32_e32 v66, v67
	v_exp_f32_e32 v65, v65
	v_cmp_ngt_f32_e32 vcc, s78, v64
	v_ldexp_f32 v65, v65, v66
	v_cndmask_b32_e32 v65, 0, v65, vcc
	v_cmp_nlt_f32_e32 vcc, s79, v64
	v_cndmask_b32_e32 v66, v63, v65, vcc
	v_add_f32_e32 v67, 1.0, v66
	v_cvt_f64_f32_e32 v[64:65], v67
	v_add_f32_e32 v68, -1.0, v67
	v_sub_f32_e32 v69, v68, v67
	v_sub_f32_e32 v68, v66, v68
	v_frexp_exp_i32_f64_e32 v64, v[64:65]
	v_frexp_mant_f32_e32 v65, v67
	v_cmp_gt_f32_e32 vcc, s81, v65
	v_add_f32_e32 v69, 1.0, v69
	v_add_f32_e32 v68, v68, v69
	v_subbrev_co_u32_e32 v64, vcc, 0, v64, vcc
	v_sub_u32_e32 v65, 0, v64
	v_ldexp_f32 v67, v67, v65
	v_ldexp_f32 v65, v68, v65
	v_add_f32_e32 v68, -1.0, v67
	v_add_f32_e32 v71, 1.0, v67
	v_add_f32_e32 v69, 1.0, v68
	v_add_f32_e32 v72, -1.0, v71
	v_sub_f32_e32 v69, v67, v69
	v_sub_f32_e32 v67, v67, v72
	v_add_f32_e32 v69, v65, v69
	v_add_f32_e32 v65, v65, v67
	;; [unrolled: 1-line block ×3, first 2 shown]
	v_rcp_f32_e32 v72, v67
	v_add_f32_e32 v70, v68, v69
	v_sub_f32_e32 v68, v68, v70
	v_add_f32_e32 v68, v69, v68
	v_sub_f32_e32 v69, v71, v67
	v_add_f32_e32 v65, v65, v69
	v_mul_f32_e32 v69, v70, v72
	v_mul_f32_e32 v71, v67, v69
	v_fma_f32 v73, v69, v67, -v71
	v_fmac_f32_e32 v73, v69, v65
	v_add_f32_e32 v74, v71, v73
	v_sub_f32_e32 v75, v70, v74
	v_sub_f32_e32 v70, v70, v75
	v_sub_f32_e32 v71, v74, v71
	v_sub_f32_e32 v70, v70, v74
	v_add_f32_e32 v68, v68, v70
	v_sub_f32_e32 v70, v71, v73
	v_add_f32_e32 v68, v70, v68
	v_add_f32_e32 v70, v75, v68
	v_mul_f32_e32 v71, v72, v70
	v_mul_f32_e32 v73, v67, v71
	v_fma_f32 v67, v71, v67, -v73
	v_fmac_f32_e32 v67, v71, v65
	v_sub_f32_e32 v65, v75, v70
	v_add_f32_e32 v65, v68, v65
	v_add_f32_e32 v68, v73, v67
	v_sub_f32_e32 v74, v70, v68
	v_sub_f32_e32 v70, v70, v74
	;; [unrolled: 1-line block ×4, first 2 shown]
	v_add_f32_e32 v65, v65, v68
	v_sub_f32_e32 v67, v73, v67
	v_cvt_f32_i32_e32 v64, v64
	v_add_f32_e32 v65, v67, v65
	v_add_f32_e32 v67, v69, v71
	;; [unrolled: 1-line block ×3, first 2 shown]
	v_sub_f32_e32 v68, v67, v69
	v_mul_f32_e32 v65, v72, v65
	v_sub_f32_e32 v68, v71, v68
	v_add_f32_e32 v65, v68, v65
	v_mul_f32_e32 v71, 0x3f317218, v64
	v_add_f32_e32 v68, v67, v65
	v_fma_f32 v72, v64, s82, -v71
	v_mul_f32_e32 v69, v68, v68
	v_mov_b32_e32 v70, 0x3ecc95a3
	v_fmac_f32_e32 v72, 0xb102e308, v64
	v_sub_f32_e32 v64, v68, v67
	v_fmac_f32_e32 v70, 0x3e9b6dac, v69
	v_sub_f32_e32 v64, v65, v64
	v_add_f32_e32 v65, v71, v72
	v_fma_f32 v70, v69, v70, v61
	v_sub_f32_e32 v67, v65, v71
	v_ldexp_f32 v71, v68, 1
	v_mul_f32_e32 v68, v68, v69
	v_mul_f32_e32 v68, v68, v70
	v_add_f32_e32 v69, v71, v68
	v_sub_f32_e32 v70, v69, v71
	v_ldexp_f32 v64, v64, 1
	v_sub_f32_e32 v68, v68, v70
	v_add_f32_e32 v64, v64, v68
	v_add_f32_e32 v68, v69, v64
	v_sub_f32_e32 v69, v68, v69
	v_sub_f32_e32 v64, v64, v69
	v_add_f32_e32 v69, v65, v68
	v_sub_f32_e32 v70, v69, v65
	v_sub_f32_e32 v71, v69, v70
	;; [unrolled: 1-line block ×5, first 2 shown]
	v_add_f32_e32 v65, v68, v65
	v_add_f32_e32 v68, v67, v64
	v_sub_f32_e32 v70, v68, v67
	v_sub_f32_e32 v71, v68, v70
	;; [unrolled: 1-line block ×4, first 2 shown]
	v_add_f32_e32 v65, v68, v65
	v_add_f32_e32 v64, v64, v67
	;; [unrolled: 1-line block ×3, first 2 shown]
	v_sub_f32_e32 v68, v67, v69
	v_sub_f32_e32 v65, v65, v68
	v_add_f32_e32 v64, v64, v65
	v_add_f32_e32 v64, v67, v64
	v_cmp_neq_f32_e32 vcc, s80, v66
	v_cndmask_b32_e32 v64, v63, v64, vcc
	v_cmp_lt_f32_e64 vcc, |v66|, s83
	v_cndmask_b32_e32 v64, v64, v66, vcc
	v_add_f32_e32 v18, v18, v64
	v_cvt_f16_f32_e32 v65, v18
.LBB355_187:                            ;   in Loop: Header=BB355_175 Depth=1
	s_or_b64 exec, exec, s[60:61]
	v_and_b32_e32 v18, 0xffff, v65
	v_mov_b32_e32 v64, v65
.LBB355_188:                            ;   in Loop: Header=BB355_175 Depth=1
	s_or_b64 exec, exec, s[74:75]
	s_waitcnt lgkmcnt(0)
	ds_bpermute_b32 v65, v52, v18
	v_cmp_le_u32_e32 vcc, v53, v17
	s_and_saveexec_b64 s[74:75], vcc
	s_cbranch_execz .LBB355_192
; %bb.189:                              ;   in Loop: Header=BB355_175 Depth=1
	s_waitcnt lgkmcnt(0)
	v_cvt_f32_f16_e32 v18, v65
	v_cvt_f32_f16_e32 v66, v64
	v_cmp_u_f16_e32 vcc, v65, v65
	v_cmp_u_f16_e64 s[60:61], v64, v64
	v_min_f32_e32 v67, v18, v66
	v_cndmask_b32_e32 v67, v67, v18, vcc
	v_cndmask_b32_e64 v64, v67, v66, s[60:61]
	v_max_f32_e32 v67, v18, v66
	v_cndmask_b32_e32 v18, v67, v18, vcc
	v_cndmask_b32_e64 v18, v18, v66, s[60:61]
	v_cmp_neq_f32_e32 vcc, v64, v18
	v_cmp_class_f32_e64 s[60:61], v64, s7
	s_or_b64 s[84:85], vcc, s[60:61]
	s_and_saveexec_b64 s[60:61], s[84:85]
	s_cbranch_execz .LBB355_191
; %bb.190:                              ;   in Loop: Header=BB355_175 Depth=1
	v_sub_f32_e32 v64, v64, v18
	v_mul_f32_e32 v65, 0x3fb8aa3b, v64
	v_fma_f32 v66, v64, s77, -v65
	v_rndne_f32_e32 v67, v65
	v_fmac_f32_e32 v66, 0x32a5705f, v64
	v_sub_f32_e32 v65, v65, v67
	v_add_f32_e32 v65, v65, v66
	v_cvt_i32_f32_e32 v66, v67
	v_exp_f32_e32 v65, v65
	v_cmp_ngt_f32_e32 vcc, s78, v64
	v_ldexp_f32 v65, v65, v66
	v_cndmask_b32_e32 v65, 0, v65, vcc
	v_cmp_nlt_f32_e32 vcc, s79, v64
	v_cndmask_b32_e32 v66, v63, v65, vcc
	v_add_f32_e32 v67, 1.0, v66
	v_cvt_f64_f32_e32 v[64:65], v67
	v_add_f32_e32 v68, -1.0, v67
	v_sub_f32_e32 v69, v68, v67
	v_sub_f32_e32 v68, v66, v68
	v_frexp_exp_i32_f64_e32 v64, v[64:65]
	v_frexp_mant_f32_e32 v65, v67
	v_cmp_gt_f32_e32 vcc, s81, v65
	v_add_f32_e32 v69, 1.0, v69
	v_add_f32_e32 v68, v68, v69
	v_subbrev_co_u32_e32 v64, vcc, 0, v64, vcc
	v_sub_u32_e32 v65, 0, v64
	v_ldexp_f32 v67, v67, v65
	v_ldexp_f32 v65, v68, v65
	v_add_f32_e32 v68, -1.0, v67
	v_add_f32_e32 v71, 1.0, v67
	v_add_f32_e32 v69, 1.0, v68
	v_add_f32_e32 v72, -1.0, v71
	v_sub_f32_e32 v69, v67, v69
	v_sub_f32_e32 v67, v67, v72
	v_add_f32_e32 v69, v65, v69
	v_add_f32_e32 v65, v65, v67
	;; [unrolled: 1-line block ×3, first 2 shown]
	v_rcp_f32_e32 v72, v67
	v_add_f32_e32 v70, v68, v69
	v_sub_f32_e32 v68, v68, v70
	v_add_f32_e32 v68, v69, v68
	v_sub_f32_e32 v69, v71, v67
	v_add_f32_e32 v65, v65, v69
	v_mul_f32_e32 v69, v70, v72
	v_mul_f32_e32 v71, v67, v69
	v_fma_f32 v73, v69, v67, -v71
	v_fmac_f32_e32 v73, v69, v65
	v_add_f32_e32 v74, v71, v73
	v_sub_f32_e32 v75, v70, v74
	v_sub_f32_e32 v70, v70, v75
	;; [unrolled: 1-line block ×4, first 2 shown]
	v_add_f32_e32 v68, v68, v70
	v_sub_f32_e32 v70, v71, v73
	v_add_f32_e32 v68, v70, v68
	v_add_f32_e32 v70, v75, v68
	v_mul_f32_e32 v71, v72, v70
	v_mul_f32_e32 v73, v67, v71
	v_fma_f32 v67, v71, v67, -v73
	v_fmac_f32_e32 v67, v71, v65
	v_sub_f32_e32 v65, v75, v70
	v_add_f32_e32 v65, v68, v65
	v_add_f32_e32 v68, v73, v67
	v_sub_f32_e32 v74, v70, v68
	v_sub_f32_e32 v70, v70, v74
	;; [unrolled: 1-line block ×4, first 2 shown]
	v_add_f32_e32 v65, v65, v68
	v_sub_f32_e32 v67, v73, v67
	v_cvt_f32_i32_e32 v64, v64
	v_add_f32_e32 v65, v67, v65
	v_add_f32_e32 v67, v69, v71
	;; [unrolled: 1-line block ×3, first 2 shown]
	v_sub_f32_e32 v68, v67, v69
	v_mul_f32_e32 v65, v72, v65
	v_sub_f32_e32 v68, v71, v68
	v_add_f32_e32 v65, v68, v65
	v_mul_f32_e32 v71, 0x3f317218, v64
	v_add_f32_e32 v68, v67, v65
	v_fma_f32 v72, v64, s82, -v71
	v_mul_f32_e32 v69, v68, v68
	v_mov_b32_e32 v70, 0x3ecc95a3
	v_fmac_f32_e32 v72, 0xb102e308, v64
	v_sub_f32_e32 v64, v68, v67
	v_fmac_f32_e32 v70, 0x3e9b6dac, v69
	v_sub_f32_e32 v64, v65, v64
	v_add_f32_e32 v65, v71, v72
	v_fma_f32 v70, v69, v70, v61
	v_sub_f32_e32 v67, v65, v71
	v_ldexp_f32 v71, v68, 1
	v_mul_f32_e32 v68, v68, v69
	v_mul_f32_e32 v68, v68, v70
	v_add_f32_e32 v69, v71, v68
	v_sub_f32_e32 v70, v69, v71
	v_ldexp_f32 v64, v64, 1
	v_sub_f32_e32 v68, v68, v70
	v_add_f32_e32 v64, v64, v68
	v_add_f32_e32 v68, v69, v64
	v_sub_f32_e32 v69, v68, v69
	v_sub_f32_e32 v64, v64, v69
	v_add_f32_e32 v69, v65, v68
	v_sub_f32_e32 v70, v69, v65
	v_sub_f32_e32 v71, v69, v70
	;; [unrolled: 1-line block ×5, first 2 shown]
	v_add_f32_e32 v65, v68, v65
	v_add_f32_e32 v68, v67, v64
	v_sub_f32_e32 v70, v68, v67
	v_sub_f32_e32 v71, v68, v70
	;; [unrolled: 1-line block ×4, first 2 shown]
	v_add_f32_e32 v65, v68, v65
	v_add_f32_e32 v64, v64, v67
	;; [unrolled: 1-line block ×3, first 2 shown]
	v_sub_f32_e32 v68, v67, v69
	v_sub_f32_e32 v65, v65, v68
	v_add_f32_e32 v64, v64, v65
	v_add_f32_e32 v64, v67, v64
	v_cmp_neq_f32_e32 vcc, s80, v66
	v_cndmask_b32_e32 v64, v63, v64, vcc
	v_cmp_lt_f32_e64 vcc, |v66|, s83
	v_cndmask_b32_e32 v64, v64, v66, vcc
	v_add_f32_e32 v18, v18, v64
	v_cvt_f16_f32_e32 v65, v18
.LBB355_191:                            ;   in Loop: Header=BB355_175 Depth=1
	s_or_b64 exec, exec, s[60:61]
	v_and_b32_e32 v18, 0xffff, v65
	v_mov_b32_e32 v64, v65
.LBB355_192:                            ;   in Loop: Header=BB355_175 Depth=1
	s_or_b64 exec, exec, s[74:75]
	s_waitcnt lgkmcnt(0)
	ds_bpermute_b32 v65, v54, v18
	v_cmp_le_u32_e32 vcc, v55, v17
	s_and_saveexec_b64 s[74:75], vcc
	s_cbranch_execz .LBB355_196
; %bb.193:                              ;   in Loop: Header=BB355_175 Depth=1
	s_waitcnt lgkmcnt(0)
	v_cvt_f32_f16_e32 v18, v65
	v_cvt_f32_f16_e32 v66, v64
	v_cmp_u_f16_e32 vcc, v65, v65
	v_cmp_u_f16_e64 s[60:61], v64, v64
	v_min_f32_e32 v67, v18, v66
	v_cndmask_b32_e32 v67, v67, v18, vcc
	v_cndmask_b32_e64 v64, v67, v66, s[60:61]
	v_max_f32_e32 v67, v18, v66
	v_cndmask_b32_e32 v18, v67, v18, vcc
	v_cndmask_b32_e64 v18, v18, v66, s[60:61]
	v_cmp_neq_f32_e32 vcc, v64, v18
	v_cmp_class_f32_e64 s[60:61], v64, s7
	s_or_b64 s[84:85], vcc, s[60:61]
	s_and_saveexec_b64 s[60:61], s[84:85]
	s_cbranch_execz .LBB355_195
; %bb.194:                              ;   in Loop: Header=BB355_175 Depth=1
	v_sub_f32_e32 v64, v64, v18
	v_mul_f32_e32 v65, 0x3fb8aa3b, v64
	v_fma_f32 v66, v64, s77, -v65
	v_rndne_f32_e32 v67, v65
	v_fmac_f32_e32 v66, 0x32a5705f, v64
	v_sub_f32_e32 v65, v65, v67
	v_add_f32_e32 v65, v65, v66
	v_cvt_i32_f32_e32 v66, v67
	v_exp_f32_e32 v65, v65
	v_cmp_ngt_f32_e32 vcc, s78, v64
	v_ldexp_f32 v65, v65, v66
	v_cndmask_b32_e32 v65, 0, v65, vcc
	v_cmp_nlt_f32_e32 vcc, s79, v64
	v_cndmask_b32_e32 v66, v63, v65, vcc
	v_add_f32_e32 v67, 1.0, v66
	v_cvt_f64_f32_e32 v[64:65], v67
	v_add_f32_e32 v68, -1.0, v67
	v_sub_f32_e32 v69, v68, v67
	v_sub_f32_e32 v68, v66, v68
	v_frexp_exp_i32_f64_e32 v64, v[64:65]
	v_frexp_mant_f32_e32 v65, v67
	v_cmp_gt_f32_e32 vcc, s81, v65
	v_add_f32_e32 v69, 1.0, v69
	v_add_f32_e32 v68, v68, v69
	v_subbrev_co_u32_e32 v64, vcc, 0, v64, vcc
	v_sub_u32_e32 v65, 0, v64
	v_ldexp_f32 v67, v67, v65
	v_ldexp_f32 v65, v68, v65
	v_add_f32_e32 v68, -1.0, v67
	v_add_f32_e32 v71, 1.0, v67
	v_add_f32_e32 v69, 1.0, v68
	v_add_f32_e32 v72, -1.0, v71
	v_sub_f32_e32 v69, v67, v69
	v_sub_f32_e32 v67, v67, v72
	v_add_f32_e32 v69, v65, v69
	v_add_f32_e32 v65, v65, v67
	;; [unrolled: 1-line block ×3, first 2 shown]
	v_rcp_f32_e32 v72, v67
	v_add_f32_e32 v70, v68, v69
	v_sub_f32_e32 v68, v68, v70
	v_add_f32_e32 v68, v69, v68
	v_sub_f32_e32 v69, v71, v67
	v_add_f32_e32 v65, v65, v69
	v_mul_f32_e32 v69, v70, v72
	v_mul_f32_e32 v71, v67, v69
	v_fma_f32 v73, v69, v67, -v71
	v_fmac_f32_e32 v73, v69, v65
	v_add_f32_e32 v74, v71, v73
	v_sub_f32_e32 v75, v70, v74
	v_sub_f32_e32 v70, v70, v75
	;; [unrolled: 1-line block ×4, first 2 shown]
	v_add_f32_e32 v68, v68, v70
	v_sub_f32_e32 v70, v71, v73
	v_add_f32_e32 v68, v70, v68
	v_add_f32_e32 v70, v75, v68
	v_mul_f32_e32 v71, v72, v70
	v_mul_f32_e32 v73, v67, v71
	v_fma_f32 v67, v71, v67, -v73
	v_fmac_f32_e32 v67, v71, v65
	v_sub_f32_e32 v65, v75, v70
	v_add_f32_e32 v65, v68, v65
	v_add_f32_e32 v68, v73, v67
	v_sub_f32_e32 v74, v70, v68
	v_sub_f32_e32 v70, v70, v74
	v_sub_f32_e32 v73, v68, v73
	v_sub_f32_e32 v68, v70, v68
	v_add_f32_e32 v65, v65, v68
	v_sub_f32_e32 v67, v73, v67
	v_cvt_f32_i32_e32 v64, v64
	v_add_f32_e32 v65, v67, v65
	v_add_f32_e32 v67, v69, v71
	;; [unrolled: 1-line block ×3, first 2 shown]
	v_sub_f32_e32 v68, v67, v69
	v_mul_f32_e32 v65, v72, v65
	v_sub_f32_e32 v68, v71, v68
	v_add_f32_e32 v65, v68, v65
	v_mul_f32_e32 v71, 0x3f317218, v64
	v_add_f32_e32 v68, v67, v65
	v_fma_f32 v72, v64, s82, -v71
	v_mul_f32_e32 v69, v68, v68
	v_mov_b32_e32 v70, 0x3ecc95a3
	v_fmac_f32_e32 v72, 0xb102e308, v64
	v_sub_f32_e32 v64, v68, v67
	v_fmac_f32_e32 v70, 0x3e9b6dac, v69
	v_sub_f32_e32 v64, v65, v64
	v_add_f32_e32 v65, v71, v72
	v_fma_f32 v70, v69, v70, v61
	v_sub_f32_e32 v67, v65, v71
	v_ldexp_f32 v71, v68, 1
	v_mul_f32_e32 v68, v68, v69
	v_mul_f32_e32 v68, v68, v70
	v_add_f32_e32 v69, v71, v68
	v_sub_f32_e32 v70, v69, v71
	v_ldexp_f32 v64, v64, 1
	v_sub_f32_e32 v68, v68, v70
	v_add_f32_e32 v64, v64, v68
	v_add_f32_e32 v68, v69, v64
	v_sub_f32_e32 v69, v68, v69
	v_sub_f32_e32 v64, v64, v69
	v_add_f32_e32 v69, v65, v68
	v_sub_f32_e32 v70, v69, v65
	v_sub_f32_e32 v71, v69, v70
	;; [unrolled: 1-line block ×5, first 2 shown]
	v_add_f32_e32 v65, v68, v65
	v_add_f32_e32 v68, v67, v64
	v_sub_f32_e32 v70, v68, v67
	v_sub_f32_e32 v71, v68, v70
	;; [unrolled: 1-line block ×4, first 2 shown]
	v_add_f32_e32 v65, v68, v65
	v_add_f32_e32 v64, v64, v67
	;; [unrolled: 1-line block ×3, first 2 shown]
	v_sub_f32_e32 v68, v67, v69
	v_sub_f32_e32 v65, v65, v68
	v_add_f32_e32 v64, v64, v65
	v_add_f32_e32 v64, v67, v64
	v_cmp_neq_f32_e32 vcc, s80, v66
	v_cndmask_b32_e32 v64, v63, v64, vcc
	v_cmp_lt_f32_e64 vcc, |v66|, s83
	v_cndmask_b32_e32 v64, v64, v66, vcc
	v_add_f32_e32 v18, v18, v64
	v_cvt_f16_f32_e32 v65, v18
.LBB355_195:                            ;   in Loop: Header=BB355_175 Depth=1
	s_or_b64 exec, exec, s[60:61]
	v_and_b32_e32 v18, 0xffff, v65
	v_mov_b32_e32 v64, v65
.LBB355_196:                            ;   in Loop: Header=BB355_175 Depth=1
	s_or_b64 exec, exec, s[74:75]
	s_waitcnt lgkmcnt(0)
	ds_bpermute_b32 v65, v56, v18
	v_cmp_le_u32_e32 vcc, v57, v17
	s_and_saveexec_b64 s[74:75], vcc
	s_cbranch_execz .LBB355_200
; %bb.197:                              ;   in Loop: Header=BB355_175 Depth=1
	s_waitcnt lgkmcnt(0)
	v_cvt_f32_f16_e32 v18, v65
	v_cvt_f32_f16_e32 v66, v64
	v_cmp_u_f16_e32 vcc, v65, v65
	v_cmp_u_f16_e64 s[60:61], v64, v64
	v_min_f32_e32 v67, v18, v66
	v_cndmask_b32_e32 v67, v67, v18, vcc
	v_cndmask_b32_e64 v64, v67, v66, s[60:61]
	v_max_f32_e32 v67, v18, v66
	v_cndmask_b32_e32 v18, v67, v18, vcc
	v_cndmask_b32_e64 v18, v18, v66, s[60:61]
	v_cmp_neq_f32_e32 vcc, v64, v18
	v_cmp_class_f32_e64 s[60:61], v64, s7
	s_or_b64 s[84:85], vcc, s[60:61]
	s_and_saveexec_b64 s[60:61], s[84:85]
	s_cbranch_execz .LBB355_199
; %bb.198:                              ;   in Loop: Header=BB355_175 Depth=1
	v_sub_f32_e32 v64, v64, v18
	v_mul_f32_e32 v65, 0x3fb8aa3b, v64
	v_fma_f32 v66, v64, s77, -v65
	v_rndne_f32_e32 v67, v65
	v_fmac_f32_e32 v66, 0x32a5705f, v64
	v_sub_f32_e32 v65, v65, v67
	v_add_f32_e32 v65, v65, v66
	v_cvt_i32_f32_e32 v66, v67
	v_exp_f32_e32 v65, v65
	v_cmp_ngt_f32_e32 vcc, s78, v64
	v_ldexp_f32 v65, v65, v66
	v_cndmask_b32_e32 v65, 0, v65, vcc
	v_cmp_nlt_f32_e32 vcc, s79, v64
	v_cndmask_b32_e32 v66, v63, v65, vcc
	v_add_f32_e32 v67, 1.0, v66
	v_cvt_f64_f32_e32 v[64:65], v67
	v_add_f32_e32 v68, -1.0, v67
	v_sub_f32_e32 v69, v68, v67
	v_sub_f32_e32 v68, v66, v68
	v_frexp_exp_i32_f64_e32 v64, v[64:65]
	v_frexp_mant_f32_e32 v65, v67
	v_cmp_gt_f32_e32 vcc, s81, v65
	v_add_f32_e32 v69, 1.0, v69
	v_add_f32_e32 v68, v68, v69
	v_subbrev_co_u32_e32 v64, vcc, 0, v64, vcc
	v_sub_u32_e32 v65, 0, v64
	v_ldexp_f32 v67, v67, v65
	v_ldexp_f32 v65, v68, v65
	v_add_f32_e32 v68, -1.0, v67
	v_add_f32_e32 v71, 1.0, v67
	v_add_f32_e32 v69, 1.0, v68
	v_add_f32_e32 v72, -1.0, v71
	v_sub_f32_e32 v69, v67, v69
	v_sub_f32_e32 v67, v67, v72
	v_add_f32_e32 v69, v65, v69
	v_add_f32_e32 v65, v65, v67
	;; [unrolled: 1-line block ×3, first 2 shown]
	v_rcp_f32_e32 v72, v67
	v_add_f32_e32 v70, v68, v69
	v_sub_f32_e32 v68, v68, v70
	v_add_f32_e32 v68, v69, v68
	v_sub_f32_e32 v69, v71, v67
	v_add_f32_e32 v65, v65, v69
	v_mul_f32_e32 v69, v70, v72
	v_mul_f32_e32 v71, v67, v69
	v_fma_f32 v73, v69, v67, -v71
	v_fmac_f32_e32 v73, v69, v65
	v_add_f32_e32 v74, v71, v73
	v_sub_f32_e32 v75, v70, v74
	v_sub_f32_e32 v70, v70, v75
	v_sub_f32_e32 v71, v74, v71
	v_sub_f32_e32 v70, v70, v74
	v_add_f32_e32 v68, v68, v70
	v_sub_f32_e32 v70, v71, v73
	v_add_f32_e32 v68, v70, v68
	v_add_f32_e32 v70, v75, v68
	v_mul_f32_e32 v71, v72, v70
	v_mul_f32_e32 v73, v67, v71
	v_fma_f32 v67, v71, v67, -v73
	v_fmac_f32_e32 v67, v71, v65
	v_sub_f32_e32 v65, v75, v70
	v_add_f32_e32 v65, v68, v65
	v_add_f32_e32 v68, v73, v67
	v_sub_f32_e32 v74, v70, v68
	v_sub_f32_e32 v70, v70, v74
	;; [unrolled: 1-line block ×4, first 2 shown]
	v_add_f32_e32 v65, v65, v68
	v_sub_f32_e32 v67, v73, v67
	v_cvt_f32_i32_e32 v64, v64
	v_add_f32_e32 v65, v67, v65
	v_add_f32_e32 v67, v69, v71
	;; [unrolled: 1-line block ×3, first 2 shown]
	v_sub_f32_e32 v68, v67, v69
	v_mul_f32_e32 v65, v72, v65
	v_sub_f32_e32 v68, v71, v68
	v_add_f32_e32 v65, v68, v65
	v_mul_f32_e32 v71, 0x3f317218, v64
	v_add_f32_e32 v68, v67, v65
	v_fma_f32 v72, v64, s82, -v71
	v_mul_f32_e32 v69, v68, v68
	v_mov_b32_e32 v70, 0x3ecc95a3
	v_fmac_f32_e32 v72, 0xb102e308, v64
	v_sub_f32_e32 v64, v68, v67
	v_fmac_f32_e32 v70, 0x3e9b6dac, v69
	v_sub_f32_e32 v64, v65, v64
	v_add_f32_e32 v65, v71, v72
	v_fma_f32 v70, v69, v70, v61
	v_sub_f32_e32 v67, v65, v71
	v_ldexp_f32 v71, v68, 1
	v_mul_f32_e32 v68, v68, v69
	v_mul_f32_e32 v68, v68, v70
	v_add_f32_e32 v69, v71, v68
	v_sub_f32_e32 v70, v69, v71
	v_ldexp_f32 v64, v64, 1
	v_sub_f32_e32 v68, v68, v70
	v_add_f32_e32 v64, v64, v68
	v_add_f32_e32 v68, v69, v64
	v_sub_f32_e32 v69, v68, v69
	v_sub_f32_e32 v64, v64, v69
	v_add_f32_e32 v69, v65, v68
	v_sub_f32_e32 v70, v69, v65
	v_sub_f32_e32 v71, v69, v70
	;; [unrolled: 1-line block ×5, first 2 shown]
	v_add_f32_e32 v65, v68, v65
	v_add_f32_e32 v68, v67, v64
	v_sub_f32_e32 v70, v68, v67
	v_sub_f32_e32 v71, v68, v70
	v_sub_f32_e32 v67, v67, v71
	v_sub_f32_e32 v64, v64, v70
	v_add_f32_e32 v65, v68, v65
	v_add_f32_e32 v64, v64, v67
	;; [unrolled: 1-line block ×3, first 2 shown]
	v_sub_f32_e32 v68, v67, v69
	v_sub_f32_e32 v65, v65, v68
	v_add_f32_e32 v64, v64, v65
	v_add_f32_e32 v64, v67, v64
	v_cmp_neq_f32_e32 vcc, s80, v66
	v_cndmask_b32_e32 v64, v63, v64, vcc
	v_cmp_lt_f32_e64 vcc, |v66|, s83
	v_cndmask_b32_e32 v64, v64, v66, vcc
	v_add_f32_e32 v18, v18, v64
	v_cvt_f16_f32_e32 v65, v18
.LBB355_199:                            ;   in Loop: Header=BB355_175 Depth=1
	s_or_b64 exec, exec, s[60:61]
	v_and_b32_e32 v18, 0xffff, v65
	v_mov_b32_e32 v64, v65
.LBB355_200:                            ;   in Loop: Header=BB355_175 Depth=1
	s_or_b64 exec, exec, s[74:75]
	ds_bpermute_b32 v18, v58, v18
	v_cmp_le_u32_e32 vcc, v60, v17
	s_and_saveexec_b64 s[74:75], vcc
	s_cbranch_execz .LBB355_204
; %bb.201:                              ;   in Loop: Header=BB355_175 Depth=1
	s_waitcnt lgkmcnt(0)
	v_cvt_f32_f16_e32 v17, v18
	v_cvt_f32_f16_e32 v65, v64
	v_cmp_u_f16_e32 vcc, v18, v18
	v_cmp_u_f16_e64 s[60:61], v64, v64
	v_min_f32_e32 v66, v17, v65
	v_cndmask_b32_e32 v66, v66, v17, vcc
	v_cndmask_b32_e64 v64, v66, v65, s[60:61]
	v_max_f32_e32 v66, v17, v65
	v_cndmask_b32_e32 v17, v66, v17, vcc
	v_cndmask_b32_e64 v17, v17, v65, s[60:61]
	v_cmp_neq_f32_e32 vcc, v64, v17
	v_cmp_class_f32_e64 s[60:61], v64, s7
	s_or_b64 s[84:85], vcc, s[60:61]
	s_and_saveexec_b64 s[60:61], s[84:85]
	s_cbranch_execz .LBB355_203
; %bb.202:                              ;   in Loop: Header=BB355_175 Depth=1
	v_sub_f32_e32 v18, v64, v17
	v_mul_f32_e32 v64, 0x3fb8aa3b, v18
	v_fma_f32 v65, v18, s77, -v64
	v_rndne_f32_e32 v66, v64
	v_fmac_f32_e32 v65, 0x32a5705f, v18
	v_sub_f32_e32 v64, v64, v66
	v_add_f32_e32 v64, v64, v65
	v_cvt_i32_f32_e32 v65, v66
	v_exp_f32_e32 v64, v64
	v_cmp_ngt_f32_e32 vcc, s78, v18
	v_ldexp_f32 v64, v64, v65
	v_cndmask_b32_e32 v64, 0, v64, vcc
	v_cmp_nlt_f32_e32 vcc, s79, v18
	v_cndmask_b32_e32 v18, v63, v64, vcc
	v_add_f32_e32 v66, 1.0, v18
	v_cvt_f64_f32_e32 v[64:65], v66
	v_add_f32_e32 v67, -1.0, v66
	v_sub_f32_e32 v68, v67, v66
	v_sub_f32_e32 v67, v18, v67
	v_frexp_exp_i32_f64_e32 v64, v[64:65]
	v_frexp_mant_f32_e32 v65, v66
	v_cmp_gt_f32_e32 vcc, s81, v65
	v_add_f32_e32 v68, 1.0, v68
	v_add_f32_e32 v67, v67, v68
	v_subbrev_co_u32_e32 v64, vcc, 0, v64, vcc
	v_sub_u32_e32 v65, 0, v64
	v_ldexp_f32 v66, v66, v65
	v_ldexp_f32 v65, v67, v65
	v_add_f32_e32 v67, -1.0, v66
	v_add_f32_e32 v70, 1.0, v66
	v_add_f32_e32 v68, 1.0, v67
	v_add_f32_e32 v71, -1.0, v70
	v_sub_f32_e32 v68, v66, v68
	v_sub_f32_e32 v66, v66, v71
	v_add_f32_e32 v68, v65, v68
	v_add_f32_e32 v65, v65, v66
	v_add_f32_e32 v66, v70, v65
	v_rcp_f32_e32 v71, v66
	v_add_f32_e32 v69, v67, v68
	v_sub_f32_e32 v67, v67, v69
	v_add_f32_e32 v67, v68, v67
	v_sub_f32_e32 v68, v70, v66
	v_add_f32_e32 v65, v65, v68
	v_mul_f32_e32 v68, v69, v71
	v_mul_f32_e32 v70, v66, v68
	v_fma_f32 v72, v68, v66, -v70
	v_fmac_f32_e32 v72, v68, v65
	v_add_f32_e32 v73, v70, v72
	v_sub_f32_e32 v74, v69, v73
	v_sub_f32_e32 v69, v69, v74
	;; [unrolled: 1-line block ×4, first 2 shown]
	v_add_f32_e32 v67, v67, v69
	v_sub_f32_e32 v69, v70, v72
	v_add_f32_e32 v67, v69, v67
	v_add_f32_e32 v69, v74, v67
	v_mul_f32_e32 v70, v71, v69
	v_mul_f32_e32 v72, v66, v70
	v_fma_f32 v66, v70, v66, -v72
	v_fmac_f32_e32 v66, v70, v65
	v_sub_f32_e32 v65, v74, v69
	v_add_f32_e32 v65, v67, v65
	v_add_f32_e32 v67, v72, v66
	v_sub_f32_e32 v73, v69, v67
	v_sub_f32_e32 v69, v69, v73
	v_sub_f32_e32 v72, v67, v72
	v_sub_f32_e32 v67, v69, v67
	v_add_f32_e32 v65, v65, v67
	v_sub_f32_e32 v66, v72, v66
	v_cvt_f32_i32_e32 v64, v64
	v_add_f32_e32 v65, v66, v65
	v_add_f32_e32 v66, v68, v70
	;; [unrolled: 1-line block ×3, first 2 shown]
	v_sub_f32_e32 v67, v66, v68
	v_mul_f32_e32 v65, v71, v65
	v_sub_f32_e32 v67, v70, v67
	v_add_f32_e32 v65, v67, v65
	v_mul_f32_e32 v70, 0x3f317218, v64
	v_add_f32_e32 v67, v66, v65
	v_fma_f32 v71, v64, s82, -v70
	v_mul_f32_e32 v68, v67, v67
	v_mov_b32_e32 v69, 0x3ecc95a3
	v_fmac_f32_e32 v71, 0xb102e308, v64
	v_sub_f32_e32 v64, v67, v66
	v_fmac_f32_e32 v69, 0x3e9b6dac, v68
	v_sub_f32_e32 v64, v65, v64
	v_add_f32_e32 v65, v70, v71
	v_fma_f32 v69, v68, v69, v61
	v_sub_f32_e32 v66, v65, v70
	v_ldexp_f32 v70, v67, 1
	v_mul_f32_e32 v67, v67, v68
	v_mul_f32_e32 v67, v67, v69
	v_add_f32_e32 v68, v70, v67
	v_sub_f32_e32 v69, v68, v70
	v_ldexp_f32 v64, v64, 1
	v_sub_f32_e32 v67, v67, v69
	v_add_f32_e32 v64, v64, v67
	v_add_f32_e32 v67, v68, v64
	v_sub_f32_e32 v68, v67, v68
	v_sub_f32_e32 v64, v64, v68
	v_add_f32_e32 v68, v65, v67
	v_sub_f32_e32 v69, v68, v65
	v_sub_f32_e32 v70, v68, v69
	;; [unrolled: 1-line block ×5, first 2 shown]
	v_add_f32_e32 v65, v67, v65
	v_add_f32_e32 v67, v66, v64
	v_sub_f32_e32 v69, v67, v66
	v_sub_f32_e32 v70, v67, v69
	;; [unrolled: 1-line block ×4, first 2 shown]
	v_add_f32_e32 v65, v67, v65
	v_add_f32_e32 v64, v64, v66
	;; [unrolled: 1-line block ×3, first 2 shown]
	v_sub_f32_e32 v67, v66, v68
	v_sub_f32_e32 v65, v65, v67
	v_add_f32_e32 v64, v64, v65
	v_add_f32_e32 v64, v66, v64
	v_cmp_neq_f32_e32 vcc, s80, v18
	v_cndmask_b32_e32 v64, v63, v64, vcc
	v_cmp_lt_f32_e64 vcc, |v18|, s83
	v_cndmask_b32_e32 v18, v64, v18, vcc
	v_add_f32_e32 v17, v17, v18
	v_cvt_f16_f32_e32 v18, v17
.LBB355_203:                            ;   in Loop: Header=BB355_175 Depth=1
	s_or_b64 exec, exec, s[60:61]
	v_mov_b32_e32 v64, v18
.LBB355_204:                            ;   in Loop: Header=BB355_175 Depth=1
	s_or_b64 exec, exec, s[74:75]
	v_cvt_f32_f16_e32 v17, v64
	s_waitcnt lgkmcnt(1)
	v_cvt_f32_f16_e32 v65, v59
	v_cmp_u_f16_e32 vcc, v64, v64
	v_cmp_u_f16_e64 s[60:61], v59, v59
	s_waitcnt lgkmcnt(0)
	v_min_f32_e32 v18, v17, v65
	v_max_f32_e32 v66, v17, v65
	v_cndmask_b32_e32 v18, v18, v17, vcc
	v_cndmask_b32_e32 v17, v66, v17, vcc
	v_cndmask_b32_e64 v18, v18, v65, s[60:61]
	v_cndmask_b32_e64 v17, v17, v65, s[60:61]
	v_cmp_neq_f32_e32 vcc, v18, v17
	v_cmp_class_f32_e64 s[60:61], v18, s7
	s_or_b64 s[60:61], vcc, s[60:61]
	s_and_saveexec_b64 s[74:75], s[60:61]
	s_xor_b64 s[60:61], exec, s[74:75]
	s_cbranch_execz .LBB355_173
; %bb.205:                              ;   in Loop: Header=BB355_175 Depth=1
	v_sub_f32_e32 v18, v18, v17
	v_mul_f32_e32 v64, 0x3fb8aa3b, v18
	v_fma_f32 v65, v18, s77, -v64
	v_rndne_f32_e32 v66, v64
	v_fmac_f32_e32 v65, 0x32a5705f, v18
	v_sub_f32_e32 v64, v64, v66
	v_add_f32_e32 v64, v64, v65
	v_cvt_i32_f32_e32 v65, v66
	v_exp_f32_e32 v64, v64
	v_cmp_ngt_f32_e32 vcc, s78, v18
	v_ldexp_f32 v64, v64, v65
	v_cndmask_b32_e32 v64, 0, v64, vcc
	v_cmp_nlt_f32_e32 vcc, s79, v18
	v_cndmask_b32_e32 v18, v63, v64, vcc
	v_add_f32_e32 v66, 1.0, v18
	v_cvt_f64_f32_e32 v[64:65], v66
	v_add_f32_e32 v67, -1.0, v66
	v_sub_f32_e32 v68, v67, v66
	v_sub_f32_e32 v67, v18, v67
	v_frexp_exp_i32_f64_e32 v64, v[64:65]
	v_frexp_mant_f32_e32 v65, v66
	v_cmp_gt_f32_e32 vcc, s81, v65
	v_add_f32_e32 v68, 1.0, v68
	v_add_f32_e32 v67, v67, v68
	v_subbrev_co_u32_e32 v64, vcc, 0, v64, vcc
	v_sub_u32_e32 v65, 0, v64
	v_ldexp_f32 v66, v66, v65
	v_ldexp_f32 v65, v67, v65
	v_add_f32_e32 v67, -1.0, v66
	v_add_f32_e32 v70, 1.0, v66
	v_add_f32_e32 v68, 1.0, v67
	v_add_f32_e32 v71, -1.0, v70
	v_sub_f32_e32 v68, v66, v68
	v_sub_f32_e32 v66, v66, v71
	v_add_f32_e32 v68, v65, v68
	v_add_f32_e32 v65, v65, v66
	;; [unrolled: 1-line block ×3, first 2 shown]
	v_rcp_f32_e32 v71, v66
	v_add_f32_e32 v69, v67, v68
	v_sub_f32_e32 v67, v67, v69
	v_add_f32_e32 v67, v68, v67
	v_sub_f32_e32 v68, v70, v66
	v_add_f32_e32 v65, v65, v68
	v_mul_f32_e32 v68, v69, v71
	v_mul_f32_e32 v70, v66, v68
	v_fma_f32 v72, v68, v66, -v70
	v_fmac_f32_e32 v72, v68, v65
	v_add_f32_e32 v73, v70, v72
	v_sub_f32_e32 v74, v69, v73
	v_sub_f32_e32 v69, v69, v74
	;; [unrolled: 1-line block ×4, first 2 shown]
	v_add_f32_e32 v67, v67, v69
	v_sub_f32_e32 v69, v70, v72
	v_add_f32_e32 v67, v69, v67
	v_add_f32_e32 v69, v74, v67
	v_mul_f32_e32 v70, v71, v69
	v_mul_f32_e32 v72, v66, v70
	v_fma_f32 v66, v70, v66, -v72
	v_fmac_f32_e32 v66, v70, v65
	v_sub_f32_e32 v65, v74, v69
	v_add_f32_e32 v65, v67, v65
	v_add_f32_e32 v67, v72, v66
	v_sub_f32_e32 v73, v69, v67
	v_sub_f32_e32 v69, v69, v73
	;; [unrolled: 1-line block ×4, first 2 shown]
	v_add_f32_e32 v65, v65, v67
	v_sub_f32_e32 v66, v72, v66
	v_cvt_f32_i32_e32 v64, v64
	v_add_f32_e32 v65, v66, v65
	v_add_f32_e32 v66, v68, v70
	v_add_f32_e32 v65, v73, v65
	v_sub_f32_e32 v67, v66, v68
	v_mul_f32_e32 v65, v71, v65
	v_sub_f32_e32 v67, v70, v67
	v_add_f32_e32 v65, v67, v65
	v_mul_f32_e32 v70, 0x3f317218, v64
	v_add_f32_e32 v67, v66, v65
	v_fma_f32 v71, v64, s82, -v70
	v_mul_f32_e32 v68, v67, v67
	v_mov_b32_e32 v69, 0x3ecc95a3
	v_fmac_f32_e32 v71, 0xb102e308, v64
	v_sub_f32_e32 v64, v67, v66
	v_fmac_f32_e32 v69, 0x3e9b6dac, v68
	v_sub_f32_e32 v64, v65, v64
	v_add_f32_e32 v65, v70, v71
	v_fma_f32 v69, v68, v69, v61
	v_sub_f32_e32 v66, v65, v70
	v_ldexp_f32 v70, v67, 1
	v_mul_f32_e32 v67, v67, v68
	v_mul_f32_e32 v67, v67, v69
	v_add_f32_e32 v68, v70, v67
	v_sub_f32_e32 v69, v68, v70
	v_ldexp_f32 v64, v64, 1
	v_sub_f32_e32 v67, v67, v69
	v_add_f32_e32 v64, v64, v67
	v_add_f32_e32 v67, v68, v64
	v_sub_f32_e32 v68, v67, v68
	v_sub_f32_e32 v64, v64, v68
	v_add_f32_e32 v68, v65, v67
	v_sub_f32_e32 v69, v68, v65
	v_sub_f32_e32 v70, v68, v69
	;; [unrolled: 1-line block ×5, first 2 shown]
	v_add_f32_e32 v65, v67, v65
	v_add_f32_e32 v67, v66, v64
	v_sub_f32_e32 v69, v67, v66
	v_sub_f32_e32 v70, v67, v69
	;; [unrolled: 1-line block ×4, first 2 shown]
	v_add_f32_e32 v65, v67, v65
	v_add_f32_e32 v64, v64, v66
	;; [unrolled: 1-line block ×3, first 2 shown]
	v_sub_f32_e32 v67, v66, v68
	v_sub_f32_e32 v65, v65, v67
	v_add_f32_e32 v64, v64, v65
	v_add_f32_e32 v64, v66, v64
	v_cmp_neq_f32_e32 vcc, s80, v18
	v_cndmask_b32_e32 v64, v63, v64, vcc
	v_cmp_lt_f32_e64 vcc, |v18|, s83
	v_cndmask_b32_e32 v18, v64, v18, vcc
	v_add_f32_e32 v17, v17, v18
	v_cvt_f16_f32_e32 v64, v17
	s_branch .LBB355_173
.LBB355_206:
                                        ; implicit-def: $vgpr13
                                        ; implicit-def: $vgpr14
                                        ; implicit-def: $vgpr15
                                        ; implicit-def: $vgpr16
                                        ; implicit-def: $vgpr18
                                        ; implicit-def: $vgpr22
                                        ; implicit-def: $vgpr44
                                        ; implicit-def: $vgpr23
                                        ; implicit-def: $vgpr45
                                        ; implicit-def: $vgpr24
                                        ; implicit-def: $vgpr46
                                        ; implicit-def: $vgpr25
                                        ; implicit-def: $vgpr32
                                        ; implicit-def: $vgpr26
                                        ; implicit-def: $vgpr33
                                        ; implicit-def: $vgpr27
                                        ; implicit-def: $vgpr34
                                        ; implicit-def: $vgpr28
                                        ; implicit-def: $vgpr35
                                        ; implicit-def: $vgpr29
                                        ; implicit-def: $vgpr36
                                        ; implicit-def: $vgpr30
                                        ; implicit-def: $vgpr37
                                        ; implicit-def: $vgpr17
	s_load_dwordx8 s[56:63], s[4:5], 0x38
	s_cbranch_execnz .LBB355_266
	s_branch .LBB355_409
.LBB355_207:
	s_and_saveexec_b64 s[60:61], s[56:57]
	s_cbranch_execz .LBB355_211
; %bb.208:
	v_cvt_f32_f16_e32 v13, v59
	v_cvt_f32_f16_e32 v14, v46
	v_cmp_u_f16_e32 vcc, v59, v59
	v_cmp_u_f16_e64 s[56:57], v46, v46
	s_movk_i32 s7, 0x1f8
	v_min_f32_e32 v15, v13, v14
	v_max_f32_e32 v16, v13, v14
	v_cndmask_b32_e32 v15, v15, v13, vcc
	v_cndmask_b32_e32 v13, v16, v13, vcc
	v_cndmask_b32_e64 v15, v15, v14, s[56:57]
	v_cndmask_b32_e64 v13, v13, v14, s[56:57]
	v_cmp_neq_f32_e32 vcc, v15, v13
	v_cmp_class_f32_e64 s[56:57], v15, s7
	s_or_b64 s[74:75], vcc, s[56:57]
	v_mov_b32_e32 v14, v59
	s_and_saveexec_b64 s[56:57], s[74:75]
	s_cbranch_execz .LBB355_210
; %bb.209:
	v_sub_f32_e32 v14, v15, v13
	s_mov_b32 s7, 0x3fb8aa3b
	v_mul_f32_e32 v15, 0x3fb8aa3b, v14
	v_fma_f32 v16, v14, s7, -v15
	s_waitcnt lgkmcnt(0)
	v_rndne_f32_e32 v17, v15
	v_fmac_f32_e32 v16, 0x32a5705f, v14
	v_sub_f32_e32 v15, v15, v17
	v_add_f32_e32 v15, v15, v16
	v_exp_f32_e32 v15, v15
	v_cvt_i32_f32_e32 v16, v17
	s_mov_b32 s7, 0xc2ce8ed0
	v_cmp_ngt_f32_e32 vcc, s7, v14
	s_mov_b32 s7, 0x42b17218
	v_ldexp_f32 v15, v15, v16
	v_cndmask_b32_e32 v15, 0, v15, vcc
	v_mov_b32_e32 v16, 0x7f800000
	v_cmp_nlt_f32_e32 vcc, s7, v14
	v_cndmask_b32_e32 v17, v16, v15, vcc
	v_add_f32_e32 v18, 1.0, v17
	v_cvt_f64_f32_e32 v[14:15], v18
	v_add_f32_e32 v46, -1.0, v18
	v_sub_f32_e32 v47, v46, v18
	v_sub_f32_e32 v46, v17, v46
	v_frexp_exp_i32_f64_e32 v14, v[14:15]
	v_add_f32_e32 v15, 1.0, v47
	v_add_f32_e32 v15, v46, v15
	v_frexp_mant_f32_e32 v46, v18
	s_mov_b32 s74, 0x3f2aaaab
	v_cmp_gt_f32_e32 vcc, s74, v46
	s_mov_b32 s74, 0x3f317218
	s_mov_b32 s7, 0x7f800000
	v_subbrev_co_u32_e32 v14, vcc, 0, v14, vcc
	v_sub_u32_e32 v46, 0, v14
	v_ldexp_f32 v18, v18, v46
	v_ldexp_f32 v15, v15, v46
	v_add_f32_e32 v46, -1.0, v18
	v_add_f32_e32 v49, 1.0, v18
	v_add_f32_e32 v47, 1.0, v46
	v_add_f32_e32 v50, -1.0, v49
	v_sub_f32_e32 v47, v18, v47
	v_sub_f32_e32 v18, v18, v50
	v_add_f32_e32 v47, v15, v47
	v_add_f32_e32 v15, v15, v18
	;; [unrolled: 1-line block ×3, first 2 shown]
	v_rcp_f32_e32 v50, v18
	v_add_f32_e32 v48, v46, v47
	v_sub_f32_e32 v46, v46, v48
	v_add_f32_e32 v46, v47, v46
	v_sub_f32_e32 v47, v49, v18
	v_add_f32_e32 v15, v15, v47
	v_mul_f32_e32 v47, v48, v50
	v_mul_f32_e32 v49, v18, v47
	v_fma_f32 v51, v47, v18, -v49
	v_fmac_f32_e32 v51, v47, v15
	v_add_f32_e32 v52, v49, v51
	v_sub_f32_e32 v53, v48, v52
	v_sub_f32_e32 v48, v48, v53
	;; [unrolled: 1-line block ×4, first 2 shown]
	v_add_f32_e32 v46, v46, v48
	v_sub_f32_e32 v48, v49, v51
	v_add_f32_e32 v46, v48, v46
	v_add_f32_e32 v48, v53, v46
	v_mul_f32_e32 v49, v50, v48
	v_mul_f32_e32 v51, v18, v49
	v_fma_f32 v18, v49, v18, -v51
	v_fmac_f32_e32 v18, v49, v15
	v_sub_f32_e32 v15, v53, v48
	v_add_f32_e32 v15, v46, v15
	v_add_f32_e32 v46, v51, v18
	v_sub_f32_e32 v52, v48, v46
	v_sub_f32_e32 v48, v48, v52
	;; [unrolled: 1-line block ×4, first 2 shown]
	v_add_f32_e32 v15, v15, v46
	v_sub_f32_e32 v18, v51, v18
	v_add_f32_e32 v15, v18, v15
	v_add_f32_e32 v18, v47, v49
	;; [unrolled: 1-line block ×3, first 2 shown]
	v_sub_f32_e32 v46, v18, v47
	v_mul_f32_e32 v15, v50, v15
	v_sub_f32_e32 v46, v49, v46
	v_add_f32_e32 v15, v46, v15
	v_cvt_f32_i32_e32 v14, v14
	v_add_f32_e32 v46, v18, v15
	v_mul_f32_e32 v47, v46, v46
	v_mov_b32_e32 v48, 0x3ecc95a3
	v_fmac_f32_e32 v48, 0x3e9b6dac, v47
	v_mov_b32_e32 v49, 0x3f2aaada
	v_fmac_f32_e32 v49, v47, v48
	v_mul_f32_e32 v48, 0x3f317218, v14
	v_fma_f32 v50, v14, s74, -v48
	v_fmac_f32_e32 v50, 0xb102e308, v14
	v_sub_f32_e32 v14, v46, v18
	v_sub_f32_e32 v14, v15, v14
	v_add_f32_e32 v15, v48, v50
	v_sub_f32_e32 v18, v15, v48
	v_ldexp_f32 v48, v46, 1
	v_mul_f32_e32 v46, v46, v47
	v_mul_f32_e32 v46, v46, v49
	v_add_f32_e32 v47, v48, v46
	v_sub_f32_e32 v48, v47, v48
	v_ldexp_f32 v14, v14, 1
	v_sub_f32_e32 v46, v46, v48
	v_add_f32_e32 v14, v14, v46
	v_add_f32_e32 v46, v47, v14
	v_sub_f32_e32 v47, v46, v47
	v_sub_f32_e32 v14, v14, v47
	v_add_f32_e32 v47, v15, v46
	v_sub_f32_e32 v48, v47, v15
	v_sub_f32_e32 v49, v47, v48
	;; [unrolled: 1-line block ×5, first 2 shown]
	v_add_f32_e32 v15, v46, v15
	v_add_f32_e32 v46, v18, v14
	v_sub_f32_e32 v48, v46, v18
	v_sub_f32_e32 v49, v46, v48
	;; [unrolled: 1-line block ×4, first 2 shown]
	v_add_f32_e32 v15, v46, v15
	v_add_f32_e32 v14, v14, v18
	;; [unrolled: 1-line block ×3, first 2 shown]
	v_sub_f32_e32 v46, v18, v47
	v_sub_f32_e32 v15, v15, v46
	v_add_f32_e32 v14, v14, v15
	v_add_f32_e32 v14, v18, v14
	v_cmp_neq_f32_e32 vcc, s7, v17
	s_mov_b32 s7, 0x33800000
	v_cndmask_b32_e32 v14, v16, v14, vcc
	v_cmp_lt_f32_e64 vcc, |v17|, s7
	v_cndmask_b32_e32 v14, v14, v17, vcc
	v_add_f32_e32 v13, v13, v14
	v_cvt_f16_f32_e32 v14, v13
.LBB355_210:
	s_or_b64 exec, exec, s[56:57]
	s_add_i32 s6, s6, 64
	s_mov_b32 s7, 0
	s_lshl_b64 s[6:7], s[6:7], 2
	s_add_u32 s6, s72, s6
	s_mov_b32 s56, 0x20000
	s_addc_u32 s7, s73, s7
	v_mov_b32_e32 v13, 0
	v_or_b32_sdwa v14, v14, s56 dst_sel:DWORD dst_unused:UNUSED_PAD src0_sel:WORD_0 src1_sel:DWORD
	global_store_dword v13, v14, s[6:7]
.LBB355_211:
	s_or_b64 exec, exec, s[60:61]
	s_and_b64 exec, exec, s[54:55]
; %bb.212:
	v_mov_b32_e32 v13, 0
	ds_write_b16 v13, v59
.LBB355_213:
	s_or_b64 exec, exec, s[62:63]
	v_mov_b32_e32 v13, 0
	s_waitcnt vmcnt(0) lgkmcnt(0)
	s_barrier
	ds_read_u16 v13, v13
	v_mov_b32_e32 v14, v9
	s_and_saveexec_b64 s[6:7], s[52:53]
	s_cbranch_execz .LBB355_217
; %bb.214:
	v_cvt_f32_f16_e32 v15, v45
	v_max_f32_e32 v14, v44, v44
	v_cmp_u_f16_e32 vcc, v45, v45
	v_min_f32_e32 v16, v15, v14
	v_max_f32_e32 v14, v15, v14
	v_cndmask_b32_e32 v16, v16, v15, vcc
	v_cndmask_b32_e32 v14, v14, v15, vcc
	v_cndmask_b32_e64 v16, v16, v44, s[50:51]
	v_cndmask_b32_e64 v14, v14, v44, s[50:51]
	s_movk_i32 s50, 0x1f8
	v_cmp_neq_f32_e32 vcc, v16, v14
	v_cmp_class_f32_e64 s[50:51], v16, s50
	s_or_b64 s[52:53], vcc, s[50:51]
	s_and_saveexec_b64 s[50:51], s[52:53]
	s_cbranch_execz .LBB355_216
; %bb.215:
	v_sub_f32_e32 v15, v16, v14
	s_mov_b32 s52, 0x3fb8aa3b
	v_mul_f32_e32 v16, 0x3fb8aa3b, v15
	v_fma_f32 v17, v15, s52, -v16
	v_rndne_f32_e32 v18, v16
	v_fmac_f32_e32 v17, 0x32a5705f, v15
	v_sub_f32_e32 v16, v16, v18
	v_add_f32_e32 v16, v16, v17
	v_exp_f32_e32 v16, v16
	v_cvt_i32_f32_e32 v17, v18
	s_mov_b32 s52, 0xc2ce8ed0
	v_cmp_ngt_f32_e32 vcc, s52, v15
	s_mov_b32 s52, 0x42b17218
	v_ldexp_f32 v16, v16, v17
	v_cndmask_b32_e32 v16, 0, v16, vcc
	v_mov_b32_e32 v17, 0x7f800000
	v_cmp_nlt_f32_e32 vcc, s52, v15
	v_cndmask_b32_e32 v18, v17, v16, vcc
	v_add_f32_e32 v44, 1.0, v18
	v_cvt_f64_f32_e32 v[15:16], v44
	v_add_f32_e32 v45, -1.0, v44
	v_sub_f32_e32 v46, v45, v44
	v_sub_f32_e32 v45, v18, v45
	v_frexp_exp_i32_f64_e32 v15, v[15:16]
	v_add_f32_e32 v16, 1.0, v46
	v_add_f32_e32 v16, v45, v16
	v_frexp_mant_f32_e32 v45, v44
	s_mov_b32 s53, 0x3f2aaaab
	v_cmp_gt_f32_e32 vcc, s53, v45
	s_mov_b32 s53, 0x3f317218
	s_mov_b32 s52, 0x7f800000
	v_subbrev_co_u32_e32 v15, vcc, 0, v15, vcc
	v_sub_u32_e32 v45, 0, v15
	v_ldexp_f32 v44, v44, v45
	v_ldexp_f32 v16, v16, v45
	v_add_f32_e32 v45, -1.0, v44
	v_add_f32_e32 v48, 1.0, v44
	v_add_f32_e32 v46, 1.0, v45
	v_add_f32_e32 v49, -1.0, v48
	v_sub_f32_e32 v46, v44, v46
	v_sub_f32_e32 v44, v44, v49
	v_add_f32_e32 v46, v16, v46
	v_add_f32_e32 v16, v16, v44
	;; [unrolled: 1-line block ×3, first 2 shown]
	v_rcp_f32_e32 v49, v44
	v_add_f32_e32 v47, v45, v46
	v_sub_f32_e32 v45, v45, v47
	v_add_f32_e32 v45, v46, v45
	v_sub_f32_e32 v46, v48, v44
	v_add_f32_e32 v16, v16, v46
	v_mul_f32_e32 v46, v47, v49
	v_mul_f32_e32 v48, v44, v46
	v_fma_f32 v50, v46, v44, -v48
	v_fmac_f32_e32 v50, v46, v16
	v_add_f32_e32 v51, v48, v50
	v_sub_f32_e32 v52, v47, v51
	v_sub_f32_e32 v47, v47, v52
	;; [unrolled: 1-line block ×4, first 2 shown]
	v_add_f32_e32 v45, v45, v47
	v_sub_f32_e32 v47, v48, v50
	v_add_f32_e32 v45, v47, v45
	v_add_f32_e32 v47, v52, v45
	v_mul_f32_e32 v48, v49, v47
	v_mul_f32_e32 v50, v44, v48
	v_fma_f32 v44, v48, v44, -v50
	v_fmac_f32_e32 v44, v48, v16
	v_sub_f32_e32 v16, v52, v47
	v_add_f32_e32 v16, v45, v16
	v_add_f32_e32 v45, v50, v44
	v_sub_f32_e32 v51, v47, v45
	v_sub_f32_e32 v47, v47, v51
	;; [unrolled: 1-line block ×4, first 2 shown]
	v_add_f32_e32 v16, v16, v45
	v_sub_f32_e32 v44, v50, v44
	v_add_f32_e32 v16, v44, v16
	v_add_f32_e32 v44, v46, v48
	;; [unrolled: 1-line block ×3, first 2 shown]
	v_sub_f32_e32 v45, v44, v46
	v_mul_f32_e32 v16, v49, v16
	v_sub_f32_e32 v45, v48, v45
	v_add_f32_e32 v16, v45, v16
	v_cvt_f32_i32_e32 v15, v15
	v_add_f32_e32 v45, v44, v16
	v_mul_f32_e32 v46, v45, v45
	v_mov_b32_e32 v47, 0x3ecc95a3
	v_fmac_f32_e32 v47, 0x3e9b6dac, v46
	v_mov_b32_e32 v48, 0x3f2aaada
	v_fmac_f32_e32 v48, v46, v47
	v_mul_f32_e32 v47, 0x3f317218, v15
	v_fma_f32 v49, v15, s53, -v47
	v_fmac_f32_e32 v49, 0xb102e308, v15
	v_sub_f32_e32 v15, v45, v44
	v_sub_f32_e32 v15, v16, v15
	v_add_f32_e32 v16, v47, v49
	v_sub_f32_e32 v44, v16, v47
	v_ldexp_f32 v47, v45, 1
	v_mul_f32_e32 v45, v45, v46
	v_mul_f32_e32 v45, v45, v48
	v_add_f32_e32 v46, v47, v45
	v_sub_f32_e32 v47, v46, v47
	v_ldexp_f32 v15, v15, 1
	v_sub_f32_e32 v45, v45, v47
	v_add_f32_e32 v15, v15, v45
	v_add_f32_e32 v45, v46, v15
	v_sub_f32_e32 v46, v45, v46
	v_sub_f32_e32 v15, v15, v46
	v_add_f32_e32 v46, v16, v45
	v_sub_f32_e32 v47, v46, v16
	v_sub_f32_e32 v48, v46, v47
	;; [unrolled: 1-line block ×5, first 2 shown]
	v_add_f32_e32 v16, v45, v16
	v_add_f32_e32 v45, v44, v15
	v_sub_f32_e32 v47, v45, v44
	v_sub_f32_e32 v48, v45, v47
	;; [unrolled: 1-line block ×4, first 2 shown]
	v_add_f32_e32 v16, v45, v16
	v_add_f32_e32 v15, v15, v44
	v_add_f32_e32 v44, v46, v16
	v_sub_f32_e32 v45, v44, v46
	v_sub_f32_e32 v16, v16, v45
	v_add_f32_e32 v15, v15, v16
	v_add_f32_e32 v15, v44, v15
	v_cmp_neq_f32_e32 vcc, s52, v18
	s_mov_b32 s52, 0x33800000
	v_cndmask_b32_e32 v15, v17, v15, vcc
	v_cmp_lt_f32_e64 vcc, |v18|, s52
	v_cndmask_b32_e32 v15, v15, v18, vcc
	v_add_f32_e32 v14, v14, v15
	v_cvt_f16_f32_e32 v45, v14
	v_cvt_f32_f16_e32 v15, v45
.LBB355_216:
	s_or_b64 exec, exec, s[50:51]
	v_mov_b32_e32 v44, v15
	v_mov_b32_e32 v14, v45
.LBB355_217:
	s_or_b64 exec, exec, s[6:7]
	s_waitcnt lgkmcnt(0)
	v_cvt_f32_f16_e32 v17, v13
	v_max_f32_e32 v16, v44, v44
	v_cmp_u_f16_e32 vcc, v13, v13
	v_cmp_u_f16_e64 s[6:7], v14, v14
	v_min_f32_e32 v15, v17, v16
	v_max_f32_e32 v14, v17, v16
	v_cndmask_b32_e32 v15, v15, v17, vcc
	v_cndmask_b32_e32 v14, v14, v17, vcc
	v_cndmask_b32_e64 v15, v15, v44, s[6:7]
	v_cndmask_b32_e64 v14, v14, v44, s[6:7]
	s_movk_i32 s50, 0x1f8
	v_cmp_neq_f32_e32 vcc, v15, v14
	v_cmp_class_f32_e64 s[6:7], v15, s50
	s_or_b64 s[52:53], vcc, s[6:7]
	s_and_saveexec_b64 s[6:7], s[52:53]
	s_cbranch_execz .LBB355_219
; %bb.218:
	v_sub_f32_e32 v13, v15, v14
	s_mov_b32 s51, 0x3fb8aa3b
	v_mul_f32_e32 v15, 0x3fb8aa3b, v13
	v_fma_f32 v16, v13, s51, -v15
	v_rndne_f32_e32 v17, v15
	v_fmac_f32_e32 v16, 0x32a5705f, v13
	v_sub_f32_e32 v15, v15, v17
	v_add_f32_e32 v15, v15, v16
	v_exp_f32_e32 v15, v15
	v_cvt_i32_f32_e32 v16, v17
	s_mov_b32 s51, 0xc2ce8ed0
	v_cmp_ngt_f32_e32 vcc, s51, v13
	s_mov_b32 s51, 0x42b17218
	v_ldexp_f32 v15, v15, v16
	v_cndmask_b32_e32 v15, 0, v15, vcc
	v_mov_b32_e32 v17, 0x7f800000
	v_cmp_nlt_f32_e32 vcc, s51, v13
	v_cndmask_b32_e32 v13, v17, v15, vcc
	v_add_f32_e32 v18, 1.0, v13
	v_cvt_f64_f32_e32 v[15:16], v18
	v_add_f32_e32 v44, -1.0, v18
	v_sub_f32_e32 v45, v44, v18
	v_sub_f32_e32 v44, v13, v44
	v_frexp_exp_i32_f64_e32 v15, v[15:16]
	v_add_f32_e32 v16, 1.0, v45
	v_add_f32_e32 v16, v44, v16
	v_frexp_mant_f32_e32 v44, v18
	s_mov_b32 s52, 0x3f2aaaab
	v_cmp_gt_f32_e32 vcc, s52, v44
	s_mov_b32 s52, 0x3f317218
	s_mov_b32 s51, 0x7f800000
	v_subbrev_co_u32_e32 v15, vcc, 0, v15, vcc
	v_sub_u32_e32 v44, 0, v15
	v_ldexp_f32 v18, v18, v44
	v_ldexp_f32 v16, v16, v44
	v_add_f32_e32 v44, -1.0, v18
	v_add_f32_e32 v47, 1.0, v18
	v_add_f32_e32 v45, 1.0, v44
	v_add_f32_e32 v48, -1.0, v47
	v_sub_f32_e32 v45, v18, v45
	v_sub_f32_e32 v18, v18, v48
	v_add_f32_e32 v45, v16, v45
	v_add_f32_e32 v16, v16, v18
	;; [unrolled: 1-line block ×3, first 2 shown]
	v_rcp_f32_e32 v48, v18
	v_add_f32_e32 v46, v44, v45
	v_sub_f32_e32 v44, v44, v46
	v_add_f32_e32 v44, v45, v44
	v_sub_f32_e32 v45, v47, v18
	v_add_f32_e32 v16, v16, v45
	v_mul_f32_e32 v45, v46, v48
	v_mul_f32_e32 v47, v18, v45
	v_fma_f32 v49, v45, v18, -v47
	v_fmac_f32_e32 v49, v45, v16
	v_add_f32_e32 v50, v47, v49
	v_sub_f32_e32 v51, v46, v50
	v_sub_f32_e32 v46, v46, v51
	;; [unrolled: 1-line block ×4, first 2 shown]
	v_add_f32_e32 v44, v44, v46
	v_sub_f32_e32 v46, v47, v49
	v_add_f32_e32 v44, v46, v44
	v_add_f32_e32 v46, v51, v44
	v_mul_f32_e32 v47, v48, v46
	v_mul_f32_e32 v49, v18, v47
	v_fma_f32 v18, v47, v18, -v49
	v_fmac_f32_e32 v18, v47, v16
	v_sub_f32_e32 v16, v51, v46
	v_add_f32_e32 v16, v44, v16
	v_add_f32_e32 v44, v49, v18
	v_sub_f32_e32 v50, v46, v44
	v_sub_f32_e32 v46, v46, v50
	;; [unrolled: 1-line block ×4, first 2 shown]
	v_add_f32_e32 v16, v16, v44
	v_sub_f32_e32 v18, v49, v18
	v_add_f32_e32 v16, v18, v16
	v_add_f32_e32 v18, v45, v47
	;; [unrolled: 1-line block ×3, first 2 shown]
	v_sub_f32_e32 v44, v18, v45
	v_mul_f32_e32 v16, v48, v16
	v_sub_f32_e32 v44, v47, v44
	v_add_f32_e32 v16, v44, v16
	v_cvt_f32_i32_e32 v15, v15
	v_add_f32_e32 v44, v18, v16
	v_mul_f32_e32 v45, v44, v44
	v_mov_b32_e32 v46, 0x3ecc95a3
	v_fmac_f32_e32 v46, 0x3e9b6dac, v45
	v_mov_b32_e32 v47, 0x3f2aaada
	v_fmac_f32_e32 v47, v45, v46
	v_mul_f32_e32 v46, 0x3f317218, v15
	v_fma_f32 v48, v15, s52, -v46
	v_fmac_f32_e32 v48, 0xb102e308, v15
	v_sub_f32_e32 v15, v44, v18
	v_sub_f32_e32 v15, v16, v15
	v_add_f32_e32 v16, v46, v48
	v_sub_f32_e32 v18, v16, v46
	v_ldexp_f32 v46, v44, 1
	v_mul_f32_e32 v44, v44, v45
	v_mul_f32_e32 v44, v44, v47
	v_add_f32_e32 v45, v46, v44
	v_sub_f32_e32 v46, v45, v46
	v_ldexp_f32 v15, v15, 1
	v_sub_f32_e32 v44, v44, v46
	v_add_f32_e32 v15, v15, v44
	v_add_f32_e32 v44, v45, v15
	v_sub_f32_e32 v45, v44, v45
	v_sub_f32_e32 v15, v15, v45
	v_add_f32_e32 v45, v16, v44
	v_sub_f32_e32 v46, v45, v16
	v_sub_f32_e32 v47, v45, v46
	;; [unrolled: 1-line block ×5, first 2 shown]
	v_add_f32_e32 v16, v44, v16
	v_add_f32_e32 v44, v18, v15
	v_sub_f32_e32 v46, v44, v18
	v_sub_f32_e32 v47, v44, v46
	;; [unrolled: 1-line block ×4, first 2 shown]
	v_add_f32_e32 v16, v44, v16
	v_add_f32_e32 v15, v15, v18
	;; [unrolled: 1-line block ×3, first 2 shown]
	v_sub_f32_e32 v44, v18, v45
	v_sub_f32_e32 v16, v16, v44
	v_add_f32_e32 v15, v15, v16
	v_add_f32_e32 v15, v18, v15
	v_cmp_neq_f32_e32 vcc, s51, v13
	s_mov_b32 s51, 0x33800000
	v_cndmask_b32_e32 v15, v17, v15, vcc
	v_cmp_lt_f32_e64 vcc, |v13|, s51
	v_cndmask_b32_e32 v13, v15, v13, vcc
	v_add_f32_e32 v13, v14, v13
	v_cvt_f16_f32_e32 v13, v13
	v_cvt_f32_f16_e32 v17, v13
.LBB355_219:
	s_or_b64 exec, exec, s[6:7]
	v_max_f32_e32 v14, v21, v21
	v_max_f32_e32 v15, v17, v17
	v_min_f32_e32 v16, v15, v14
	v_cmp_u_f16_e32 vcc, v13, v13
	v_max_f32_e32 v14, v15, v14
	v_cndmask_b32_e32 v16, v16, v17, vcc
	v_cndmask_b32_e32 v14, v14, v17, vcc
	v_cndmask_b32_e64 v16, v16, v21, s[0:1]
	v_cndmask_b32_e64 v15, v14, v21, s[0:1]
	v_cmp_neq_f32_e32 vcc, v16, v15
	v_cmp_class_f32_e64 s[0:1], v16, s50
	s_or_b64 s[6:7], vcc, s[0:1]
	v_mov_b32_e32 v47, v13
	v_mov_b32_e32 v14, v13
	s_and_saveexec_b64 s[0:1], s[6:7]
	s_cbranch_execz .LBB355_221
; %bb.220:
	v_sub_f32_e32 v14, v16, v15
	s_mov_b32 s6, 0x3fb8aa3b
	v_mul_f32_e32 v16, 0x3fb8aa3b, v14
	v_fma_f32 v17, v14, s6, -v16
	v_rndne_f32_e32 v18, v16
	v_fmac_f32_e32 v17, 0x32a5705f, v14
	v_sub_f32_e32 v16, v16, v18
	v_add_f32_e32 v16, v16, v17
	v_exp_f32_e32 v16, v16
	v_cvt_i32_f32_e32 v17, v18
	s_mov_b32 s6, 0xc2ce8ed0
	v_cmp_ngt_f32_e32 vcc, s6, v14
	s_mov_b32 s6, 0x42b17218
	v_ldexp_f32 v16, v16, v17
	v_cndmask_b32_e32 v16, 0, v16, vcc
	v_mov_b32_e32 v18, 0x7f800000
	v_cmp_nlt_f32_e32 vcc, s6, v14
	v_cndmask_b32_e32 v14, v18, v16, vcc
	v_add_f32_e32 v44, 1.0, v14
	v_cvt_f64_f32_e32 v[16:17], v44
	v_add_f32_e32 v45, -1.0, v44
	v_sub_f32_e32 v46, v45, v44
	v_sub_f32_e32 v45, v14, v45
	v_frexp_exp_i32_f64_e32 v16, v[16:17]
	v_add_f32_e32 v17, 1.0, v46
	v_add_f32_e32 v17, v45, v17
	v_frexp_mant_f32_e32 v45, v44
	s_mov_b32 s7, 0x3f2aaaab
	v_cmp_gt_f32_e32 vcc, s7, v45
	s_mov_b32 s7, 0x3f317218
	s_mov_b32 s6, 0x7f800000
	v_subbrev_co_u32_e32 v16, vcc, 0, v16, vcc
	v_sub_u32_e32 v45, 0, v16
	v_ldexp_f32 v44, v44, v45
	v_ldexp_f32 v17, v17, v45
	v_add_f32_e32 v45, -1.0, v44
	v_add_f32_e32 v48, 1.0, v44
	v_add_f32_e32 v46, 1.0, v45
	v_add_f32_e32 v49, -1.0, v48
	v_sub_f32_e32 v46, v44, v46
	v_sub_f32_e32 v44, v44, v49
	v_add_f32_e32 v46, v17, v46
	v_add_f32_e32 v17, v17, v44
	;; [unrolled: 1-line block ×3, first 2 shown]
	v_rcp_f32_e32 v49, v44
	v_add_f32_e32 v47, v45, v46
	v_sub_f32_e32 v45, v45, v47
	v_add_f32_e32 v45, v46, v45
	v_sub_f32_e32 v46, v48, v44
	v_add_f32_e32 v17, v17, v46
	v_mul_f32_e32 v46, v47, v49
	v_mul_f32_e32 v48, v44, v46
	v_fma_f32 v50, v46, v44, -v48
	v_fmac_f32_e32 v50, v46, v17
	v_add_f32_e32 v51, v48, v50
	v_sub_f32_e32 v52, v47, v51
	v_sub_f32_e32 v47, v47, v52
	;; [unrolled: 1-line block ×4, first 2 shown]
	v_add_f32_e32 v45, v45, v47
	v_sub_f32_e32 v47, v48, v50
	v_add_f32_e32 v45, v47, v45
	v_add_f32_e32 v47, v52, v45
	v_mul_f32_e32 v48, v49, v47
	v_mul_f32_e32 v50, v44, v48
	v_fma_f32 v44, v48, v44, -v50
	v_fmac_f32_e32 v44, v48, v17
	v_sub_f32_e32 v17, v52, v47
	v_add_f32_e32 v17, v45, v17
	v_add_f32_e32 v45, v50, v44
	v_sub_f32_e32 v51, v47, v45
	v_sub_f32_e32 v47, v47, v51
	;; [unrolled: 1-line block ×4, first 2 shown]
	v_add_f32_e32 v17, v17, v45
	v_sub_f32_e32 v44, v50, v44
	v_add_f32_e32 v17, v44, v17
	v_add_f32_e32 v44, v46, v48
	;; [unrolled: 1-line block ×3, first 2 shown]
	v_sub_f32_e32 v45, v44, v46
	v_mul_f32_e32 v17, v49, v17
	v_sub_f32_e32 v45, v48, v45
	v_add_f32_e32 v17, v45, v17
	v_cvt_f32_i32_e32 v16, v16
	v_add_f32_e32 v45, v44, v17
	v_mul_f32_e32 v46, v45, v45
	v_mov_b32_e32 v47, 0x3ecc95a3
	v_fmac_f32_e32 v47, 0x3e9b6dac, v46
	v_mov_b32_e32 v48, 0x3f2aaada
	v_fmac_f32_e32 v48, v46, v47
	v_mul_f32_e32 v47, 0x3f317218, v16
	v_fma_f32 v49, v16, s7, -v47
	v_fmac_f32_e32 v49, 0xb102e308, v16
	v_sub_f32_e32 v16, v45, v44
	v_sub_f32_e32 v16, v17, v16
	v_add_f32_e32 v17, v47, v49
	v_sub_f32_e32 v44, v17, v47
	v_ldexp_f32 v47, v45, 1
	v_mul_f32_e32 v45, v45, v46
	v_mul_f32_e32 v45, v45, v48
	v_add_f32_e32 v46, v47, v45
	v_sub_f32_e32 v47, v46, v47
	v_ldexp_f32 v16, v16, 1
	v_sub_f32_e32 v45, v45, v47
	v_add_f32_e32 v16, v16, v45
	v_add_f32_e32 v45, v46, v16
	v_sub_f32_e32 v46, v45, v46
	v_sub_f32_e32 v16, v16, v46
	v_add_f32_e32 v46, v17, v45
	v_sub_f32_e32 v47, v46, v17
	v_sub_f32_e32 v48, v46, v47
	;; [unrolled: 1-line block ×5, first 2 shown]
	v_add_f32_e32 v17, v45, v17
	v_add_f32_e32 v45, v44, v16
	v_sub_f32_e32 v47, v45, v44
	v_sub_f32_e32 v48, v45, v47
	;; [unrolled: 1-line block ×4, first 2 shown]
	v_add_f32_e32 v17, v45, v17
	v_add_f32_e32 v16, v16, v44
	v_add_f32_e32 v44, v46, v17
	v_sub_f32_e32 v45, v44, v46
	v_sub_f32_e32 v17, v17, v45
	v_add_f32_e32 v16, v16, v17
	v_add_f32_e32 v16, v44, v16
	v_cmp_neq_f32_e32 vcc, s6, v14
	s_mov_b32 s6, 0x33800000
	v_cndmask_b32_e32 v16, v18, v16, vcc
	v_cmp_lt_f32_e64 vcc, |v14|, s6
	v_cndmask_b32_e32 v14, v16, v14, vcc
	v_add_f32_e32 v14, v15, v14
	v_cvt_f16_f32_e32 v47, v14
	v_cvt_f32_f16_e32 v17, v47
	v_mov_b32_e32 v14, v47
.LBB355_221:
	s_or_b64 exec, exec, s[0:1]
	v_max_f32_e32 v15, v22, v22
	v_max_f32_e32 v16, v17, v17
	v_min_f32_e32 v18, v16, v15
	v_cmp_u_f16_e32 vcc, v47, v47
	v_max_f32_e32 v15, v16, v15
	v_cndmask_b32_e32 v18, v18, v17, vcc
	v_cndmask_b32_e32 v15, v15, v17, vcc
	v_cndmask_b32_e64 v18, v18, v22, s[2:3]
	v_cndmask_b32_e64 v16, v15, v22, s[2:3]
	s_movk_i32 s2, 0x1f8
	v_cmp_neq_f32_e32 vcc, v18, v16
	v_cmp_class_f32_e64 s[0:1], v18, s2
	s_or_b64 s[6:7], vcc, s[0:1]
	v_mov_b32_e32 v15, v14
	s_and_saveexec_b64 s[0:1], s[6:7]
	s_cbranch_execz .LBB355_223
; %bb.222:
	v_sub_f32_e32 v15, v18, v16
	s_mov_b32 s3, 0x3fb8aa3b
	v_mul_f32_e32 v17, 0x3fb8aa3b, v15
	v_fma_f32 v18, v15, s3, -v17
	v_rndne_f32_e32 v22, v17
	v_fmac_f32_e32 v18, 0x32a5705f, v15
	v_sub_f32_e32 v17, v17, v22
	v_add_f32_e32 v17, v17, v18
	v_exp_f32_e32 v17, v17
	v_cvt_i32_f32_e32 v18, v22
	s_mov_b32 s3, 0xc2ce8ed0
	v_cmp_ngt_f32_e32 vcc, s3, v15
	s_mov_b32 s3, 0x42b17218
	v_ldexp_f32 v17, v17, v18
	v_cndmask_b32_e32 v17, 0, v17, vcc
	v_mov_b32_e32 v22, 0x7f800000
	v_cmp_nlt_f32_e32 vcc, s3, v15
	v_cndmask_b32_e32 v15, v22, v17, vcc
	v_add_f32_e32 v44, 1.0, v15
	v_cvt_f64_f32_e32 v[17:18], v44
	v_add_f32_e32 v45, -1.0, v44
	v_sub_f32_e32 v46, v45, v44
	v_sub_f32_e32 v45, v15, v45
	v_frexp_exp_i32_f64_e32 v17, v[17:18]
	v_add_f32_e32 v18, 1.0, v46
	v_add_f32_e32 v18, v45, v18
	v_frexp_mant_f32_e32 v45, v44
	s_mov_b32 s6, 0x3f2aaaab
	v_cmp_gt_f32_e32 vcc, s6, v45
	s_mov_b32 s6, 0x3f317218
	s_mov_b32 s3, 0x7f800000
	v_subbrev_co_u32_e32 v17, vcc, 0, v17, vcc
	v_sub_u32_e32 v45, 0, v17
	v_ldexp_f32 v44, v44, v45
	v_ldexp_f32 v18, v18, v45
	v_add_f32_e32 v45, -1.0, v44
	v_add_f32_e32 v48, 1.0, v44
	v_add_f32_e32 v46, 1.0, v45
	v_add_f32_e32 v49, -1.0, v48
	v_sub_f32_e32 v46, v44, v46
	v_sub_f32_e32 v44, v44, v49
	v_add_f32_e32 v46, v18, v46
	v_add_f32_e32 v18, v18, v44
	;; [unrolled: 1-line block ×3, first 2 shown]
	v_rcp_f32_e32 v49, v44
	v_add_f32_e32 v47, v45, v46
	v_sub_f32_e32 v45, v45, v47
	v_add_f32_e32 v45, v46, v45
	v_sub_f32_e32 v46, v48, v44
	v_add_f32_e32 v18, v18, v46
	v_mul_f32_e32 v46, v47, v49
	v_mul_f32_e32 v48, v44, v46
	v_fma_f32 v50, v46, v44, -v48
	v_fmac_f32_e32 v50, v46, v18
	v_add_f32_e32 v51, v48, v50
	v_sub_f32_e32 v52, v47, v51
	v_sub_f32_e32 v47, v47, v52
	;; [unrolled: 1-line block ×4, first 2 shown]
	v_add_f32_e32 v45, v45, v47
	v_sub_f32_e32 v47, v48, v50
	v_add_f32_e32 v45, v47, v45
	v_add_f32_e32 v47, v52, v45
	v_mul_f32_e32 v48, v49, v47
	v_mul_f32_e32 v50, v44, v48
	v_fma_f32 v44, v48, v44, -v50
	v_fmac_f32_e32 v44, v48, v18
	v_sub_f32_e32 v18, v52, v47
	v_add_f32_e32 v18, v45, v18
	v_add_f32_e32 v45, v50, v44
	v_sub_f32_e32 v51, v47, v45
	v_sub_f32_e32 v47, v47, v51
	;; [unrolled: 1-line block ×4, first 2 shown]
	v_add_f32_e32 v18, v18, v45
	v_sub_f32_e32 v44, v50, v44
	v_add_f32_e32 v18, v44, v18
	v_add_f32_e32 v44, v46, v48
	;; [unrolled: 1-line block ×3, first 2 shown]
	v_sub_f32_e32 v45, v44, v46
	v_mul_f32_e32 v18, v49, v18
	v_sub_f32_e32 v45, v48, v45
	v_add_f32_e32 v18, v45, v18
	v_cvt_f32_i32_e32 v17, v17
	v_add_f32_e32 v45, v44, v18
	v_mul_f32_e32 v46, v45, v45
	v_mov_b32_e32 v47, 0x3ecc95a3
	v_fmac_f32_e32 v47, 0x3e9b6dac, v46
	v_mov_b32_e32 v48, 0x3f2aaada
	v_fmac_f32_e32 v48, v46, v47
	v_mul_f32_e32 v47, 0x3f317218, v17
	v_fma_f32 v49, v17, s6, -v47
	v_fmac_f32_e32 v49, 0xb102e308, v17
	v_sub_f32_e32 v17, v45, v44
	v_sub_f32_e32 v17, v18, v17
	v_add_f32_e32 v18, v47, v49
	v_sub_f32_e32 v44, v18, v47
	v_ldexp_f32 v47, v45, 1
	v_mul_f32_e32 v45, v45, v46
	v_mul_f32_e32 v45, v45, v48
	v_add_f32_e32 v46, v47, v45
	v_sub_f32_e32 v47, v46, v47
	v_ldexp_f32 v17, v17, 1
	v_sub_f32_e32 v45, v45, v47
	v_add_f32_e32 v17, v17, v45
	v_add_f32_e32 v45, v46, v17
	v_sub_f32_e32 v46, v45, v46
	v_sub_f32_e32 v17, v17, v46
	v_add_f32_e32 v46, v18, v45
	v_sub_f32_e32 v47, v46, v18
	v_sub_f32_e32 v48, v46, v47
	;; [unrolled: 1-line block ×5, first 2 shown]
	v_add_f32_e32 v18, v45, v18
	v_add_f32_e32 v45, v44, v17
	v_sub_f32_e32 v47, v45, v44
	v_sub_f32_e32 v48, v45, v47
	;; [unrolled: 1-line block ×4, first 2 shown]
	v_add_f32_e32 v18, v45, v18
	v_add_f32_e32 v17, v17, v44
	;; [unrolled: 1-line block ×3, first 2 shown]
	v_sub_f32_e32 v45, v44, v46
	v_sub_f32_e32 v18, v18, v45
	v_add_f32_e32 v17, v17, v18
	v_add_f32_e32 v17, v44, v17
	v_cmp_neq_f32_e32 vcc, s3, v15
	s_mov_b32 s3, 0x33800000
	v_cndmask_b32_e32 v17, v22, v17, vcc
	v_cmp_lt_f32_e64 vcc, |v15|, s3
	v_cndmask_b32_e32 v15, v17, v15, vcc
	v_add_f32_e32 v15, v16, v15
	v_cvt_f16_f32_e32 v47, v15
	v_cvt_f32_f16_e32 v17, v47
	v_mov_b32_e32 v15, v47
.LBB355_223:
	s_or_b64 exec, exec, s[0:1]
	v_max_f32_e32 v16, v23, v23
	v_max_f32_e32 v18, v17, v17
	v_min_f32_e32 v22, v18, v16
	v_cmp_u_f16_e32 vcc, v47, v47
	v_max_f32_e32 v16, v18, v16
	v_cndmask_b32_e32 v22, v22, v17, vcc
	v_cndmask_b32_e32 v16, v16, v17, vcc
	v_cndmask_b32_e64 v22, v22, v23, s[58:59]
	v_cndmask_b32_e64 v18, v16, v23, s[58:59]
	v_cmp_neq_f32_e32 vcc, v22, v18
	v_cmp_class_f32_e64 s[0:1], v22, s2
	s_or_b64 s[2:3], vcc, s[0:1]
	v_mov_b32_e32 v16, v15
	s_and_saveexec_b64 s[0:1], s[2:3]
	s_cbranch_execz .LBB355_225
; %bb.224:
	v_sub_f32_e32 v16, v22, v18
	s_mov_b32 s2, 0x3fb8aa3b
	v_mul_f32_e32 v17, 0x3fb8aa3b, v16
	v_fma_f32 v22, v16, s2, -v17
	v_rndne_f32_e32 v23, v17
	v_fmac_f32_e32 v22, 0x32a5705f, v16
	v_sub_f32_e32 v17, v17, v23
	v_add_f32_e32 v17, v17, v22
	v_exp_f32_e32 v17, v17
	v_cvt_i32_f32_e32 v22, v23
	s_mov_b32 s2, 0xc2ce8ed0
	v_cmp_ngt_f32_e32 vcc, s2, v16
	s_mov_b32 s2, 0x42b17218
	v_ldexp_f32 v17, v17, v22
	v_cndmask_b32_e32 v17, 0, v17, vcc
	v_mov_b32_e32 v22, 0x7f800000
	v_cmp_nlt_f32_e32 vcc, s2, v16
	v_cndmask_b32_e32 v23, v22, v17, vcc
	v_add_f32_e32 v44, 1.0, v23
	v_cvt_f64_f32_e32 v[16:17], v44
	v_add_f32_e32 v45, -1.0, v44
	v_sub_f32_e32 v46, v45, v44
	v_sub_f32_e32 v45, v23, v45
	v_frexp_exp_i32_f64_e32 v16, v[16:17]
	v_add_f32_e32 v17, 1.0, v46
	v_add_f32_e32 v17, v45, v17
	v_frexp_mant_f32_e32 v45, v44
	s_mov_b32 s3, 0x3f2aaaab
	v_cmp_gt_f32_e32 vcc, s3, v45
	s_mov_b32 s3, 0x3f317218
	s_mov_b32 s2, 0x7f800000
	v_subbrev_co_u32_e32 v16, vcc, 0, v16, vcc
	v_sub_u32_e32 v45, 0, v16
	v_ldexp_f32 v44, v44, v45
	v_ldexp_f32 v17, v17, v45
	v_add_f32_e32 v45, -1.0, v44
	v_add_f32_e32 v48, 1.0, v44
	v_add_f32_e32 v46, 1.0, v45
	v_add_f32_e32 v49, -1.0, v48
	v_sub_f32_e32 v46, v44, v46
	v_sub_f32_e32 v44, v44, v49
	v_add_f32_e32 v46, v17, v46
	v_add_f32_e32 v17, v17, v44
	;; [unrolled: 1-line block ×3, first 2 shown]
	v_rcp_f32_e32 v49, v44
	v_add_f32_e32 v47, v45, v46
	v_sub_f32_e32 v45, v45, v47
	v_add_f32_e32 v45, v46, v45
	v_sub_f32_e32 v46, v48, v44
	v_add_f32_e32 v17, v17, v46
	v_mul_f32_e32 v46, v47, v49
	v_mul_f32_e32 v48, v44, v46
	v_fma_f32 v50, v46, v44, -v48
	v_fmac_f32_e32 v50, v46, v17
	v_add_f32_e32 v51, v48, v50
	v_sub_f32_e32 v52, v47, v51
	v_sub_f32_e32 v47, v47, v52
	;; [unrolled: 1-line block ×4, first 2 shown]
	v_add_f32_e32 v45, v45, v47
	v_sub_f32_e32 v47, v48, v50
	v_add_f32_e32 v45, v47, v45
	v_add_f32_e32 v47, v52, v45
	v_mul_f32_e32 v48, v49, v47
	v_mul_f32_e32 v50, v44, v48
	v_fma_f32 v44, v48, v44, -v50
	v_fmac_f32_e32 v44, v48, v17
	v_sub_f32_e32 v17, v52, v47
	v_add_f32_e32 v17, v45, v17
	v_add_f32_e32 v45, v50, v44
	v_sub_f32_e32 v51, v47, v45
	v_sub_f32_e32 v47, v47, v51
	;; [unrolled: 1-line block ×4, first 2 shown]
	v_add_f32_e32 v17, v17, v45
	v_sub_f32_e32 v44, v50, v44
	v_add_f32_e32 v17, v44, v17
	v_add_f32_e32 v44, v46, v48
	;; [unrolled: 1-line block ×3, first 2 shown]
	v_sub_f32_e32 v45, v44, v46
	v_mul_f32_e32 v17, v49, v17
	v_sub_f32_e32 v45, v48, v45
	v_add_f32_e32 v17, v45, v17
	v_cvt_f32_i32_e32 v16, v16
	v_add_f32_e32 v45, v44, v17
	v_mul_f32_e32 v46, v45, v45
	v_mov_b32_e32 v47, 0x3ecc95a3
	v_fmac_f32_e32 v47, 0x3e9b6dac, v46
	v_mov_b32_e32 v48, 0x3f2aaada
	v_fmac_f32_e32 v48, v46, v47
	v_mul_f32_e32 v47, 0x3f317218, v16
	v_fma_f32 v49, v16, s3, -v47
	v_fmac_f32_e32 v49, 0xb102e308, v16
	v_sub_f32_e32 v16, v45, v44
	v_sub_f32_e32 v16, v17, v16
	v_add_f32_e32 v17, v47, v49
	v_sub_f32_e32 v44, v17, v47
	v_ldexp_f32 v47, v45, 1
	v_mul_f32_e32 v45, v45, v46
	v_mul_f32_e32 v45, v45, v48
	v_add_f32_e32 v46, v47, v45
	v_sub_f32_e32 v47, v46, v47
	v_ldexp_f32 v16, v16, 1
	v_sub_f32_e32 v45, v45, v47
	v_add_f32_e32 v16, v16, v45
	v_add_f32_e32 v45, v46, v16
	v_sub_f32_e32 v46, v45, v46
	v_sub_f32_e32 v16, v16, v46
	v_add_f32_e32 v46, v17, v45
	v_sub_f32_e32 v47, v46, v17
	v_sub_f32_e32 v48, v46, v47
	;; [unrolled: 1-line block ×5, first 2 shown]
	v_add_f32_e32 v17, v45, v17
	v_add_f32_e32 v45, v44, v16
	v_sub_f32_e32 v47, v45, v44
	v_sub_f32_e32 v48, v45, v47
	;; [unrolled: 1-line block ×4, first 2 shown]
	v_add_f32_e32 v17, v45, v17
	v_add_f32_e32 v16, v16, v44
	;; [unrolled: 1-line block ×3, first 2 shown]
	v_sub_f32_e32 v45, v44, v46
	v_sub_f32_e32 v17, v17, v45
	v_add_f32_e32 v16, v16, v17
	v_add_f32_e32 v16, v44, v16
	v_cmp_neq_f32_e32 vcc, s2, v23
	s_mov_b32 s2, 0x33800000
	v_cndmask_b32_e32 v16, v22, v16, vcc
	v_cmp_lt_f32_e64 vcc, |v23|, s2
	v_cndmask_b32_e32 v16, v16, v23, vcc
	v_add_f32_e32 v16, v18, v16
	v_cvt_f16_f32_e32 v47, v16
	v_cvt_f32_f16_e32 v17, v47
	v_mov_b32_e32 v16, v47
.LBB355_225:
	s_or_b64 exec, exec, s[0:1]
	v_max_f32_e32 v18, v24, v24
	v_max_f32_e32 v22, v17, v17
	v_min_f32_e32 v23, v22, v18
	v_cmp_u_f16_e32 vcc, v47, v47
	v_max_f32_e32 v18, v22, v18
	v_cndmask_b32_e32 v23, v23, v17, vcc
	v_cndmask_b32_e32 v18, v18, v17, vcc
	v_cndmask_b32_e64 v23, v23, v24, s[8:9]
	v_cndmask_b32_e64 v22, v18, v24, s[8:9]
	s_movk_i32 s2, 0x1f8
	v_cmp_neq_f32_e32 vcc, v23, v22
	v_cmp_class_f32_e64 s[0:1], v23, s2
	s_or_b64 s[6:7], vcc, s[0:1]
	v_mov_b32_e32 v18, v16
	s_and_saveexec_b64 s[0:1], s[6:7]
	s_cbranch_execz .LBB355_227
; %bb.226:
	v_sub_f32_e32 v17, v23, v22
	s_mov_b32 s3, 0x3fb8aa3b
	v_mul_f32_e32 v18, 0x3fb8aa3b, v17
	v_fma_f32 v23, v17, s3, -v18
	v_rndne_f32_e32 v24, v18
	v_fmac_f32_e32 v23, 0x32a5705f, v17
	v_sub_f32_e32 v18, v18, v24
	v_add_f32_e32 v18, v18, v23
	v_exp_f32_e32 v18, v18
	v_cvt_i32_f32_e32 v23, v24
	s_mov_b32 s3, 0xc2ce8ed0
	v_cmp_ngt_f32_e32 vcc, s3, v17
	s_mov_b32 s3, 0x42b17218
	v_ldexp_f32 v18, v18, v23
	v_cndmask_b32_e32 v18, 0, v18, vcc
	v_mov_b32_e32 v23, 0x7f800000
	v_cmp_nlt_f32_e32 vcc, s3, v17
	v_cndmask_b32_e32 v24, v23, v18, vcc
	v_add_f32_e32 v44, 1.0, v24
	v_cvt_f64_f32_e32 v[17:18], v44
	v_add_f32_e32 v45, -1.0, v44
	v_sub_f32_e32 v46, v45, v44
	v_sub_f32_e32 v45, v24, v45
	v_frexp_exp_i32_f64_e32 v17, v[17:18]
	v_add_f32_e32 v18, 1.0, v46
	v_add_f32_e32 v18, v45, v18
	v_frexp_mant_f32_e32 v45, v44
	s_mov_b32 s6, 0x3f2aaaab
	v_cmp_gt_f32_e32 vcc, s6, v45
	s_mov_b32 s6, 0x3f317218
	s_mov_b32 s3, 0x7f800000
	v_subbrev_co_u32_e32 v17, vcc, 0, v17, vcc
	v_sub_u32_e32 v45, 0, v17
	v_ldexp_f32 v44, v44, v45
	v_ldexp_f32 v18, v18, v45
	v_add_f32_e32 v45, -1.0, v44
	v_add_f32_e32 v48, 1.0, v44
	v_add_f32_e32 v46, 1.0, v45
	v_add_f32_e32 v49, -1.0, v48
	v_sub_f32_e32 v46, v44, v46
	v_sub_f32_e32 v44, v44, v49
	v_add_f32_e32 v46, v18, v46
	v_add_f32_e32 v18, v18, v44
	;; [unrolled: 1-line block ×3, first 2 shown]
	v_rcp_f32_e32 v49, v44
	v_add_f32_e32 v47, v45, v46
	v_sub_f32_e32 v45, v45, v47
	v_add_f32_e32 v45, v46, v45
	v_sub_f32_e32 v46, v48, v44
	v_add_f32_e32 v18, v18, v46
	v_mul_f32_e32 v46, v47, v49
	v_mul_f32_e32 v48, v44, v46
	v_fma_f32 v50, v46, v44, -v48
	v_fmac_f32_e32 v50, v46, v18
	v_add_f32_e32 v51, v48, v50
	v_sub_f32_e32 v52, v47, v51
	v_sub_f32_e32 v47, v47, v52
	;; [unrolled: 1-line block ×4, first 2 shown]
	v_add_f32_e32 v45, v45, v47
	v_sub_f32_e32 v47, v48, v50
	v_add_f32_e32 v45, v47, v45
	v_add_f32_e32 v47, v52, v45
	v_mul_f32_e32 v48, v49, v47
	v_mul_f32_e32 v50, v44, v48
	v_fma_f32 v44, v48, v44, -v50
	v_fmac_f32_e32 v44, v48, v18
	v_sub_f32_e32 v18, v52, v47
	v_add_f32_e32 v18, v45, v18
	v_add_f32_e32 v45, v50, v44
	v_sub_f32_e32 v51, v47, v45
	v_sub_f32_e32 v47, v47, v51
	;; [unrolled: 1-line block ×4, first 2 shown]
	v_add_f32_e32 v18, v18, v45
	v_sub_f32_e32 v44, v50, v44
	v_add_f32_e32 v18, v44, v18
	v_add_f32_e32 v44, v46, v48
	;; [unrolled: 1-line block ×3, first 2 shown]
	v_sub_f32_e32 v45, v44, v46
	v_mul_f32_e32 v18, v49, v18
	v_sub_f32_e32 v45, v48, v45
	v_add_f32_e32 v18, v45, v18
	v_cvt_f32_i32_e32 v17, v17
	v_add_f32_e32 v45, v44, v18
	v_mul_f32_e32 v46, v45, v45
	v_mov_b32_e32 v47, 0x3ecc95a3
	v_fmac_f32_e32 v47, 0x3e9b6dac, v46
	v_mov_b32_e32 v48, 0x3f2aaada
	v_fmac_f32_e32 v48, v46, v47
	v_mul_f32_e32 v47, 0x3f317218, v17
	v_fma_f32 v49, v17, s6, -v47
	v_fmac_f32_e32 v49, 0xb102e308, v17
	v_sub_f32_e32 v17, v45, v44
	v_sub_f32_e32 v17, v18, v17
	v_add_f32_e32 v18, v47, v49
	v_sub_f32_e32 v44, v18, v47
	v_ldexp_f32 v47, v45, 1
	v_mul_f32_e32 v45, v45, v46
	v_mul_f32_e32 v45, v45, v48
	v_add_f32_e32 v46, v47, v45
	v_sub_f32_e32 v47, v46, v47
	v_ldexp_f32 v17, v17, 1
	v_sub_f32_e32 v45, v45, v47
	v_add_f32_e32 v17, v17, v45
	v_add_f32_e32 v45, v46, v17
	v_sub_f32_e32 v46, v45, v46
	v_sub_f32_e32 v17, v17, v46
	v_add_f32_e32 v46, v18, v45
	v_sub_f32_e32 v47, v46, v18
	v_sub_f32_e32 v48, v46, v47
	;; [unrolled: 1-line block ×5, first 2 shown]
	v_add_f32_e32 v18, v45, v18
	v_add_f32_e32 v45, v44, v17
	v_sub_f32_e32 v47, v45, v44
	v_sub_f32_e32 v48, v45, v47
	;; [unrolled: 1-line block ×4, first 2 shown]
	v_add_f32_e32 v18, v45, v18
	v_add_f32_e32 v17, v17, v44
	;; [unrolled: 1-line block ×3, first 2 shown]
	v_sub_f32_e32 v45, v44, v46
	v_sub_f32_e32 v18, v18, v45
	v_add_f32_e32 v17, v17, v18
	v_add_f32_e32 v17, v44, v17
	v_cmp_neq_f32_e32 vcc, s3, v24
	s_mov_b32 s3, 0x33800000
	v_cndmask_b32_e32 v17, v23, v17, vcc
	v_cmp_lt_f32_e64 vcc, |v24|, s3
	v_cndmask_b32_e32 v17, v17, v24, vcc
	v_add_f32_e32 v17, v22, v17
	v_cvt_f16_f32_e32 v47, v17
	v_cvt_f32_f16_e32 v17, v47
	v_mov_b32_e32 v18, v47
.LBB355_227:
	s_or_b64 exec, exec, s[0:1]
	v_max_f32_e32 v22, v25, v25
	v_max_f32_e32 v23, v17, v17
	v_min_f32_e32 v24, v23, v22
	v_cmp_u_f16_e32 vcc, v47, v47
	v_max_f32_e32 v22, v23, v22
	v_cndmask_b32_e32 v24, v24, v17, vcc
	v_cndmask_b32_e32 v22, v22, v17, vcc
	v_cndmask_b32_e64 v24, v24, v25, s[10:11]
	v_cndmask_b32_e64 v23, v22, v25, s[10:11]
	v_cmp_neq_f32_e32 vcc, v24, v23
	v_cmp_class_f32_e64 s[0:1], v24, s2
	s_or_b64 s[2:3], vcc, s[0:1]
	v_mov_b32_e32 v22, v18
	s_and_saveexec_b64 s[0:1], s[2:3]
	s_cbranch_execz .LBB355_229
; %bb.228:
	v_sub_f32_e32 v17, v24, v23
	s_mov_b32 s2, 0x3fb8aa3b
	v_mul_f32_e32 v22, 0x3fb8aa3b, v17
	v_fma_f32 v24, v17, s2, -v22
	v_rndne_f32_e32 v25, v22
	v_fmac_f32_e32 v24, 0x32a5705f, v17
	v_sub_f32_e32 v22, v22, v25
	v_add_f32_e32 v22, v22, v24
	v_exp_f32_e32 v22, v22
	v_cvt_i32_f32_e32 v24, v25
	s_mov_b32 s2, 0xc2ce8ed0
	v_cmp_ngt_f32_e32 vcc, s2, v17
	s_mov_b32 s2, 0x42b17218
	v_ldexp_f32 v22, v22, v24
	v_cndmask_b32_e32 v22, 0, v22, vcc
	v_mov_b32_e32 v44, 0x7f800000
	v_cmp_nlt_f32_e32 vcc, s2, v17
	v_cndmask_b32_e32 v17, v44, v22, vcc
	v_add_f32_e32 v22, 1.0, v17
	v_cvt_f64_f32_e32 v[24:25], v22
	v_add_f32_e32 v45, -1.0, v22
	v_sub_f32_e32 v46, v45, v22
	v_sub_f32_e32 v45, v17, v45
	v_frexp_exp_i32_f64_e32 v24, v[24:25]
	v_add_f32_e32 v25, 1.0, v46
	v_add_f32_e32 v25, v45, v25
	v_frexp_mant_f32_e32 v45, v22
	s_mov_b32 s3, 0x3f2aaaab
	v_cmp_gt_f32_e32 vcc, s3, v45
	s_mov_b32 s3, 0x3f317218
	s_mov_b32 s2, 0x7f800000
	v_subbrev_co_u32_e32 v24, vcc, 0, v24, vcc
	v_sub_u32_e32 v45, 0, v24
	v_ldexp_f32 v22, v22, v45
	v_ldexp_f32 v25, v25, v45
	v_add_f32_e32 v45, -1.0, v22
	v_add_f32_e32 v48, 1.0, v22
	v_add_f32_e32 v46, 1.0, v45
	v_add_f32_e32 v49, -1.0, v48
	v_sub_f32_e32 v46, v22, v46
	v_sub_f32_e32 v22, v22, v49
	v_add_f32_e32 v22, v25, v22
	v_add_f32_e32 v46, v25, v46
	;; [unrolled: 1-line block ×3, first 2 shown]
	v_rcp_f32_e32 v49, v25
	v_add_f32_e32 v47, v45, v46
	v_sub_f32_e32 v45, v45, v47
	v_add_f32_e32 v45, v46, v45
	v_sub_f32_e32 v46, v48, v25
	v_add_f32_e32 v22, v22, v46
	v_mul_f32_e32 v46, v47, v49
	v_mul_f32_e32 v48, v25, v46
	v_fma_f32 v50, v46, v25, -v48
	v_fmac_f32_e32 v50, v46, v22
	v_add_f32_e32 v51, v48, v50
	v_sub_f32_e32 v52, v47, v51
	v_sub_f32_e32 v47, v47, v52
	;; [unrolled: 1-line block ×4, first 2 shown]
	v_add_f32_e32 v45, v45, v47
	v_sub_f32_e32 v47, v48, v50
	v_add_f32_e32 v45, v47, v45
	v_add_f32_e32 v47, v52, v45
	v_mul_f32_e32 v48, v49, v47
	v_mul_f32_e32 v50, v25, v48
	v_fma_f32 v25, v48, v25, -v50
	v_fmac_f32_e32 v25, v48, v22
	v_sub_f32_e32 v22, v52, v47
	v_add_f32_e32 v22, v45, v22
	v_add_f32_e32 v45, v50, v25
	v_sub_f32_e32 v51, v47, v45
	v_sub_f32_e32 v47, v47, v51
	;; [unrolled: 1-line block ×4, first 2 shown]
	v_add_f32_e32 v22, v22, v45
	v_sub_f32_e32 v25, v50, v25
	v_add_f32_e32 v22, v25, v22
	v_add_f32_e32 v25, v46, v48
	;; [unrolled: 1-line block ×3, first 2 shown]
	v_sub_f32_e32 v45, v25, v46
	v_mul_f32_e32 v22, v49, v22
	v_sub_f32_e32 v45, v48, v45
	v_add_f32_e32 v22, v45, v22
	v_cvt_f32_i32_e32 v24, v24
	v_add_f32_e32 v45, v25, v22
	v_mul_f32_e32 v46, v45, v45
	v_mov_b32_e32 v47, 0x3ecc95a3
	v_fmac_f32_e32 v47, 0x3e9b6dac, v46
	v_mov_b32_e32 v48, 0x3f2aaada
	v_fmac_f32_e32 v48, v46, v47
	v_mul_f32_e32 v47, 0x3f317218, v24
	v_fma_f32 v49, v24, s3, -v47
	v_fmac_f32_e32 v49, 0xb102e308, v24
	v_sub_f32_e32 v24, v45, v25
	v_sub_f32_e32 v22, v22, v24
	v_add_f32_e32 v24, v47, v49
	v_sub_f32_e32 v25, v24, v47
	v_ldexp_f32 v47, v45, 1
	v_mul_f32_e32 v45, v45, v46
	v_mul_f32_e32 v45, v45, v48
	v_add_f32_e32 v46, v47, v45
	v_sub_f32_e32 v47, v46, v47
	v_ldexp_f32 v22, v22, 1
	v_sub_f32_e32 v45, v45, v47
	v_add_f32_e32 v22, v22, v45
	v_add_f32_e32 v45, v46, v22
	v_sub_f32_e32 v46, v45, v46
	v_sub_f32_e32 v22, v22, v46
	v_add_f32_e32 v46, v24, v45
	v_sub_f32_e32 v47, v46, v24
	v_sub_f32_e32 v48, v46, v47
	;; [unrolled: 1-line block ×5, first 2 shown]
	v_add_f32_e32 v24, v45, v24
	v_add_f32_e32 v45, v25, v22
	v_sub_f32_e32 v47, v45, v25
	v_sub_f32_e32 v48, v45, v47
	;; [unrolled: 1-line block ×4, first 2 shown]
	v_add_f32_e32 v24, v45, v24
	v_add_f32_e32 v22, v22, v25
	;; [unrolled: 1-line block ×3, first 2 shown]
	v_sub_f32_e32 v45, v25, v46
	v_sub_f32_e32 v24, v24, v45
	v_add_f32_e32 v22, v22, v24
	v_add_f32_e32 v22, v25, v22
	v_cmp_neq_f32_e32 vcc, s2, v17
	s_mov_b32 s2, 0x33800000
	v_cndmask_b32_e32 v22, v44, v22, vcc
	v_cmp_lt_f32_e64 vcc, |v17|, s2
	v_cndmask_b32_e32 v17, v22, v17, vcc
	v_add_f32_e32 v17, v23, v17
	v_cvt_f16_f32_e32 v47, v17
	v_cvt_f32_f16_e32 v17, v47
	v_mov_b32_e32 v22, v47
.LBB355_229:
	s_or_b64 exec, exec, s[0:1]
	v_max_f32_e32 v23, v26, v26
	v_max_f32_e32 v25, v17, v17
	v_min_f32_e32 v24, v25, v23
	v_cmp_u_f16_e32 vcc, v47, v47
	v_max_f32_e32 v23, v25, v23
	v_cndmask_b32_e32 v24, v24, v17, vcc
	v_cndmask_b32_e32 v23, v23, v17, vcc
	v_cndmask_b32_e64 v24, v24, v26, s[12:13]
	v_cndmask_b32_e64 v23, v23, v26, s[12:13]
	s_movk_i32 s2, 0x1f8
	v_cmp_neq_f32_e32 vcc, v24, v23
	v_cmp_class_f32_e64 s[0:1], v24, s2
	s_or_b64 s[6:7], vcc, s[0:1]
	v_mov_b32_e32 v44, v22
	s_and_saveexec_b64 s[0:1], s[6:7]
	s_cbranch_execz .LBB355_231
; %bb.230:
	v_sub_f32_e32 v17, v24, v23
	s_mov_b32 s3, 0x3fb8aa3b
	v_mul_f32_e32 v24, 0x3fb8aa3b, v17
	v_fma_f32 v25, v17, s3, -v24
	v_rndne_f32_e32 v26, v24
	v_fmac_f32_e32 v25, 0x32a5705f, v17
	v_sub_f32_e32 v24, v24, v26
	v_add_f32_e32 v24, v24, v25
	v_exp_f32_e32 v24, v24
	v_cvt_i32_f32_e32 v25, v26
	s_mov_b32 s3, 0xc2ce8ed0
	v_cmp_ngt_f32_e32 vcc, s3, v17
	s_mov_b32 s3, 0x42b17218
	v_ldexp_f32 v24, v24, v25
	v_cndmask_b32_e32 v24, 0, v24, vcc
	v_mov_b32_e32 v26, 0x7f800000
	v_cmp_nlt_f32_e32 vcc, s3, v17
	v_cndmask_b32_e32 v17, v26, v24, vcc
	v_add_f32_e32 v44, 1.0, v17
	v_cvt_f64_f32_e32 v[24:25], v44
	v_add_f32_e32 v45, -1.0, v44
	v_sub_f32_e32 v46, v45, v44
	v_sub_f32_e32 v45, v17, v45
	v_frexp_exp_i32_f64_e32 v24, v[24:25]
	v_add_f32_e32 v25, 1.0, v46
	v_add_f32_e32 v25, v45, v25
	v_frexp_mant_f32_e32 v45, v44
	s_mov_b32 s6, 0x3f2aaaab
	v_cmp_gt_f32_e32 vcc, s6, v45
	s_mov_b32 s6, 0x3f317218
	s_mov_b32 s3, 0x7f800000
	v_subbrev_co_u32_e32 v24, vcc, 0, v24, vcc
	v_sub_u32_e32 v45, 0, v24
	v_ldexp_f32 v44, v44, v45
	v_ldexp_f32 v25, v25, v45
	v_add_f32_e32 v45, -1.0, v44
	v_add_f32_e32 v48, 1.0, v44
	v_add_f32_e32 v46, 1.0, v45
	v_add_f32_e32 v49, -1.0, v48
	v_sub_f32_e32 v46, v44, v46
	v_sub_f32_e32 v44, v44, v49
	v_add_f32_e32 v46, v25, v46
	v_add_f32_e32 v25, v25, v44
	;; [unrolled: 1-line block ×3, first 2 shown]
	v_rcp_f32_e32 v49, v44
	v_add_f32_e32 v47, v45, v46
	v_sub_f32_e32 v45, v45, v47
	v_add_f32_e32 v45, v46, v45
	v_sub_f32_e32 v46, v48, v44
	v_add_f32_e32 v25, v25, v46
	v_mul_f32_e32 v46, v47, v49
	v_mul_f32_e32 v48, v44, v46
	v_fma_f32 v50, v46, v44, -v48
	v_fmac_f32_e32 v50, v46, v25
	v_add_f32_e32 v51, v48, v50
	v_sub_f32_e32 v52, v47, v51
	v_sub_f32_e32 v47, v47, v52
	v_sub_f32_e32 v48, v51, v48
	v_sub_f32_e32 v47, v47, v51
	v_add_f32_e32 v45, v45, v47
	v_sub_f32_e32 v47, v48, v50
	v_add_f32_e32 v45, v47, v45
	v_add_f32_e32 v47, v52, v45
	v_mul_f32_e32 v48, v49, v47
	v_mul_f32_e32 v50, v44, v48
	v_fma_f32 v44, v48, v44, -v50
	v_fmac_f32_e32 v44, v48, v25
	v_sub_f32_e32 v25, v52, v47
	v_add_f32_e32 v25, v45, v25
	v_add_f32_e32 v45, v50, v44
	v_sub_f32_e32 v51, v47, v45
	v_sub_f32_e32 v47, v47, v51
	;; [unrolled: 1-line block ×4, first 2 shown]
	v_add_f32_e32 v25, v25, v45
	v_sub_f32_e32 v44, v50, v44
	v_add_f32_e32 v25, v44, v25
	v_add_f32_e32 v44, v46, v48
	;; [unrolled: 1-line block ×3, first 2 shown]
	v_sub_f32_e32 v45, v44, v46
	v_mul_f32_e32 v25, v49, v25
	v_sub_f32_e32 v45, v48, v45
	v_add_f32_e32 v25, v45, v25
	v_cvt_f32_i32_e32 v24, v24
	v_add_f32_e32 v45, v44, v25
	v_mul_f32_e32 v46, v45, v45
	v_mov_b32_e32 v47, 0x3ecc95a3
	v_fmac_f32_e32 v47, 0x3e9b6dac, v46
	v_mov_b32_e32 v48, 0x3f2aaada
	v_fmac_f32_e32 v48, v46, v47
	v_mul_f32_e32 v47, 0x3f317218, v24
	v_fma_f32 v49, v24, s6, -v47
	v_fmac_f32_e32 v49, 0xb102e308, v24
	v_sub_f32_e32 v24, v45, v44
	v_sub_f32_e32 v24, v25, v24
	v_add_f32_e32 v25, v47, v49
	v_sub_f32_e32 v44, v25, v47
	v_ldexp_f32 v47, v45, 1
	v_mul_f32_e32 v45, v45, v46
	v_mul_f32_e32 v45, v45, v48
	v_add_f32_e32 v46, v47, v45
	v_sub_f32_e32 v47, v46, v47
	v_ldexp_f32 v24, v24, 1
	v_sub_f32_e32 v45, v45, v47
	v_add_f32_e32 v24, v24, v45
	v_add_f32_e32 v45, v46, v24
	v_sub_f32_e32 v46, v45, v46
	v_sub_f32_e32 v24, v24, v46
	v_add_f32_e32 v46, v25, v45
	v_sub_f32_e32 v47, v46, v25
	v_sub_f32_e32 v48, v46, v47
	;; [unrolled: 1-line block ×5, first 2 shown]
	v_add_f32_e32 v25, v45, v25
	v_add_f32_e32 v45, v44, v24
	v_sub_f32_e32 v47, v45, v44
	v_sub_f32_e32 v48, v45, v47
	;; [unrolled: 1-line block ×4, first 2 shown]
	v_add_f32_e32 v25, v45, v25
	v_add_f32_e32 v24, v24, v44
	;; [unrolled: 1-line block ×3, first 2 shown]
	v_sub_f32_e32 v45, v44, v46
	v_sub_f32_e32 v25, v25, v45
	v_add_f32_e32 v24, v24, v25
	v_add_f32_e32 v24, v44, v24
	v_cmp_neq_f32_e32 vcc, s3, v17
	s_mov_b32 s3, 0x33800000
	v_cndmask_b32_e32 v24, v26, v24, vcc
	v_cmp_lt_f32_e64 vcc, |v17|, s3
	v_cndmask_b32_e32 v17, v24, v17, vcc
	v_add_f32_e32 v17, v23, v17
	v_cvt_f16_f32_e32 v47, v17
	v_cvt_f32_f16_e32 v17, v47
	v_mov_b32_e32 v44, v47
.LBB355_231:
	s_or_b64 exec, exec, s[0:1]
	v_max_f32_e32 v23, v27, v27
	v_max_f32_e32 v24, v17, v17
	v_min_f32_e32 v25, v24, v23
	v_cmp_u_f16_e32 vcc, v47, v47
	v_max_f32_e32 v23, v24, v23
	v_cndmask_b32_e32 v25, v25, v17, vcc
	v_cndmask_b32_e32 v23, v23, v17, vcc
	v_cndmask_b32_e64 v25, v25, v27, s[14:15]
	v_cndmask_b32_e64 v24, v23, v27, s[14:15]
	v_cmp_neq_f32_e32 vcc, v25, v24
	v_cmp_class_f32_e64 s[0:1], v25, s2
	s_or_b64 s[2:3], vcc, s[0:1]
	v_mov_b32_e32 v23, v44
	s_and_saveexec_b64 s[0:1], s[2:3]
	s_cbranch_execz .LBB355_233
; %bb.232:
	v_sub_f32_e32 v17, v25, v24
	s_mov_b32 s2, 0x3fb8aa3b
	v_mul_f32_e32 v23, 0x3fb8aa3b, v17
	v_fma_f32 v25, v17, s2, -v23
	v_rndne_f32_e32 v26, v23
	v_fmac_f32_e32 v25, 0x32a5705f, v17
	v_sub_f32_e32 v23, v23, v26
	v_add_f32_e32 v23, v23, v25
	v_exp_f32_e32 v23, v23
	v_cvt_i32_f32_e32 v25, v26
	s_mov_b32 s2, 0xc2ce8ed0
	v_cmp_ngt_f32_e32 vcc, s2, v17
	s_mov_b32 s2, 0x42b17218
	v_ldexp_f32 v23, v23, v25
	v_cndmask_b32_e32 v23, 0, v23, vcc
	v_mov_b32_e32 v27, 0x7f800000
	v_cmp_nlt_f32_e32 vcc, s2, v17
	v_cndmask_b32_e32 v17, v27, v23, vcc
	v_add_f32_e32 v23, 1.0, v17
	v_cvt_f64_f32_e32 v[25:26], v23
	v_add_f32_e32 v45, -1.0, v23
	v_sub_f32_e32 v46, v45, v23
	v_sub_f32_e32 v45, v17, v45
	v_frexp_exp_i32_f64_e32 v25, v[25:26]
	v_add_f32_e32 v26, 1.0, v46
	v_add_f32_e32 v26, v45, v26
	v_frexp_mant_f32_e32 v45, v23
	s_mov_b32 s3, 0x3f2aaaab
	v_cmp_gt_f32_e32 vcc, s3, v45
	s_mov_b32 s3, 0x3f317218
	s_mov_b32 s2, 0x7f800000
	v_subbrev_co_u32_e32 v25, vcc, 0, v25, vcc
	v_sub_u32_e32 v45, 0, v25
	v_ldexp_f32 v23, v23, v45
	v_ldexp_f32 v26, v26, v45
	v_add_f32_e32 v45, -1.0, v23
	v_add_f32_e32 v48, 1.0, v23
	v_add_f32_e32 v46, 1.0, v45
	v_add_f32_e32 v49, -1.0, v48
	v_sub_f32_e32 v46, v23, v46
	v_sub_f32_e32 v23, v23, v49
	v_add_f32_e32 v23, v26, v23
	v_add_f32_e32 v46, v26, v46
	v_add_f32_e32 v26, v48, v23
	v_rcp_f32_e32 v49, v26
	v_add_f32_e32 v47, v45, v46
	v_sub_f32_e32 v45, v45, v47
	v_add_f32_e32 v45, v46, v45
	v_sub_f32_e32 v46, v48, v26
	v_add_f32_e32 v23, v23, v46
	v_mul_f32_e32 v46, v47, v49
	v_mul_f32_e32 v48, v26, v46
	v_fma_f32 v50, v46, v26, -v48
	v_fmac_f32_e32 v50, v46, v23
	v_add_f32_e32 v51, v48, v50
	v_sub_f32_e32 v52, v47, v51
	v_sub_f32_e32 v47, v47, v52
	;; [unrolled: 1-line block ×4, first 2 shown]
	v_add_f32_e32 v45, v45, v47
	v_sub_f32_e32 v47, v48, v50
	v_add_f32_e32 v45, v47, v45
	v_add_f32_e32 v47, v52, v45
	v_mul_f32_e32 v48, v49, v47
	v_mul_f32_e32 v50, v26, v48
	v_fma_f32 v26, v48, v26, -v50
	v_fmac_f32_e32 v26, v48, v23
	v_sub_f32_e32 v23, v52, v47
	v_add_f32_e32 v23, v45, v23
	v_add_f32_e32 v45, v50, v26
	v_sub_f32_e32 v51, v47, v45
	v_sub_f32_e32 v47, v47, v51
	;; [unrolled: 1-line block ×4, first 2 shown]
	v_add_f32_e32 v23, v23, v45
	v_sub_f32_e32 v26, v50, v26
	v_add_f32_e32 v23, v26, v23
	v_add_f32_e32 v26, v46, v48
	;; [unrolled: 1-line block ×3, first 2 shown]
	v_sub_f32_e32 v45, v26, v46
	v_mul_f32_e32 v23, v49, v23
	v_sub_f32_e32 v45, v48, v45
	v_add_f32_e32 v23, v45, v23
	v_cvt_f32_i32_e32 v25, v25
	v_add_f32_e32 v45, v26, v23
	v_mul_f32_e32 v46, v45, v45
	v_mov_b32_e32 v47, 0x3ecc95a3
	v_fmac_f32_e32 v47, 0x3e9b6dac, v46
	v_mov_b32_e32 v48, 0x3f2aaada
	v_fmac_f32_e32 v48, v46, v47
	v_mul_f32_e32 v47, 0x3f317218, v25
	v_fma_f32 v49, v25, s3, -v47
	v_fmac_f32_e32 v49, 0xb102e308, v25
	v_sub_f32_e32 v25, v45, v26
	v_sub_f32_e32 v23, v23, v25
	v_add_f32_e32 v25, v47, v49
	v_sub_f32_e32 v26, v25, v47
	v_ldexp_f32 v47, v45, 1
	v_mul_f32_e32 v45, v45, v46
	v_mul_f32_e32 v45, v45, v48
	v_add_f32_e32 v46, v47, v45
	v_sub_f32_e32 v47, v46, v47
	v_ldexp_f32 v23, v23, 1
	v_sub_f32_e32 v45, v45, v47
	v_add_f32_e32 v23, v23, v45
	v_add_f32_e32 v45, v46, v23
	v_sub_f32_e32 v46, v45, v46
	v_sub_f32_e32 v23, v23, v46
	v_add_f32_e32 v46, v25, v45
	v_sub_f32_e32 v47, v46, v25
	v_sub_f32_e32 v48, v46, v47
	;; [unrolled: 1-line block ×5, first 2 shown]
	v_add_f32_e32 v25, v45, v25
	v_add_f32_e32 v45, v26, v23
	v_sub_f32_e32 v47, v45, v26
	v_sub_f32_e32 v48, v45, v47
	;; [unrolled: 1-line block ×4, first 2 shown]
	v_add_f32_e32 v25, v45, v25
	v_add_f32_e32 v23, v23, v26
	;; [unrolled: 1-line block ×3, first 2 shown]
	v_sub_f32_e32 v45, v26, v46
	v_sub_f32_e32 v25, v25, v45
	v_add_f32_e32 v23, v23, v25
	v_add_f32_e32 v23, v26, v23
	v_cmp_neq_f32_e32 vcc, s2, v17
	s_mov_b32 s2, 0x33800000
	v_cndmask_b32_e32 v23, v27, v23, vcc
	v_cmp_lt_f32_e64 vcc, |v17|, s2
	v_cndmask_b32_e32 v17, v23, v17, vcc
	v_add_f32_e32 v17, v24, v17
	v_cvt_f16_f32_e32 v47, v17
	v_cvt_f32_f16_e32 v17, v47
	v_mov_b32_e32 v23, v47
.LBB355_233:
	s_or_b64 exec, exec, s[0:1]
	v_max_f32_e32 v24, v28, v28
	v_max_f32_e32 v26, v17, v17
	v_min_f32_e32 v25, v26, v24
	v_cmp_u_f16_e32 vcc, v47, v47
	v_max_f32_e32 v24, v26, v24
	v_cndmask_b32_e32 v25, v25, v17, vcc
	v_cndmask_b32_e32 v24, v24, v17, vcc
	v_cndmask_b32_e64 v25, v25, v28, s[16:17]
	v_cndmask_b32_e64 v24, v24, v28, s[16:17]
	s_movk_i32 s2, 0x1f8
	v_cmp_neq_f32_e32 vcc, v25, v24
	v_cmp_class_f32_e64 s[0:1], v25, s2
	s_or_b64 s[6:7], vcc, s[0:1]
	v_mov_b32_e32 v45, v23
	s_and_saveexec_b64 s[0:1], s[6:7]
	s_cbranch_execz .LBB355_235
; %bb.234:
	v_sub_f32_e32 v17, v25, v24
	s_mov_b32 s3, 0x3fb8aa3b
	v_mul_f32_e32 v25, 0x3fb8aa3b, v17
	v_fma_f32 v26, v17, s3, -v25
	v_rndne_f32_e32 v27, v25
	v_fmac_f32_e32 v26, 0x32a5705f, v17
	v_sub_f32_e32 v25, v25, v27
	v_add_f32_e32 v25, v25, v26
	v_exp_f32_e32 v25, v25
	v_cvt_i32_f32_e32 v26, v27
	s_mov_b32 s3, 0xc2ce8ed0
	v_cmp_ngt_f32_e32 vcc, s3, v17
	s_mov_b32 s3, 0x42b17218
	v_ldexp_f32 v25, v25, v26
	v_cndmask_b32_e32 v25, 0, v25, vcc
	v_mov_b32_e32 v27, 0x7f800000
	v_cmp_nlt_f32_e32 vcc, s3, v17
	v_cndmask_b32_e32 v17, v27, v25, vcc
	v_add_f32_e32 v28, 1.0, v17
	v_cvt_f64_f32_e32 v[25:26], v28
	v_add_f32_e32 v45, -1.0, v28
	v_sub_f32_e32 v46, v45, v28
	v_sub_f32_e32 v45, v17, v45
	v_frexp_exp_i32_f64_e32 v25, v[25:26]
	v_add_f32_e32 v26, 1.0, v46
	v_add_f32_e32 v26, v45, v26
	v_frexp_mant_f32_e32 v45, v28
	s_mov_b32 s6, 0x3f2aaaab
	v_cmp_gt_f32_e32 vcc, s6, v45
	s_mov_b32 s6, 0x3f317218
	s_mov_b32 s3, 0x7f800000
	v_subbrev_co_u32_e32 v25, vcc, 0, v25, vcc
	v_sub_u32_e32 v45, 0, v25
	v_ldexp_f32 v28, v28, v45
	v_ldexp_f32 v26, v26, v45
	v_add_f32_e32 v45, -1.0, v28
	v_add_f32_e32 v48, 1.0, v28
	v_add_f32_e32 v46, 1.0, v45
	v_add_f32_e32 v49, -1.0, v48
	v_sub_f32_e32 v46, v28, v46
	v_sub_f32_e32 v28, v28, v49
	v_add_f32_e32 v46, v26, v46
	v_add_f32_e32 v26, v26, v28
	;; [unrolled: 1-line block ×3, first 2 shown]
	v_rcp_f32_e32 v49, v28
	v_add_f32_e32 v47, v45, v46
	v_sub_f32_e32 v45, v45, v47
	v_add_f32_e32 v45, v46, v45
	v_sub_f32_e32 v46, v48, v28
	v_add_f32_e32 v26, v26, v46
	v_mul_f32_e32 v46, v47, v49
	v_mul_f32_e32 v48, v28, v46
	v_fma_f32 v50, v46, v28, -v48
	v_fmac_f32_e32 v50, v46, v26
	v_add_f32_e32 v51, v48, v50
	v_sub_f32_e32 v52, v47, v51
	v_sub_f32_e32 v47, v47, v52
	;; [unrolled: 1-line block ×4, first 2 shown]
	v_add_f32_e32 v45, v45, v47
	v_sub_f32_e32 v47, v48, v50
	v_add_f32_e32 v45, v47, v45
	v_add_f32_e32 v47, v52, v45
	v_mul_f32_e32 v48, v49, v47
	v_mul_f32_e32 v50, v28, v48
	v_fma_f32 v28, v48, v28, -v50
	v_fmac_f32_e32 v28, v48, v26
	v_sub_f32_e32 v26, v52, v47
	v_add_f32_e32 v26, v45, v26
	v_add_f32_e32 v45, v50, v28
	v_sub_f32_e32 v51, v47, v45
	v_sub_f32_e32 v47, v47, v51
	;; [unrolled: 1-line block ×4, first 2 shown]
	v_add_f32_e32 v26, v26, v45
	v_sub_f32_e32 v28, v50, v28
	v_add_f32_e32 v26, v28, v26
	v_add_f32_e32 v28, v46, v48
	;; [unrolled: 1-line block ×3, first 2 shown]
	v_sub_f32_e32 v45, v28, v46
	v_mul_f32_e32 v26, v49, v26
	v_sub_f32_e32 v45, v48, v45
	v_add_f32_e32 v26, v45, v26
	v_cvt_f32_i32_e32 v25, v25
	v_add_f32_e32 v45, v28, v26
	v_mul_f32_e32 v46, v45, v45
	v_mov_b32_e32 v47, 0x3ecc95a3
	v_fmac_f32_e32 v47, 0x3e9b6dac, v46
	v_mov_b32_e32 v48, 0x3f2aaada
	v_fmac_f32_e32 v48, v46, v47
	v_mul_f32_e32 v47, 0x3f317218, v25
	v_fma_f32 v49, v25, s6, -v47
	v_fmac_f32_e32 v49, 0xb102e308, v25
	v_sub_f32_e32 v25, v45, v28
	v_sub_f32_e32 v25, v26, v25
	v_add_f32_e32 v26, v47, v49
	v_sub_f32_e32 v28, v26, v47
	v_ldexp_f32 v47, v45, 1
	v_mul_f32_e32 v45, v45, v46
	v_mul_f32_e32 v45, v45, v48
	v_add_f32_e32 v46, v47, v45
	v_sub_f32_e32 v47, v46, v47
	v_ldexp_f32 v25, v25, 1
	v_sub_f32_e32 v45, v45, v47
	v_add_f32_e32 v25, v25, v45
	v_add_f32_e32 v45, v46, v25
	v_sub_f32_e32 v46, v45, v46
	v_sub_f32_e32 v25, v25, v46
	v_add_f32_e32 v46, v26, v45
	v_sub_f32_e32 v47, v46, v26
	v_sub_f32_e32 v48, v46, v47
	;; [unrolled: 1-line block ×5, first 2 shown]
	v_add_f32_e32 v26, v45, v26
	v_add_f32_e32 v45, v28, v25
	v_sub_f32_e32 v47, v45, v28
	v_sub_f32_e32 v48, v45, v47
	;; [unrolled: 1-line block ×4, first 2 shown]
	v_add_f32_e32 v26, v45, v26
	v_add_f32_e32 v25, v25, v28
	v_add_f32_e32 v28, v46, v26
	v_sub_f32_e32 v45, v28, v46
	v_sub_f32_e32 v26, v26, v45
	v_add_f32_e32 v25, v25, v26
	v_add_f32_e32 v25, v28, v25
	v_cmp_neq_f32_e32 vcc, s3, v17
	s_mov_b32 s3, 0x33800000
	v_cndmask_b32_e32 v25, v27, v25, vcc
	v_cmp_lt_f32_e64 vcc, |v17|, s3
	v_cndmask_b32_e32 v17, v25, v17, vcc
	v_add_f32_e32 v17, v24, v17
	v_cvt_f16_f32_e32 v47, v17
	v_cvt_f32_f16_e32 v17, v47
	v_mov_b32_e32 v45, v47
.LBB355_235:
	s_or_b64 exec, exec, s[0:1]
	v_max_f32_e32 v24, v29, v29
	v_max_f32_e32 v25, v17, v17
	v_min_f32_e32 v26, v25, v24
	v_cmp_u_f16_e32 vcc, v47, v47
	v_max_f32_e32 v24, v25, v24
	v_cndmask_b32_e32 v26, v26, v17, vcc
	v_cndmask_b32_e32 v24, v24, v17, vcc
	v_cndmask_b32_e64 v26, v26, v29, s[18:19]
	v_cndmask_b32_e64 v25, v24, v29, s[18:19]
	v_cmp_neq_f32_e32 vcc, v26, v25
	v_cmp_class_f32_e64 s[0:1], v26, s2
	s_or_b64 s[2:3], vcc, s[0:1]
	v_mov_b32_e32 v24, v45
	s_and_saveexec_b64 s[0:1], s[2:3]
	s_cbranch_execz .LBB355_237
; %bb.236:
	v_sub_f32_e32 v17, v26, v25
	s_mov_b32 s2, 0x3fb8aa3b
	v_mul_f32_e32 v24, 0x3fb8aa3b, v17
	v_fma_f32 v26, v17, s2, -v24
	v_rndne_f32_e32 v27, v24
	v_fmac_f32_e32 v26, 0x32a5705f, v17
	v_sub_f32_e32 v24, v24, v27
	v_add_f32_e32 v24, v24, v26
	v_exp_f32_e32 v24, v24
	v_cvt_i32_f32_e32 v26, v27
	s_mov_b32 s2, 0xc2ce8ed0
	v_cmp_ngt_f32_e32 vcc, s2, v17
	s_mov_b32 s2, 0x42b17218
	v_ldexp_f32 v24, v24, v26
	v_cndmask_b32_e32 v24, 0, v24, vcc
	v_mov_b32_e32 v28, 0x7f800000
	v_cmp_nlt_f32_e32 vcc, s2, v17
	v_cndmask_b32_e32 v17, v28, v24, vcc
	v_add_f32_e32 v24, 1.0, v17
	v_cvt_f64_f32_e32 v[26:27], v24
	v_add_f32_e32 v29, -1.0, v24
	v_sub_f32_e32 v46, v29, v24
	v_sub_f32_e32 v29, v17, v29
	v_frexp_exp_i32_f64_e32 v26, v[26:27]
	v_add_f32_e32 v27, 1.0, v46
	v_add_f32_e32 v27, v29, v27
	v_frexp_mant_f32_e32 v29, v24
	s_mov_b32 s3, 0x3f2aaaab
	v_cmp_gt_f32_e32 vcc, s3, v29
	s_mov_b32 s3, 0x3f317218
	s_mov_b32 s2, 0x7f800000
	v_subbrev_co_u32_e32 v26, vcc, 0, v26, vcc
	v_sub_u32_e32 v29, 0, v26
	v_ldexp_f32 v24, v24, v29
	v_ldexp_f32 v27, v27, v29
	v_add_f32_e32 v29, -1.0, v24
	v_add_f32_e32 v48, 1.0, v24
	v_add_f32_e32 v46, 1.0, v29
	v_add_f32_e32 v49, -1.0, v48
	v_sub_f32_e32 v46, v24, v46
	v_sub_f32_e32 v24, v24, v49
	v_add_f32_e32 v24, v27, v24
	v_add_f32_e32 v46, v27, v46
	;; [unrolled: 1-line block ×3, first 2 shown]
	v_rcp_f32_e32 v49, v27
	v_add_f32_e32 v47, v29, v46
	v_sub_f32_e32 v29, v29, v47
	v_add_f32_e32 v29, v46, v29
	v_sub_f32_e32 v46, v48, v27
	v_add_f32_e32 v24, v24, v46
	v_mul_f32_e32 v46, v47, v49
	v_mul_f32_e32 v48, v27, v46
	v_fma_f32 v50, v46, v27, -v48
	v_fmac_f32_e32 v50, v46, v24
	v_add_f32_e32 v51, v48, v50
	v_sub_f32_e32 v52, v47, v51
	v_sub_f32_e32 v47, v47, v52
	;; [unrolled: 1-line block ×4, first 2 shown]
	v_add_f32_e32 v29, v29, v47
	v_sub_f32_e32 v47, v48, v50
	v_add_f32_e32 v29, v47, v29
	v_add_f32_e32 v47, v52, v29
	v_mul_f32_e32 v48, v49, v47
	v_mul_f32_e32 v50, v27, v48
	v_fma_f32 v27, v48, v27, -v50
	v_fmac_f32_e32 v27, v48, v24
	v_sub_f32_e32 v24, v52, v47
	v_add_f32_e32 v24, v29, v24
	v_add_f32_e32 v29, v50, v27
	v_sub_f32_e32 v51, v47, v29
	v_sub_f32_e32 v47, v47, v51
	;; [unrolled: 1-line block ×4, first 2 shown]
	v_add_f32_e32 v24, v24, v29
	v_sub_f32_e32 v27, v50, v27
	v_add_f32_e32 v24, v27, v24
	v_add_f32_e32 v27, v46, v48
	;; [unrolled: 1-line block ×3, first 2 shown]
	v_sub_f32_e32 v29, v27, v46
	v_mul_f32_e32 v24, v49, v24
	v_sub_f32_e32 v29, v48, v29
	v_add_f32_e32 v24, v29, v24
	v_cvt_f32_i32_e32 v26, v26
	v_add_f32_e32 v29, v27, v24
	v_mul_f32_e32 v46, v29, v29
	v_mov_b32_e32 v47, 0x3ecc95a3
	v_fmac_f32_e32 v47, 0x3e9b6dac, v46
	v_mov_b32_e32 v48, 0x3f2aaada
	v_fmac_f32_e32 v48, v46, v47
	v_mul_f32_e32 v47, 0x3f317218, v26
	v_fma_f32 v49, v26, s3, -v47
	v_fmac_f32_e32 v49, 0xb102e308, v26
	v_sub_f32_e32 v26, v29, v27
	v_sub_f32_e32 v24, v24, v26
	v_add_f32_e32 v26, v47, v49
	v_sub_f32_e32 v27, v26, v47
	v_ldexp_f32 v47, v29, 1
	v_mul_f32_e32 v29, v29, v46
	v_mul_f32_e32 v29, v29, v48
	v_add_f32_e32 v46, v47, v29
	v_sub_f32_e32 v47, v46, v47
	v_ldexp_f32 v24, v24, 1
	v_sub_f32_e32 v29, v29, v47
	v_add_f32_e32 v24, v24, v29
	v_add_f32_e32 v29, v46, v24
	v_sub_f32_e32 v46, v29, v46
	v_sub_f32_e32 v24, v24, v46
	v_add_f32_e32 v46, v26, v29
	v_sub_f32_e32 v47, v46, v26
	v_sub_f32_e32 v48, v46, v47
	;; [unrolled: 1-line block ×5, first 2 shown]
	v_add_f32_e32 v26, v29, v26
	v_add_f32_e32 v29, v27, v24
	v_sub_f32_e32 v47, v29, v27
	v_sub_f32_e32 v48, v29, v47
	;; [unrolled: 1-line block ×4, first 2 shown]
	v_add_f32_e32 v26, v29, v26
	v_add_f32_e32 v24, v24, v27
	;; [unrolled: 1-line block ×3, first 2 shown]
	v_sub_f32_e32 v29, v27, v46
	v_sub_f32_e32 v26, v26, v29
	v_add_f32_e32 v24, v24, v26
	v_add_f32_e32 v24, v27, v24
	v_cmp_neq_f32_e32 vcc, s2, v17
	s_mov_b32 s2, 0x33800000
	v_cndmask_b32_e32 v24, v28, v24, vcc
	v_cmp_lt_f32_e64 vcc, |v17|, s2
	v_cndmask_b32_e32 v17, v24, v17, vcc
	v_add_f32_e32 v17, v25, v17
	v_cvt_f16_f32_e32 v47, v17
	v_cvt_f32_f16_e32 v17, v47
	v_mov_b32_e32 v24, v47
.LBB355_237:
	s_or_b64 exec, exec, s[0:1]
	v_max_f32_e32 v25, v30, v30
	v_max_f32_e32 v27, v17, v17
	v_min_f32_e32 v26, v27, v25
	v_cmp_u_f16_e32 vcc, v47, v47
	v_max_f32_e32 v25, v27, v25
	v_cndmask_b32_e32 v26, v26, v17, vcc
	v_cndmask_b32_e32 v25, v25, v17, vcc
	v_cndmask_b32_e64 v26, v26, v30, s[20:21]
	v_cndmask_b32_e64 v25, v25, v30, s[20:21]
	s_movk_i32 s2, 0x1f8
	v_cmp_neq_f32_e32 vcc, v26, v25
	v_cmp_class_f32_e64 s[0:1], v26, s2
	s_or_b64 s[6:7], vcc, s[0:1]
	v_mov_b32_e32 v46, v24
	s_and_saveexec_b64 s[0:1], s[6:7]
	s_cbranch_execz .LBB355_239
; %bb.238:
	v_sub_f32_e32 v17, v26, v25
	s_mov_b32 s3, 0x3fb8aa3b
	v_mul_f32_e32 v26, 0x3fb8aa3b, v17
	v_fma_f32 v27, v17, s3, -v26
	v_rndne_f32_e32 v28, v26
	v_fmac_f32_e32 v27, 0x32a5705f, v17
	v_sub_f32_e32 v26, v26, v28
	v_add_f32_e32 v26, v26, v27
	v_exp_f32_e32 v26, v26
	v_cvt_i32_f32_e32 v27, v28
	s_mov_b32 s3, 0xc2ce8ed0
	v_cmp_ngt_f32_e32 vcc, s3, v17
	s_mov_b32 s3, 0x42b17218
	v_ldexp_f32 v26, v26, v27
	v_cndmask_b32_e32 v26, 0, v26, vcc
	v_mov_b32_e32 v28, 0x7f800000
	v_cmp_nlt_f32_e32 vcc, s3, v17
	v_cndmask_b32_e32 v17, v28, v26, vcc
	v_add_f32_e32 v29, 1.0, v17
	v_cvt_f64_f32_e32 v[26:27], v29
	v_add_f32_e32 v30, -1.0, v29
	v_sub_f32_e32 v46, v30, v29
	v_sub_f32_e32 v30, v17, v30
	v_frexp_exp_i32_f64_e32 v26, v[26:27]
	v_add_f32_e32 v27, 1.0, v46
	v_add_f32_e32 v27, v30, v27
	v_frexp_mant_f32_e32 v30, v29
	s_mov_b32 s6, 0x3f2aaaab
	v_cmp_gt_f32_e32 vcc, s6, v30
	s_mov_b32 s6, 0x3f317218
	s_mov_b32 s3, 0x7f800000
	v_subbrev_co_u32_e32 v26, vcc, 0, v26, vcc
	v_sub_u32_e32 v30, 0, v26
	v_ldexp_f32 v29, v29, v30
	v_ldexp_f32 v27, v27, v30
	v_add_f32_e32 v30, -1.0, v29
	v_add_f32_e32 v48, 1.0, v29
	v_add_f32_e32 v46, 1.0, v30
	v_add_f32_e32 v49, -1.0, v48
	v_sub_f32_e32 v46, v29, v46
	v_sub_f32_e32 v29, v29, v49
	v_add_f32_e32 v46, v27, v46
	v_add_f32_e32 v27, v27, v29
	;; [unrolled: 1-line block ×3, first 2 shown]
	v_rcp_f32_e32 v49, v29
	v_add_f32_e32 v47, v30, v46
	v_sub_f32_e32 v30, v30, v47
	v_add_f32_e32 v30, v46, v30
	v_sub_f32_e32 v46, v48, v29
	v_add_f32_e32 v27, v27, v46
	v_mul_f32_e32 v46, v47, v49
	v_mul_f32_e32 v48, v29, v46
	v_fma_f32 v50, v46, v29, -v48
	v_fmac_f32_e32 v50, v46, v27
	v_add_f32_e32 v51, v48, v50
	v_sub_f32_e32 v52, v47, v51
	v_sub_f32_e32 v47, v47, v52
	;; [unrolled: 1-line block ×4, first 2 shown]
	v_add_f32_e32 v30, v30, v47
	v_sub_f32_e32 v47, v48, v50
	v_add_f32_e32 v30, v47, v30
	v_add_f32_e32 v47, v52, v30
	v_mul_f32_e32 v48, v49, v47
	v_mul_f32_e32 v50, v29, v48
	v_fma_f32 v29, v48, v29, -v50
	v_fmac_f32_e32 v29, v48, v27
	v_sub_f32_e32 v27, v52, v47
	v_add_f32_e32 v27, v30, v27
	v_add_f32_e32 v30, v50, v29
	v_sub_f32_e32 v51, v47, v30
	v_sub_f32_e32 v47, v47, v51
	;; [unrolled: 1-line block ×4, first 2 shown]
	v_add_f32_e32 v27, v27, v30
	v_sub_f32_e32 v29, v50, v29
	v_add_f32_e32 v27, v29, v27
	v_add_f32_e32 v29, v46, v48
	;; [unrolled: 1-line block ×3, first 2 shown]
	v_sub_f32_e32 v30, v29, v46
	v_mul_f32_e32 v27, v49, v27
	v_sub_f32_e32 v30, v48, v30
	v_add_f32_e32 v27, v30, v27
	v_cvt_f32_i32_e32 v26, v26
	v_add_f32_e32 v30, v29, v27
	v_mul_f32_e32 v46, v30, v30
	v_mov_b32_e32 v47, 0x3ecc95a3
	v_fmac_f32_e32 v47, 0x3e9b6dac, v46
	v_mov_b32_e32 v48, 0x3f2aaada
	v_fmac_f32_e32 v48, v46, v47
	v_mul_f32_e32 v47, 0x3f317218, v26
	v_fma_f32 v49, v26, s6, -v47
	v_fmac_f32_e32 v49, 0xb102e308, v26
	v_sub_f32_e32 v26, v30, v29
	v_sub_f32_e32 v26, v27, v26
	v_add_f32_e32 v27, v47, v49
	v_sub_f32_e32 v29, v27, v47
	v_ldexp_f32 v47, v30, 1
	v_mul_f32_e32 v30, v30, v46
	v_mul_f32_e32 v30, v30, v48
	v_add_f32_e32 v46, v47, v30
	v_sub_f32_e32 v47, v46, v47
	v_ldexp_f32 v26, v26, 1
	v_sub_f32_e32 v30, v30, v47
	v_add_f32_e32 v26, v26, v30
	v_add_f32_e32 v30, v46, v26
	v_sub_f32_e32 v46, v30, v46
	v_sub_f32_e32 v26, v26, v46
	v_add_f32_e32 v46, v27, v30
	v_sub_f32_e32 v47, v46, v27
	v_sub_f32_e32 v48, v46, v47
	;; [unrolled: 1-line block ×5, first 2 shown]
	v_add_f32_e32 v27, v30, v27
	v_add_f32_e32 v30, v29, v26
	v_sub_f32_e32 v47, v30, v29
	v_sub_f32_e32 v48, v30, v47
	;; [unrolled: 1-line block ×4, first 2 shown]
	v_add_f32_e32 v27, v30, v27
	v_add_f32_e32 v26, v26, v29
	;; [unrolled: 1-line block ×3, first 2 shown]
	v_sub_f32_e32 v30, v29, v46
	v_sub_f32_e32 v27, v27, v30
	v_add_f32_e32 v26, v26, v27
	v_add_f32_e32 v26, v29, v26
	v_cmp_neq_f32_e32 vcc, s3, v17
	s_mov_b32 s3, 0x33800000
	v_cndmask_b32_e32 v26, v28, v26, vcc
	v_cmp_lt_f32_e64 vcc, |v17|, s3
	v_cndmask_b32_e32 v17, v26, v17, vcc
	v_add_f32_e32 v17, v25, v17
	v_cvt_f16_f32_e32 v47, v17
	v_cvt_f32_f16_e32 v17, v47
	v_mov_b32_e32 v46, v47
.LBB355_239:
	s_or_b64 exec, exec, s[0:1]
	v_max_f32_e32 v25, v31, v31
	v_max_f32_e32 v26, v17, v17
	v_min_f32_e32 v27, v26, v25
	v_cmp_u_f16_e32 vcc, v47, v47
	v_max_f32_e32 v25, v26, v25
	v_cndmask_b32_e32 v27, v27, v17, vcc
	v_cndmask_b32_e32 v25, v25, v17, vcc
	v_cndmask_b32_e64 v27, v27, v31, s[22:23]
	v_cndmask_b32_e64 v26, v25, v31, s[22:23]
	v_cmp_neq_f32_e32 vcc, v27, v26
	v_cmp_class_f32_e64 s[0:1], v27, s2
	s_or_b64 s[2:3], vcc, s[0:1]
	v_mov_b32_e32 v25, v46
	s_and_saveexec_b64 s[0:1], s[2:3]
	s_cbranch_execz .LBB355_241
; %bb.240:
	v_sub_f32_e32 v17, v27, v26
	s_mov_b32 s2, 0x3fb8aa3b
	v_mul_f32_e32 v25, 0x3fb8aa3b, v17
	v_fma_f32 v27, v17, s2, -v25
	v_rndne_f32_e32 v28, v25
	v_fmac_f32_e32 v27, 0x32a5705f, v17
	v_sub_f32_e32 v25, v25, v28
	v_add_f32_e32 v25, v25, v27
	v_exp_f32_e32 v25, v25
	v_cvt_i32_f32_e32 v27, v28
	s_mov_b32 s2, 0xc2ce8ed0
	v_cmp_ngt_f32_e32 vcc, s2, v17
	s_mov_b32 s2, 0x42b17218
	v_ldexp_f32 v25, v25, v27
	v_cndmask_b32_e32 v25, 0, v25, vcc
	v_mov_b32_e32 v29, 0x7f800000
	v_cmp_nlt_f32_e32 vcc, s2, v17
	v_cndmask_b32_e32 v17, v29, v25, vcc
	v_add_f32_e32 v25, 1.0, v17
	v_cvt_f64_f32_e32 v[27:28], v25
	v_add_f32_e32 v30, -1.0, v25
	v_sub_f32_e32 v31, v30, v25
	v_sub_f32_e32 v30, v17, v30
	v_frexp_exp_i32_f64_e32 v27, v[27:28]
	v_add_f32_e32 v28, 1.0, v31
	v_add_f32_e32 v28, v30, v28
	v_frexp_mant_f32_e32 v30, v25
	s_mov_b32 s3, 0x3f2aaaab
	v_cmp_gt_f32_e32 vcc, s3, v30
	s_mov_b32 s3, 0x3f317218
	s_mov_b32 s2, 0x7f800000
	v_subbrev_co_u32_e32 v27, vcc, 0, v27, vcc
	v_sub_u32_e32 v30, 0, v27
	v_ldexp_f32 v25, v25, v30
	v_ldexp_f32 v28, v28, v30
	v_add_f32_e32 v30, -1.0, v25
	v_add_f32_e32 v48, 1.0, v25
	v_add_f32_e32 v31, 1.0, v30
	v_add_f32_e32 v49, -1.0, v48
	v_sub_f32_e32 v31, v25, v31
	v_sub_f32_e32 v25, v25, v49
	v_add_f32_e32 v25, v28, v25
	v_add_f32_e32 v31, v28, v31
	;; [unrolled: 1-line block ×3, first 2 shown]
	v_rcp_f32_e32 v49, v28
	v_add_f32_e32 v47, v30, v31
	v_sub_f32_e32 v30, v30, v47
	v_add_f32_e32 v30, v31, v30
	v_sub_f32_e32 v31, v48, v28
	v_add_f32_e32 v25, v25, v31
	v_mul_f32_e32 v31, v47, v49
	v_mul_f32_e32 v48, v28, v31
	v_fma_f32 v50, v31, v28, -v48
	v_fmac_f32_e32 v50, v31, v25
	v_add_f32_e32 v51, v48, v50
	v_sub_f32_e32 v52, v47, v51
	v_sub_f32_e32 v47, v47, v52
	;; [unrolled: 1-line block ×4, first 2 shown]
	v_add_f32_e32 v30, v30, v47
	v_sub_f32_e32 v47, v48, v50
	v_add_f32_e32 v30, v47, v30
	v_add_f32_e32 v47, v52, v30
	v_mul_f32_e32 v48, v49, v47
	v_mul_f32_e32 v50, v28, v48
	v_fma_f32 v28, v48, v28, -v50
	v_fmac_f32_e32 v28, v48, v25
	v_sub_f32_e32 v25, v52, v47
	v_add_f32_e32 v25, v30, v25
	v_add_f32_e32 v30, v50, v28
	v_sub_f32_e32 v51, v47, v30
	v_sub_f32_e32 v47, v47, v51
	v_sub_f32_e32 v50, v30, v50
	v_sub_f32_e32 v30, v47, v30
	v_add_f32_e32 v25, v25, v30
	v_sub_f32_e32 v28, v50, v28
	v_add_f32_e32 v25, v28, v25
	v_add_f32_e32 v28, v31, v48
	;; [unrolled: 1-line block ×3, first 2 shown]
	v_sub_f32_e32 v30, v28, v31
	v_mul_f32_e32 v25, v49, v25
	v_sub_f32_e32 v30, v48, v30
	v_add_f32_e32 v25, v30, v25
	v_cvt_f32_i32_e32 v27, v27
	v_add_f32_e32 v30, v28, v25
	v_mul_f32_e32 v31, v30, v30
	v_mov_b32_e32 v47, 0x3ecc95a3
	v_fmac_f32_e32 v47, 0x3e9b6dac, v31
	v_mov_b32_e32 v48, 0x3f2aaada
	v_fmac_f32_e32 v48, v31, v47
	v_mul_f32_e32 v47, 0x3f317218, v27
	v_fma_f32 v49, v27, s3, -v47
	v_fmac_f32_e32 v49, 0xb102e308, v27
	v_sub_f32_e32 v27, v30, v28
	v_sub_f32_e32 v25, v25, v27
	v_add_f32_e32 v27, v47, v49
	v_sub_f32_e32 v28, v27, v47
	v_ldexp_f32 v47, v30, 1
	v_mul_f32_e32 v30, v30, v31
	v_mul_f32_e32 v30, v30, v48
	v_add_f32_e32 v31, v47, v30
	v_sub_f32_e32 v47, v31, v47
	v_ldexp_f32 v25, v25, 1
	v_sub_f32_e32 v30, v30, v47
	v_add_f32_e32 v25, v25, v30
	v_add_f32_e32 v30, v31, v25
	v_sub_f32_e32 v31, v30, v31
	v_sub_f32_e32 v25, v25, v31
	v_add_f32_e32 v31, v27, v30
	v_sub_f32_e32 v47, v31, v27
	v_sub_f32_e32 v48, v31, v47
	;; [unrolled: 1-line block ×5, first 2 shown]
	v_add_f32_e32 v27, v30, v27
	v_add_f32_e32 v30, v28, v25
	v_sub_f32_e32 v47, v30, v28
	v_sub_f32_e32 v48, v30, v47
	;; [unrolled: 1-line block ×4, first 2 shown]
	v_add_f32_e32 v27, v30, v27
	v_add_f32_e32 v25, v25, v28
	;; [unrolled: 1-line block ×3, first 2 shown]
	v_sub_f32_e32 v30, v28, v31
	v_sub_f32_e32 v27, v27, v30
	v_add_f32_e32 v25, v25, v27
	v_add_f32_e32 v25, v28, v25
	v_cmp_neq_f32_e32 vcc, s2, v17
	s_mov_b32 s2, 0x33800000
	v_cndmask_b32_e32 v25, v29, v25, vcc
	v_cmp_lt_f32_e64 vcc, |v17|, s2
	v_cndmask_b32_e32 v17, v25, v17, vcc
	v_add_f32_e32 v17, v26, v17
	v_cvt_f16_f32_e32 v47, v17
	v_cvt_f32_f16_e32 v17, v47
	v_mov_b32_e32 v25, v47
.LBB355_241:
	s_or_b64 exec, exec, s[0:1]
	v_max_f32_e32 v26, v32, v32
	v_max_f32_e32 v28, v17, v17
	v_min_f32_e32 v27, v28, v26
	v_cmp_u_f16_e32 vcc, v47, v47
	v_max_f32_e32 v26, v28, v26
	v_cndmask_b32_e32 v27, v27, v17, vcc
	v_cndmask_b32_e32 v26, v26, v17, vcc
	v_cndmask_b32_e64 v27, v27, v32, s[24:25]
	v_cndmask_b32_e64 v26, v26, v32, s[24:25]
	s_movk_i32 s2, 0x1f8
	v_cmp_neq_f32_e32 vcc, v27, v26
	v_cmp_class_f32_e64 s[0:1], v27, s2
	s_or_b64 s[6:7], vcc, s[0:1]
	v_mov_b32_e32 v32, v25
	s_and_saveexec_b64 s[0:1], s[6:7]
	s_cbranch_execz .LBB355_243
; %bb.242:
	v_sub_f32_e32 v17, v27, v26
	s_mov_b32 s3, 0x3fb8aa3b
	v_mul_f32_e32 v27, 0x3fb8aa3b, v17
	v_fma_f32 v28, v17, s3, -v27
	v_rndne_f32_e32 v29, v27
	v_fmac_f32_e32 v28, 0x32a5705f, v17
	v_sub_f32_e32 v27, v27, v29
	v_add_f32_e32 v27, v27, v28
	v_exp_f32_e32 v27, v27
	v_cvt_i32_f32_e32 v28, v29
	s_mov_b32 s3, 0xc2ce8ed0
	v_cmp_ngt_f32_e32 vcc, s3, v17
	s_mov_b32 s3, 0x42b17218
	v_ldexp_f32 v27, v27, v28
	v_cndmask_b32_e32 v27, 0, v27, vcc
	v_mov_b32_e32 v29, 0x7f800000
	v_cmp_nlt_f32_e32 vcc, s3, v17
	v_cndmask_b32_e32 v17, v29, v27, vcc
	v_add_f32_e32 v30, 1.0, v17
	v_cvt_f64_f32_e32 v[27:28], v30
	v_add_f32_e32 v31, -1.0, v30
	v_sub_f32_e32 v32, v31, v30
	v_sub_f32_e32 v31, v17, v31
	v_frexp_exp_i32_f64_e32 v27, v[27:28]
	v_add_f32_e32 v28, 1.0, v32
	v_add_f32_e32 v28, v31, v28
	v_frexp_mant_f32_e32 v31, v30
	s_mov_b32 s6, 0x3f2aaaab
	v_cmp_gt_f32_e32 vcc, s6, v31
	s_mov_b32 s6, 0x3f317218
	s_mov_b32 s3, 0x7f800000
	v_subbrev_co_u32_e32 v27, vcc, 0, v27, vcc
	v_sub_u32_e32 v31, 0, v27
	v_ldexp_f32 v30, v30, v31
	v_ldexp_f32 v28, v28, v31
	v_add_f32_e32 v31, -1.0, v30
	v_add_f32_e32 v48, 1.0, v30
	v_add_f32_e32 v32, 1.0, v31
	v_add_f32_e32 v49, -1.0, v48
	v_sub_f32_e32 v32, v30, v32
	v_sub_f32_e32 v30, v30, v49
	v_add_f32_e32 v32, v28, v32
	v_add_f32_e32 v28, v28, v30
	;; [unrolled: 1-line block ×3, first 2 shown]
	v_rcp_f32_e32 v49, v30
	v_add_f32_e32 v47, v31, v32
	v_sub_f32_e32 v31, v31, v47
	v_add_f32_e32 v31, v32, v31
	v_sub_f32_e32 v32, v48, v30
	v_add_f32_e32 v28, v28, v32
	v_mul_f32_e32 v32, v47, v49
	v_mul_f32_e32 v48, v30, v32
	v_fma_f32 v50, v32, v30, -v48
	v_fmac_f32_e32 v50, v32, v28
	v_add_f32_e32 v51, v48, v50
	v_sub_f32_e32 v52, v47, v51
	v_sub_f32_e32 v47, v47, v52
	v_sub_f32_e32 v48, v51, v48
	v_sub_f32_e32 v47, v47, v51
	v_add_f32_e32 v31, v31, v47
	v_sub_f32_e32 v47, v48, v50
	v_add_f32_e32 v31, v47, v31
	v_add_f32_e32 v47, v52, v31
	v_mul_f32_e32 v48, v49, v47
	v_mul_f32_e32 v50, v30, v48
	v_fma_f32 v30, v48, v30, -v50
	v_fmac_f32_e32 v30, v48, v28
	v_sub_f32_e32 v28, v52, v47
	v_add_f32_e32 v28, v31, v28
	v_add_f32_e32 v31, v50, v30
	v_sub_f32_e32 v51, v47, v31
	v_sub_f32_e32 v47, v47, v51
	;; [unrolled: 1-line block ×4, first 2 shown]
	v_add_f32_e32 v28, v28, v31
	v_sub_f32_e32 v30, v50, v30
	v_add_f32_e32 v28, v30, v28
	v_add_f32_e32 v30, v32, v48
	;; [unrolled: 1-line block ×3, first 2 shown]
	v_sub_f32_e32 v31, v30, v32
	v_mul_f32_e32 v28, v49, v28
	v_sub_f32_e32 v31, v48, v31
	v_add_f32_e32 v28, v31, v28
	v_cvt_f32_i32_e32 v27, v27
	v_add_f32_e32 v31, v30, v28
	v_mul_f32_e32 v32, v31, v31
	v_mov_b32_e32 v47, 0x3ecc95a3
	v_fmac_f32_e32 v47, 0x3e9b6dac, v32
	v_mov_b32_e32 v48, 0x3f2aaada
	v_fmac_f32_e32 v48, v32, v47
	v_mul_f32_e32 v47, 0x3f317218, v27
	v_fma_f32 v49, v27, s6, -v47
	v_fmac_f32_e32 v49, 0xb102e308, v27
	v_sub_f32_e32 v27, v31, v30
	v_sub_f32_e32 v27, v28, v27
	v_add_f32_e32 v28, v47, v49
	v_sub_f32_e32 v30, v28, v47
	v_ldexp_f32 v47, v31, 1
	v_mul_f32_e32 v31, v31, v32
	v_mul_f32_e32 v31, v31, v48
	v_add_f32_e32 v32, v47, v31
	v_sub_f32_e32 v47, v32, v47
	v_ldexp_f32 v27, v27, 1
	v_sub_f32_e32 v31, v31, v47
	v_add_f32_e32 v27, v27, v31
	v_add_f32_e32 v31, v32, v27
	v_sub_f32_e32 v32, v31, v32
	v_sub_f32_e32 v27, v27, v32
	v_add_f32_e32 v32, v28, v31
	v_sub_f32_e32 v47, v32, v28
	v_sub_f32_e32 v48, v32, v47
	;; [unrolled: 1-line block ×5, first 2 shown]
	v_add_f32_e32 v28, v31, v28
	v_add_f32_e32 v31, v30, v27
	v_sub_f32_e32 v47, v31, v30
	v_sub_f32_e32 v48, v31, v47
	;; [unrolled: 1-line block ×4, first 2 shown]
	v_add_f32_e32 v28, v31, v28
	v_add_f32_e32 v27, v27, v30
	;; [unrolled: 1-line block ×3, first 2 shown]
	v_sub_f32_e32 v31, v30, v32
	v_sub_f32_e32 v28, v28, v31
	v_add_f32_e32 v27, v27, v28
	v_add_f32_e32 v27, v30, v27
	v_cmp_neq_f32_e32 vcc, s3, v17
	s_mov_b32 s3, 0x33800000
	v_cndmask_b32_e32 v27, v29, v27, vcc
	v_cmp_lt_f32_e64 vcc, |v17|, s3
	v_cndmask_b32_e32 v17, v27, v17, vcc
	v_add_f32_e32 v17, v26, v17
	v_cvt_f16_f32_e32 v47, v17
	v_cvt_f32_f16_e32 v17, v47
	v_mov_b32_e32 v32, v47
.LBB355_243:
	s_or_b64 exec, exec, s[0:1]
	v_max_f32_e32 v26, v33, v33
	v_max_f32_e32 v27, v17, v17
	v_min_f32_e32 v28, v27, v26
	v_cmp_u_f16_e32 vcc, v47, v47
	v_max_f32_e32 v26, v27, v26
	v_cndmask_b32_e32 v28, v28, v17, vcc
	v_cndmask_b32_e32 v26, v26, v17, vcc
	v_cndmask_b32_e64 v28, v28, v33, s[26:27]
	v_cndmask_b32_e64 v27, v26, v33, s[26:27]
	v_cmp_neq_f32_e32 vcc, v28, v27
	v_cmp_class_f32_e64 s[0:1], v28, s2
	s_or_b64 s[2:3], vcc, s[0:1]
	v_mov_b32_e32 v26, v32
	s_and_saveexec_b64 s[0:1], s[2:3]
	s_cbranch_execz .LBB355_245
; %bb.244:
	v_sub_f32_e32 v17, v28, v27
	s_mov_b32 s2, 0x3fb8aa3b
	v_mul_f32_e32 v26, 0x3fb8aa3b, v17
	v_fma_f32 v28, v17, s2, -v26
	v_rndne_f32_e32 v29, v26
	v_fmac_f32_e32 v28, 0x32a5705f, v17
	v_sub_f32_e32 v26, v26, v29
	v_add_f32_e32 v26, v26, v28
	v_exp_f32_e32 v26, v26
	v_cvt_i32_f32_e32 v28, v29
	s_mov_b32 s2, 0xc2ce8ed0
	v_cmp_ngt_f32_e32 vcc, s2, v17
	s_mov_b32 s2, 0x42b17218
	v_ldexp_f32 v26, v26, v28
	v_cndmask_b32_e32 v26, 0, v26, vcc
	v_mov_b32_e32 v30, 0x7f800000
	v_cmp_nlt_f32_e32 vcc, s2, v17
	v_cndmask_b32_e32 v17, v30, v26, vcc
	v_add_f32_e32 v26, 1.0, v17
	v_cvt_f64_f32_e32 v[28:29], v26
	v_add_f32_e32 v31, -1.0, v26
	v_sub_f32_e32 v33, v31, v26
	v_sub_f32_e32 v31, v17, v31
	v_frexp_exp_i32_f64_e32 v28, v[28:29]
	v_add_f32_e32 v29, 1.0, v33
	v_add_f32_e32 v29, v31, v29
	v_frexp_mant_f32_e32 v31, v26
	s_mov_b32 s3, 0x3f2aaaab
	v_cmp_gt_f32_e32 vcc, s3, v31
	s_mov_b32 s3, 0x3f317218
	s_mov_b32 s2, 0x7f800000
	v_subbrev_co_u32_e32 v28, vcc, 0, v28, vcc
	v_sub_u32_e32 v31, 0, v28
	v_ldexp_f32 v26, v26, v31
	v_ldexp_f32 v29, v29, v31
	v_add_f32_e32 v31, -1.0, v26
	v_add_f32_e32 v48, 1.0, v26
	v_add_f32_e32 v33, 1.0, v31
	v_add_f32_e32 v49, -1.0, v48
	v_sub_f32_e32 v33, v26, v33
	v_sub_f32_e32 v26, v26, v49
	v_add_f32_e32 v26, v29, v26
	v_add_f32_e32 v33, v29, v33
	v_add_f32_e32 v29, v48, v26
	v_rcp_f32_e32 v49, v29
	v_add_f32_e32 v47, v31, v33
	v_sub_f32_e32 v31, v31, v47
	v_add_f32_e32 v31, v33, v31
	v_sub_f32_e32 v33, v48, v29
	v_add_f32_e32 v26, v26, v33
	v_mul_f32_e32 v33, v47, v49
	v_mul_f32_e32 v48, v29, v33
	v_fma_f32 v50, v33, v29, -v48
	v_fmac_f32_e32 v50, v33, v26
	v_add_f32_e32 v51, v48, v50
	v_sub_f32_e32 v52, v47, v51
	v_sub_f32_e32 v47, v47, v52
	;; [unrolled: 1-line block ×4, first 2 shown]
	v_add_f32_e32 v31, v31, v47
	v_sub_f32_e32 v47, v48, v50
	v_add_f32_e32 v31, v47, v31
	v_add_f32_e32 v47, v52, v31
	v_mul_f32_e32 v48, v49, v47
	v_mul_f32_e32 v50, v29, v48
	v_fma_f32 v29, v48, v29, -v50
	v_fmac_f32_e32 v29, v48, v26
	v_sub_f32_e32 v26, v52, v47
	v_add_f32_e32 v26, v31, v26
	v_add_f32_e32 v31, v50, v29
	v_sub_f32_e32 v51, v47, v31
	v_sub_f32_e32 v47, v47, v51
	;; [unrolled: 1-line block ×4, first 2 shown]
	v_add_f32_e32 v26, v26, v31
	v_sub_f32_e32 v29, v50, v29
	v_add_f32_e32 v26, v29, v26
	v_add_f32_e32 v29, v33, v48
	;; [unrolled: 1-line block ×3, first 2 shown]
	v_sub_f32_e32 v31, v29, v33
	v_mul_f32_e32 v26, v49, v26
	v_sub_f32_e32 v31, v48, v31
	v_add_f32_e32 v26, v31, v26
	v_cvt_f32_i32_e32 v28, v28
	v_add_f32_e32 v31, v29, v26
	v_mul_f32_e32 v33, v31, v31
	v_mov_b32_e32 v47, 0x3ecc95a3
	v_fmac_f32_e32 v47, 0x3e9b6dac, v33
	v_mov_b32_e32 v48, 0x3f2aaada
	v_fmac_f32_e32 v48, v33, v47
	v_mul_f32_e32 v47, 0x3f317218, v28
	v_fma_f32 v49, v28, s3, -v47
	v_fmac_f32_e32 v49, 0xb102e308, v28
	v_sub_f32_e32 v28, v31, v29
	v_sub_f32_e32 v26, v26, v28
	v_add_f32_e32 v28, v47, v49
	v_sub_f32_e32 v29, v28, v47
	v_ldexp_f32 v47, v31, 1
	v_mul_f32_e32 v31, v31, v33
	v_mul_f32_e32 v31, v31, v48
	v_add_f32_e32 v33, v47, v31
	v_sub_f32_e32 v47, v33, v47
	v_ldexp_f32 v26, v26, 1
	v_sub_f32_e32 v31, v31, v47
	v_add_f32_e32 v26, v26, v31
	v_add_f32_e32 v31, v33, v26
	v_sub_f32_e32 v33, v31, v33
	v_sub_f32_e32 v26, v26, v33
	v_add_f32_e32 v33, v28, v31
	v_sub_f32_e32 v47, v33, v28
	v_sub_f32_e32 v48, v33, v47
	;; [unrolled: 1-line block ×5, first 2 shown]
	v_add_f32_e32 v28, v31, v28
	v_add_f32_e32 v31, v29, v26
	v_sub_f32_e32 v47, v31, v29
	v_sub_f32_e32 v48, v31, v47
	v_sub_f32_e32 v29, v29, v48
	v_sub_f32_e32 v26, v26, v47
	v_add_f32_e32 v28, v31, v28
	v_add_f32_e32 v26, v26, v29
	;; [unrolled: 1-line block ×3, first 2 shown]
	v_sub_f32_e32 v31, v29, v33
	v_sub_f32_e32 v28, v28, v31
	v_add_f32_e32 v26, v26, v28
	v_add_f32_e32 v26, v29, v26
	v_cmp_neq_f32_e32 vcc, s2, v17
	s_mov_b32 s2, 0x33800000
	v_cndmask_b32_e32 v26, v30, v26, vcc
	v_cmp_lt_f32_e64 vcc, |v17|, s2
	v_cndmask_b32_e32 v17, v26, v17, vcc
	v_add_f32_e32 v17, v27, v17
	v_cvt_f16_f32_e32 v47, v17
	v_cvt_f32_f16_e32 v17, v47
	v_mov_b32_e32 v26, v47
.LBB355_245:
	s_or_b64 exec, exec, s[0:1]
	v_max_f32_e32 v27, v34, v34
	v_max_f32_e32 v29, v17, v17
	v_min_f32_e32 v28, v29, v27
	v_cmp_u_f16_e32 vcc, v47, v47
	v_max_f32_e32 v27, v29, v27
	v_cndmask_b32_e32 v28, v28, v17, vcc
	v_cndmask_b32_e32 v27, v27, v17, vcc
	v_cndmask_b32_e64 v28, v28, v34, s[28:29]
	v_cndmask_b32_e64 v27, v27, v34, s[28:29]
	s_movk_i32 s2, 0x1f8
	v_cmp_neq_f32_e32 vcc, v28, v27
	v_cmp_class_f32_e64 s[0:1], v28, s2
	s_or_b64 s[6:7], vcc, s[0:1]
	v_mov_b32_e32 v33, v26
	s_and_saveexec_b64 s[0:1], s[6:7]
	s_cbranch_execz .LBB355_247
; %bb.246:
	v_sub_f32_e32 v17, v28, v27
	s_mov_b32 s3, 0x3fb8aa3b
	v_mul_f32_e32 v28, 0x3fb8aa3b, v17
	v_fma_f32 v29, v17, s3, -v28
	v_rndne_f32_e32 v30, v28
	v_fmac_f32_e32 v29, 0x32a5705f, v17
	v_sub_f32_e32 v28, v28, v30
	v_add_f32_e32 v28, v28, v29
	v_exp_f32_e32 v28, v28
	v_cvt_i32_f32_e32 v29, v30
	s_mov_b32 s3, 0xc2ce8ed0
	v_cmp_ngt_f32_e32 vcc, s3, v17
	s_mov_b32 s3, 0x42b17218
	v_ldexp_f32 v28, v28, v29
	v_cndmask_b32_e32 v28, 0, v28, vcc
	v_mov_b32_e32 v30, 0x7f800000
	v_cmp_nlt_f32_e32 vcc, s3, v17
	v_cndmask_b32_e32 v17, v30, v28, vcc
	v_add_f32_e32 v31, 1.0, v17
	v_cvt_f64_f32_e32 v[28:29], v31
	v_add_f32_e32 v33, -1.0, v31
	v_sub_f32_e32 v34, v33, v31
	v_sub_f32_e32 v33, v17, v33
	v_frexp_exp_i32_f64_e32 v28, v[28:29]
	v_add_f32_e32 v29, 1.0, v34
	v_add_f32_e32 v29, v33, v29
	v_frexp_mant_f32_e32 v33, v31
	s_mov_b32 s6, 0x3f2aaaab
	v_cmp_gt_f32_e32 vcc, s6, v33
	s_mov_b32 s6, 0x3f317218
	s_mov_b32 s3, 0x7f800000
	v_subbrev_co_u32_e32 v28, vcc, 0, v28, vcc
	v_sub_u32_e32 v33, 0, v28
	v_ldexp_f32 v31, v31, v33
	v_ldexp_f32 v29, v29, v33
	v_add_f32_e32 v33, -1.0, v31
	v_add_f32_e32 v48, 1.0, v31
	v_add_f32_e32 v34, 1.0, v33
	v_add_f32_e32 v49, -1.0, v48
	v_sub_f32_e32 v34, v31, v34
	v_sub_f32_e32 v31, v31, v49
	v_add_f32_e32 v34, v29, v34
	v_add_f32_e32 v29, v29, v31
	;; [unrolled: 1-line block ×3, first 2 shown]
	v_rcp_f32_e32 v49, v31
	v_add_f32_e32 v47, v33, v34
	v_sub_f32_e32 v33, v33, v47
	v_add_f32_e32 v33, v34, v33
	v_sub_f32_e32 v34, v48, v31
	v_add_f32_e32 v29, v29, v34
	v_mul_f32_e32 v34, v47, v49
	v_mul_f32_e32 v48, v31, v34
	v_fma_f32 v50, v34, v31, -v48
	v_fmac_f32_e32 v50, v34, v29
	v_add_f32_e32 v51, v48, v50
	v_sub_f32_e32 v52, v47, v51
	v_sub_f32_e32 v47, v47, v52
	;; [unrolled: 1-line block ×4, first 2 shown]
	v_add_f32_e32 v33, v33, v47
	v_sub_f32_e32 v47, v48, v50
	v_add_f32_e32 v33, v47, v33
	v_add_f32_e32 v47, v52, v33
	v_mul_f32_e32 v48, v49, v47
	v_mul_f32_e32 v50, v31, v48
	v_fma_f32 v31, v48, v31, -v50
	v_fmac_f32_e32 v31, v48, v29
	v_sub_f32_e32 v29, v52, v47
	v_add_f32_e32 v29, v33, v29
	v_add_f32_e32 v33, v50, v31
	v_sub_f32_e32 v51, v47, v33
	v_sub_f32_e32 v47, v47, v51
	;; [unrolled: 1-line block ×4, first 2 shown]
	v_add_f32_e32 v29, v29, v33
	v_sub_f32_e32 v31, v50, v31
	v_add_f32_e32 v29, v31, v29
	v_add_f32_e32 v31, v34, v48
	;; [unrolled: 1-line block ×3, first 2 shown]
	v_sub_f32_e32 v33, v31, v34
	v_mul_f32_e32 v29, v49, v29
	v_sub_f32_e32 v33, v48, v33
	v_add_f32_e32 v29, v33, v29
	v_cvt_f32_i32_e32 v28, v28
	v_add_f32_e32 v33, v31, v29
	v_mul_f32_e32 v34, v33, v33
	v_mov_b32_e32 v47, 0x3ecc95a3
	v_fmac_f32_e32 v47, 0x3e9b6dac, v34
	v_mov_b32_e32 v48, 0x3f2aaada
	v_fmac_f32_e32 v48, v34, v47
	v_mul_f32_e32 v47, 0x3f317218, v28
	v_fma_f32 v49, v28, s6, -v47
	v_fmac_f32_e32 v49, 0xb102e308, v28
	v_sub_f32_e32 v28, v33, v31
	v_sub_f32_e32 v28, v29, v28
	v_add_f32_e32 v29, v47, v49
	v_sub_f32_e32 v31, v29, v47
	v_ldexp_f32 v47, v33, 1
	v_mul_f32_e32 v33, v33, v34
	v_mul_f32_e32 v33, v33, v48
	v_add_f32_e32 v34, v47, v33
	v_sub_f32_e32 v47, v34, v47
	v_ldexp_f32 v28, v28, 1
	v_sub_f32_e32 v33, v33, v47
	v_add_f32_e32 v28, v28, v33
	v_add_f32_e32 v33, v34, v28
	v_sub_f32_e32 v34, v33, v34
	v_sub_f32_e32 v28, v28, v34
	v_add_f32_e32 v34, v29, v33
	v_sub_f32_e32 v47, v34, v29
	v_sub_f32_e32 v48, v34, v47
	;; [unrolled: 1-line block ×5, first 2 shown]
	v_add_f32_e32 v29, v33, v29
	v_add_f32_e32 v33, v31, v28
	v_sub_f32_e32 v47, v33, v31
	v_sub_f32_e32 v48, v33, v47
	;; [unrolled: 1-line block ×4, first 2 shown]
	v_add_f32_e32 v29, v33, v29
	v_add_f32_e32 v28, v28, v31
	;; [unrolled: 1-line block ×3, first 2 shown]
	v_sub_f32_e32 v33, v31, v34
	v_sub_f32_e32 v29, v29, v33
	v_add_f32_e32 v28, v28, v29
	v_add_f32_e32 v28, v31, v28
	v_cmp_neq_f32_e32 vcc, s3, v17
	s_mov_b32 s3, 0x33800000
	v_cndmask_b32_e32 v28, v30, v28, vcc
	v_cmp_lt_f32_e64 vcc, |v17|, s3
	v_cndmask_b32_e32 v17, v28, v17, vcc
	v_add_f32_e32 v17, v27, v17
	v_cvt_f16_f32_e32 v47, v17
	v_cvt_f32_f16_e32 v17, v47
	v_mov_b32_e32 v33, v47
.LBB355_247:
	s_or_b64 exec, exec, s[0:1]
	v_max_f32_e32 v27, v35, v35
	v_max_f32_e32 v28, v17, v17
	v_min_f32_e32 v29, v28, v27
	v_cmp_u_f16_e32 vcc, v47, v47
	v_max_f32_e32 v27, v28, v27
	v_cndmask_b32_e32 v29, v29, v17, vcc
	v_cndmask_b32_e32 v27, v27, v17, vcc
	v_cndmask_b32_e64 v29, v29, v35, s[30:31]
	v_cndmask_b32_e64 v28, v27, v35, s[30:31]
	v_cmp_neq_f32_e32 vcc, v29, v28
	v_cmp_class_f32_e64 s[0:1], v29, s2
	s_or_b64 s[2:3], vcc, s[0:1]
	v_mov_b32_e32 v27, v33
	s_and_saveexec_b64 s[0:1], s[2:3]
	s_cbranch_execz .LBB355_249
; %bb.248:
	v_sub_f32_e32 v17, v29, v28
	s_mov_b32 s2, 0x3fb8aa3b
	v_mul_f32_e32 v27, 0x3fb8aa3b, v17
	v_fma_f32 v29, v17, s2, -v27
	v_rndne_f32_e32 v30, v27
	v_fmac_f32_e32 v29, 0x32a5705f, v17
	v_sub_f32_e32 v27, v27, v30
	v_add_f32_e32 v27, v27, v29
	v_exp_f32_e32 v27, v27
	v_cvt_i32_f32_e32 v29, v30
	s_mov_b32 s2, 0xc2ce8ed0
	v_cmp_ngt_f32_e32 vcc, s2, v17
	s_mov_b32 s2, 0x42b17218
	v_ldexp_f32 v27, v27, v29
	v_cndmask_b32_e32 v27, 0, v27, vcc
	v_mov_b32_e32 v31, 0x7f800000
	v_cmp_nlt_f32_e32 vcc, s2, v17
	v_cndmask_b32_e32 v17, v31, v27, vcc
	v_add_f32_e32 v27, 1.0, v17
	v_cvt_f64_f32_e32 v[29:30], v27
	v_add_f32_e32 v34, -1.0, v27
	v_sub_f32_e32 v35, v34, v27
	v_sub_f32_e32 v34, v17, v34
	v_frexp_exp_i32_f64_e32 v29, v[29:30]
	v_add_f32_e32 v30, 1.0, v35
	v_add_f32_e32 v30, v34, v30
	v_frexp_mant_f32_e32 v34, v27
	s_mov_b32 s3, 0x3f2aaaab
	v_cmp_gt_f32_e32 vcc, s3, v34
	s_mov_b32 s3, 0x3f317218
	s_mov_b32 s2, 0x7f800000
	v_subbrev_co_u32_e32 v29, vcc, 0, v29, vcc
	v_sub_u32_e32 v34, 0, v29
	v_ldexp_f32 v27, v27, v34
	v_ldexp_f32 v30, v30, v34
	v_add_f32_e32 v34, -1.0, v27
	v_add_f32_e32 v48, 1.0, v27
	v_add_f32_e32 v35, 1.0, v34
	v_add_f32_e32 v49, -1.0, v48
	v_sub_f32_e32 v35, v27, v35
	v_sub_f32_e32 v27, v27, v49
	v_add_f32_e32 v27, v30, v27
	v_add_f32_e32 v35, v30, v35
	;; [unrolled: 1-line block ×3, first 2 shown]
	v_rcp_f32_e32 v49, v30
	v_add_f32_e32 v47, v34, v35
	v_sub_f32_e32 v34, v34, v47
	v_add_f32_e32 v34, v35, v34
	v_sub_f32_e32 v35, v48, v30
	v_add_f32_e32 v27, v27, v35
	v_mul_f32_e32 v35, v47, v49
	v_mul_f32_e32 v48, v30, v35
	v_fma_f32 v50, v35, v30, -v48
	v_fmac_f32_e32 v50, v35, v27
	v_add_f32_e32 v51, v48, v50
	v_sub_f32_e32 v52, v47, v51
	v_sub_f32_e32 v47, v47, v52
	;; [unrolled: 1-line block ×4, first 2 shown]
	v_add_f32_e32 v34, v34, v47
	v_sub_f32_e32 v47, v48, v50
	v_add_f32_e32 v34, v47, v34
	v_add_f32_e32 v47, v52, v34
	v_mul_f32_e32 v48, v49, v47
	v_mul_f32_e32 v50, v30, v48
	v_fma_f32 v30, v48, v30, -v50
	v_fmac_f32_e32 v30, v48, v27
	v_sub_f32_e32 v27, v52, v47
	v_add_f32_e32 v27, v34, v27
	v_add_f32_e32 v34, v50, v30
	v_sub_f32_e32 v51, v47, v34
	v_sub_f32_e32 v47, v47, v51
	v_sub_f32_e32 v50, v34, v50
	v_sub_f32_e32 v34, v47, v34
	v_add_f32_e32 v27, v27, v34
	v_sub_f32_e32 v30, v50, v30
	v_add_f32_e32 v27, v30, v27
	v_add_f32_e32 v30, v35, v48
	;; [unrolled: 1-line block ×3, first 2 shown]
	v_sub_f32_e32 v34, v30, v35
	v_mul_f32_e32 v27, v49, v27
	v_sub_f32_e32 v34, v48, v34
	v_add_f32_e32 v27, v34, v27
	v_cvt_f32_i32_e32 v29, v29
	v_add_f32_e32 v34, v30, v27
	v_mul_f32_e32 v35, v34, v34
	v_mov_b32_e32 v47, 0x3ecc95a3
	v_fmac_f32_e32 v47, 0x3e9b6dac, v35
	v_mov_b32_e32 v48, 0x3f2aaada
	v_fmac_f32_e32 v48, v35, v47
	v_mul_f32_e32 v47, 0x3f317218, v29
	v_fma_f32 v49, v29, s3, -v47
	v_fmac_f32_e32 v49, 0xb102e308, v29
	v_sub_f32_e32 v29, v34, v30
	v_sub_f32_e32 v27, v27, v29
	v_add_f32_e32 v29, v47, v49
	v_sub_f32_e32 v30, v29, v47
	v_ldexp_f32 v47, v34, 1
	v_mul_f32_e32 v34, v34, v35
	v_mul_f32_e32 v34, v34, v48
	v_add_f32_e32 v35, v47, v34
	v_sub_f32_e32 v47, v35, v47
	v_ldexp_f32 v27, v27, 1
	v_sub_f32_e32 v34, v34, v47
	v_add_f32_e32 v27, v27, v34
	v_add_f32_e32 v34, v35, v27
	v_sub_f32_e32 v35, v34, v35
	v_sub_f32_e32 v27, v27, v35
	v_add_f32_e32 v35, v29, v34
	v_sub_f32_e32 v47, v35, v29
	v_sub_f32_e32 v48, v35, v47
	;; [unrolled: 1-line block ×5, first 2 shown]
	v_add_f32_e32 v29, v34, v29
	v_add_f32_e32 v34, v30, v27
	v_sub_f32_e32 v47, v34, v30
	v_sub_f32_e32 v48, v34, v47
	;; [unrolled: 1-line block ×4, first 2 shown]
	v_add_f32_e32 v29, v34, v29
	v_add_f32_e32 v27, v27, v30
	;; [unrolled: 1-line block ×3, first 2 shown]
	v_sub_f32_e32 v34, v30, v35
	v_sub_f32_e32 v29, v29, v34
	v_add_f32_e32 v27, v27, v29
	v_add_f32_e32 v27, v30, v27
	v_cmp_neq_f32_e32 vcc, s2, v17
	s_mov_b32 s2, 0x33800000
	v_cndmask_b32_e32 v27, v31, v27, vcc
	v_cmp_lt_f32_e64 vcc, |v17|, s2
	v_cndmask_b32_e32 v17, v27, v17, vcc
	v_add_f32_e32 v17, v28, v17
	v_cvt_f16_f32_e32 v47, v17
	v_cvt_f32_f16_e32 v17, v47
	v_mov_b32_e32 v27, v47
.LBB355_249:
	s_or_b64 exec, exec, s[0:1]
	v_max_f32_e32 v28, v36, v36
	v_max_f32_e32 v30, v17, v17
	v_min_f32_e32 v29, v30, v28
	v_cmp_u_f16_e32 vcc, v47, v47
	v_max_f32_e32 v28, v30, v28
	v_cndmask_b32_e32 v29, v29, v17, vcc
	v_cndmask_b32_e32 v28, v28, v17, vcc
	v_cndmask_b32_e64 v29, v29, v36, s[34:35]
	v_cndmask_b32_e64 v28, v28, v36, s[34:35]
	s_movk_i32 s2, 0x1f8
	v_cmp_neq_f32_e32 vcc, v29, v28
	v_cmp_class_f32_e64 s[0:1], v29, s2
	s_or_b64 s[6:7], vcc, s[0:1]
	v_mov_b32_e32 v34, v27
	s_and_saveexec_b64 s[0:1], s[6:7]
	s_cbranch_execz .LBB355_251
; %bb.250:
	v_sub_f32_e32 v17, v29, v28
	s_mov_b32 s3, 0x3fb8aa3b
	v_mul_f32_e32 v29, 0x3fb8aa3b, v17
	v_fma_f32 v30, v17, s3, -v29
	v_rndne_f32_e32 v31, v29
	v_fmac_f32_e32 v30, 0x32a5705f, v17
	v_sub_f32_e32 v29, v29, v31
	v_add_f32_e32 v29, v29, v30
	v_exp_f32_e32 v29, v29
	v_cvt_i32_f32_e32 v30, v31
	s_mov_b32 s3, 0xc2ce8ed0
	v_cmp_ngt_f32_e32 vcc, s3, v17
	s_mov_b32 s3, 0x42b17218
	v_ldexp_f32 v29, v29, v30
	v_cndmask_b32_e32 v29, 0, v29, vcc
	v_mov_b32_e32 v31, 0x7f800000
	v_cmp_nlt_f32_e32 vcc, s3, v17
	v_cndmask_b32_e32 v17, v31, v29, vcc
	v_add_f32_e32 v34, 1.0, v17
	v_cvt_f64_f32_e32 v[29:30], v34
	v_add_f32_e32 v35, -1.0, v34
	v_sub_f32_e32 v36, v35, v34
	v_sub_f32_e32 v35, v17, v35
	v_frexp_exp_i32_f64_e32 v29, v[29:30]
	v_add_f32_e32 v30, 1.0, v36
	v_add_f32_e32 v30, v35, v30
	v_frexp_mant_f32_e32 v35, v34
	s_mov_b32 s6, 0x3f2aaaab
	v_cmp_gt_f32_e32 vcc, s6, v35
	s_mov_b32 s6, 0x3f317218
	s_mov_b32 s3, 0x7f800000
	v_subbrev_co_u32_e32 v29, vcc, 0, v29, vcc
	v_sub_u32_e32 v35, 0, v29
	v_ldexp_f32 v34, v34, v35
	v_ldexp_f32 v30, v30, v35
	v_add_f32_e32 v35, -1.0, v34
	v_add_f32_e32 v48, 1.0, v34
	v_add_f32_e32 v36, 1.0, v35
	v_add_f32_e32 v49, -1.0, v48
	v_sub_f32_e32 v36, v34, v36
	v_sub_f32_e32 v34, v34, v49
	v_add_f32_e32 v36, v30, v36
	v_add_f32_e32 v30, v30, v34
	;; [unrolled: 1-line block ×3, first 2 shown]
	v_rcp_f32_e32 v49, v34
	v_add_f32_e32 v47, v35, v36
	v_sub_f32_e32 v35, v35, v47
	v_add_f32_e32 v35, v36, v35
	v_sub_f32_e32 v36, v48, v34
	v_add_f32_e32 v30, v30, v36
	v_mul_f32_e32 v36, v47, v49
	v_mul_f32_e32 v48, v34, v36
	v_fma_f32 v50, v36, v34, -v48
	v_fmac_f32_e32 v50, v36, v30
	v_add_f32_e32 v51, v48, v50
	v_sub_f32_e32 v52, v47, v51
	v_sub_f32_e32 v47, v47, v52
	;; [unrolled: 1-line block ×4, first 2 shown]
	v_add_f32_e32 v35, v35, v47
	v_sub_f32_e32 v47, v48, v50
	v_add_f32_e32 v35, v47, v35
	v_add_f32_e32 v47, v52, v35
	v_mul_f32_e32 v48, v49, v47
	v_mul_f32_e32 v50, v34, v48
	v_fma_f32 v34, v48, v34, -v50
	v_fmac_f32_e32 v34, v48, v30
	v_sub_f32_e32 v30, v52, v47
	v_add_f32_e32 v30, v35, v30
	v_add_f32_e32 v35, v50, v34
	v_sub_f32_e32 v51, v47, v35
	v_sub_f32_e32 v47, v47, v51
	v_sub_f32_e32 v50, v35, v50
	v_sub_f32_e32 v35, v47, v35
	v_add_f32_e32 v30, v30, v35
	v_sub_f32_e32 v34, v50, v34
	v_add_f32_e32 v30, v34, v30
	v_add_f32_e32 v34, v36, v48
	v_add_f32_e32 v30, v51, v30
	v_sub_f32_e32 v35, v34, v36
	v_mul_f32_e32 v30, v49, v30
	v_sub_f32_e32 v35, v48, v35
	v_add_f32_e32 v30, v35, v30
	v_cvt_f32_i32_e32 v29, v29
	v_add_f32_e32 v35, v34, v30
	v_mul_f32_e32 v36, v35, v35
	v_mov_b32_e32 v47, 0x3ecc95a3
	v_fmac_f32_e32 v47, 0x3e9b6dac, v36
	v_mov_b32_e32 v48, 0x3f2aaada
	v_fmac_f32_e32 v48, v36, v47
	v_mul_f32_e32 v47, 0x3f317218, v29
	v_fma_f32 v49, v29, s6, -v47
	v_fmac_f32_e32 v49, 0xb102e308, v29
	v_sub_f32_e32 v29, v35, v34
	v_sub_f32_e32 v29, v30, v29
	v_add_f32_e32 v30, v47, v49
	v_sub_f32_e32 v34, v30, v47
	v_ldexp_f32 v47, v35, 1
	v_mul_f32_e32 v35, v35, v36
	v_mul_f32_e32 v35, v35, v48
	v_add_f32_e32 v36, v47, v35
	v_sub_f32_e32 v47, v36, v47
	v_ldexp_f32 v29, v29, 1
	v_sub_f32_e32 v35, v35, v47
	v_add_f32_e32 v29, v29, v35
	v_add_f32_e32 v35, v36, v29
	v_sub_f32_e32 v36, v35, v36
	v_sub_f32_e32 v29, v29, v36
	v_add_f32_e32 v36, v30, v35
	v_sub_f32_e32 v47, v36, v30
	v_sub_f32_e32 v48, v36, v47
	;; [unrolled: 1-line block ×5, first 2 shown]
	v_add_f32_e32 v30, v35, v30
	v_add_f32_e32 v35, v34, v29
	v_sub_f32_e32 v47, v35, v34
	v_sub_f32_e32 v48, v35, v47
	;; [unrolled: 1-line block ×4, first 2 shown]
	v_add_f32_e32 v30, v35, v30
	v_add_f32_e32 v29, v29, v34
	;; [unrolled: 1-line block ×3, first 2 shown]
	v_sub_f32_e32 v35, v34, v36
	v_sub_f32_e32 v30, v30, v35
	v_add_f32_e32 v29, v29, v30
	v_add_f32_e32 v29, v34, v29
	v_cmp_neq_f32_e32 vcc, s3, v17
	s_mov_b32 s3, 0x33800000
	v_cndmask_b32_e32 v29, v31, v29, vcc
	v_cmp_lt_f32_e64 vcc, |v17|, s3
	v_cndmask_b32_e32 v17, v29, v17, vcc
	v_add_f32_e32 v17, v28, v17
	v_cvt_f16_f32_e32 v47, v17
	v_cvt_f32_f16_e32 v17, v47
	v_mov_b32_e32 v34, v47
.LBB355_251:
	s_or_b64 exec, exec, s[0:1]
	v_max_f32_e32 v28, v37, v37
	v_max_f32_e32 v29, v17, v17
	v_min_f32_e32 v30, v29, v28
	v_cmp_u_f16_e32 vcc, v47, v47
	v_max_f32_e32 v28, v29, v28
	v_cndmask_b32_e32 v30, v30, v17, vcc
	v_cndmask_b32_e32 v28, v28, v17, vcc
	v_cndmask_b32_e64 v30, v30, v37, s[36:37]
	v_cndmask_b32_e64 v29, v28, v37, s[36:37]
	v_cmp_neq_f32_e32 vcc, v30, v29
	v_cmp_class_f32_e64 s[0:1], v30, s2
	s_or_b64 s[2:3], vcc, s[0:1]
	v_mov_b32_e32 v28, v34
	s_and_saveexec_b64 s[0:1], s[2:3]
	s_cbranch_execz .LBB355_253
; %bb.252:
	v_sub_f32_e32 v17, v30, v29
	s_mov_b32 s2, 0x3fb8aa3b
	v_mul_f32_e32 v28, 0x3fb8aa3b, v17
	v_fma_f32 v30, v17, s2, -v28
	v_rndne_f32_e32 v31, v28
	v_fmac_f32_e32 v30, 0x32a5705f, v17
	v_sub_f32_e32 v28, v28, v31
	v_add_f32_e32 v28, v28, v30
	v_exp_f32_e32 v28, v28
	v_cvt_i32_f32_e32 v30, v31
	s_mov_b32 s2, 0xc2ce8ed0
	v_cmp_ngt_f32_e32 vcc, s2, v17
	s_mov_b32 s2, 0x42b17218
	v_ldexp_f32 v28, v28, v30
	v_cndmask_b32_e32 v28, 0, v28, vcc
	v_mov_b32_e32 v35, 0x7f800000
	v_cmp_nlt_f32_e32 vcc, s2, v17
	v_cndmask_b32_e32 v17, v35, v28, vcc
	v_add_f32_e32 v28, 1.0, v17
	v_cvt_f64_f32_e32 v[30:31], v28
	v_add_f32_e32 v36, -1.0, v28
	v_sub_f32_e32 v37, v36, v28
	v_sub_f32_e32 v36, v17, v36
	v_frexp_exp_i32_f64_e32 v30, v[30:31]
	v_add_f32_e32 v31, 1.0, v37
	v_add_f32_e32 v31, v36, v31
	v_frexp_mant_f32_e32 v36, v28
	s_mov_b32 s3, 0x3f2aaaab
	v_cmp_gt_f32_e32 vcc, s3, v36
	s_mov_b32 s3, 0x3f317218
	s_mov_b32 s2, 0x7f800000
	v_subbrev_co_u32_e32 v30, vcc, 0, v30, vcc
	v_sub_u32_e32 v36, 0, v30
	v_ldexp_f32 v28, v28, v36
	v_ldexp_f32 v31, v31, v36
	v_add_f32_e32 v36, -1.0, v28
	v_add_f32_e32 v48, 1.0, v28
	v_add_f32_e32 v37, 1.0, v36
	v_add_f32_e32 v49, -1.0, v48
	v_sub_f32_e32 v37, v28, v37
	v_sub_f32_e32 v28, v28, v49
	v_add_f32_e32 v28, v31, v28
	v_add_f32_e32 v37, v31, v37
	;; [unrolled: 1-line block ×3, first 2 shown]
	v_rcp_f32_e32 v49, v31
	v_add_f32_e32 v47, v36, v37
	v_sub_f32_e32 v36, v36, v47
	v_add_f32_e32 v36, v37, v36
	v_sub_f32_e32 v37, v48, v31
	v_add_f32_e32 v28, v28, v37
	v_mul_f32_e32 v37, v47, v49
	v_mul_f32_e32 v48, v31, v37
	v_fma_f32 v50, v37, v31, -v48
	v_fmac_f32_e32 v50, v37, v28
	v_add_f32_e32 v51, v48, v50
	v_sub_f32_e32 v52, v47, v51
	v_sub_f32_e32 v47, v47, v52
	;; [unrolled: 1-line block ×4, first 2 shown]
	v_add_f32_e32 v36, v36, v47
	v_sub_f32_e32 v47, v48, v50
	v_add_f32_e32 v36, v47, v36
	v_add_f32_e32 v47, v52, v36
	v_mul_f32_e32 v48, v49, v47
	v_mul_f32_e32 v50, v31, v48
	v_fma_f32 v31, v48, v31, -v50
	v_fmac_f32_e32 v31, v48, v28
	v_sub_f32_e32 v28, v52, v47
	v_add_f32_e32 v28, v36, v28
	v_add_f32_e32 v36, v50, v31
	v_sub_f32_e32 v51, v47, v36
	v_sub_f32_e32 v47, v47, v51
	;; [unrolled: 1-line block ×4, first 2 shown]
	v_add_f32_e32 v28, v28, v36
	v_sub_f32_e32 v31, v50, v31
	v_add_f32_e32 v28, v31, v28
	v_add_f32_e32 v31, v37, v48
	v_add_f32_e32 v28, v51, v28
	v_sub_f32_e32 v36, v31, v37
	v_mul_f32_e32 v28, v49, v28
	v_sub_f32_e32 v36, v48, v36
	v_add_f32_e32 v28, v36, v28
	v_cvt_f32_i32_e32 v30, v30
	v_add_f32_e32 v36, v31, v28
	v_mul_f32_e32 v37, v36, v36
	v_mov_b32_e32 v47, 0x3ecc95a3
	v_fmac_f32_e32 v47, 0x3e9b6dac, v37
	v_mov_b32_e32 v48, 0x3f2aaada
	v_fmac_f32_e32 v48, v37, v47
	v_mul_f32_e32 v47, 0x3f317218, v30
	v_fma_f32 v49, v30, s3, -v47
	v_fmac_f32_e32 v49, 0xb102e308, v30
	v_sub_f32_e32 v30, v36, v31
	v_sub_f32_e32 v28, v28, v30
	v_add_f32_e32 v30, v47, v49
	v_sub_f32_e32 v31, v30, v47
	v_ldexp_f32 v47, v36, 1
	v_mul_f32_e32 v36, v36, v37
	v_mul_f32_e32 v36, v36, v48
	v_add_f32_e32 v37, v47, v36
	v_sub_f32_e32 v47, v37, v47
	v_ldexp_f32 v28, v28, 1
	v_sub_f32_e32 v36, v36, v47
	v_add_f32_e32 v28, v28, v36
	v_add_f32_e32 v36, v37, v28
	v_sub_f32_e32 v37, v36, v37
	v_sub_f32_e32 v28, v28, v37
	v_add_f32_e32 v37, v30, v36
	v_sub_f32_e32 v47, v37, v30
	v_sub_f32_e32 v48, v37, v47
	;; [unrolled: 1-line block ×5, first 2 shown]
	v_add_f32_e32 v30, v36, v30
	v_add_f32_e32 v36, v31, v28
	v_sub_f32_e32 v47, v36, v31
	v_sub_f32_e32 v48, v36, v47
	v_sub_f32_e32 v31, v31, v48
	v_sub_f32_e32 v28, v28, v47
	v_add_f32_e32 v30, v36, v30
	v_add_f32_e32 v28, v28, v31
	;; [unrolled: 1-line block ×3, first 2 shown]
	v_sub_f32_e32 v36, v31, v37
	v_sub_f32_e32 v30, v30, v36
	v_add_f32_e32 v28, v28, v30
	v_add_f32_e32 v28, v31, v28
	v_cmp_neq_f32_e32 vcc, s2, v17
	s_mov_b32 s2, 0x33800000
	v_cndmask_b32_e32 v28, v35, v28, vcc
	v_cmp_lt_f32_e64 vcc, |v17|, s2
	v_cndmask_b32_e32 v17, v28, v17, vcc
	v_add_f32_e32 v17, v29, v17
	v_cvt_f16_f32_e32 v47, v17
	v_cvt_f32_f16_e32 v17, v47
	v_mov_b32_e32 v28, v47
.LBB355_253:
	s_or_b64 exec, exec, s[0:1]
	v_max_f32_e32 v29, v38, v38
	v_max_f32_e32 v31, v17, v17
	v_min_f32_e32 v30, v31, v29
	v_cmp_u_f16_e32 vcc, v47, v47
	v_max_f32_e32 v29, v31, v29
	v_cndmask_b32_e32 v30, v30, v17, vcc
	v_cndmask_b32_e32 v29, v29, v17, vcc
	v_cndmask_b32_e64 v30, v30, v38, s[38:39]
	v_cndmask_b32_e64 v29, v29, v38, s[38:39]
	s_movk_i32 s2, 0x1f8
	v_cmp_neq_f32_e32 vcc, v30, v29
	v_cmp_class_f32_e64 s[0:1], v30, s2
	s_or_b64 s[6:7], vcc, s[0:1]
	v_mov_b32_e32 v35, v28
	s_and_saveexec_b64 s[0:1], s[6:7]
	s_cbranch_execz .LBB355_255
; %bb.254:
	v_sub_f32_e32 v17, v30, v29
	s_mov_b32 s3, 0x3fb8aa3b
	v_mul_f32_e32 v30, 0x3fb8aa3b, v17
	v_fma_f32 v31, v17, s3, -v30
	v_rndne_f32_e32 v35, v30
	v_fmac_f32_e32 v31, 0x32a5705f, v17
	v_sub_f32_e32 v30, v30, v35
	v_add_f32_e32 v30, v30, v31
	v_exp_f32_e32 v30, v30
	v_cvt_i32_f32_e32 v31, v35
	s_mov_b32 s3, 0xc2ce8ed0
	v_cmp_ngt_f32_e32 vcc, s3, v17
	s_mov_b32 s3, 0x42b17218
	v_ldexp_f32 v30, v30, v31
	v_cndmask_b32_e32 v30, 0, v30, vcc
	v_mov_b32_e32 v35, 0x7f800000
	v_cmp_nlt_f32_e32 vcc, s3, v17
	v_cndmask_b32_e32 v17, v35, v30, vcc
	v_add_f32_e32 v36, 1.0, v17
	v_cvt_f64_f32_e32 v[30:31], v36
	v_add_f32_e32 v37, -1.0, v36
	v_sub_f32_e32 v38, v37, v36
	v_sub_f32_e32 v37, v17, v37
	v_frexp_exp_i32_f64_e32 v30, v[30:31]
	v_add_f32_e32 v31, 1.0, v38
	v_add_f32_e32 v31, v37, v31
	v_frexp_mant_f32_e32 v37, v36
	s_mov_b32 s6, 0x3f2aaaab
	v_cmp_gt_f32_e32 vcc, s6, v37
	s_mov_b32 s6, 0x3f317218
	s_mov_b32 s3, 0x7f800000
	v_subbrev_co_u32_e32 v30, vcc, 0, v30, vcc
	v_sub_u32_e32 v37, 0, v30
	v_ldexp_f32 v36, v36, v37
	v_ldexp_f32 v31, v31, v37
	v_add_f32_e32 v37, -1.0, v36
	v_add_f32_e32 v48, 1.0, v36
	v_add_f32_e32 v38, 1.0, v37
	v_add_f32_e32 v49, -1.0, v48
	v_sub_f32_e32 v38, v36, v38
	v_sub_f32_e32 v36, v36, v49
	v_add_f32_e32 v38, v31, v38
	v_add_f32_e32 v31, v31, v36
	;; [unrolled: 1-line block ×3, first 2 shown]
	v_rcp_f32_e32 v49, v36
	v_add_f32_e32 v47, v37, v38
	v_sub_f32_e32 v37, v37, v47
	v_add_f32_e32 v37, v38, v37
	v_sub_f32_e32 v38, v48, v36
	v_add_f32_e32 v31, v31, v38
	v_mul_f32_e32 v38, v47, v49
	v_mul_f32_e32 v48, v36, v38
	v_fma_f32 v50, v38, v36, -v48
	v_fmac_f32_e32 v50, v38, v31
	v_add_f32_e32 v51, v48, v50
	v_sub_f32_e32 v52, v47, v51
	v_sub_f32_e32 v47, v47, v52
	;; [unrolled: 1-line block ×4, first 2 shown]
	v_add_f32_e32 v37, v37, v47
	v_sub_f32_e32 v47, v48, v50
	v_add_f32_e32 v37, v47, v37
	v_add_f32_e32 v47, v52, v37
	v_mul_f32_e32 v48, v49, v47
	v_mul_f32_e32 v50, v36, v48
	v_fma_f32 v36, v48, v36, -v50
	v_fmac_f32_e32 v36, v48, v31
	v_sub_f32_e32 v31, v52, v47
	v_add_f32_e32 v31, v37, v31
	v_add_f32_e32 v37, v50, v36
	v_sub_f32_e32 v51, v47, v37
	v_sub_f32_e32 v47, v47, v51
	;; [unrolled: 1-line block ×4, first 2 shown]
	v_add_f32_e32 v31, v31, v37
	v_sub_f32_e32 v36, v50, v36
	v_add_f32_e32 v31, v36, v31
	v_add_f32_e32 v36, v38, v48
	;; [unrolled: 1-line block ×3, first 2 shown]
	v_sub_f32_e32 v37, v36, v38
	v_mul_f32_e32 v31, v49, v31
	v_sub_f32_e32 v37, v48, v37
	v_add_f32_e32 v31, v37, v31
	v_cvt_f32_i32_e32 v30, v30
	v_add_f32_e32 v37, v36, v31
	v_mul_f32_e32 v38, v37, v37
	v_mov_b32_e32 v47, 0x3ecc95a3
	v_fmac_f32_e32 v47, 0x3e9b6dac, v38
	v_mov_b32_e32 v48, 0x3f2aaada
	v_fmac_f32_e32 v48, v38, v47
	v_mul_f32_e32 v47, 0x3f317218, v30
	v_fma_f32 v49, v30, s6, -v47
	v_fmac_f32_e32 v49, 0xb102e308, v30
	v_sub_f32_e32 v30, v37, v36
	v_sub_f32_e32 v30, v31, v30
	v_add_f32_e32 v31, v47, v49
	v_sub_f32_e32 v36, v31, v47
	v_ldexp_f32 v47, v37, 1
	v_mul_f32_e32 v37, v37, v38
	v_mul_f32_e32 v37, v37, v48
	v_add_f32_e32 v38, v47, v37
	v_sub_f32_e32 v47, v38, v47
	v_ldexp_f32 v30, v30, 1
	v_sub_f32_e32 v37, v37, v47
	v_add_f32_e32 v30, v30, v37
	v_add_f32_e32 v37, v38, v30
	v_sub_f32_e32 v38, v37, v38
	v_sub_f32_e32 v30, v30, v38
	v_add_f32_e32 v38, v31, v37
	v_sub_f32_e32 v47, v38, v31
	v_sub_f32_e32 v48, v38, v47
	;; [unrolled: 1-line block ×5, first 2 shown]
	v_add_f32_e32 v31, v37, v31
	v_add_f32_e32 v37, v36, v30
	v_sub_f32_e32 v47, v37, v36
	v_sub_f32_e32 v48, v37, v47
	;; [unrolled: 1-line block ×4, first 2 shown]
	v_add_f32_e32 v31, v37, v31
	v_add_f32_e32 v30, v30, v36
	;; [unrolled: 1-line block ×3, first 2 shown]
	v_sub_f32_e32 v37, v36, v38
	v_sub_f32_e32 v31, v31, v37
	v_add_f32_e32 v30, v30, v31
	v_add_f32_e32 v30, v36, v30
	v_cmp_neq_f32_e32 vcc, s3, v17
	s_mov_b32 s3, 0x33800000
	v_cndmask_b32_e32 v30, v35, v30, vcc
	v_cmp_lt_f32_e64 vcc, |v17|, s3
	v_cndmask_b32_e32 v17, v30, v17, vcc
	v_add_f32_e32 v17, v29, v17
	v_cvt_f16_f32_e32 v47, v17
	v_cvt_f32_f16_e32 v17, v47
	v_mov_b32_e32 v35, v47
.LBB355_255:
	s_or_b64 exec, exec, s[0:1]
	v_max_f32_e32 v29, v39, v39
	v_max_f32_e32 v30, v17, v17
	v_min_f32_e32 v31, v30, v29
	v_cmp_u_f16_e32 vcc, v47, v47
	v_max_f32_e32 v29, v30, v29
	v_cndmask_b32_e32 v31, v31, v17, vcc
	v_cndmask_b32_e32 v29, v29, v17, vcc
	v_cndmask_b32_e64 v31, v31, v39, s[40:41]
	v_cndmask_b32_e64 v30, v29, v39, s[40:41]
	v_cmp_neq_f32_e32 vcc, v31, v30
	v_cmp_class_f32_e64 s[0:1], v31, s2
	s_or_b64 s[2:3], vcc, s[0:1]
	v_mov_b32_e32 v29, v35
	s_and_saveexec_b64 s[0:1], s[2:3]
	s_cbranch_execz .LBB355_257
; %bb.256:
	v_sub_f32_e32 v17, v31, v30
	s_mov_b32 s2, 0x3fb8aa3b
	v_mul_f32_e32 v29, 0x3fb8aa3b, v17
	v_fma_f32 v31, v17, s2, -v29
	v_rndne_f32_e32 v36, v29
	v_fmac_f32_e32 v31, 0x32a5705f, v17
	v_sub_f32_e32 v29, v29, v36
	v_add_f32_e32 v29, v29, v31
	v_exp_f32_e32 v29, v29
	v_cvt_i32_f32_e32 v31, v36
	s_mov_b32 s2, 0xc2ce8ed0
	v_cmp_ngt_f32_e32 vcc, s2, v17
	s_mov_b32 s2, 0x42b17218
	v_ldexp_f32 v29, v29, v31
	v_cndmask_b32_e32 v29, 0, v29, vcc
	v_mov_b32_e32 v31, 0x7f800000
	v_cmp_nlt_f32_e32 vcc, s2, v17
	v_cndmask_b32_e32 v17, v31, v29, vcc
	v_add_f32_e32 v29, 1.0, v17
	v_cvt_f64_f32_e32 v[36:37], v29
	v_add_f32_e32 v38, -1.0, v29
	v_sub_f32_e32 v39, v38, v29
	v_sub_f32_e32 v38, v17, v38
	v_frexp_exp_i32_f64_e32 v36, v[36:37]
	v_add_f32_e32 v37, 1.0, v39
	v_add_f32_e32 v37, v38, v37
	v_frexp_mant_f32_e32 v38, v29
	s_mov_b32 s3, 0x3f2aaaab
	v_cmp_gt_f32_e32 vcc, s3, v38
	s_mov_b32 s3, 0x3f317218
	s_mov_b32 s2, 0x7f800000
	v_subbrev_co_u32_e32 v36, vcc, 0, v36, vcc
	v_sub_u32_e32 v38, 0, v36
	v_ldexp_f32 v29, v29, v38
	v_ldexp_f32 v37, v37, v38
	v_add_f32_e32 v38, -1.0, v29
	v_add_f32_e32 v48, 1.0, v29
	v_add_f32_e32 v39, 1.0, v38
	v_add_f32_e32 v49, -1.0, v48
	v_sub_f32_e32 v39, v29, v39
	v_sub_f32_e32 v29, v29, v49
	v_add_f32_e32 v29, v37, v29
	v_add_f32_e32 v39, v37, v39
	;; [unrolled: 1-line block ×3, first 2 shown]
	v_rcp_f32_e32 v49, v37
	v_add_f32_e32 v47, v38, v39
	v_sub_f32_e32 v38, v38, v47
	v_add_f32_e32 v38, v39, v38
	v_sub_f32_e32 v39, v48, v37
	v_add_f32_e32 v29, v29, v39
	v_mul_f32_e32 v39, v47, v49
	v_mul_f32_e32 v48, v37, v39
	v_fma_f32 v50, v39, v37, -v48
	v_fmac_f32_e32 v50, v39, v29
	v_add_f32_e32 v51, v48, v50
	v_sub_f32_e32 v52, v47, v51
	v_sub_f32_e32 v47, v47, v52
	;; [unrolled: 1-line block ×4, first 2 shown]
	v_add_f32_e32 v38, v38, v47
	v_sub_f32_e32 v47, v48, v50
	v_add_f32_e32 v38, v47, v38
	v_add_f32_e32 v47, v52, v38
	v_mul_f32_e32 v48, v49, v47
	v_mul_f32_e32 v50, v37, v48
	v_fma_f32 v37, v48, v37, -v50
	v_fmac_f32_e32 v37, v48, v29
	v_sub_f32_e32 v29, v52, v47
	v_add_f32_e32 v29, v38, v29
	v_add_f32_e32 v38, v50, v37
	v_sub_f32_e32 v51, v47, v38
	v_sub_f32_e32 v47, v47, v51
	v_sub_f32_e32 v50, v38, v50
	v_sub_f32_e32 v38, v47, v38
	v_add_f32_e32 v29, v29, v38
	v_sub_f32_e32 v37, v50, v37
	v_add_f32_e32 v29, v37, v29
	v_add_f32_e32 v37, v39, v48
	;; [unrolled: 1-line block ×3, first 2 shown]
	v_sub_f32_e32 v38, v37, v39
	v_mul_f32_e32 v29, v49, v29
	v_sub_f32_e32 v38, v48, v38
	v_add_f32_e32 v29, v38, v29
	v_cvt_f32_i32_e32 v36, v36
	v_add_f32_e32 v38, v37, v29
	v_mul_f32_e32 v39, v38, v38
	v_mov_b32_e32 v47, 0x3ecc95a3
	v_fmac_f32_e32 v47, 0x3e9b6dac, v39
	v_mov_b32_e32 v48, 0x3f2aaada
	v_fmac_f32_e32 v48, v39, v47
	v_mul_f32_e32 v47, 0x3f317218, v36
	v_fma_f32 v49, v36, s3, -v47
	v_fmac_f32_e32 v49, 0xb102e308, v36
	v_sub_f32_e32 v36, v38, v37
	v_sub_f32_e32 v29, v29, v36
	v_add_f32_e32 v36, v47, v49
	v_sub_f32_e32 v37, v36, v47
	v_ldexp_f32 v47, v38, 1
	v_mul_f32_e32 v38, v38, v39
	v_mul_f32_e32 v38, v38, v48
	v_add_f32_e32 v39, v47, v38
	v_sub_f32_e32 v47, v39, v47
	v_ldexp_f32 v29, v29, 1
	v_sub_f32_e32 v38, v38, v47
	v_add_f32_e32 v29, v29, v38
	v_add_f32_e32 v38, v39, v29
	v_sub_f32_e32 v39, v38, v39
	v_sub_f32_e32 v29, v29, v39
	v_add_f32_e32 v39, v36, v38
	v_sub_f32_e32 v47, v39, v36
	v_sub_f32_e32 v48, v39, v47
	;; [unrolled: 1-line block ×5, first 2 shown]
	v_add_f32_e32 v36, v38, v36
	v_add_f32_e32 v38, v37, v29
	v_sub_f32_e32 v47, v38, v37
	v_sub_f32_e32 v48, v38, v47
	;; [unrolled: 1-line block ×4, first 2 shown]
	v_add_f32_e32 v36, v38, v36
	v_add_f32_e32 v29, v29, v37
	;; [unrolled: 1-line block ×3, first 2 shown]
	v_sub_f32_e32 v38, v37, v39
	v_sub_f32_e32 v36, v36, v38
	v_add_f32_e32 v29, v29, v36
	v_add_f32_e32 v29, v37, v29
	v_cmp_neq_f32_e32 vcc, s2, v17
	s_mov_b32 s2, 0x33800000
	v_cndmask_b32_e32 v29, v31, v29, vcc
	v_cmp_lt_f32_e64 vcc, |v17|, s2
	v_cndmask_b32_e32 v17, v29, v17, vcc
	v_add_f32_e32 v17, v30, v17
	v_cvt_f16_f32_e32 v47, v17
	v_cvt_f32_f16_e32 v17, v47
	v_mov_b32_e32 v29, v47
.LBB355_257:
	s_or_b64 exec, exec, s[0:1]
	v_max_f32_e32 v30, v40, v40
	v_max_f32_e32 v36, v17, v17
	v_min_f32_e32 v31, v36, v30
	v_cmp_u_f16_e32 vcc, v47, v47
	v_max_f32_e32 v30, v36, v30
	v_cndmask_b32_e32 v31, v31, v17, vcc
	v_cndmask_b32_e32 v30, v30, v17, vcc
	v_cndmask_b32_e64 v31, v31, v40, s[42:43]
	v_cndmask_b32_e64 v30, v30, v40, s[42:43]
	s_movk_i32 s2, 0x1f8
	v_cmp_neq_f32_e32 vcc, v31, v30
	v_cmp_class_f32_e64 s[0:1], v31, s2
	s_or_b64 s[6:7], vcc, s[0:1]
	v_mov_b32_e32 v36, v29
	s_and_saveexec_b64 s[0:1], s[6:7]
	s_cbranch_execz .LBB355_259
; %bb.258:
	v_sub_f32_e32 v17, v31, v30
	s_mov_b32 s3, 0x3fb8aa3b
	v_mul_f32_e32 v31, 0x3fb8aa3b, v17
	v_fma_f32 v36, v17, s3, -v31
	v_rndne_f32_e32 v37, v31
	v_fmac_f32_e32 v36, 0x32a5705f, v17
	v_sub_f32_e32 v31, v31, v37
	v_add_f32_e32 v31, v31, v36
	v_exp_f32_e32 v31, v31
	v_cvt_i32_f32_e32 v36, v37
	s_mov_b32 s3, 0xc2ce8ed0
	v_cmp_ngt_f32_e32 vcc, s3, v17
	s_mov_b32 s3, 0x42b17218
	v_ldexp_f32 v31, v31, v36
	v_cndmask_b32_e32 v31, 0, v31, vcc
	v_mov_b32_e32 v38, 0x7f800000
	v_cmp_nlt_f32_e32 vcc, s3, v17
	v_cndmask_b32_e32 v17, v38, v31, vcc
	v_add_f32_e32 v31, 1.0, v17
	v_cvt_f64_f32_e32 v[36:37], v31
	v_add_f32_e32 v39, -1.0, v31
	v_sub_f32_e32 v40, v39, v31
	v_sub_f32_e32 v39, v17, v39
	v_frexp_exp_i32_f64_e32 v36, v[36:37]
	v_add_f32_e32 v37, 1.0, v40
	v_add_f32_e32 v37, v39, v37
	v_frexp_mant_f32_e32 v39, v31
	s_mov_b32 s6, 0x3f2aaaab
	v_cmp_gt_f32_e32 vcc, s6, v39
	s_mov_b32 s6, 0x3f317218
	s_mov_b32 s3, 0x7f800000
	v_subbrev_co_u32_e32 v36, vcc, 0, v36, vcc
	v_sub_u32_e32 v39, 0, v36
	v_ldexp_f32 v31, v31, v39
	v_ldexp_f32 v37, v37, v39
	v_add_f32_e32 v39, -1.0, v31
	v_add_f32_e32 v48, 1.0, v31
	v_add_f32_e32 v40, 1.0, v39
	v_add_f32_e32 v49, -1.0, v48
	v_sub_f32_e32 v40, v31, v40
	v_sub_f32_e32 v31, v31, v49
	v_add_f32_e32 v31, v37, v31
	v_add_f32_e32 v40, v37, v40
	;; [unrolled: 1-line block ×3, first 2 shown]
	v_rcp_f32_e32 v49, v37
	v_add_f32_e32 v47, v39, v40
	v_sub_f32_e32 v39, v39, v47
	v_add_f32_e32 v39, v40, v39
	v_sub_f32_e32 v40, v48, v37
	v_add_f32_e32 v31, v31, v40
	v_mul_f32_e32 v40, v47, v49
	v_mul_f32_e32 v48, v37, v40
	v_fma_f32 v50, v40, v37, -v48
	v_fmac_f32_e32 v50, v40, v31
	v_add_f32_e32 v51, v48, v50
	v_sub_f32_e32 v52, v47, v51
	v_sub_f32_e32 v47, v47, v52
	;; [unrolled: 1-line block ×4, first 2 shown]
	v_add_f32_e32 v39, v39, v47
	v_sub_f32_e32 v47, v48, v50
	v_add_f32_e32 v39, v47, v39
	v_add_f32_e32 v47, v52, v39
	v_mul_f32_e32 v48, v49, v47
	v_mul_f32_e32 v50, v37, v48
	v_fma_f32 v37, v48, v37, -v50
	v_fmac_f32_e32 v37, v48, v31
	v_sub_f32_e32 v31, v52, v47
	v_add_f32_e32 v31, v39, v31
	v_add_f32_e32 v39, v50, v37
	v_sub_f32_e32 v51, v47, v39
	v_sub_f32_e32 v47, v47, v51
	;; [unrolled: 1-line block ×4, first 2 shown]
	v_add_f32_e32 v31, v31, v39
	v_sub_f32_e32 v37, v50, v37
	v_add_f32_e32 v31, v37, v31
	v_add_f32_e32 v37, v40, v48
	;; [unrolled: 1-line block ×3, first 2 shown]
	v_sub_f32_e32 v39, v37, v40
	v_mul_f32_e32 v31, v49, v31
	v_sub_f32_e32 v39, v48, v39
	v_add_f32_e32 v31, v39, v31
	v_cvt_f32_i32_e32 v36, v36
	v_add_f32_e32 v39, v37, v31
	v_mul_f32_e32 v40, v39, v39
	v_mov_b32_e32 v47, 0x3ecc95a3
	v_fmac_f32_e32 v47, 0x3e9b6dac, v40
	v_mov_b32_e32 v48, 0x3f2aaada
	v_fmac_f32_e32 v48, v40, v47
	v_mul_f32_e32 v47, 0x3f317218, v36
	v_fma_f32 v49, v36, s6, -v47
	v_fmac_f32_e32 v49, 0xb102e308, v36
	v_sub_f32_e32 v36, v39, v37
	v_sub_f32_e32 v31, v31, v36
	v_add_f32_e32 v36, v47, v49
	v_sub_f32_e32 v37, v36, v47
	v_ldexp_f32 v47, v39, 1
	v_mul_f32_e32 v39, v39, v40
	v_mul_f32_e32 v39, v39, v48
	v_add_f32_e32 v40, v47, v39
	v_sub_f32_e32 v47, v40, v47
	v_ldexp_f32 v31, v31, 1
	v_sub_f32_e32 v39, v39, v47
	v_add_f32_e32 v31, v31, v39
	v_add_f32_e32 v39, v40, v31
	v_sub_f32_e32 v40, v39, v40
	v_sub_f32_e32 v31, v31, v40
	v_add_f32_e32 v40, v36, v39
	v_sub_f32_e32 v47, v40, v36
	v_sub_f32_e32 v48, v40, v47
	;; [unrolled: 1-line block ×5, first 2 shown]
	v_add_f32_e32 v36, v39, v36
	v_add_f32_e32 v39, v37, v31
	v_sub_f32_e32 v47, v39, v37
	v_sub_f32_e32 v48, v39, v47
	v_sub_f32_e32 v37, v37, v48
	v_sub_f32_e32 v31, v31, v47
	v_add_f32_e32 v36, v39, v36
	v_add_f32_e32 v31, v31, v37
	;; [unrolled: 1-line block ×3, first 2 shown]
	v_sub_f32_e32 v39, v37, v40
	v_sub_f32_e32 v36, v36, v39
	v_add_f32_e32 v31, v31, v36
	v_add_f32_e32 v31, v37, v31
	v_cmp_neq_f32_e32 vcc, s3, v17
	s_mov_b32 s3, 0x33800000
	v_cndmask_b32_e32 v31, v38, v31, vcc
	v_cmp_lt_f32_e64 vcc, |v17|, s3
	v_cndmask_b32_e32 v17, v31, v17, vcc
	v_add_f32_e32 v17, v30, v17
	v_cvt_f16_f32_e32 v47, v17
	v_cvt_f32_f16_e32 v17, v47
	v_mov_b32_e32 v36, v47
.LBB355_259:
	s_or_b64 exec, exec, s[0:1]
	v_max_f32_e32 v30, v41, v41
	v_max_f32_e32 v31, v17, v17
	v_min_f32_e32 v37, v31, v30
	v_cmp_u_f16_e32 vcc, v47, v47
	v_max_f32_e32 v30, v31, v30
	v_cndmask_b32_e32 v37, v37, v17, vcc
	v_cndmask_b32_e32 v30, v30, v17, vcc
	v_cndmask_b32_e64 v37, v37, v41, s[44:45]
	v_cndmask_b32_e64 v31, v30, v41, s[44:45]
	v_cmp_neq_f32_e32 vcc, v37, v31
	v_cmp_class_f32_e64 s[0:1], v37, s2
	s_or_b64 s[2:3], vcc, s[0:1]
	v_mov_b32_e32 v30, v36
	s_and_saveexec_b64 s[0:1], s[2:3]
	s_cbranch_execz .LBB355_261
; %bb.260:
	v_sub_f32_e32 v17, v37, v31
	s_mov_b32 s2, 0x3fb8aa3b
	v_mul_f32_e32 v30, 0x3fb8aa3b, v17
	v_fma_f32 v37, v17, s2, -v30
	v_rndne_f32_e32 v38, v30
	v_fmac_f32_e32 v37, 0x32a5705f, v17
	v_sub_f32_e32 v30, v30, v38
	v_add_f32_e32 v30, v30, v37
	v_exp_f32_e32 v30, v30
	v_cvt_i32_f32_e32 v37, v38
	s_mov_b32 s2, 0xc2ce8ed0
	v_cmp_ngt_f32_e32 vcc, s2, v17
	s_mov_b32 s2, 0x42b17218
	v_ldexp_f32 v30, v30, v37
	v_cndmask_b32_e32 v30, 0, v30, vcc
	v_mov_b32_e32 v39, 0x7f800000
	v_cmp_nlt_f32_e32 vcc, s2, v17
	v_cndmask_b32_e32 v17, v39, v30, vcc
	v_add_f32_e32 v30, 1.0, v17
	v_cvt_f64_f32_e32 v[37:38], v30
	v_add_f32_e32 v40, -1.0, v30
	v_sub_f32_e32 v41, v40, v30
	v_sub_f32_e32 v40, v17, v40
	v_frexp_exp_i32_f64_e32 v37, v[37:38]
	v_add_f32_e32 v38, 1.0, v41
	v_add_f32_e32 v38, v40, v38
	v_frexp_mant_f32_e32 v40, v30
	s_mov_b32 s3, 0x3f2aaaab
	v_cmp_gt_f32_e32 vcc, s3, v40
	s_mov_b32 s3, 0x3f317218
	s_mov_b32 s2, 0x7f800000
	v_subbrev_co_u32_e32 v37, vcc, 0, v37, vcc
	v_sub_u32_e32 v40, 0, v37
	v_ldexp_f32 v30, v30, v40
	v_ldexp_f32 v38, v38, v40
	v_add_f32_e32 v40, -1.0, v30
	v_add_f32_e32 v48, 1.0, v30
	v_add_f32_e32 v41, 1.0, v40
	v_add_f32_e32 v49, -1.0, v48
	v_sub_f32_e32 v41, v30, v41
	v_sub_f32_e32 v30, v30, v49
	v_add_f32_e32 v30, v38, v30
	v_add_f32_e32 v41, v38, v41
	;; [unrolled: 1-line block ×3, first 2 shown]
	v_rcp_f32_e32 v49, v38
	v_add_f32_e32 v47, v40, v41
	v_sub_f32_e32 v40, v40, v47
	v_add_f32_e32 v40, v41, v40
	v_sub_f32_e32 v41, v48, v38
	v_add_f32_e32 v30, v30, v41
	v_mul_f32_e32 v41, v47, v49
	v_mul_f32_e32 v48, v38, v41
	v_fma_f32 v50, v41, v38, -v48
	v_fmac_f32_e32 v50, v41, v30
	v_add_f32_e32 v51, v48, v50
	v_sub_f32_e32 v52, v47, v51
	v_sub_f32_e32 v47, v47, v52
	;; [unrolled: 1-line block ×4, first 2 shown]
	v_add_f32_e32 v40, v40, v47
	v_sub_f32_e32 v47, v48, v50
	v_add_f32_e32 v40, v47, v40
	v_add_f32_e32 v47, v52, v40
	v_mul_f32_e32 v48, v49, v47
	v_mul_f32_e32 v50, v38, v48
	v_fma_f32 v38, v48, v38, -v50
	v_fmac_f32_e32 v38, v48, v30
	v_sub_f32_e32 v30, v52, v47
	v_add_f32_e32 v30, v40, v30
	v_add_f32_e32 v40, v50, v38
	v_sub_f32_e32 v51, v47, v40
	v_sub_f32_e32 v47, v47, v51
	;; [unrolled: 1-line block ×4, first 2 shown]
	v_add_f32_e32 v30, v30, v40
	v_sub_f32_e32 v38, v50, v38
	v_add_f32_e32 v30, v38, v30
	v_add_f32_e32 v38, v41, v48
	;; [unrolled: 1-line block ×3, first 2 shown]
	v_sub_f32_e32 v40, v38, v41
	v_mul_f32_e32 v30, v49, v30
	v_sub_f32_e32 v40, v48, v40
	v_add_f32_e32 v30, v40, v30
	v_cvt_f32_i32_e32 v37, v37
	v_add_f32_e32 v40, v38, v30
	v_mul_f32_e32 v41, v40, v40
	v_mov_b32_e32 v47, 0x3ecc95a3
	v_fmac_f32_e32 v47, 0x3e9b6dac, v41
	v_mov_b32_e32 v48, 0x3f2aaada
	v_fmac_f32_e32 v48, v41, v47
	v_mul_f32_e32 v47, 0x3f317218, v37
	v_fma_f32 v49, v37, s3, -v47
	v_fmac_f32_e32 v49, 0xb102e308, v37
	v_sub_f32_e32 v37, v40, v38
	v_sub_f32_e32 v30, v30, v37
	v_add_f32_e32 v37, v47, v49
	v_sub_f32_e32 v38, v37, v47
	v_ldexp_f32 v47, v40, 1
	v_mul_f32_e32 v40, v40, v41
	v_mul_f32_e32 v40, v40, v48
	v_add_f32_e32 v41, v47, v40
	v_sub_f32_e32 v47, v41, v47
	v_ldexp_f32 v30, v30, 1
	v_sub_f32_e32 v40, v40, v47
	v_add_f32_e32 v30, v30, v40
	v_add_f32_e32 v40, v41, v30
	v_sub_f32_e32 v41, v40, v41
	v_sub_f32_e32 v30, v30, v41
	v_add_f32_e32 v41, v37, v40
	v_sub_f32_e32 v47, v41, v37
	v_sub_f32_e32 v48, v41, v47
	;; [unrolled: 1-line block ×5, first 2 shown]
	v_add_f32_e32 v37, v40, v37
	v_add_f32_e32 v40, v38, v30
	v_sub_f32_e32 v47, v40, v38
	v_sub_f32_e32 v48, v40, v47
	;; [unrolled: 1-line block ×4, first 2 shown]
	v_add_f32_e32 v37, v40, v37
	v_add_f32_e32 v30, v30, v38
	;; [unrolled: 1-line block ×3, first 2 shown]
	v_sub_f32_e32 v40, v38, v41
	v_sub_f32_e32 v37, v37, v40
	v_add_f32_e32 v30, v30, v37
	v_add_f32_e32 v30, v38, v30
	v_cmp_neq_f32_e32 vcc, s2, v17
	s_mov_b32 s2, 0x33800000
	v_cndmask_b32_e32 v30, v39, v30, vcc
	v_cmp_lt_f32_e64 vcc, |v17|, s2
	v_cndmask_b32_e32 v17, v30, v17, vcc
	v_add_f32_e32 v17, v31, v17
	v_cvt_f16_f32_e32 v47, v17
	v_cvt_f32_f16_e32 v17, v47
	v_mov_b32_e32 v30, v47
.LBB355_261:
	s_or_b64 exec, exec, s[0:1]
	v_max_f32_e32 v31, v42, v42
	v_max_f32_e32 v37, v17, v17
	v_min_f32_e32 v38, v37, v31
	v_cmp_u_f16_e32 vcc, v47, v47
	v_max_f32_e32 v31, v37, v31
	v_cndmask_b32_e32 v38, v38, v17, vcc
	v_cndmask_b32_e32 v31, v31, v17, vcc
	v_cndmask_b32_e64 v38, v38, v42, s[46:47]
	v_cndmask_b32_e64 v31, v31, v42, s[46:47]
	s_movk_i32 s2, 0x1f8
	v_cmp_neq_f32_e32 vcc, v38, v31
	v_cmp_class_f32_e64 s[0:1], v38, s2
	s_or_b64 s[6:7], vcc, s[0:1]
	v_mov_b32_e32 v37, v30
	s_and_saveexec_b64 s[0:1], s[6:7]
	s_cbranch_execz .LBB355_263
; %bb.262:
	v_sub_f32_e32 v17, v38, v31
	s_mov_b32 s3, 0x3fb8aa3b
	v_mul_f32_e32 v37, 0x3fb8aa3b, v17
	v_fma_f32 v38, v17, s3, -v37
	v_rndne_f32_e32 v39, v37
	v_fmac_f32_e32 v38, 0x32a5705f, v17
	v_sub_f32_e32 v37, v37, v39
	v_add_f32_e32 v37, v37, v38
	v_exp_f32_e32 v37, v37
	v_cvt_i32_f32_e32 v38, v39
	s_mov_b32 s3, 0xc2ce8ed0
	v_cmp_ngt_f32_e32 vcc, s3, v17
	s_mov_b32 s3, 0x42b17218
	v_ldexp_f32 v37, v37, v38
	v_cndmask_b32_e32 v37, 0, v37, vcc
	v_mov_b32_e32 v39, 0x7f800000
	v_cmp_nlt_f32_e32 vcc, s3, v17
	v_cndmask_b32_e32 v17, v39, v37, vcc
	v_add_f32_e32 v40, 1.0, v17
	v_cvt_f64_f32_e32 v[37:38], v40
	v_add_f32_e32 v41, -1.0, v40
	v_sub_f32_e32 v42, v41, v40
	v_sub_f32_e32 v41, v17, v41
	v_frexp_exp_i32_f64_e32 v37, v[37:38]
	v_add_f32_e32 v38, 1.0, v42
	v_add_f32_e32 v38, v41, v38
	v_frexp_mant_f32_e32 v41, v40
	s_mov_b32 s6, 0x3f2aaaab
	v_cmp_gt_f32_e32 vcc, s6, v41
	s_mov_b32 s6, 0x3f317218
	s_mov_b32 s3, 0x7f800000
	v_subbrev_co_u32_e32 v37, vcc, 0, v37, vcc
	v_sub_u32_e32 v41, 0, v37
	v_ldexp_f32 v40, v40, v41
	v_ldexp_f32 v38, v38, v41
	v_add_f32_e32 v41, -1.0, v40
	v_add_f32_e32 v48, 1.0, v40
	v_add_f32_e32 v42, 1.0, v41
	v_add_f32_e32 v49, -1.0, v48
	v_sub_f32_e32 v42, v40, v42
	v_sub_f32_e32 v40, v40, v49
	v_add_f32_e32 v42, v38, v42
	v_add_f32_e32 v38, v38, v40
	;; [unrolled: 1-line block ×3, first 2 shown]
	v_rcp_f32_e32 v49, v40
	v_add_f32_e32 v47, v41, v42
	v_sub_f32_e32 v41, v41, v47
	v_add_f32_e32 v41, v42, v41
	v_sub_f32_e32 v42, v48, v40
	v_add_f32_e32 v38, v38, v42
	v_mul_f32_e32 v42, v47, v49
	v_mul_f32_e32 v48, v40, v42
	v_fma_f32 v50, v42, v40, -v48
	v_fmac_f32_e32 v50, v42, v38
	v_add_f32_e32 v51, v48, v50
	v_sub_f32_e32 v52, v47, v51
	v_sub_f32_e32 v47, v47, v52
	;; [unrolled: 1-line block ×4, first 2 shown]
	v_add_f32_e32 v41, v41, v47
	v_sub_f32_e32 v47, v48, v50
	v_add_f32_e32 v41, v47, v41
	v_add_f32_e32 v47, v52, v41
	v_mul_f32_e32 v48, v49, v47
	v_mul_f32_e32 v50, v40, v48
	v_fma_f32 v40, v48, v40, -v50
	v_fmac_f32_e32 v40, v48, v38
	v_sub_f32_e32 v38, v52, v47
	v_add_f32_e32 v38, v41, v38
	v_add_f32_e32 v41, v50, v40
	v_sub_f32_e32 v51, v47, v41
	v_sub_f32_e32 v47, v47, v51
	;; [unrolled: 1-line block ×4, first 2 shown]
	v_add_f32_e32 v38, v38, v41
	v_sub_f32_e32 v40, v50, v40
	v_add_f32_e32 v38, v40, v38
	v_add_f32_e32 v40, v42, v48
	;; [unrolled: 1-line block ×3, first 2 shown]
	v_sub_f32_e32 v41, v40, v42
	v_mul_f32_e32 v38, v49, v38
	v_sub_f32_e32 v41, v48, v41
	v_add_f32_e32 v38, v41, v38
	v_cvt_f32_i32_e32 v37, v37
	v_add_f32_e32 v41, v40, v38
	v_mul_f32_e32 v42, v41, v41
	v_mov_b32_e32 v47, 0x3ecc95a3
	v_fmac_f32_e32 v47, 0x3e9b6dac, v42
	v_mov_b32_e32 v48, 0x3f2aaada
	v_fmac_f32_e32 v48, v42, v47
	v_mul_f32_e32 v47, 0x3f317218, v37
	v_fma_f32 v49, v37, s6, -v47
	v_fmac_f32_e32 v49, 0xb102e308, v37
	v_sub_f32_e32 v37, v41, v40
	v_sub_f32_e32 v37, v38, v37
	v_add_f32_e32 v38, v47, v49
	v_sub_f32_e32 v40, v38, v47
	v_ldexp_f32 v47, v41, 1
	v_mul_f32_e32 v41, v41, v42
	v_mul_f32_e32 v41, v41, v48
	v_add_f32_e32 v42, v47, v41
	v_sub_f32_e32 v47, v42, v47
	v_ldexp_f32 v37, v37, 1
	v_sub_f32_e32 v41, v41, v47
	v_add_f32_e32 v37, v37, v41
	v_add_f32_e32 v41, v42, v37
	v_sub_f32_e32 v42, v41, v42
	v_sub_f32_e32 v37, v37, v42
	v_add_f32_e32 v42, v38, v41
	v_sub_f32_e32 v47, v42, v38
	v_sub_f32_e32 v48, v42, v47
	;; [unrolled: 1-line block ×5, first 2 shown]
	v_add_f32_e32 v38, v41, v38
	v_add_f32_e32 v41, v40, v37
	v_sub_f32_e32 v47, v41, v40
	v_sub_f32_e32 v48, v41, v47
	v_sub_f32_e32 v40, v40, v48
	v_sub_f32_e32 v37, v37, v47
	v_add_f32_e32 v38, v41, v38
	v_add_f32_e32 v37, v37, v40
	v_add_f32_e32 v40, v42, v38
	v_sub_f32_e32 v41, v40, v42
	v_sub_f32_e32 v38, v38, v41
	v_add_f32_e32 v37, v37, v38
	v_add_f32_e32 v37, v40, v37
	v_cmp_neq_f32_e32 vcc, s3, v17
	s_mov_b32 s3, 0x33800000
	v_cndmask_b32_e32 v37, v39, v37, vcc
	v_cmp_lt_f32_e64 vcc, |v17|, s3
	v_cndmask_b32_e32 v17, v37, v17, vcc
	v_add_f32_e32 v17, v31, v17
	v_cvt_f16_f32_e32 v47, v17
	v_cvt_f32_f16_e32 v17, v47
	v_mov_b32_e32 v37, v47
.LBB355_263:
	s_or_b64 exec, exec, s[0:1]
	v_max_f32_e32 v31, v43, v43
	v_max_f32_e32 v39, v17, v17
	v_min_f32_e32 v38, v39, v31
	v_cmp_u_f16_e32 vcc, v47, v47
	v_max_f32_e32 v31, v39, v31
	v_cndmask_b32_e32 v38, v38, v17, vcc
	v_cndmask_b32_e32 v17, v31, v17, vcc
	v_cndmask_b32_e64 v38, v38, v43, s[48:49]
	v_cndmask_b32_e64 v31, v17, v43, s[48:49]
	v_cmp_neq_f32_e32 vcc, v38, v31
	v_cmp_class_f32_e64 s[0:1], v38, s2
	s_or_b64 s[2:3], vcc, s[0:1]
	v_mov_b32_e32 v17, v37
	s_and_saveexec_b64 s[0:1], s[2:3]
	s_cbranch_execz .LBB355_265
; %bb.264:
	v_sub_f32_e32 v17, v38, v31
	s_mov_b32 s2, 0x3fb8aa3b
	v_mul_f32_e32 v38, 0x3fb8aa3b, v17
	v_fma_f32 v39, v17, s2, -v38
	v_rndne_f32_e32 v40, v38
	v_fmac_f32_e32 v39, 0x32a5705f, v17
	v_sub_f32_e32 v38, v38, v40
	v_add_f32_e32 v38, v38, v39
	v_exp_f32_e32 v38, v38
	v_cvt_i32_f32_e32 v39, v40
	s_mov_b32 s2, 0xc2ce8ed0
	v_cmp_ngt_f32_e32 vcc, s2, v17
	s_mov_b32 s2, 0x42b17218
	v_ldexp_f32 v38, v38, v39
	v_cndmask_b32_e32 v38, 0, v38, vcc
	v_mov_b32_e32 v40, 0x7f800000
	v_cmp_nlt_f32_e32 vcc, s2, v17
	v_cndmask_b32_e32 v17, v40, v38, vcc
	v_add_f32_e32 v41, 1.0, v17
	v_cvt_f64_f32_e32 v[38:39], v41
	v_add_f32_e32 v42, -1.0, v41
	v_sub_f32_e32 v43, v42, v41
	v_sub_f32_e32 v42, v17, v42
	v_frexp_exp_i32_f64_e32 v38, v[38:39]
	v_add_f32_e32 v39, 1.0, v43
	v_add_f32_e32 v39, v42, v39
	v_frexp_mant_f32_e32 v42, v41
	s_mov_b32 s3, 0x3f2aaaab
	v_cmp_gt_f32_e32 vcc, s3, v42
	s_mov_b32 s3, 0x3f317218
	s_mov_b32 s2, 0x7f800000
	v_subbrev_co_u32_e32 v38, vcc, 0, v38, vcc
	v_sub_u32_e32 v42, 0, v38
	v_ldexp_f32 v41, v41, v42
	v_ldexp_f32 v39, v39, v42
	v_add_f32_e32 v42, -1.0, v41
	v_add_f32_e32 v48, 1.0, v41
	v_add_f32_e32 v43, 1.0, v42
	v_add_f32_e32 v49, -1.0, v48
	v_sub_f32_e32 v43, v41, v43
	v_sub_f32_e32 v41, v41, v49
	v_add_f32_e32 v43, v39, v43
	v_add_f32_e32 v39, v39, v41
	;; [unrolled: 1-line block ×3, first 2 shown]
	v_rcp_f32_e32 v49, v41
	v_add_f32_e32 v47, v42, v43
	v_sub_f32_e32 v42, v42, v47
	v_add_f32_e32 v42, v43, v42
	v_sub_f32_e32 v43, v48, v41
	v_add_f32_e32 v39, v39, v43
	v_mul_f32_e32 v43, v47, v49
	v_mul_f32_e32 v48, v41, v43
	v_fma_f32 v50, v43, v41, -v48
	v_fmac_f32_e32 v50, v43, v39
	v_add_f32_e32 v51, v48, v50
	v_sub_f32_e32 v52, v47, v51
	v_sub_f32_e32 v47, v47, v52
	;; [unrolled: 1-line block ×4, first 2 shown]
	v_add_f32_e32 v42, v42, v47
	v_sub_f32_e32 v47, v48, v50
	v_add_f32_e32 v42, v47, v42
	v_add_f32_e32 v47, v52, v42
	v_mul_f32_e32 v48, v49, v47
	v_mul_f32_e32 v50, v41, v48
	v_fma_f32 v41, v48, v41, -v50
	v_fmac_f32_e32 v41, v48, v39
	v_sub_f32_e32 v39, v52, v47
	v_add_f32_e32 v39, v42, v39
	v_add_f32_e32 v42, v50, v41
	v_sub_f32_e32 v51, v47, v42
	v_sub_f32_e32 v47, v47, v51
	;; [unrolled: 1-line block ×4, first 2 shown]
	v_add_f32_e32 v39, v39, v42
	v_sub_f32_e32 v41, v50, v41
	v_add_f32_e32 v39, v41, v39
	v_add_f32_e32 v41, v43, v48
	;; [unrolled: 1-line block ×3, first 2 shown]
	v_sub_f32_e32 v42, v41, v43
	v_mul_f32_e32 v39, v49, v39
	v_sub_f32_e32 v42, v48, v42
	v_add_f32_e32 v39, v42, v39
	v_cvt_f32_i32_e32 v38, v38
	v_add_f32_e32 v42, v41, v39
	v_mul_f32_e32 v43, v42, v42
	v_mov_b32_e32 v47, 0x3ecc95a3
	v_fmac_f32_e32 v47, 0x3e9b6dac, v43
	v_mov_b32_e32 v48, 0x3f2aaada
	v_fmac_f32_e32 v48, v43, v47
	v_mul_f32_e32 v47, 0x3f317218, v38
	v_fma_f32 v49, v38, s3, -v47
	v_fmac_f32_e32 v49, 0xb102e308, v38
	v_sub_f32_e32 v38, v42, v41
	v_sub_f32_e32 v38, v39, v38
	v_add_f32_e32 v39, v47, v49
	v_sub_f32_e32 v41, v39, v47
	v_ldexp_f32 v47, v42, 1
	v_mul_f32_e32 v42, v42, v43
	v_mul_f32_e32 v42, v42, v48
	v_add_f32_e32 v43, v47, v42
	v_sub_f32_e32 v47, v43, v47
	v_ldexp_f32 v38, v38, 1
	v_sub_f32_e32 v42, v42, v47
	v_add_f32_e32 v38, v38, v42
	v_add_f32_e32 v42, v43, v38
	v_sub_f32_e32 v43, v42, v43
	v_sub_f32_e32 v38, v38, v43
	v_add_f32_e32 v43, v39, v42
	v_sub_f32_e32 v47, v43, v39
	v_sub_f32_e32 v48, v43, v47
	;; [unrolled: 1-line block ×5, first 2 shown]
	v_add_f32_e32 v39, v42, v39
	v_add_f32_e32 v42, v41, v38
	v_sub_f32_e32 v47, v42, v41
	v_sub_f32_e32 v48, v42, v47
	;; [unrolled: 1-line block ×4, first 2 shown]
	v_add_f32_e32 v39, v42, v39
	v_add_f32_e32 v38, v38, v41
	v_add_f32_e32 v41, v43, v39
	v_sub_f32_e32 v42, v41, v43
	v_sub_f32_e32 v39, v39, v42
	v_add_f32_e32 v38, v38, v39
	v_add_f32_e32 v38, v41, v38
	v_cmp_neq_f32_e32 vcc, s2, v17
	s_mov_b32 s2, 0x33800000
	v_cndmask_b32_e32 v38, v40, v38, vcc
	v_cmp_lt_f32_e64 vcc, |v17|, s2
	v_cndmask_b32_e32 v17, v38, v17, vcc
	v_add_f32_e32 v17, v31, v17
	v_cvt_f16_f32_e32 v17, v17
.LBB355_265:
	s_or_b64 exec, exec, s[0:1]
	s_load_dwordx8 s[56:63], s[4:5], 0x38
	s_branch .LBB355_409
.LBB355_266:
	s_waitcnt lgkmcnt(0)
	s_cmp_lg_u64 s[60:61], 0
	s_cselect_b64 s[0:1], -1, 0
	v_cmp_eq_u32_e64 s[50:51], 0, v0
	v_cmp_ne_u32_e64 s[12:13], 0, v0
	s_and_b64 s[2:3], s[50:51], s[0:1]
	v_mov_b32_e32 v13, v9
	s_and_saveexec_b64 s[0:1], s[2:3]
	s_cbranch_execz .LBB355_270
; %bb.267:
	v_mov_b32_e32 v13, 0
	global_load_ushort v13, v13, s[56:57]
	v_cvt_f32_f16_e32 v14, v9
	s_movk_i32 s2, 0x1f8
	s_waitcnt vmcnt(0)
	v_cvt_f32_f16_e32 v15, v13
	v_cmp_u_f16_e32 vcc, v13, v13
	v_min_f32_e32 v16, v15, v14
	v_max_f32_e32 v17, v15, v14
	v_cndmask_b32_e32 v16, v16, v15, vcc
	v_cndmask_b32_e32 v17, v17, v15, vcc
	v_cmp_u_f16_e32 vcc, v9, v9
	v_cndmask_b32_e32 v15, v16, v14, vcc
	v_cndmask_b32_e32 v14, v17, v14, vcc
	v_cmp_neq_f32_e32 vcc, v15, v14
	v_cmp_class_f32_e64 s[2:3], v15, s2
	s_or_b64 s[4:5], vcc, s[2:3]
	s_and_saveexec_b64 s[2:3], s[4:5]
	s_cbranch_execz .LBB355_269
; %bb.268:
	v_sub_f32_e32 v13, v15, v14
	s_mov_b32 s4, 0x3fb8aa3b
	v_mul_f32_e32 v15, 0x3fb8aa3b, v13
	v_fma_f32 v16, v13, s4, -v15
	v_rndne_f32_e32 v17, v15
	v_fmac_f32_e32 v16, 0x32a5705f, v13
	v_sub_f32_e32 v15, v15, v17
	v_add_f32_e32 v15, v15, v16
	v_exp_f32_e32 v15, v15
	v_cvt_i32_f32_e32 v16, v17
	s_mov_b32 s4, 0xc2ce8ed0
	v_cmp_ngt_f32_e32 vcc, s4, v13
	s_mov_b32 s4, 0x42b17218
	v_ldexp_f32 v15, v15, v16
	v_cndmask_b32_e32 v15, 0, v15, vcc
	v_mov_b32_e32 v17, 0x7f800000
	v_cmp_nlt_f32_e32 vcc, s4, v13
	v_cndmask_b32_e32 v13, v17, v15, vcc
	v_add_f32_e32 v18, 1.0, v13
	v_cvt_f64_f32_e32 v[15:16], v18
	v_add_f32_e32 v22, -1.0, v18
	v_sub_f32_e32 v23, v22, v18
	v_sub_f32_e32 v22, v13, v22
	v_frexp_exp_i32_f64_e32 v15, v[15:16]
	v_add_f32_e32 v16, 1.0, v23
	v_add_f32_e32 v16, v22, v16
	v_frexp_mant_f32_e32 v22, v18
	s_mov_b32 s5, 0x3f2aaaab
	v_cmp_gt_f32_e32 vcc, s5, v22
	s_mov_b32 s5, 0x3f317218
	s_mov_b32 s4, 0x7f800000
	v_subbrev_co_u32_e32 v15, vcc, 0, v15, vcc
	v_sub_u32_e32 v22, 0, v15
	v_ldexp_f32 v18, v18, v22
	v_ldexp_f32 v16, v16, v22
	v_add_f32_e32 v22, -1.0, v18
	v_add_f32_e32 v25, 1.0, v18
	v_add_f32_e32 v23, 1.0, v22
	v_add_f32_e32 v26, -1.0, v25
	v_sub_f32_e32 v23, v18, v23
	v_sub_f32_e32 v18, v18, v26
	v_add_f32_e32 v23, v16, v23
	v_add_f32_e32 v16, v16, v18
	;; [unrolled: 1-line block ×3, first 2 shown]
	v_rcp_f32_e32 v26, v18
	v_add_f32_e32 v24, v22, v23
	v_sub_f32_e32 v22, v22, v24
	v_add_f32_e32 v22, v23, v22
	v_sub_f32_e32 v23, v25, v18
	v_add_f32_e32 v16, v16, v23
	v_mul_f32_e32 v23, v24, v26
	v_mul_f32_e32 v25, v18, v23
	v_fma_f32 v27, v23, v18, -v25
	v_fmac_f32_e32 v27, v23, v16
	v_add_f32_e32 v28, v25, v27
	v_sub_f32_e32 v29, v24, v28
	v_sub_f32_e32 v24, v24, v29
	;; [unrolled: 1-line block ×4, first 2 shown]
	v_add_f32_e32 v22, v22, v24
	v_sub_f32_e32 v24, v25, v27
	v_add_f32_e32 v22, v24, v22
	v_add_f32_e32 v24, v29, v22
	v_mul_f32_e32 v25, v26, v24
	v_mul_f32_e32 v27, v18, v25
	v_fma_f32 v18, v25, v18, -v27
	v_fmac_f32_e32 v18, v25, v16
	v_sub_f32_e32 v16, v29, v24
	v_add_f32_e32 v16, v22, v16
	v_add_f32_e32 v22, v27, v18
	v_sub_f32_e32 v28, v24, v22
	v_sub_f32_e32 v24, v24, v28
	;; [unrolled: 1-line block ×4, first 2 shown]
	v_add_f32_e32 v16, v16, v22
	v_sub_f32_e32 v18, v27, v18
	v_add_f32_e32 v16, v18, v16
	v_add_f32_e32 v18, v23, v25
	;; [unrolled: 1-line block ×3, first 2 shown]
	v_sub_f32_e32 v22, v18, v23
	v_mul_f32_e32 v16, v26, v16
	v_sub_f32_e32 v22, v25, v22
	v_add_f32_e32 v16, v22, v16
	v_cvt_f32_i32_e32 v15, v15
	v_add_f32_e32 v22, v18, v16
	v_mul_f32_e32 v23, v22, v22
	v_mov_b32_e32 v24, 0x3ecc95a3
	v_fmac_f32_e32 v24, 0x3e9b6dac, v23
	v_mov_b32_e32 v25, 0x3f2aaada
	v_fmac_f32_e32 v25, v23, v24
	v_mul_f32_e32 v24, 0x3f317218, v15
	v_fma_f32 v26, v15, s5, -v24
	v_fmac_f32_e32 v26, 0xb102e308, v15
	v_sub_f32_e32 v15, v22, v18
	v_sub_f32_e32 v15, v16, v15
	v_add_f32_e32 v16, v24, v26
	v_sub_f32_e32 v18, v16, v24
	v_ldexp_f32 v24, v22, 1
	v_mul_f32_e32 v22, v22, v23
	v_mul_f32_e32 v22, v22, v25
	v_add_f32_e32 v23, v24, v22
	v_sub_f32_e32 v24, v23, v24
	v_ldexp_f32 v15, v15, 1
	v_sub_f32_e32 v22, v22, v24
	v_add_f32_e32 v15, v15, v22
	v_add_f32_e32 v22, v23, v15
	v_sub_f32_e32 v23, v22, v23
	v_sub_f32_e32 v15, v15, v23
	v_add_f32_e32 v23, v16, v22
	v_sub_f32_e32 v24, v23, v16
	v_sub_f32_e32 v25, v23, v24
	;; [unrolled: 1-line block ×5, first 2 shown]
	v_add_f32_e32 v16, v22, v16
	v_add_f32_e32 v22, v18, v15
	v_sub_f32_e32 v24, v22, v18
	v_sub_f32_e32 v25, v22, v24
	;; [unrolled: 1-line block ×4, first 2 shown]
	v_add_f32_e32 v16, v22, v16
	v_add_f32_e32 v15, v15, v18
	;; [unrolled: 1-line block ×3, first 2 shown]
	v_sub_f32_e32 v22, v18, v23
	v_sub_f32_e32 v16, v16, v22
	v_add_f32_e32 v15, v15, v16
	v_add_f32_e32 v15, v18, v15
	v_cmp_neq_f32_e32 vcc, s4, v13
	s_mov_b32 s4, 0x33800000
	v_cndmask_b32_e32 v15, v17, v15, vcc
	v_cmp_lt_f32_e64 vcc, |v13|, s4
	v_cndmask_b32_e32 v13, v15, v13, vcc
	v_add_f32_e32 v13, v14, v13
	v_cvt_f16_f32_e32 v13, v13
.LBB355_269:
	s_or_b64 exec, exec, s[2:3]
.LBB355_270:
	s_or_b64 exec, exec, s[0:1]
	v_cvt_f32_f16_e32 v17, v13
	v_cmp_u_f16_e64 s[48:49], v13, v13
	v_cmp_u_f16_sdwa vcc, v9, v9 src0_sel:WORD_1 src1_sel:WORD_1
	s_movk_i32 s4, 0x1f8
	v_min_f32_e32 v14, v17, v21
	v_max_f32_e32 v15, v17, v21
	v_cndmask_b32_e64 v16, v14, v17, s[48:49]
	v_cndmask_b32_e64 v9, v15, v17, s[48:49]
	v_cndmask_b32_e32 v16, v16, v21, vcc
	v_cndmask_b32_e32 v9, v9, v21, vcc
	v_cmp_neq_f32_e64 s[0:1], v16, v9
	v_cmp_class_f32_e64 s[2:3], v16, s4
	s_or_b64 s[0:1], s[0:1], s[2:3]
	v_mov_b32_e32 v32, v17
	v_mov_b32_e32 v18, v13
	s_and_saveexec_b64 s[2:3], s[0:1]
	s_cbranch_execz .LBB355_272
; %bb.271:
	v_sub_f32_e32 v16, v16, v9
	s_mov_b32 s0, 0x3fb8aa3b
	v_mul_f32_e32 v18, 0x3fb8aa3b, v16
	v_fma_f32 v22, v16, s0, -v18
	v_rndne_f32_e32 v23, v18
	v_fmac_f32_e32 v22, 0x32a5705f, v16
	v_sub_f32_e32 v18, v18, v23
	v_add_f32_e32 v18, v18, v22
	v_exp_f32_e32 v18, v18
	v_cvt_i32_f32_e32 v22, v23
	s_mov_b32 s0, 0xc2ce8ed0
	v_cmp_ngt_f32_e64 s[0:1], s0, v16
	v_mov_b32_e32 v24, 0x7f800000
	v_ldexp_f32 v18, v18, v22
	v_cndmask_b32_e64 v18, 0, v18, s[0:1]
	s_mov_b32 s0, 0x42b17218
	v_cmp_nlt_f32_e64 s[0:1], s0, v16
	v_cndmask_b32_e64 v16, v24, v18, s[0:1]
	v_add_f32_e32 v18, 1.0, v16
	v_cvt_f64_f32_e32 v[22:23], v18
	v_add_f32_e32 v25, -1.0, v18
	v_sub_f32_e32 v26, v25, v18
	v_sub_f32_e32 v25, v16, v25
	v_frexp_exp_i32_f64_e32 v22, v[22:23]
	v_add_f32_e32 v23, 1.0, v26
	v_add_f32_e32 v23, v25, v23
	v_frexp_mant_f32_e32 v25, v18
	s_mov_b32 s0, 0x3f2aaaab
	v_cmp_gt_f32_e64 s[0:1], s0, v25
	s_mov_b32 s5, 0x7f800000
	v_subbrev_co_u32_e64 v22, s[0:1], 0, v22, s[0:1]
	v_sub_u32_e32 v25, 0, v22
	v_ldexp_f32 v18, v18, v25
	v_ldexp_f32 v23, v23, v25
	v_add_f32_e32 v25, -1.0, v18
	v_add_f32_e32 v28, 1.0, v18
	v_add_f32_e32 v26, 1.0, v25
	v_add_f32_e32 v29, -1.0, v28
	v_sub_f32_e32 v26, v18, v26
	v_sub_f32_e32 v18, v18, v29
	v_add_f32_e32 v18, v23, v18
	v_add_f32_e32 v26, v23, v26
	;; [unrolled: 1-line block ×3, first 2 shown]
	v_rcp_f32_e32 v29, v23
	v_add_f32_e32 v27, v25, v26
	v_sub_f32_e32 v25, v25, v27
	v_add_f32_e32 v25, v26, v25
	v_sub_f32_e32 v26, v28, v23
	v_add_f32_e32 v18, v18, v26
	v_mul_f32_e32 v26, v27, v29
	v_mul_f32_e32 v28, v23, v26
	v_fma_f32 v30, v26, v23, -v28
	v_fmac_f32_e32 v30, v26, v18
	v_add_f32_e32 v31, v28, v30
	v_sub_f32_e32 v32, v27, v31
	v_sub_f32_e32 v27, v27, v32
	;; [unrolled: 1-line block ×4, first 2 shown]
	v_add_f32_e32 v25, v25, v27
	v_sub_f32_e32 v27, v28, v30
	v_add_f32_e32 v25, v27, v25
	v_add_f32_e32 v27, v32, v25
	v_mul_f32_e32 v28, v29, v27
	v_mul_f32_e32 v30, v23, v28
	v_fma_f32 v23, v28, v23, -v30
	v_fmac_f32_e32 v23, v28, v18
	v_sub_f32_e32 v18, v32, v27
	v_add_f32_e32 v18, v25, v18
	v_add_f32_e32 v25, v30, v23
	v_sub_f32_e32 v31, v27, v25
	v_sub_f32_e32 v27, v27, v31
	;; [unrolled: 1-line block ×4, first 2 shown]
	v_add_f32_e32 v18, v18, v25
	v_sub_f32_e32 v23, v30, v23
	v_add_f32_e32 v18, v23, v18
	v_add_f32_e32 v23, v26, v28
	;; [unrolled: 1-line block ×3, first 2 shown]
	v_sub_f32_e32 v25, v23, v26
	v_mul_f32_e32 v18, v29, v18
	v_sub_f32_e32 v25, v28, v25
	v_add_f32_e32 v18, v25, v18
	v_cvt_f32_i32_e32 v22, v22
	v_add_f32_e32 v25, v23, v18
	v_mul_f32_e32 v26, v25, v25
	v_mov_b32_e32 v27, 0x3ecc95a3
	v_fmac_f32_e32 v27, 0x3e9b6dac, v26
	v_mov_b32_e32 v28, 0x3f2aaada
	v_fmac_f32_e32 v28, v26, v27
	s_mov_b32 s0, 0x3f317218
	v_mul_f32_e32 v27, 0x3f317218, v22
	v_fma_f32 v29, v22, s0, -v27
	v_fmac_f32_e32 v29, 0xb102e308, v22
	v_sub_f32_e32 v22, v25, v23
	v_sub_f32_e32 v18, v18, v22
	v_add_f32_e32 v22, v27, v29
	v_sub_f32_e32 v23, v22, v27
	v_ldexp_f32 v27, v25, 1
	v_mul_f32_e32 v25, v25, v26
	v_mul_f32_e32 v25, v25, v28
	v_add_f32_e32 v26, v27, v25
	v_sub_f32_e32 v27, v26, v27
	v_ldexp_f32 v18, v18, 1
	v_sub_f32_e32 v25, v25, v27
	v_add_f32_e32 v18, v18, v25
	v_add_f32_e32 v25, v26, v18
	v_sub_f32_e32 v26, v25, v26
	v_sub_f32_e32 v18, v18, v26
	v_add_f32_e32 v26, v22, v25
	v_sub_f32_e32 v27, v26, v22
	v_sub_f32_e32 v28, v26, v27
	;; [unrolled: 1-line block ×5, first 2 shown]
	v_add_f32_e32 v22, v25, v22
	v_add_f32_e32 v25, v23, v18
	v_sub_f32_e32 v27, v25, v23
	v_sub_f32_e32 v28, v25, v27
	;; [unrolled: 1-line block ×4, first 2 shown]
	v_add_f32_e32 v22, v25, v22
	v_add_f32_e32 v18, v18, v23
	v_add_f32_e32 v23, v26, v22
	v_sub_f32_e32 v25, v23, v26
	v_sub_f32_e32 v22, v22, v25
	v_add_f32_e32 v18, v18, v22
	v_add_f32_e32 v18, v23, v18
	v_cmp_neq_f32_e64 s[0:1], s5, v16
	v_cndmask_b32_e64 v18, v24, v18, s[0:1]
	s_mov_b32 s0, 0x33800000
	v_cmp_lt_f32_e64 s[0:1], |v16|, s0
	v_cndmask_b32_e64 v16, v18, v16, s[0:1]
	v_add_f32_e32 v9, v9, v16
	v_cvt_f16_f32_e32 v18, v9
	v_cvt_f32_f16_e32 v32, v18
.LBB355_272:
	s_or_b64 exec, exec, s[2:3]
	v_cvt_f32_f16_e32 v9, v10
	v_max_f32_e32 v16, v32, v32
	v_cmp_u_f16_e64 s[2:3], v18, v18
	v_cmp_u_f16_e64 s[0:1], v10, v10
	v_min_f32_e32 v22, v16, v9
	v_max_f32_e32 v16, v16, v9
	v_cndmask_b32_e64 v22, v22, v32, s[2:3]
	v_cndmask_b32_e64 v16, v16, v32, s[2:3]
	;; [unrolled: 1-line block ×4, first 2 shown]
	v_cmp_neq_f32_e64 s[2:3], v22, v16
	v_cmp_class_f32_e64 s[4:5], v22, s4
	s_or_b64 s[2:3], s[2:3], s[4:5]
	s_and_saveexec_b64 s[4:5], s[2:3]
	s_cbranch_execz .LBB355_274
; %bb.273:
	v_sub_f32_e32 v18, v22, v16
	s_mov_b32 s2, 0x3fb8aa3b
	v_mul_f32_e32 v22, 0x3fb8aa3b, v18
	v_fma_f32 v23, v18, s2, -v22
	v_rndne_f32_e32 v24, v22
	v_fmac_f32_e32 v23, 0x32a5705f, v18
	v_sub_f32_e32 v22, v22, v24
	v_add_f32_e32 v22, v22, v23
	v_exp_f32_e32 v22, v22
	v_cvt_i32_f32_e32 v23, v24
	s_mov_b32 s2, 0xc2ce8ed0
	v_cmp_ngt_f32_e64 s[2:3], s2, v18
	v_mov_b32_e32 v24, 0x7f800000
	v_ldexp_f32 v22, v22, v23
	v_cndmask_b32_e64 v22, 0, v22, s[2:3]
	s_mov_b32 s2, 0x42b17218
	v_cmp_nlt_f32_e64 s[2:3], s2, v18
	v_cndmask_b32_e64 v18, v24, v22, s[2:3]
	v_add_f32_e32 v25, 1.0, v18
	v_cvt_f64_f32_e32 v[22:23], v25
	v_add_f32_e32 v26, -1.0, v25
	v_sub_f32_e32 v27, v26, v25
	v_sub_f32_e32 v26, v18, v26
	v_frexp_exp_i32_f64_e32 v22, v[22:23]
	v_add_f32_e32 v23, 1.0, v27
	v_add_f32_e32 v23, v26, v23
	v_frexp_mant_f32_e32 v26, v25
	s_mov_b32 s2, 0x3f2aaaab
	v_cmp_gt_f32_e64 s[2:3], s2, v26
	s_mov_b32 s6, 0x7f800000
	v_subbrev_co_u32_e64 v22, s[2:3], 0, v22, s[2:3]
	v_sub_u32_e32 v26, 0, v22
	v_ldexp_f32 v25, v25, v26
	v_ldexp_f32 v23, v23, v26
	v_add_f32_e32 v26, -1.0, v25
	v_add_f32_e32 v29, 1.0, v25
	v_add_f32_e32 v27, 1.0, v26
	v_add_f32_e32 v30, -1.0, v29
	v_sub_f32_e32 v27, v25, v27
	v_sub_f32_e32 v25, v25, v30
	v_add_f32_e32 v27, v23, v27
	v_add_f32_e32 v23, v23, v25
	;; [unrolled: 1-line block ×3, first 2 shown]
	v_rcp_f32_e32 v30, v25
	v_add_f32_e32 v28, v26, v27
	v_sub_f32_e32 v26, v26, v28
	v_add_f32_e32 v26, v27, v26
	v_sub_f32_e32 v27, v29, v25
	v_add_f32_e32 v23, v23, v27
	v_mul_f32_e32 v27, v28, v30
	v_mul_f32_e32 v29, v25, v27
	v_fma_f32 v31, v27, v25, -v29
	v_fmac_f32_e32 v31, v27, v23
	v_add_f32_e32 v32, v29, v31
	v_sub_f32_e32 v33, v28, v32
	v_sub_f32_e32 v28, v28, v33
	;; [unrolled: 1-line block ×4, first 2 shown]
	v_add_f32_e32 v26, v26, v28
	v_sub_f32_e32 v28, v29, v31
	v_add_f32_e32 v26, v28, v26
	v_add_f32_e32 v28, v33, v26
	v_mul_f32_e32 v29, v30, v28
	v_mul_f32_e32 v31, v25, v29
	v_fma_f32 v25, v29, v25, -v31
	v_fmac_f32_e32 v25, v29, v23
	v_sub_f32_e32 v23, v33, v28
	v_add_f32_e32 v23, v26, v23
	v_add_f32_e32 v26, v31, v25
	v_sub_f32_e32 v32, v28, v26
	v_sub_f32_e32 v28, v28, v32
	v_sub_f32_e32 v31, v26, v31
	v_sub_f32_e32 v26, v28, v26
	v_add_f32_e32 v23, v23, v26
	v_sub_f32_e32 v25, v31, v25
	v_add_f32_e32 v23, v25, v23
	v_add_f32_e32 v25, v27, v29
	;; [unrolled: 1-line block ×3, first 2 shown]
	v_sub_f32_e32 v26, v25, v27
	v_mul_f32_e32 v23, v30, v23
	v_sub_f32_e32 v26, v29, v26
	v_add_f32_e32 v23, v26, v23
	v_cvt_f32_i32_e32 v22, v22
	v_add_f32_e32 v26, v25, v23
	v_mul_f32_e32 v27, v26, v26
	v_mov_b32_e32 v28, 0x3ecc95a3
	v_fmac_f32_e32 v28, 0x3e9b6dac, v27
	v_mov_b32_e32 v29, 0x3f2aaada
	v_fmac_f32_e32 v29, v27, v28
	s_mov_b32 s2, 0x3f317218
	v_mul_f32_e32 v28, 0x3f317218, v22
	v_fma_f32 v30, v22, s2, -v28
	v_fmac_f32_e32 v30, 0xb102e308, v22
	v_sub_f32_e32 v22, v26, v25
	v_sub_f32_e32 v22, v23, v22
	v_add_f32_e32 v23, v28, v30
	v_sub_f32_e32 v25, v23, v28
	v_ldexp_f32 v28, v26, 1
	v_mul_f32_e32 v26, v26, v27
	v_mul_f32_e32 v26, v26, v29
	v_add_f32_e32 v27, v28, v26
	v_sub_f32_e32 v28, v27, v28
	v_ldexp_f32 v22, v22, 1
	v_sub_f32_e32 v26, v26, v28
	v_add_f32_e32 v22, v22, v26
	v_add_f32_e32 v26, v27, v22
	v_sub_f32_e32 v27, v26, v27
	v_sub_f32_e32 v22, v22, v27
	v_add_f32_e32 v27, v23, v26
	v_sub_f32_e32 v28, v27, v23
	v_sub_f32_e32 v29, v27, v28
	;; [unrolled: 1-line block ×5, first 2 shown]
	v_add_f32_e32 v23, v26, v23
	v_add_f32_e32 v26, v25, v22
	v_sub_f32_e32 v28, v26, v25
	v_sub_f32_e32 v29, v26, v28
	v_sub_f32_e32 v25, v25, v29
	v_sub_f32_e32 v22, v22, v28
	v_add_f32_e32 v23, v26, v23
	v_add_f32_e32 v22, v22, v25
	;; [unrolled: 1-line block ×3, first 2 shown]
	v_sub_f32_e32 v26, v25, v27
	v_sub_f32_e32 v23, v23, v26
	v_add_f32_e32 v22, v22, v23
	v_add_f32_e32 v22, v25, v22
	v_cmp_neq_f32_e64 s[2:3], s6, v18
	v_cndmask_b32_e64 v22, v24, v22, s[2:3]
	s_mov_b32 s2, 0x33800000
	v_cmp_lt_f32_e64 s[2:3], |v18|, s2
	v_cndmask_b32_e64 v18, v22, v18, s[2:3]
	v_add_f32_e32 v16, v16, v18
	v_cvt_f16_f32_e32 v18, v16
	v_cvt_f32_f16_e32 v32, v18
.LBB355_274:
	s_or_b64 exec, exec, s[4:5]
	v_cvt_f32_f16_sdwa v16, v10 dst_sel:DWORD dst_unused:UNUSED_PAD src0_sel:WORD_1
	v_max_f32_e32 v23, v32, v32
	v_cmp_u_f16_e64 s[4:5], v18, v18
	v_cmp_u_f16_sdwa s[2:3], v10, v10 src0_sel:WORD_1 src1_sel:WORD_1
	v_min_f32_e32 v22, v23, v16
	v_max_f32_e32 v10, v23, v16
	v_cndmask_b32_e64 v22, v22, v32, s[4:5]
	v_cndmask_b32_e64 v10, v10, v32, s[4:5]
	;; [unrolled: 1-line block ×4, first 2 shown]
	s_movk_i32 s8, 0x1f8
	v_cmp_neq_f32_e64 s[4:5], v22, v10
	v_cmp_class_f32_e64 s[6:7], v22, s8
	s_or_b64 s[4:5], s[4:5], s[6:7]
	s_and_saveexec_b64 s[6:7], s[4:5]
	s_cbranch_execz .LBB355_276
; %bb.275:
	v_sub_f32_e32 v18, v22, v10
	s_mov_b32 s4, 0x3fb8aa3b
	v_mul_f32_e32 v22, 0x3fb8aa3b, v18
	v_fma_f32 v23, v18, s4, -v22
	v_rndne_f32_e32 v24, v22
	v_fmac_f32_e32 v23, 0x32a5705f, v18
	v_sub_f32_e32 v22, v22, v24
	v_add_f32_e32 v22, v22, v23
	v_exp_f32_e32 v22, v22
	v_cvt_i32_f32_e32 v23, v24
	s_mov_b32 s4, 0xc2ce8ed0
	v_cmp_ngt_f32_e64 s[4:5], s4, v18
	v_mov_b32_e32 v24, 0x7f800000
	v_ldexp_f32 v22, v22, v23
	v_cndmask_b32_e64 v22, 0, v22, s[4:5]
	s_mov_b32 s4, 0x42b17218
	v_cmp_nlt_f32_e64 s[4:5], s4, v18
	v_cndmask_b32_e64 v18, v24, v22, s[4:5]
	v_add_f32_e32 v25, 1.0, v18
	v_cvt_f64_f32_e32 v[22:23], v25
	v_add_f32_e32 v26, -1.0, v25
	v_sub_f32_e32 v27, v26, v25
	v_sub_f32_e32 v26, v18, v26
	v_frexp_exp_i32_f64_e32 v22, v[22:23]
	v_add_f32_e32 v23, 1.0, v27
	v_add_f32_e32 v23, v26, v23
	v_frexp_mant_f32_e32 v26, v25
	s_mov_b32 s4, 0x3f2aaaab
	v_cmp_gt_f32_e64 s[4:5], s4, v26
	s_mov_b32 s9, 0x7f800000
	v_subbrev_co_u32_e64 v22, s[4:5], 0, v22, s[4:5]
	v_sub_u32_e32 v26, 0, v22
	v_ldexp_f32 v25, v25, v26
	v_ldexp_f32 v23, v23, v26
	v_add_f32_e32 v26, -1.0, v25
	v_add_f32_e32 v29, 1.0, v25
	v_add_f32_e32 v27, 1.0, v26
	v_add_f32_e32 v30, -1.0, v29
	v_sub_f32_e32 v27, v25, v27
	v_sub_f32_e32 v25, v25, v30
	v_add_f32_e32 v27, v23, v27
	v_add_f32_e32 v23, v23, v25
	;; [unrolled: 1-line block ×3, first 2 shown]
	v_rcp_f32_e32 v30, v25
	v_add_f32_e32 v28, v26, v27
	v_sub_f32_e32 v26, v26, v28
	v_add_f32_e32 v26, v27, v26
	v_sub_f32_e32 v27, v29, v25
	v_add_f32_e32 v23, v23, v27
	v_mul_f32_e32 v27, v28, v30
	v_mul_f32_e32 v29, v25, v27
	v_fma_f32 v31, v27, v25, -v29
	v_fmac_f32_e32 v31, v27, v23
	v_add_f32_e32 v32, v29, v31
	v_sub_f32_e32 v33, v28, v32
	v_sub_f32_e32 v28, v28, v33
	;; [unrolled: 1-line block ×4, first 2 shown]
	v_add_f32_e32 v26, v26, v28
	v_sub_f32_e32 v28, v29, v31
	v_add_f32_e32 v26, v28, v26
	v_add_f32_e32 v28, v33, v26
	v_mul_f32_e32 v29, v30, v28
	v_mul_f32_e32 v31, v25, v29
	v_fma_f32 v25, v29, v25, -v31
	v_fmac_f32_e32 v25, v29, v23
	v_sub_f32_e32 v23, v33, v28
	v_add_f32_e32 v23, v26, v23
	v_add_f32_e32 v26, v31, v25
	v_sub_f32_e32 v32, v28, v26
	v_sub_f32_e32 v28, v28, v32
	v_sub_f32_e32 v31, v26, v31
	v_sub_f32_e32 v26, v28, v26
	v_add_f32_e32 v23, v23, v26
	v_sub_f32_e32 v25, v31, v25
	v_add_f32_e32 v23, v25, v23
	v_add_f32_e32 v25, v27, v29
	;; [unrolled: 1-line block ×3, first 2 shown]
	v_sub_f32_e32 v26, v25, v27
	v_mul_f32_e32 v23, v30, v23
	v_sub_f32_e32 v26, v29, v26
	v_add_f32_e32 v23, v26, v23
	v_cvt_f32_i32_e32 v22, v22
	v_add_f32_e32 v26, v25, v23
	v_mul_f32_e32 v27, v26, v26
	v_mov_b32_e32 v28, 0x3ecc95a3
	v_fmac_f32_e32 v28, 0x3e9b6dac, v27
	v_mov_b32_e32 v29, 0x3f2aaada
	v_fmac_f32_e32 v29, v27, v28
	s_mov_b32 s4, 0x3f317218
	v_mul_f32_e32 v28, 0x3f317218, v22
	v_fma_f32 v30, v22, s4, -v28
	v_fmac_f32_e32 v30, 0xb102e308, v22
	v_sub_f32_e32 v22, v26, v25
	v_sub_f32_e32 v22, v23, v22
	v_add_f32_e32 v23, v28, v30
	v_sub_f32_e32 v25, v23, v28
	v_ldexp_f32 v28, v26, 1
	v_mul_f32_e32 v26, v26, v27
	v_mul_f32_e32 v26, v26, v29
	v_add_f32_e32 v27, v28, v26
	v_sub_f32_e32 v28, v27, v28
	v_ldexp_f32 v22, v22, 1
	v_sub_f32_e32 v26, v26, v28
	v_add_f32_e32 v22, v22, v26
	v_add_f32_e32 v26, v27, v22
	v_sub_f32_e32 v27, v26, v27
	v_sub_f32_e32 v22, v22, v27
	v_add_f32_e32 v27, v23, v26
	v_sub_f32_e32 v28, v27, v23
	v_sub_f32_e32 v29, v27, v28
	v_sub_f32_e32 v25, v30, v25
	v_sub_f32_e32 v23, v23, v29
	v_sub_f32_e32 v26, v26, v28
	v_add_f32_e32 v23, v26, v23
	v_add_f32_e32 v26, v25, v22
	v_sub_f32_e32 v28, v26, v25
	v_sub_f32_e32 v29, v26, v28
	;; [unrolled: 1-line block ×4, first 2 shown]
	v_add_f32_e32 v23, v26, v23
	v_add_f32_e32 v22, v22, v25
	;; [unrolled: 1-line block ×3, first 2 shown]
	v_sub_f32_e32 v26, v25, v27
	v_sub_f32_e32 v23, v23, v26
	v_add_f32_e32 v22, v22, v23
	v_add_f32_e32 v22, v25, v22
	v_cmp_neq_f32_e64 s[4:5], s9, v18
	v_cndmask_b32_e64 v22, v24, v22, s[4:5]
	s_mov_b32 s4, 0x33800000
	v_cmp_lt_f32_e64 s[4:5], |v18|, s4
	v_cndmask_b32_e64 v18, v22, v18, s[4:5]
	v_add_f32_e32 v10, v10, v18
	v_cvt_f16_f32_e32 v18, v10
	v_cvt_f32_f16_e32 v32, v18
.LBB355_276:
	s_or_b64 exec, exec, s[6:7]
	v_cvt_f32_f16_e32 v10, v11
	v_max_f32_e32 v22, v32, v32
	v_cmp_u_f16_e64 s[6:7], v18, v18
	v_cmp_u_f16_e64 s[4:5], v11, v11
	v_min_f32_e32 v23, v22, v10
	v_max_f32_e32 v22, v22, v10
	v_cndmask_b32_e64 v23, v23, v32, s[6:7]
	v_cndmask_b32_e64 v22, v22, v32, s[6:7]
	;; [unrolled: 1-line block ×4, first 2 shown]
	v_cmp_neq_f32_e64 s[6:7], v23, v22
	v_cmp_class_f32_e64 s[8:9], v23, s8
	s_or_b64 s[6:7], s[6:7], s[8:9]
	s_and_saveexec_b64 s[8:9], s[6:7]
	s_cbranch_execz .LBB355_278
; %bb.277:
	v_sub_f32_e32 v18, v23, v22
	s_mov_b32 s6, 0x3fb8aa3b
	v_mul_f32_e32 v23, 0x3fb8aa3b, v18
	v_fma_f32 v24, v18, s6, -v23
	v_rndne_f32_e32 v25, v23
	v_fmac_f32_e32 v24, 0x32a5705f, v18
	v_sub_f32_e32 v23, v23, v25
	v_add_f32_e32 v23, v23, v24
	v_exp_f32_e32 v23, v23
	v_cvt_i32_f32_e32 v24, v25
	s_mov_b32 s6, 0xc2ce8ed0
	v_cmp_ngt_f32_e64 s[6:7], s6, v18
	v_mov_b32_e32 v25, 0x7f800000
	v_ldexp_f32 v23, v23, v24
	v_cndmask_b32_e64 v23, 0, v23, s[6:7]
	s_mov_b32 s6, 0x42b17218
	v_cmp_nlt_f32_e64 s[6:7], s6, v18
	v_cndmask_b32_e64 v18, v25, v23, s[6:7]
	v_add_f32_e32 v26, 1.0, v18
	v_cvt_f64_f32_e32 v[23:24], v26
	v_add_f32_e32 v27, -1.0, v26
	v_sub_f32_e32 v28, v27, v26
	v_sub_f32_e32 v27, v18, v27
	v_frexp_exp_i32_f64_e32 v23, v[23:24]
	v_add_f32_e32 v24, 1.0, v28
	v_add_f32_e32 v24, v27, v24
	v_frexp_mant_f32_e32 v27, v26
	s_mov_b32 s6, 0x3f2aaaab
	v_cmp_gt_f32_e64 s[6:7], s6, v27
	s_mov_b32 s10, 0x7f800000
	v_subbrev_co_u32_e64 v23, s[6:7], 0, v23, s[6:7]
	v_sub_u32_e32 v27, 0, v23
	v_ldexp_f32 v26, v26, v27
	v_ldexp_f32 v24, v24, v27
	v_add_f32_e32 v27, -1.0, v26
	v_add_f32_e32 v30, 1.0, v26
	v_add_f32_e32 v28, 1.0, v27
	v_add_f32_e32 v31, -1.0, v30
	v_sub_f32_e32 v28, v26, v28
	v_sub_f32_e32 v26, v26, v31
	v_add_f32_e32 v28, v24, v28
	v_add_f32_e32 v24, v24, v26
	;; [unrolled: 1-line block ×3, first 2 shown]
	v_rcp_f32_e32 v31, v26
	v_add_f32_e32 v29, v27, v28
	v_sub_f32_e32 v27, v27, v29
	v_add_f32_e32 v27, v28, v27
	v_sub_f32_e32 v28, v30, v26
	v_add_f32_e32 v24, v24, v28
	v_mul_f32_e32 v28, v29, v31
	v_mul_f32_e32 v30, v26, v28
	v_fma_f32 v32, v28, v26, -v30
	v_fmac_f32_e32 v32, v28, v24
	v_add_f32_e32 v33, v30, v32
	v_sub_f32_e32 v34, v29, v33
	v_sub_f32_e32 v29, v29, v34
	;; [unrolled: 1-line block ×4, first 2 shown]
	v_add_f32_e32 v27, v27, v29
	v_sub_f32_e32 v29, v30, v32
	v_add_f32_e32 v27, v29, v27
	v_add_f32_e32 v29, v34, v27
	v_mul_f32_e32 v30, v31, v29
	v_mul_f32_e32 v32, v26, v30
	v_fma_f32 v26, v30, v26, -v32
	v_fmac_f32_e32 v26, v30, v24
	v_sub_f32_e32 v24, v34, v29
	v_add_f32_e32 v24, v27, v24
	v_add_f32_e32 v27, v32, v26
	v_sub_f32_e32 v33, v29, v27
	v_sub_f32_e32 v29, v29, v33
	;; [unrolled: 1-line block ×4, first 2 shown]
	v_add_f32_e32 v24, v24, v27
	v_sub_f32_e32 v26, v32, v26
	v_add_f32_e32 v24, v26, v24
	v_add_f32_e32 v26, v28, v30
	;; [unrolled: 1-line block ×3, first 2 shown]
	v_sub_f32_e32 v27, v26, v28
	v_mul_f32_e32 v24, v31, v24
	v_sub_f32_e32 v27, v30, v27
	v_add_f32_e32 v24, v27, v24
	v_cvt_f32_i32_e32 v23, v23
	v_add_f32_e32 v27, v26, v24
	v_mul_f32_e32 v28, v27, v27
	v_mov_b32_e32 v29, 0x3ecc95a3
	v_fmac_f32_e32 v29, 0x3e9b6dac, v28
	v_mov_b32_e32 v30, 0x3f2aaada
	v_fmac_f32_e32 v30, v28, v29
	s_mov_b32 s6, 0x3f317218
	v_mul_f32_e32 v29, 0x3f317218, v23
	v_fma_f32 v31, v23, s6, -v29
	v_fmac_f32_e32 v31, 0xb102e308, v23
	v_sub_f32_e32 v23, v27, v26
	v_sub_f32_e32 v23, v24, v23
	v_add_f32_e32 v24, v29, v31
	v_sub_f32_e32 v26, v24, v29
	v_ldexp_f32 v29, v27, 1
	v_mul_f32_e32 v27, v27, v28
	v_mul_f32_e32 v27, v27, v30
	v_add_f32_e32 v28, v29, v27
	v_sub_f32_e32 v29, v28, v29
	v_ldexp_f32 v23, v23, 1
	v_sub_f32_e32 v27, v27, v29
	v_add_f32_e32 v23, v23, v27
	v_add_f32_e32 v27, v28, v23
	v_sub_f32_e32 v28, v27, v28
	v_sub_f32_e32 v23, v23, v28
	v_add_f32_e32 v28, v24, v27
	v_sub_f32_e32 v29, v28, v24
	v_sub_f32_e32 v30, v28, v29
	;; [unrolled: 1-line block ×5, first 2 shown]
	v_add_f32_e32 v24, v27, v24
	v_add_f32_e32 v27, v26, v23
	v_sub_f32_e32 v29, v27, v26
	v_sub_f32_e32 v30, v27, v29
	;; [unrolled: 1-line block ×4, first 2 shown]
	v_add_f32_e32 v24, v27, v24
	v_add_f32_e32 v23, v23, v26
	;; [unrolled: 1-line block ×3, first 2 shown]
	v_sub_f32_e32 v27, v26, v28
	v_sub_f32_e32 v24, v24, v27
	v_add_f32_e32 v23, v23, v24
	v_add_f32_e32 v23, v26, v23
	v_cmp_neq_f32_e64 s[6:7], s10, v18
	v_cndmask_b32_e64 v23, v25, v23, s[6:7]
	s_mov_b32 s6, 0x33800000
	v_cmp_lt_f32_e64 s[6:7], |v18|, s6
	v_cndmask_b32_e64 v18, v23, v18, s[6:7]
	v_add_f32_e32 v18, v22, v18
	v_cvt_f16_f32_e32 v18, v18
	v_cvt_f32_f16_e32 v32, v18
.LBB355_278:
	s_or_b64 exec, exec, s[8:9]
	v_cvt_f32_f16_sdwa v22, v11 dst_sel:DWORD dst_unused:UNUSED_PAD src0_sel:WORD_1
	v_max_f32_e32 v24, v32, v32
	v_cmp_u_f16_e64 s[8:9], v18, v18
	v_cmp_u_f16_sdwa s[6:7], v11, v11 src0_sel:WORD_1 src1_sel:WORD_1
	v_min_f32_e32 v23, v24, v22
	v_max_f32_e32 v11, v24, v22
	v_cndmask_b32_e64 v23, v23, v32, s[8:9]
	v_cndmask_b32_e64 v11, v11, v32, s[8:9]
	;; [unrolled: 1-line block ×4, first 2 shown]
	s_movk_i32 s14, 0x1f8
	v_cmp_neq_f32_e64 s[8:9], v23, v11
	v_cmp_class_f32_e64 s[10:11], v23, s14
	s_or_b64 s[8:9], s[8:9], s[10:11]
	s_and_saveexec_b64 s[10:11], s[8:9]
	s_cbranch_execz .LBB355_280
; %bb.279:
	v_sub_f32_e32 v18, v23, v11
	s_mov_b32 s8, 0x3fb8aa3b
	v_mul_f32_e32 v23, 0x3fb8aa3b, v18
	v_fma_f32 v24, v18, s8, -v23
	v_rndne_f32_e32 v25, v23
	v_fmac_f32_e32 v24, 0x32a5705f, v18
	v_sub_f32_e32 v23, v23, v25
	v_add_f32_e32 v23, v23, v24
	v_exp_f32_e32 v23, v23
	v_cvt_i32_f32_e32 v24, v25
	s_mov_b32 s8, 0xc2ce8ed0
	v_cmp_ngt_f32_e64 s[8:9], s8, v18
	v_mov_b32_e32 v25, 0x7f800000
	v_ldexp_f32 v23, v23, v24
	v_cndmask_b32_e64 v23, 0, v23, s[8:9]
	s_mov_b32 s8, 0x42b17218
	v_cmp_nlt_f32_e64 s[8:9], s8, v18
	v_cndmask_b32_e64 v18, v25, v23, s[8:9]
	v_add_f32_e32 v26, 1.0, v18
	v_cvt_f64_f32_e32 v[23:24], v26
	v_add_f32_e32 v27, -1.0, v26
	v_sub_f32_e32 v28, v27, v26
	v_sub_f32_e32 v27, v18, v27
	v_frexp_exp_i32_f64_e32 v23, v[23:24]
	v_add_f32_e32 v24, 1.0, v28
	v_add_f32_e32 v24, v27, v24
	v_frexp_mant_f32_e32 v27, v26
	s_mov_b32 s8, 0x3f2aaaab
	v_cmp_gt_f32_e64 s[8:9], s8, v27
	s_mov_b32 s15, 0x7f800000
	v_subbrev_co_u32_e64 v23, s[8:9], 0, v23, s[8:9]
	v_sub_u32_e32 v27, 0, v23
	v_ldexp_f32 v26, v26, v27
	v_ldexp_f32 v24, v24, v27
	v_add_f32_e32 v27, -1.0, v26
	v_add_f32_e32 v30, 1.0, v26
	v_add_f32_e32 v28, 1.0, v27
	v_add_f32_e32 v31, -1.0, v30
	v_sub_f32_e32 v28, v26, v28
	v_sub_f32_e32 v26, v26, v31
	v_add_f32_e32 v28, v24, v28
	v_add_f32_e32 v24, v24, v26
	v_add_f32_e32 v26, v30, v24
	v_rcp_f32_e32 v31, v26
	v_add_f32_e32 v29, v27, v28
	v_sub_f32_e32 v27, v27, v29
	v_add_f32_e32 v27, v28, v27
	v_sub_f32_e32 v28, v30, v26
	v_add_f32_e32 v24, v24, v28
	v_mul_f32_e32 v28, v29, v31
	v_mul_f32_e32 v30, v26, v28
	v_fma_f32 v32, v28, v26, -v30
	v_fmac_f32_e32 v32, v28, v24
	v_add_f32_e32 v33, v30, v32
	v_sub_f32_e32 v34, v29, v33
	v_sub_f32_e32 v29, v29, v34
	;; [unrolled: 1-line block ×4, first 2 shown]
	v_add_f32_e32 v27, v27, v29
	v_sub_f32_e32 v29, v30, v32
	v_add_f32_e32 v27, v29, v27
	v_add_f32_e32 v29, v34, v27
	v_mul_f32_e32 v30, v31, v29
	v_mul_f32_e32 v32, v26, v30
	v_fma_f32 v26, v30, v26, -v32
	v_fmac_f32_e32 v26, v30, v24
	v_sub_f32_e32 v24, v34, v29
	v_add_f32_e32 v24, v27, v24
	v_add_f32_e32 v27, v32, v26
	v_sub_f32_e32 v33, v29, v27
	v_sub_f32_e32 v29, v29, v33
	;; [unrolled: 1-line block ×4, first 2 shown]
	v_add_f32_e32 v24, v24, v27
	v_sub_f32_e32 v26, v32, v26
	v_add_f32_e32 v24, v26, v24
	v_add_f32_e32 v26, v28, v30
	;; [unrolled: 1-line block ×3, first 2 shown]
	v_sub_f32_e32 v27, v26, v28
	v_mul_f32_e32 v24, v31, v24
	v_sub_f32_e32 v27, v30, v27
	v_add_f32_e32 v24, v27, v24
	v_cvt_f32_i32_e32 v23, v23
	v_add_f32_e32 v27, v26, v24
	v_mul_f32_e32 v28, v27, v27
	v_mov_b32_e32 v29, 0x3ecc95a3
	v_fmac_f32_e32 v29, 0x3e9b6dac, v28
	v_mov_b32_e32 v30, 0x3f2aaada
	v_fmac_f32_e32 v30, v28, v29
	s_mov_b32 s8, 0x3f317218
	v_mul_f32_e32 v29, 0x3f317218, v23
	v_fma_f32 v31, v23, s8, -v29
	v_fmac_f32_e32 v31, 0xb102e308, v23
	v_sub_f32_e32 v23, v27, v26
	v_sub_f32_e32 v23, v24, v23
	v_add_f32_e32 v24, v29, v31
	v_sub_f32_e32 v26, v24, v29
	v_ldexp_f32 v29, v27, 1
	v_mul_f32_e32 v27, v27, v28
	v_mul_f32_e32 v27, v27, v30
	v_add_f32_e32 v28, v29, v27
	v_sub_f32_e32 v29, v28, v29
	v_ldexp_f32 v23, v23, 1
	v_sub_f32_e32 v27, v27, v29
	v_add_f32_e32 v23, v23, v27
	v_add_f32_e32 v27, v28, v23
	v_sub_f32_e32 v28, v27, v28
	v_sub_f32_e32 v23, v23, v28
	v_add_f32_e32 v28, v24, v27
	v_sub_f32_e32 v29, v28, v24
	v_sub_f32_e32 v30, v28, v29
	;; [unrolled: 1-line block ×5, first 2 shown]
	v_add_f32_e32 v24, v27, v24
	v_add_f32_e32 v27, v26, v23
	v_sub_f32_e32 v29, v27, v26
	v_sub_f32_e32 v30, v27, v29
	;; [unrolled: 1-line block ×4, first 2 shown]
	v_add_f32_e32 v24, v27, v24
	v_add_f32_e32 v23, v23, v26
	;; [unrolled: 1-line block ×3, first 2 shown]
	v_sub_f32_e32 v27, v26, v28
	v_sub_f32_e32 v24, v24, v27
	v_add_f32_e32 v23, v23, v24
	v_add_f32_e32 v23, v26, v23
	v_cmp_neq_f32_e64 s[8:9], s15, v18
	v_cndmask_b32_e64 v23, v25, v23, s[8:9]
	s_mov_b32 s8, 0x33800000
	v_cmp_lt_f32_e64 s[8:9], |v18|, s8
	v_cndmask_b32_e64 v18, v23, v18, s[8:9]
	v_add_f32_e32 v11, v11, v18
	v_cvt_f16_f32_e32 v18, v11
	v_cvt_f32_f16_e32 v32, v18
.LBB355_280:
	s_or_b64 exec, exec, s[10:11]
	v_cvt_f32_f16_e32 v11, v12
	v_max_f32_e32 v23, v32, v32
	v_cmp_u_f16_e64 s[10:11], v18, v18
	v_cmp_u_f16_e64 s[8:9], v12, v12
	v_min_f32_e32 v24, v23, v11
	v_max_f32_e32 v23, v23, v11
	v_cndmask_b32_e64 v24, v24, v32, s[10:11]
	v_cndmask_b32_e64 v23, v23, v32, s[10:11]
	;; [unrolled: 1-line block ×4, first 2 shown]
	v_cmp_neq_f32_e64 s[10:11], v24, v23
	v_cmp_class_f32_e64 s[14:15], v24, s14
	s_or_b64 s[10:11], s[10:11], s[14:15]
	s_and_saveexec_b64 s[14:15], s[10:11]
	s_cbranch_execz .LBB355_282
; %bb.281:
	v_sub_f32_e32 v18, v24, v23
	s_mov_b32 s10, 0x3fb8aa3b
	v_mul_f32_e32 v24, 0x3fb8aa3b, v18
	v_fma_f32 v25, v18, s10, -v24
	v_rndne_f32_e32 v26, v24
	v_fmac_f32_e32 v25, 0x32a5705f, v18
	v_sub_f32_e32 v24, v24, v26
	v_add_f32_e32 v24, v24, v25
	v_exp_f32_e32 v24, v24
	v_cvt_i32_f32_e32 v25, v26
	s_mov_b32 s10, 0xc2ce8ed0
	v_cmp_ngt_f32_e64 s[10:11], s10, v18
	v_mov_b32_e32 v26, 0x7f800000
	v_ldexp_f32 v24, v24, v25
	v_cndmask_b32_e64 v24, 0, v24, s[10:11]
	s_mov_b32 s10, 0x42b17218
	v_cmp_nlt_f32_e64 s[10:11], s10, v18
	v_cndmask_b32_e64 v18, v26, v24, s[10:11]
	v_add_f32_e32 v27, 1.0, v18
	v_cvt_f64_f32_e32 v[24:25], v27
	v_add_f32_e32 v28, -1.0, v27
	v_sub_f32_e32 v29, v28, v27
	v_sub_f32_e32 v28, v18, v28
	v_frexp_exp_i32_f64_e32 v24, v[24:25]
	v_add_f32_e32 v25, 1.0, v29
	v_add_f32_e32 v25, v28, v25
	v_frexp_mant_f32_e32 v28, v27
	s_mov_b32 s10, 0x3f2aaaab
	v_cmp_gt_f32_e64 s[10:11], s10, v28
	s_mov_b32 s16, 0x7f800000
	v_subbrev_co_u32_e64 v24, s[10:11], 0, v24, s[10:11]
	v_sub_u32_e32 v28, 0, v24
	v_ldexp_f32 v27, v27, v28
	v_ldexp_f32 v25, v25, v28
	v_add_f32_e32 v28, -1.0, v27
	v_add_f32_e32 v31, 1.0, v27
	v_add_f32_e32 v29, 1.0, v28
	v_add_f32_e32 v32, -1.0, v31
	v_sub_f32_e32 v29, v27, v29
	v_sub_f32_e32 v27, v27, v32
	v_add_f32_e32 v29, v25, v29
	v_add_f32_e32 v25, v25, v27
	;; [unrolled: 1-line block ×3, first 2 shown]
	v_rcp_f32_e32 v32, v27
	v_add_f32_e32 v30, v28, v29
	v_sub_f32_e32 v28, v28, v30
	v_add_f32_e32 v28, v29, v28
	v_sub_f32_e32 v29, v31, v27
	v_add_f32_e32 v25, v25, v29
	v_mul_f32_e32 v29, v30, v32
	v_mul_f32_e32 v31, v27, v29
	v_fma_f32 v33, v29, v27, -v31
	v_fmac_f32_e32 v33, v29, v25
	v_add_f32_e32 v34, v31, v33
	v_sub_f32_e32 v35, v30, v34
	v_sub_f32_e32 v30, v30, v35
	;; [unrolled: 1-line block ×4, first 2 shown]
	v_add_f32_e32 v28, v28, v30
	v_sub_f32_e32 v30, v31, v33
	v_add_f32_e32 v28, v30, v28
	v_add_f32_e32 v30, v35, v28
	v_mul_f32_e32 v31, v32, v30
	v_mul_f32_e32 v33, v27, v31
	v_fma_f32 v27, v31, v27, -v33
	v_fmac_f32_e32 v27, v31, v25
	v_sub_f32_e32 v25, v35, v30
	v_add_f32_e32 v25, v28, v25
	v_add_f32_e32 v28, v33, v27
	v_sub_f32_e32 v34, v30, v28
	v_sub_f32_e32 v30, v30, v34
	;; [unrolled: 1-line block ×4, first 2 shown]
	v_add_f32_e32 v25, v25, v28
	v_sub_f32_e32 v27, v33, v27
	v_add_f32_e32 v25, v27, v25
	v_add_f32_e32 v27, v29, v31
	;; [unrolled: 1-line block ×3, first 2 shown]
	v_sub_f32_e32 v28, v27, v29
	v_mul_f32_e32 v25, v32, v25
	v_sub_f32_e32 v28, v31, v28
	v_add_f32_e32 v25, v28, v25
	v_cvt_f32_i32_e32 v24, v24
	v_add_f32_e32 v28, v27, v25
	v_mul_f32_e32 v29, v28, v28
	v_mov_b32_e32 v30, 0x3ecc95a3
	v_fmac_f32_e32 v30, 0x3e9b6dac, v29
	v_mov_b32_e32 v31, 0x3f2aaada
	v_fmac_f32_e32 v31, v29, v30
	s_mov_b32 s10, 0x3f317218
	v_mul_f32_e32 v30, 0x3f317218, v24
	v_fma_f32 v32, v24, s10, -v30
	v_fmac_f32_e32 v32, 0xb102e308, v24
	v_sub_f32_e32 v24, v28, v27
	v_sub_f32_e32 v24, v25, v24
	v_add_f32_e32 v25, v30, v32
	v_sub_f32_e32 v27, v25, v30
	v_ldexp_f32 v30, v28, 1
	v_mul_f32_e32 v28, v28, v29
	v_mul_f32_e32 v28, v28, v31
	v_add_f32_e32 v29, v30, v28
	v_sub_f32_e32 v30, v29, v30
	v_ldexp_f32 v24, v24, 1
	v_sub_f32_e32 v28, v28, v30
	v_add_f32_e32 v24, v24, v28
	v_add_f32_e32 v28, v29, v24
	v_sub_f32_e32 v29, v28, v29
	v_sub_f32_e32 v24, v24, v29
	v_add_f32_e32 v29, v25, v28
	v_sub_f32_e32 v30, v29, v25
	v_sub_f32_e32 v31, v29, v30
	;; [unrolled: 1-line block ×5, first 2 shown]
	v_add_f32_e32 v25, v28, v25
	v_add_f32_e32 v28, v27, v24
	v_sub_f32_e32 v30, v28, v27
	v_sub_f32_e32 v31, v28, v30
	v_sub_f32_e32 v27, v27, v31
	v_sub_f32_e32 v24, v24, v30
	v_add_f32_e32 v25, v28, v25
	v_add_f32_e32 v24, v24, v27
	;; [unrolled: 1-line block ×3, first 2 shown]
	v_sub_f32_e32 v28, v27, v29
	v_sub_f32_e32 v25, v25, v28
	v_add_f32_e32 v24, v24, v25
	v_add_f32_e32 v24, v27, v24
	v_cmp_neq_f32_e64 s[10:11], s16, v18
	v_cndmask_b32_e64 v24, v26, v24, s[10:11]
	s_mov_b32 s10, 0x33800000
	v_cmp_lt_f32_e64 s[10:11], |v18|, s10
	v_cndmask_b32_e64 v18, v24, v18, s[10:11]
	v_add_f32_e32 v18, v23, v18
	v_cvt_f16_f32_e32 v18, v18
	v_cvt_f32_f16_e32 v32, v18
.LBB355_282:
	s_or_b64 exec, exec, s[14:15]
	v_cvt_f32_f16_sdwa v23, v12 dst_sel:DWORD dst_unused:UNUSED_PAD src0_sel:WORD_1
	v_max_f32_e32 v25, v32, v32
	v_cmp_u_f16_e64 s[14:15], v18, v18
	v_cmp_u_f16_sdwa s[10:11], v12, v12 src0_sel:WORD_1 src1_sel:WORD_1
	v_min_f32_e32 v24, v25, v23
	v_max_f32_e32 v12, v25, v23
	v_cndmask_b32_e64 v24, v24, v32, s[14:15]
	v_cndmask_b32_e64 v12, v12, v32, s[14:15]
	;; [unrolled: 1-line block ×4, first 2 shown]
	s_movk_i32 s18, 0x1f8
	v_cmp_neq_f32_e64 s[14:15], v24, v12
	v_cmp_class_f32_e64 s[16:17], v24, s18
	s_or_b64 s[14:15], s[14:15], s[16:17]
	s_and_saveexec_b64 s[16:17], s[14:15]
	s_cbranch_execz .LBB355_284
; %bb.283:
	v_sub_f32_e32 v18, v24, v12
	s_mov_b32 s14, 0x3fb8aa3b
	v_mul_f32_e32 v24, 0x3fb8aa3b, v18
	v_fma_f32 v25, v18, s14, -v24
	v_rndne_f32_e32 v26, v24
	v_fmac_f32_e32 v25, 0x32a5705f, v18
	v_sub_f32_e32 v24, v24, v26
	v_add_f32_e32 v24, v24, v25
	v_exp_f32_e32 v24, v24
	v_cvt_i32_f32_e32 v25, v26
	s_mov_b32 s14, 0xc2ce8ed0
	v_cmp_ngt_f32_e64 s[14:15], s14, v18
	v_mov_b32_e32 v26, 0x7f800000
	v_ldexp_f32 v24, v24, v25
	v_cndmask_b32_e64 v24, 0, v24, s[14:15]
	s_mov_b32 s14, 0x42b17218
	v_cmp_nlt_f32_e64 s[14:15], s14, v18
	v_cndmask_b32_e64 v18, v26, v24, s[14:15]
	v_add_f32_e32 v27, 1.0, v18
	v_cvt_f64_f32_e32 v[24:25], v27
	v_add_f32_e32 v28, -1.0, v27
	v_sub_f32_e32 v29, v28, v27
	v_sub_f32_e32 v28, v18, v28
	v_frexp_exp_i32_f64_e32 v24, v[24:25]
	v_add_f32_e32 v25, 1.0, v29
	v_add_f32_e32 v25, v28, v25
	v_frexp_mant_f32_e32 v28, v27
	s_mov_b32 s14, 0x3f2aaaab
	v_cmp_gt_f32_e64 s[14:15], s14, v28
	s_mov_b32 s19, 0x7f800000
	v_subbrev_co_u32_e64 v24, s[14:15], 0, v24, s[14:15]
	v_sub_u32_e32 v28, 0, v24
	v_ldexp_f32 v27, v27, v28
	v_ldexp_f32 v25, v25, v28
	v_add_f32_e32 v28, -1.0, v27
	v_add_f32_e32 v31, 1.0, v27
	v_add_f32_e32 v29, 1.0, v28
	v_add_f32_e32 v32, -1.0, v31
	v_sub_f32_e32 v29, v27, v29
	v_sub_f32_e32 v27, v27, v32
	v_add_f32_e32 v29, v25, v29
	v_add_f32_e32 v25, v25, v27
	;; [unrolled: 1-line block ×3, first 2 shown]
	v_rcp_f32_e32 v32, v27
	v_add_f32_e32 v30, v28, v29
	v_sub_f32_e32 v28, v28, v30
	v_add_f32_e32 v28, v29, v28
	v_sub_f32_e32 v29, v31, v27
	v_add_f32_e32 v25, v25, v29
	v_mul_f32_e32 v29, v30, v32
	v_mul_f32_e32 v31, v27, v29
	v_fma_f32 v33, v29, v27, -v31
	v_fmac_f32_e32 v33, v29, v25
	v_add_f32_e32 v34, v31, v33
	v_sub_f32_e32 v35, v30, v34
	v_sub_f32_e32 v30, v30, v35
	;; [unrolled: 1-line block ×4, first 2 shown]
	v_add_f32_e32 v28, v28, v30
	v_sub_f32_e32 v30, v31, v33
	v_add_f32_e32 v28, v30, v28
	v_add_f32_e32 v30, v35, v28
	v_mul_f32_e32 v31, v32, v30
	v_mul_f32_e32 v33, v27, v31
	v_fma_f32 v27, v31, v27, -v33
	v_fmac_f32_e32 v27, v31, v25
	v_sub_f32_e32 v25, v35, v30
	v_add_f32_e32 v25, v28, v25
	v_add_f32_e32 v28, v33, v27
	v_sub_f32_e32 v34, v30, v28
	v_sub_f32_e32 v30, v30, v34
	;; [unrolled: 1-line block ×4, first 2 shown]
	v_add_f32_e32 v25, v25, v28
	v_sub_f32_e32 v27, v33, v27
	v_add_f32_e32 v25, v27, v25
	v_add_f32_e32 v27, v29, v31
	;; [unrolled: 1-line block ×3, first 2 shown]
	v_sub_f32_e32 v28, v27, v29
	v_mul_f32_e32 v25, v32, v25
	v_sub_f32_e32 v28, v31, v28
	v_add_f32_e32 v25, v28, v25
	v_cvt_f32_i32_e32 v24, v24
	v_add_f32_e32 v28, v27, v25
	v_mul_f32_e32 v29, v28, v28
	v_mov_b32_e32 v30, 0x3ecc95a3
	v_fmac_f32_e32 v30, 0x3e9b6dac, v29
	v_mov_b32_e32 v31, 0x3f2aaada
	v_fmac_f32_e32 v31, v29, v30
	s_mov_b32 s14, 0x3f317218
	v_mul_f32_e32 v30, 0x3f317218, v24
	v_fma_f32 v32, v24, s14, -v30
	v_fmac_f32_e32 v32, 0xb102e308, v24
	v_sub_f32_e32 v24, v28, v27
	v_sub_f32_e32 v24, v25, v24
	v_add_f32_e32 v25, v30, v32
	v_sub_f32_e32 v27, v25, v30
	v_ldexp_f32 v30, v28, 1
	v_mul_f32_e32 v28, v28, v29
	v_mul_f32_e32 v28, v28, v31
	v_add_f32_e32 v29, v30, v28
	v_sub_f32_e32 v30, v29, v30
	v_ldexp_f32 v24, v24, 1
	v_sub_f32_e32 v28, v28, v30
	v_add_f32_e32 v24, v24, v28
	v_add_f32_e32 v28, v29, v24
	v_sub_f32_e32 v29, v28, v29
	v_sub_f32_e32 v24, v24, v29
	v_add_f32_e32 v29, v25, v28
	v_sub_f32_e32 v30, v29, v25
	v_sub_f32_e32 v31, v29, v30
	;; [unrolled: 1-line block ×5, first 2 shown]
	v_add_f32_e32 v25, v28, v25
	v_add_f32_e32 v28, v27, v24
	v_sub_f32_e32 v30, v28, v27
	v_sub_f32_e32 v31, v28, v30
	;; [unrolled: 1-line block ×4, first 2 shown]
	v_add_f32_e32 v25, v28, v25
	v_add_f32_e32 v24, v24, v27
	;; [unrolled: 1-line block ×3, first 2 shown]
	v_sub_f32_e32 v28, v27, v29
	v_sub_f32_e32 v25, v25, v28
	v_add_f32_e32 v24, v24, v25
	v_add_f32_e32 v24, v27, v24
	v_cmp_neq_f32_e64 s[14:15], s19, v18
	v_cndmask_b32_e64 v24, v26, v24, s[14:15]
	s_mov_b32 s14, 0x33800000
	v_cmp_lt_f32_e64 s[14:15], |v18|, s14
	v_cndmask_b32_e64 v18, v24, v18, s[14:15]
	v_add_f32_e32 v12, v12, v18
	v_cvt_f16_f32_e32 v18, v12
	v_cvt_f32_f16_e32 v32, v18
.LBB355_284:
	s_or_b64 exec, exec, s[16:17]
	v_cvt_f32_f16_e32 v12, v5
	v_max_f32_e32 v24, v32, v32
	v_cmp_u_f16_e64 s[16:17], v18, v18
	v_cmp_u_f16_e64 s[14:15], v5, v5
	v_min_f32_e32 v25, v24, v12
	v_max_f32_e32 v24, v24, v12
	v_cndmask_b32_e64 v25, v25, v32, s[16:17]
	v_cndmask_b32_e64 v24, v24, v32, s[16:17]
	;; [unrolled: 1-line block ×4, first 2 shown]
	v_cmp_neq_f32_e64 s[16:17], v25, v24
	v_cmp_class_f32_e64 s[18:19], v25, s18
	s_or_b64 s[16:17], s[16:17], s[18:19]
	s_and_saveexec_b64 s[18:19], s[16:17]
	s_cbranch_execz .LBB355_286
; %bb.285:
	v_sub_f32_e32 v18, v25, v24
	s_mov_b32 s16, 0x3fb8aa3b
	v_mul_f32_e32 v25, 0x3fb8aa3b, v18
	v_fma_f32 v26, v18, s16, -v25
	v_rndne_f32_e32 v27, v25
	v_fmac_f32_e32 v26, 0x32a5705f, v18
	v_sub_f32_e32 v25, v25, v27
	v_add_f32_e32 v25, v25, v26
	v_exp_f32_e32 v25, v25
	v_cvt_i32_f32_e32 v26, v27
	s_mov_b32 s16, 0xc2ce8ed0
	v_cmp_ngt_f32_e64 s[16:17], s16, v18
	v_mov_b32_e32 v27, 0x7f800000
	v_ldexp_f32 v25, v25, v26
	v_cndmask_b32_e64 v25, 0, v25, s[16:17]
	s_mov_b32 s16, 0x42b17218
	v_cmp_nlt_f32_e64 s[16:17], s16, v18
	v_cndmask_b32_e64 v18, v27, v25, s[16:17]
	v_add_f32_e32 v28, 1.0, v18
	v_cvt_f64_f32_e32 v[25:26], v28
	v_add_f32_e32 v29, -1.0, v28
	v_sub_f32_e32 v30, v29, v28
	v_sub_f32_e32 v29, v18, v29
	v_frexp_exp_i32_f64_e32 v25, v[25:26]
	v_add_f32_e32 v26, 1.0, v30
	v_add_f32_e32 v26, v29, v26
	v_frexp_mant_f32_e32 v29, v28
	s_mov_b32 s16, 0x3f2aaaab
	v_cmp_gt_f32_e64 s[16:17], s16, v29
	s_mov_b32 s20, 0x7f800000
	v_subbrev_co_u32_e64 v25, s[16:17], 0, v25, s[16:17]
	v_sub_u32_e32 v29, 0, v25
	v_ldexp_f32 v28, v28, v29
	v_ldexp_f32 v26, v26, v29
	v_add_f32_e32 v29, -1.0, v28
	v_add_f32_e32 v32, 1.0, v28
	v_add_f32_e32 v30, 1.0, v29
	v_add_f32_e32 v33, -1.0, v32
	v_sub_f32_e32 v30, v28, v30
	v_sub_f32_e32 v28, v28, v33
	v_add_f32_e32 v30, v26, v30
	v_add_f32_e32 v26, v26, v28
	;; [unrolled: 1-line block ×3, first 2 shown]
	v_rcp_f32_e32 v33, v28
	v_add_f32_e32 v31, v29, v30
	v_sub_f32_e32 v29, v29, v31
	v_add_f32_e32 v29, v30, v29
	v_sub_f32_e32 v30, v32, v28
	v_add_f32_e32 v26, v26, v30
	v_mul_f32_e32 v30, v31, v33
	v_mul_f32_e32 v32, v28, v30
	v_fma_f32 v34, v30, v28, -v32
	v_fmac_f32_e32 v34, v30, v26
	v_add_f32_e32 v35, v32, v34
	v_sub_f32_e32 v36, v31, v35
	v_sub_f32_e32 v31, v31, v36
	;; [unrolled: 1-line block ×4, first 2 shown]
	v_add_f32_e32 v29, v29, v31
	v_sub_f32_e32 v31, v32, v34
	v_add_f32_e32 v29, v31, v29
	v_add_f32_e32 v31, v36, v29
	v_mul_f32_e32 v32, v33, v31
	v_mul_f32_e32 v34, v28, v32
	v_fma_f32 v28, v32, v28, -v34
	v_fmac_f32_e32 v28, v32, v26
	v_sub_f32_e32 v26, v36, v31
	v_add_f32_e32 v26, v29, v26
	v_add_f32_e32 v29, v34, v28
	v_sub_f32_e32 v35, v31, v29
	v_sub_f32_e32 v31, v31, v35
	;; [unrolled: 1-line block ×4, first 2 shown]
	v_add_f32_e32 v26, v26, v29
	v_sub_f32_e32 v28, v34, v28
	v_add_f32_e32 v26, v28, v26
	v_add_f32_e32 v28, v30, v32
	v_add_f32_e32 v26, v35, v26
	v_sub_f32_e32 v29, v28, v30
	v_mul_f32_e32 v26, v33, v26
	v_sub_f32_e32 v29, v32, v29
	v_add_f32_e32 v26, v29, v26
	v_cvt_f32_i32_e32 v25, v25
	v_add_f32_e32 v29, v28, v26
	v_mul_f32_e32 v30, v29, v29
	v_mov_b32_e32 v31, 0x3ecc95a3
	v_fmac_f32_e32 v31, 0x3e9b6dac, v30
	v_mov_b32_e32 v32, 0x3f2aaada
	v_fmac_f32_e32 v32, v30, v31
	s_mov_b32 s16, 0x3f317218
	v_mul_f32_e32 v31, 0x3f317218, v25
	v_fma_f32 v33, v25, s16, -v31
	v_fmac_f32_e32 v33, 0xb102e308, v25
	v_sub_f32_e32 v25, v29, v28
	v_sub_f32_e32 v25, v26, v25
	v_add_f32_e32 v26, v31, v33
	v_sub_f32_e32 v28, v26, v31
	v_ldexp_f32 v31, v29, 1
	v_mul_f32_e32 v29, v29, v30
	v_mul_f32_e32 v29, v29, v32
	v_add_f32_e32 v30, v31, v29
	v_sub_f32_e32 v31, v30, v31
	v_ldexp_f32 v25, v25, 1
	v_sub_f32_e32 v29, v29, v31
	v_add_f32_e32 v25, v25, v29
	v_add_f32_e32 v29, v30, v25
	v_sub_f32_e32 v30, v29, v30
	v_sub_f32_e32 v25, v25, v30
	v_add_f32_e32 v30, v26, v29
	v_sub_f32_e32 v31, v30, v26
	v_sub_f32_e32 v32, v30, v31
	;; [unrolled: 1-line block ×5, first 2 shown]
	v_add_f32_e32 v26, v29, v26
	v_add_f32_e32 v29, v28, v25
	v_sub_f32_e32 v31, v29, v28
	v_sub_f32_e32 v32, v29, v31
	v_sub_f32_e32 v28, v28, v32
	v_sub_f32_e32 v25, v25, v31
	v_add_f32_e32 v26, v29, v26
	v_add_f32_e32 v25, v25, v28
	;; [unrolled: 1-line block ×3, first 2 shown]
	v_sub_f32_e32 v29, v28, v30
	v_sub_f32_e32 v26, v26, v29
	v_add_f32_e32 v25, v25, v26
	v_add_f32_e32 v25, v28, v25
	v_cmp_neq_f32_e64 s[16:17], s20, v18
	v_cndmask_b32_e64 v25, v27, v25, s[16:17]
	s_mov_b32 s16, 0x33800000
	v_cmp_lt_f32_e64 s[16:17], |v18|, s16
	v_cndmask_b32_e64 v18, v25, v18, s[16:17]
	v_add_f32_e32 v18, v24, v18
	v_cvt_f16_f32_e32 v18, v18
	v_cvt_f32_f16_e32 v32, v18
.LBB355_286:
	s_or_b64 exec, exec, s[18:19]
	v_cvt_f32_f16_sdwa v24, v5 dst_sel:DWORD dst_unused:UNUSED_PAD src0_sel:WORD_1
	v_max_f32_e32 v26, v32, v32
	v_cmp_u_f16_e64 s[18:19], v18, v18
	v_cmp_u_f16_sdwa s[16:17], v5, v5 src0_sel:WORD_1 src1_sel:WORD_1
	v_min_f32_e32 v25, v26, v24
	v_max_f32_e32 v5, v26, v24
	v_cndmask_b32_e64 v25, v25, v32, s[18:19]
	v_cndmask_b32_e64 v5, v5, v32, s[18:19]
	;; [unrolled: 1-line block ×4, first 2 shown]
	s_movk_i32 s22, 0x1f8
	v_cmp_neq_f32_e64 s[18:19], v25, v5
	v_cmp_class_f32_e64 s[20:21], v25, s22
	s_or_b64 s[18:19], s[18:19], s[20:21]
	s_and_saveexec_b64 s[20:21], s[18:19]
	s_cbranch_execz .LBB355_288
; %bb.287:
	v_sub_f32_e32 v18, v25, v5
	s_mov_b32 s18, 0x3fb8aa3b
	v_mul_f32_e32 v25, 0x3fb8aa3b, v18
	v_fma_f32 v26, v18, s18, -v25
	v_rndne_f32_e32 v27, v25
	v_fmac_f32_e32 v26, 0x32a5705f, v18
	v_sub_f32_e32 v25, v25, v27
	v_add_f32_e32 v25, v25, v26
	v_exp_f32_e32 v25, v25
	v_cvt_i32_f32_e32 v26, v27
	s_mov_b32 s18, 0xc2ce8ed0
	v_cmp_ngt_f32_e64 s[18:19], s18, v18
	v_mov_b32_e32 v27, 0x7f800000
	v_ldexp_f32 v25, v25, v26
	v_cndmask_b32_e64 v25, 0, v25, s[18:19]
	s_mov_b32 s18, 0x42b17218
	v_cmp_nlt_f32_e64 s[18:19], s18, v18
	v_cndmask_b32_e64 v18, v27, v25, s[18:19]
	v_add_f32_e32 v28, 1.0, v18
	v_cvt_f64_f32_e32 v[25:26], v28
	v_add_f32_e32 v29, -1.0, v28
	v_sub_f32_e32 v30, v29, v28
	v_sub_f32_e32 v29, v18, v29
	v_frexp_exp_i32_f64_e32 v25, v[25:26]
	v_add_f32_e32 v26, 1.0, v30
	v_add_f32_e32 v26, v29, v26
	v_frexp_mant_f32_e32 v29, v28
	s_mov_b32 s18, 0x3f2aaaab
	v_cmp_gt_f32_e64 s[18:19], s18, v29
	s_mov_b32 s23, 0x7f800000
	v_subbrev_co_u32_e64 v25, s[18:19], 0, v25, s[18:19]
	v_sub_u32_e32 v29, 0, v25
	v_ldexp_f32 v28, v28, v29
	v_ldexp_f32 v26, v26, v29
	v_add_f32_e32 v29, -1.0, v28
	v_add_f32_e32 v32, 1.0, v28
	v_add_f32_e32 v30, 1.0, v29
	v_add_f32_e32 v33, -1.0, v32
	v_sub_f32_e32 v30, v28, v30
	v_sub_f32_e32 v28, v28, v33
	v_add_f32_e32 v30, v26, v30
	v_add_f32_e32 v26, v26, v28
	;; [unrolled: 1-line block ×3, first 2 shown]
	v_rcp_f32_e32 v33, v28
	v_add_f32_e32 v31, v29, v30
	v_sub_f32_e32 v29, v29, v31
	v_add_f32_e32 v29, v30, v29
	v_sub_f32_e32 v30, v32, v28
	v_add_f32_e32 v26, v26, v30
	v_mul_f32_e32 v30, v31, v33
	v_mul_f32_e32 v32, v28, v30
	v_fma_f32 v34, v30, v28, -v32
	v_fmac_f32_e32 v34, v30, v26
	v_add_f32_e32 v35, v32, v34
	v_sub_f32_e32 v36, v31, v35
	v_sub_f32_e32 v31, v31, v36
	;; [unrolled: 1-line block ×4, first 2 shown]
	v_add_f32_e32 v29, v29, v31
	v_sub_f32_e32 v31, v32, v34
	v_add_f32_e32 v29, v31, v29
	v_add_f32_e32 v31, v36, v29
	v_mul_f32_e32 v32, v33, v31
	v_mul_f32_e32 v34, v28, v32
	v_fma_f32 v28, v32, v28, -v34
	v_fmac_f32_e32 v28, v32, v26
	v_sub_f32_e32 v26, v36, v31
	v_add_f32_e32 v26, v29, v26
	v_add_f32_e32 v29, v34, v28
	v_sub_f32_e32 v35, v31, v29
	v_sub_f32_e32 v31, v31, v35
	;; [unrolled: 1-line block ×4, first 2 shown]
	v_add_f32_e32 v26, v26, v29
	v_sub_f32_e32 v28, v34, v28
	v_add_f32_e32 v26, v28, v26
	v_add_f32_e32 v28, v30, v32
	;; [unrolled: 1-line block ×3, first 2 shown]
	v_sub_f32_e32 v29, v28, v30
	v_mul_f32_e32 v26, v33, v26
	v_sub_f32_e32 v29, v32, v29
	v_add_f32_e32 v26, v29, v26
	v_cvt_f32_i32_e32 v25, v25
	v_add_f32_e32 v29, v28, v26
	v_mul_f32_e32 v30, v29, v29
	v_mov_b32_e32 v31, 0x3ecc95a3
	v_fmac_f32_e32 v31, 0x3e9b6dac, v30
	v_mov_b32_e32 v32, 0x3f2aaada
	v_fmac_f32_e32 v32, v30, v31
	s_mov_b32 s18, 0x3f317218
	v_mul_f32_e32 v31, 0x3f317218, v25
	v_fma_f32 v33, v25, s18, -v31
	v_fmac_f32_e32 v33, 0xb102e308, v25
	v_sub_f32_e32 v25, v29, v28
	v_sub_f32_e32 v25, v26, v25
	v_add_f32_e32 v26, v31, v33
	v_sub_f32_e32 v28, v26, v31
	v_ldexp_f32 v31, v29, 1
	v_mul_f32_e32 v29, v29, v30
	v_mul_f32_e32 v29, v29, v32
	v_add_f32_e32 v30, v31, v29
	v_sub_f32_e32 v31, v30, v31
	v_ldexp_f32 v25, v25, 1
	v_sub_f32_e32 v29, v29, v31
	v_add_f32_e32 v25, v25, v29
	v_add_f32_e32 v29, v30, v25
	v_sub_f32_e32 v30, v29, v30
	v_sub_f32_e32 v25, v25, v30
	v_add_f32_e32 v30, v26, v29
	v_sub_f32_e32 v31, v30, v26
	v_sub_f32_e32 v32, v30, v31
	;; [unrolled: 1-line block ×5, first 2 shown]
	v_add_f32_e32 v26, v29, v26
	v_add_f32_e32 v29, v28, v25
	v_sub_f32_e32 v31, v29, v28
	v_sub_f32_e32 v32, v29, v31
	;; [unrolled: 1-line block ×4, first 2 shown]
	v_add_f32_e32 v26, v29, v26
	v_add_f32_e32 v25, v25, v28
	;; [unrolled: 1-line block ×3, first 2 shown]
	v_sub_f32_e32 v29, v28, v30
	v_sub_f32_e32 v26, v26, v29
	v_add_f32_e32 v25, v25, v26
	v_add_f32_e32 v25, v28, v25
	v_cmp_neq_f32_e64 s[18:19], s23, v18
	v_cndmask_b32_e64 v25, v27, v25, s[18:19]
	s_mov_b32 s18, 0x33800000
	v_cmp_lt_f32_e64 s[18:19], |v18|, s18
	v_cndmask_b32_e64 v18, v25, v18, s[18:19]
	v_add_f32_e32 v5, v5, v18
	v_cvt_f16_f32_e32 v18, v5
	v_cvt_f32_f16_e32 v32, v18
.LBB355_288:
	s_or_b64 exec, exec, s[20:21]
	v_cvt_f32_f16_e32 v5, v6
	v_max_f32_e32 v25, v32, v32
	v_cmp_u_f16_e64 s[20:21], v18, v18
	v_cmp_u_f16_e64 s[18:19], v6, v6
	v_min_f32_e32 v26, v25, v5
	v_max_f32_e32 v25, v25, v5
	v_cndmask_b32_e64 v26, v26, v32, s[20:21]
	v_cndmask_b32_e64 v25, v25, v32, s[20:21]
	;; [unrolled: 1-line block ×4, first 2 shown]
	v_cmp_neq_f32_e64 s[20:21], v26, v25
	v_cmp_class_f32_e64 s[22:23], v26, s22
	s_or_b64 s[20:21], s[20:21], s[22:23]
	s_and_saveexec_b64 s[22:23], s[20:21]
	s_cbranch_execz .LBB355_290
; %bb.289:
	v_sub_f32_e32 v18, v26, v25
	s_mov_b32 s20, 0x3fb8aa3b
	v_mul_f32_e32 v26, 0x3fb8aa3b, v18
	v_fma_f32 v27, v18, s20, -v26
	v_rndne_f32_e32 v28, v26
	v_fmac_f32_e32 v27, 0x32a5705f, v18
	v_sub_f32_e32 v26, v26, v28
	v_add_f32_e32 v26, v26, v27
	v_exp_f32_e32 v26, v26
	v_cvt_i32_f32_e32 v27, v28
	s_mov_b32 s20, 0xc2ce8ed0
	v_cmp_ngt_f32_e64 s[20:21], s20, v18
	v_mov_b32_e32 v28, 0x7f800000
	v_ldexp_f32 v26, v26, v27
	v_cndmask_b32_e64 v26, 0, v26, s[20:21]
	s_mov_b32 s20, 0x42b17218
	v_cmp_nlt_f32_e64 s[20:21], s20, v18
	v_cndmask_b32_e64 v18, v28, v26, s[20:21]
	v_add_f32_e32 v29, 1.0, v18
	v_cvt_f64_f32_e32 v[26:27], v29
	v_add_f32_e32 v30, -1.0, v29
	v_sub_f32_e32 v31, v30, v29
	v_sub_f32_e32 v30, v18, v30
	v_frexp_exp_i32_f64_e32 v26, v[26:27]
	v_add_f32_e32 v27, 1.0, v31
	v_add_f32_e32 v27, v30, v27
	v_frexp_mant_f32_e32 v30, v29
	s_mov_b32 s20, 0x3f2aaaab
	v_cmp_gt_f32_e64 s[20:21], s20, v30
	s_mov_b32 s24, 0x7f800000
	v_subbrev_co_u32_e64 v26, s[20:21], 0, v26, s[20:21]
	v_sub_u32_e32 v30, 0, v26
	v_ldexp_f32 v29, v29, v30
	v_ldexp_f32 v27, v27, v30
	v_add_f32_e32 v30, -1.0, v29
	v_add_f32_e32 v33, 1.0, v29
	v_add_f32_e32 v31, 1.0, v30
	v_add_f32_e32 v34, -1.0, v33
	v_sub_f32_e32 v31, v29, v31
	v_sub_f32_e32 v29, v29, v34
	v_add_f32_e32 v31, v27, v31
	v_add_f32_e32 v27, v27, v29
	;; [unrolled: 1-line block ×3, first 2 shown]
	v_rcp_f32_e32 v34, v29
	v_add_f32_e32 v32, v30, v31
	v_sub_f32_e32 v30, v30, v32
	v_add_f32_e32 v30, v31, v30
	v_sub_f32_e32 v31, v33, v29
	v_add_f32_e32 v27, v27, v31
	v_mul_f32_e32 v31, v32, v34
	v_mul_f32_e32 v33, v29, v31
	v_fma_f32 v35, v31, v29, -v33
	v_fmac_f32_e32 v35, v31, v27
	v_add_f32_e32 v36, v33, v35
	v_sub_f32_e32 v37, v32, v36
	v_sub_f32_e32 v32, v32, v37
	;; [unrolled: 1-line block ×4, first 2 shown]
	v_add_f32_e32 v30, v30, v32
	v_sub_f32_e32 v32, v33, v35
	v_add_f32_e32 v30, v32, v30
	v_add_f32_e32 v32, v37, v30
	v_mul_f32_e32 v33, v34, v32
	v_mul_f32_e32 v35, v29, v33
	v_fma_f32 v29, v33, v29, -v35
	v_fmac_f32_e32 v29, v33, v27
	v_sub_f32_e32 v27, v37, v32
	v_add_f32_e32 v27, v30, v27
	v_add_f32_e32 v30, v35, v29
	v_sub_f32_e32 v36, v32, v30
	v_sub_f32_e32 v32, v32, v36
	;; [unrolled: 1-line block ×4, first 2 shown]
	v_add_f32_e32 v27, v27, v30
	v_sub_f32_e32 v29, v35, v29
	v_add_f32_e32 v27, v29, v27
	v_add_f32_e32 v29, v31, v33
	;; [unrolled: 1-line block ×3, first 2 shown]
	v_sub_f32_e32 v30, v29, v31
	v_mul_f32_e32 v27, v34, v27
	v_sub_f32_e32 v30, v33, v30
	v_add_f32_e32 v27, v30, v27
	v_cvt_f32_i32_e32 v26, v26
	v_add_f32_e32 v30, v29, v27
	v_mul_f32_e32 v31, v30, v30
	v_mov_b32_e32 v32, 0x3ecc95a3
	v_fmac_f32_e32 v32, 0x3e9b6dac, v31
	v_mov_b32_e32 v33, 0x3f2aaada
	v_fmac_f32_e32 v33, v31, v32
	s_mov_b32 s20, 0x3f317218
	v_mul_f32_e32 v32, 0x3f317218, v26
	v_fma_f32 v34, v26, s20, -v32
	v_fmac_f32_e32 v34, 0xb102e308, v26
	v_sub_f32_e32 v26, v30, v29
	v_sub_f32_e32 v26, v27, v26
	v_add_f32_e32 v27, v32, v34
	v_sub_f32_e32 v29, v27, v32
	v_ldexp_f32 v32, v30, 1
	v_mul_f32_e32 v30, v30, v31
	v_mul_f32_e32 v30, v30, v33
	v_add_f32_e32 v31, v32, v30
	v_sub_f32_e32 v32, v31, v32
	v_ldexp_f32 v26, v26, 1
	v_sub_f32_e32 v30, v30, v32
	v_add_f32_e32 v26, v26, v30
	v_add_f32_e32 v30, v31, v26
	v_sub_f32_e32 v31, v30, v31
	v_sub_f32_e32 v26, v26, v31
	v_add_f32_e32 v31, v27, v30
	v_sub_f32_e32 v32, v31, v27
	v_sub_f32_e32 v33, v31, v32
	;; [unrolled: 1-line block ×5, first 2 shown]
	v_add_f32_e32 v27, v30, v27
	v_add_f32_e32 v30, v29, v26
	v_sub_f32_e32 v32, v30, v29
	v_sub_f32_e32 v33, v30, v32
	;; [unrolled: 1-line block ×4, first 2 shown]
	v_add_f32_e32 v27, v30, v27
	v_add_f32_e32 v26, v26, v29
	v_add_f32_e32 v29, v31, v27
	v_sub_f32_e32 v30, v29, v31
	v_sub_f32_e32 v27, v27, v30
	v_add_f32_e32 v26, v26, v27
	v_add_f32_e32 v26, v29, v26
	v_cmp_neq_f32_e64 s[20:21], s24, v18
	v_cndmask_b32_e64 v26, v28, v26, s[20:21]
	s_mov_b32 s20, 0x33800000
	v_cmp_lt_f32_e64 s[20:21], |v18|, s20
	v_cndmask_b32_e64 v18, v26, v18, s[20:21]
	v_add_f32_e32 v18, v25, v18
	v_cvt_f16_f32_e32 v18, v18
	v_cvt_f32_f16_e32 v32, v18
.LBB355_290:
	s_or_b64 exec, exec, s[22:23]
	v_cvt_f32_f16_sdwa v25, v6 dst_sel:DWORD dst_unused:UNUSED_PAD src0_sel:WORD_1
	v_max_f32_e32 v27, v32, v32
	v_cmp_u_f16_e64 s[22:23], v18, v18
	v_cmp_u_f16_sdwa s[20:21], v6, v6 src0_sel:WORD_1 src1_sel:WORD_1
	v_min_f32_e32 v26, v27, v25
	v_max_f32_e32 v6, v27, v25
	v_cndmask_b32_e64 v26, v26, v32, s[22:23]
	v_cndmask_b32_e64 v6, v6, v32, s[22:23]
	;; [unrolled: 1-line block ×4, first 2 shown]
	s_movk_i32 s26, 0x1f8
	v_cmp_neq_f32_e64 s[22:23], v26, v6
	v_cmp_class_f32_e64 s[24:25], v26, s26
	s_or_b64 s[22:23], s[22:23], s[24:25]
	s_and_saveexec_b64 s[24:25], s[22:23]
	s_cbranch_execz .LBB355_292
; %bb.291:
	v_sub_f32_e32 v18, v26, v6
	s_mov_b32 s22, 0x3fb8aa3b
	v_mul_f32_e32 v26, 0x3fb8aa3b, v18
	v_fma_f32 v27, v18, s22, -v26
	v_rndne_f32_e32 v28, v26
	v_fmac_f32_e32 v27, 0x32a5705f, v18
	v_sub_f32_e32 v26, v26, v28
	v_add_f32_e32 v26, v26, v27
	v_exp_f32_e32 v26, v26
	v_cvt_i32_f32_e32 v27, v28
	s_mov_b32 s22, 0xc2ce8ed0
	v_cmp_ngt_f32_e64 s[22:23], s22, v18
	v_mov_b32_e32 v28, 0x7f800000
	v_ldexp_f32 v26, v26, v27
	v_cndmask_b32_e64 v26, 0, v26, s[22:23]
	s_mov_b32 s22, 0x42b17218
	v_cmp_nlt_f32_e64 s[22:23], s22, v18
	v_cndmask_b32_e64 v18, v28, v26, s[22:23]
	v_add_f32_e32 v29, 1.0, v18
	v_cvt_f64_f32_e32 v[26:27], v29
	v_add_f32_e32 v30, -1.0, v29
	v_sub_f32_e32 v31, v30, v29
	v_sub_f32_e32 v30, v18, v30
	v_frexp_exp_i32_f64_e32 v26, v[26:27]
	v_add_f32_e32 v27, 1.0, v31
	v_add_f32_e32 v27, v30, v27
	v_frexp_mant_f32_e32 v30, v29
	s_mov_b32 s22, 0x3f2aaaab
	v_cmp_gt_f32_e64 s[22:23], s22, v30
	s_mov_b32 s27, 0x7f800000
	v_subbrev_co_u32_e64 v26, s[22:23], 0, v26, s[22:23]
	v_sub_u32_e32 v30, 0, v26
	v_ldexp_f32 v29, v29, v30
	v_ldexp_f32 v27, v27, v30
	v_add_f32_e32 v30, -1.0, v29
	v_add_f32_e32 v33, 1.0, v29
	v_add_f32_e32 v31, 1.0, v30
	v_add_f32_e32 v34, -1.0, v33
	v_sub_f32_e32 v31, v29, v31
	v_sub_f32_e32 v29, v29, v34
	v_add_f32_e32 v31, v27, v31
	v_add_f32_e32 v27, v27, v29
	;; [unrolled: 1-line block ×3, first 2 shown]
	v_rcp_f32_e32 v34, v29
	v_add_f32_e32 v32, v30, v31
	v_sub_f32_e32 v30, v30, v32
	v_add_f32_e32 v30, v31, v30
	v_sub_f32_e32 v31, v33, v29
	v_add_f32_e32 v27, v27, v31
	v_mul_f32_e32 v31, v32, v34
	v_mul_f32_e32 v33, v29, v31
	v_fma_f32 v35, v31, v29, -v33
	v_fmac_f32_e32 v35, v31, v27
	v_add_f32_e32 v36, v33, v35
	v_sub_f32_e32 v37, v32, v36
	v_sub_f32_e32 v32, v32, v37
	;; [unrolled: 1-line block ×4, first 2 shown]
	v_add_f32_e32 v30, v30, v32
	v_sub_f32_e32 v32, v33, v35
	v_add_f32_e32 v30, v32, v30
	v_add_f32_e32 v32, v37, v30
	v_mul_f32_e32 v33, v34, v32
	v_mul_f32_e32 v35, v29, v33
	v_fma_f32 v29, v33, v29, -v35
	v_fmac_f32_e32 v29, v33, v27
	v_sub_f32_e32 v27, v37, v32
	v_add_f32_e32 v27, v30, v27
	v_add_f32_e32 v30, v35, v29
	v_sub_f32_e32 v36, v32, v30
	v_sub_f32_e32 v32, v32, v36
	;; [unrolled: 1-line block ×4, first 2 shown]
	v_add_f32_e32 v27, v27, v30
	v_sub_f32_e32 v29, v35, v29
	v_add_f32_e32 v27, v29, v27
	v_add_f32_e32 v29, v31, v33
	;; [unrolled: 1-line block ×3, first 2 shown]
	v_sub_f32_e32 v30, v29, v31
	v_mul_f32_e32 v27, v34, v27
	v_sub_f32_e32 v30, v33, v30
	v_add_f32_e32 v27, v30, v27
	v_cvt_f32_i32_e32 v26, v26
	v_add_f32_e32 v30, v29, v27
	v_mul_f32_e32 v31, v30, v30
	v_mov_b32_e32 v32, 0x3ecc95a3
	v_fmac_f32_e32 v32, 0x3e9b6dac, v31
	v_mov_b32_e32 v33, 0x3f2aaada
	v_fmac_f32_e32 v33, v31, v32
	s_mov_b32 s22, 0x3f317218
	v_mul_f32_e32 v32, 0x3f317218, v26
	v_fma_f32 v34, v26, s22, -v32
	v_fmac_f32_e32 v34, 0xb102e308, v26
	v_sub_f32_e32 v26, v30, v29
	v_sub_f32_e32 v26, v27, v26
	v_add_f32_e32 v27, v32, v34
	v_sub_f32_e32 v29, v27, v32
	v_ldexp_f32 v32, v30, 1
	v_mul_f32_e32 v30, v30, v31
	v_mul_f32_e32 v30, v30, v33
	v_add_f32_e32 v31, v32, v30
	v_sub_f32_e32 v32, v31, v32
	v_ldexp_f32 v26, v26, 1
	v_sub_f32_e32 v30, v30, v32
	v_add_f32_e32 v26, v26, v30
	v_add_f32_e32 v30, v31, v26
	v_sub_f32_e32 v31, v30, v31
	v_sub_f32_e32 v26, v26, v31
	v_add_f32_e32 v31, v27, v30
	v_sub_f32_e32 v32, v31, v27
	v_sub_f32_e32 v33, v31, v32
	;; [unrolled: 1-line block ×5, first 2 shown]
	v_add_f32_e32 v27, v30, v27
	v_add_f32_e32 v30, v29, v26
	v_sub_f32_e32 v32, v30, v29
	v_sub_f32_e32 v33, v30, v32
	;; [unrolled: 1-line block ×4, first 2 shown]
	v_add_f32_e32 v27, v30, v27
	v_add_f32_e32 v26, v26, v29
	v_add_f32_e32 v29, v31, v27
	v_sub_f32_e32 v30, v29, v31
	v_sub_f32_e32 v27, v27, v30
	v_add_f32_e32 v26, v26, v27
	v_add_f32_e32 v26, v29, v26
	v_cmp_neq_f32_e64 s[22:23], s27, v18
	v_cndmask_b32_e64 v26, v28, v26, s[22:23]
	s_mov_b32 s22, 0x33800000
	v_cmp_lt_f32_e64 s[22:23], |v18|, s22
	v_cndmask_b32_e64 v18, v26, v18, s[22:23]
	v_add_f32_e32 v6, v6, v18
	v_cvt_f16_f32_e32 v18, v6
	v_cvt_f32_f16_e32 v32, v18
.LBB355_292:
	s_or_b64 exec, exec, s[24:25]
	v_cvt_f32_f16_e32 v6, v7
	v_max_f32_e32 v26, v32, v32
	v_cmp_u_f16_e64 s[24:25], v18, v18
	v_cmp_u_f16_e64 s[22:23], v7, v7
	v_min_f32_e32 v27, v26, v6
	v_max_f32_e32 v26, v26, v6
	v_cndmask_b32_e64 v27, v27, v32, s[24:25]
	v_cndmask_b32_e64 v26, v26, v32, s[24:25]
	v_cndmask_b32_e64 v27, v27, v6, s[22:23]
	v_cndmask_b32_e64 v26, v26, v6, s[22:23]
	v_cmp_neq_f32_e64 s[24:25], v27, v26
	v_cmp_class_f32_e64 s[26:27], v27, s26
	s_or_b64 s[24:25], s[24:25], s[26:27]
	s_and_saveexec_b64 s[26:27], s[24:25]
	s_cbranch_execz .LBB355_294
; %bb.293:
	v_sub_f32_e32 v18, v27, v26
	s_mov_b32 s24, 0x3fb8aa3b
	v_mul_f32_e32 v27, 0x3fb8aa3b, v18
	v_fma_f32 v28, v18, s24, -v27
	v_rndne_f32_e32 v29, v27
	v_fmac_f32_e32 v28, 0x32a5705f, v18
	v_sub_f32_e32 v27, v27, v29
	v_add_f32_e32 v27, v27, v28
	v_exp_f32_e32 v27, v27
	v_cvt_i32_f32_e32 v28, v29
	s_mov_b32 s24, 0xc2ce8ed0
	v_cmp_ngt_f32_e64 s[24:25], s24, v18
	v_mov_b32_e32 v29, 0x7f800000
	v_ldexp_f32 v27, v27, v28
	v_cndmask_b32_e64 v27, 0, v27, s[24:25]
	s_mov_b32 s24, 0x42b17218
	v_cmp_nlt_f32_e64 s[24:25], s24, v18
	v_cndmask_b32_e64 v18, v29, v27, s[24:25]
	v_add_f32_e32 v30, 1.0, v18
	v_cvt_f64_f32_e32 v[27:28], v30
	v_add_f32_e32 v31, -1.0, v30
	v_sub_f32_e32 v32, v31, v30
	v_sub_f32_e32 v31, v18, v31
	v_frexp_exp_i32_f64_e32 v27, v[27:28]
	v_add_f32_e32 v28, 1.0, v32
	v_add_f32_e32 v28, v31, v28
	v_frexp_mant_f32_e32 v31, v30
	s_mov_b32 s24, 0x3f2aaaab
	v_cmp_gt_f32_e64 s[24:25], s24, v31
	s_mov_b32 s28, 0x7f800000
	v_subbrev_co_u32_e64 v27, s[24:25], 0, v27, s[24:25]
	v_sub_u32_e32 v31, 0, v27
	v_ldexp_f32 v30, v30, v31
	v_ldexp_f32 v28, v28, v31
	v_add_f32_e32 v31, -1.0, v30
	v_add_f32_e32 v34, 1.0, v30
	v_add_f32_e32 v32, 1.0, v31
	v_add_f32_e32 v35, -1.0, v34
	v_sub_f32_e32 v32, v30, v32
	v_sub_f32_e32 v30, v30, v35
	v_add_f32_e32 v32, v28, v32
	v_add_f32_e32 v28, v28, v30
	;; [unrolled: 1-line block ×3, first 2 shown]
	v_rcp_f32_e32 v35, v30
	v_add_f32_e32 v33, v31, v32
	v_sub_f32_e32 v31, v31, v33
	v_add_f32_e32 v31, v32, v31
	v_sub_f32_e32 v32, v34, v30
	v_add_f32_e32 v28, v28, v32
	v_mul_f32_e32 v32, v33, v35
	v_mul_f32_e32 v34, v30, v32
	v_fma_f32 v36, v32, v30, -v34
	v_fmac_f32_e32 v36, v32, v28
	v_add_f32_e32 v37, v34, v36
	v_sub_f32_e32 v38, v33, v37
	v_sub_f32_e32 v33, v33, v38
	;; [unrolled: 1-line block ×4, first 2 shown]
	v_add_f32_e32 v31, v31, v33
	v_sub_f32_e32 v33, v34, v36
	v_add_f32_e32 v31, v33, v31
	v_add_f32_e32 v33, v38, v31
	v_mul_f32_e32 v34, v35, v33
	v_mul_f32_e32 v36, v30, v34
	v_fma_f32 v30, v34, v30, -v36
	v_fmac_f32_e32 v30, v34, v28
	v_sub_f32_e32 v28, v38, v33
	v_add_f32_e32 v28, v31, v28
	v_add_f32_e32 v31, v36, v30
	v_sub_f32_e32 v37, v33, v31
	v_sub_f32_e32 v33, v33, v37
	v_sub_f32_e32 v36, v31, v36
	v_sub_f32_e32 v31, v33, v31
	v_add_f32_e32 v28, v28, v31
	v_sub_f32_e32 v30, v36, v30
	v_add_f32_e32 v28, v30, v28
	v_add_f32_e32 v30, v32, v34
	;; [unrolled: 1-line block ×3, first 2 shown]
	v_sub_f32_e32 v31, v30, v32
	v_mul_f32_e32 v28, v35, v28
	v_sub_f32_e32 v31, v34, v31
	v_add_f32_e32 v28, v31, v28
	v_cvt_f32_i32_e32 v27, v27
	v_add_f32_e32 v31, v30, v28
	v_mul_f32_e32 v32, v31, v31
	v_mov_b32_e32 v33, 0x3ecc95a3
	v_fmac_f32_e32 v33, 0x3e9b6dac, v32
	v_mov_b32_e32 v34, 0x3f2aaada
	v_fmac_f32_e32 v34, v32, v33
	s_mov_b32 s24, 0x3f317218
	v_mul_f32_e32 v33, 0x3f317218, v27
	v_fma_f32 v35, v27, s24, -v33
	v_fmac_f32_e32 v35, 0xb102e308, v27
	v_sub_f32_e32 v27, v31, v30
	v_sub_f32_e32 v27, v28, v27
	v_add_f32_e32 v28, v33, v35
	v_sub_f32_e32 v30, v28, v33
	v_ldexp_f32 v33, v31, 1
	v_mul_f32_e32 v31, v31, v32
	v_mul_f32_e32 v31, v31, v34
	v_add_f32_e32 v32, v33, v31
	v_sub_f32_e32 v33, v32, v33
	v_ldexp_f32 v27, v27, 1
	v_sub_f32_e32 v31, v31, v33
	v_add_f32_e32 v27, v27, v31
	v_add_f32_e32 v31, v32, v27
	v_sub_f32_e32 v32, v31, v32
	v_sub_f32_e32 v27, v27, v32
	v_add_f32_e32 v32, v28, v31
	v_sub_f32_e32 v33, v32, v28
	v_sub_f32_e32 v34, v32, v33
	;; [unrolled: 1-line block ×5, first 2 shown]
	v_add_f32_e32 v28, v31, v28
	v_add_f32_e32 v31, v30, v27
	v_sub_f32_e32 v33, v31, v30
	v_sub_f32_e32 v34, v31, v33
	;; [unrolled: 1-line block ×4, first 2 shown]
	v_add_f32_e32 v28, v31, v28
	v_add_f32_e32 v27, v27, v30
	;; [unrolled: 1-line block ×3, first 2 shown]
	v_sub_f32_e32 v31, v30, v32
	v_sub_f32_e32 v28, v28, v31
	v_add_f32_e32 v27, v27, v28
	v_add_f32_e32 v27, v30, v27
	v_cmp_neq_f32_e64 s[24:25], s28, v18
	v_cndmask_b32_e64 v27, v29, v27, s[24:25]
	s_mov_b32 s24, 0x33800000
	v_cmp_lt_f32_e64 s[24:25], |v18|, s24
	v_cndmask_b32_e64 v18, v27, v18, s[24:25]
	v_add_f32_e32 v18, v26, v18
	v_cvt_f16_f32_e32 v18, v18
	v_cvt_f32_f16_e32 v32, v18
.LBB355_294:
	s_or_b64 exec, exec, s[26:27]
	v_cvt_f32_f16_sdwa v26, v7 dst_sel:DWORD dst_unused:UNUSED_PAD src0_sel:WORD_1
	v_max_f32_e32 v28, v32, v32
	v_cmp_u_f16_e64 s[26:27], v18, v18
	v_cmp_u_f16_sdwa s[24:25], v7, v7 src0_sel:WORD_1 src1_sel:WORD_1
	v_min_f32_e32 v27, v28, v26
	v_max_f32_e32 v7, v28, v26
	v_cndmask_b32_e64 v27, v27, v32, s[26:27]
	v_cndmask_b32_e64 v7, v7, v32, s[26:27]
	;; [unrolled: 1-line block ×4, first 2 shown]
	s_movk_i32 s30, 0x1f8
	v_cmp_neq_f32_e64 s[26:27], v27, v7
	v_cmp_class_f32_e64 s[28:29], v27, s30
	s_or_b64 s[26:27], s[26:27], s[28:29]
	s_and_saveexec_b64 s[28:29], s[26:27]
	s_cbranch_execz .LBB355_296
; %bb.295:
	v_sub_f32_e32 v18, v27, v7
	s_mov_b32 s26, 0x3fb8aa3b
	v_mul_f32_e32 v27, 0x3fb8aa3b, v18
	v_fma_f32 v28, v18, s26, -v27
	v_rndne_f32_e32 v29, v27
	v_fmac_f32_e32 v28, 0x32a5705f, v18
	v_sub_f32_e32 v27, v27, v29
	v_add_f32_e32 v27, v27, v28
	v_exp_f32_e32 v27, v27
	v_cvt_i32_f32_e32 v28, v29
	s_mov_b32 s26, 0xc2ce8ed0
	v_cmp_ngt_f32_e64 s[26:27], s26, v18
	v_mov_b32_e32 v29, 0x7f800000
	v_ldexp_f32 v27, v27, v28
	v_cndmask_b32_e64 v27, 0, v27, s[26:27]
	s_mov_b32 s26, 0x42b17218
	v_cmp_nlt_f32_e64 s[26:27], s26, v18
	v_cndmask_b32_e64 v18, v29, v27, s[26:27]
	v_add_f32_e32 v30, 1.0, v18
	v_cvt_f64_f32_e32 v[27:28], v30
	v_add_f32_e32 v31, -1.0, v30
	v_sub_f32_e32 v32, v31, v30
	v_sub_f32_e32 v31, v18, v31
	v_frexp_exp_i32_f64_e32 v27, v[27:28]
	v_add_f32_e32 v28, 1.0, v32
	v_add_f32_e32 v28, v31, v28
	v_frexp_mant_f32_e32 v31, v30
	s_mov_b32 s26, 0x3f2aaaab
	v_cmp_gt_f32_e64 s[26:27], s26, v31
	s_mov_b32 s31, 0x7f800000
	v_subbrev_co_u32_e64 v27, s[26:27], 0, v27, s[26:27]
	v_sub_u32_e32 v31, 0, v27
	v_ldexp_f32 v30, v30, v31
	v_ldexp_f32 v28, v28, v31
	v_add_f32_e32 v31, -1.0, v30
	v_add_f32_e32 v34, 1.0, v30
	v_add_f32_e32 v32, 1.0, v31
	v_add_f32_e32 v35, -1.0, v34
	v_sub_f32_e32 v32, v30, v32
	v_sub_f32_e32 v30, v30, v35
	v_add_f32_e32 v32, v28, v32
	v_add_f32_e32 v28, v28, v30
	;; [unrolled: 1-line block ×3, first 2 shown]
	v_rcp_f32_e32 v35, v30
	v_add_f32_e32 v33, v31, v32
	v_sub_f32_e32 v31, v31, v33
	v_add_f32_e32 v31, v32, v31
	v_sub_f32_e32 v32, v34, v30
	v_add_f32_e32 v28, v28, v32
	v_mul_f32_e32 v32, v33, v35
	v_mul_f32_e32 v34, v30, v32
	v_fma_f32 v36, v32, v30, -v34
	v_fmac_f32_e32 v36, v32, v28
	v_add_f32_e32 v37, v34, v36
	v_sub_f32_e32 v38, v33, v37
	v_sub_f32_e32 v33, v33, v38
	;; [unrolled: 1-line block ×4, first 2 shown]
	v_add_f32_e32 v31, v31, v33
	v_sub_f32_e32 v33, v34, v36
	v_add_f32_e32 v31, v33, v31
	v_add_f32_e32 v33, v38, v31
	v_mul_f32_e32 v34, v35, v33
	v_mul_f32_e32 v36, v30, v34
	v_fma_f32 v30, v34, v30, -v36
	v_fmac_f32_e32 v30, v34, v28
	v_sub_f32_e32 v28, v38, v33
	v_add_f32_e32 v28, v31, v28
	v_add_f32_e32 v31, v36, v30
	v_sub_f32_e32 v37, v33, v31
	v_sub_f32_e32 v33, v33, v37
	v_sub_f32_e32 v36, v31, v36
	v_sub_f32_e32 v31, v33, v31
	v_add_f32_e32 v28, v28, v31
	v_sub_f32_e32 v30, v36, v30
	v_add_f32_e32 v28, v30, v28
	v_add_f32_e32 v30, v32, v34
	;; [unrolled: 1-line block ×3, first 2 shown]
	v_sub_f32_e32 v31, v30, v32
	v_mul_f32_e32 v28, v35, v28
	v_sub_f32_e32 v31, v34, v31
	v_add_f32_e32 v28, v31, v28
	v_cvt_f32_i32_e32 v27, v27
	v_add_f32_e32 v31, v30, v28
	v_mul_f32_e32 v32, v31, v31
	v_mov_b32_e32 v33, 0x3ecc95a3
	v_fmac_f32_e32 v33, 0x3e9b6dac, v32
	v_mov_b32_e32 v34, 0x3f2aaada
	v_fmac_f32_e32 v34, v32, v33
	s_mov_b32 s26, 0x3f317218
	v_mul_f32_e32 v33, 0x3f317218, v27
	v_fma_f32 v35, v27, s26, -v33
	v_fmac_f32_e32 v35, 0xb102e308, v27
	v_sub_f32_e32 v27, v31, v30
	v_sub_f32_e32 v27, v28, v27
	v_add_f32_e32 v28, v33, v35
	v_sub_f32_e32 v30, v28, v33
	v_ldexp_f32 v33, v31, 1
	v_mul_f32_e32 v31, v31, v32
	v_mul_f32_e32 v31, v31, v34
	v_add_f32_e32 v32, v33, v31
	v_sub_f32_e32 v33, v32, v33
	v_ldexp_f32 v27, v27, 1
	v_sub_f32_e32 v31, v31, v33
	v_add_f32_e32 v27, v27, v31
	v_add_f32_e32 v31, v32, v27
	v_sub_f32_e32 v32, v31, v32
	v_sub_f32_e32 v27, v27, v32
	v_add_f32_e32 v32, v28, v31
	v_sub_f32_e32 v33, v32, v28
	v_sub_f32_e32 v34, v32, v33
	;; [unrolled: 1-line block ×5, first 2 shown]
	v_add_f32_e32 v28, v31, v28
	v_add_f32_e32 v31, v30, v27
	v_sub_f32_e32 v33, v31, v30
	v_sub_f32_e32 v34, v31, v33
	;; [unrolled: 1-line block ×4, first 2 shown]
	v_add_f32_e32 v28, v31, v28
	v_add_f32_e32 v27, v27, v30
	;; [unrolled: 1-line block ×3, first 2 shown]
	v_sub_f32_e32 v31, v30, v32
	v_sub_f32_e32 v28, v28, v31
	v_add_f32_e32 v27, v27, v28
	v_add_f32_e32 v27, v30, v27
	v_cmp_neq_f32_e64 s[26:27], s31, v18
	v_cndmask_b32_e64 v27, v29, v27, s[26:27]
	s_mov_b32 s26, 0x33800000
	v_cmp_lt_f32_e64 s[26:27], |v18|, s26
	v_cndmask_b32_e64 v18, v27, v18, s[26:27]
	v_add_f32_e32 v7, v7, v18
	v_cvt_f16_f32_e32 v18, v7
	v_cvt_f32_f16_e32 v32, v18
.LBB355_296:
	s_or_b64 exec, exec, s[28:29]
	v_cvt_f32_f16_e32 v7, v8
	v_max_f32_e32 v27, v32, v32
	v_cmp_u_f16_e64 s[28:29], v18, v18
	v_cmp_u_f16_e64 s[26:27], v8, v8
	v_min_f32_e32 v28, v27, v7
	v_max_f32_e32 v27, v27, v7
	v_cndmask_b32_e64 v28, v28, v32, s[28:29]
	v_cndmask_b32_e64 v27, v27, v32, s[28:29]
	v_cndmask_b32_e64 v28, v28, v7, s[26:27]
	v_cndmask_b32_e64 v27, v27, v7, s[26:27]
	v_cmp_neq_f32_e64 s[28:29], v28, v27
	v_cmp_class_f32_e64 s[30:31], v28, s30
	s_or_b64 s[28:29], s[28:29], s[30:31]
	s_and_saveexec_b64 s[30:31], s[28:29]
	s_cbranch_execz .LBB355_298
; %bb.297:
	v_sub_f32_e32 v18, v28, v27
	s_mov_b32 s28, 0x3fb8aa3b
	v_mul_f32_e32 v28, 0x3fb8aa3b, v18
	v_fma_f32 v29, v18, s28, -v28
	v_rndne_f32_e32 v30, v28
	v_fmac_f32_e32 v29, 0x32a5705f, v18
	v_sub_f32_e32 v28, v28, v30
	v_add_f32_e32 v28, v28, v29
	v_exp_f32_e32 v28, v28
	v_cvt_i32_f32_e32 v29, v30
	s_mov_b32 s28, 0xc2ce8ed0
	v_cmp_ngt_f32_e64 s[28:29], s28, v18
	v_mov_b32_e32 v30, 0x7f800000
	v_ldexp_f32 v28, v28, v29
	v_cndmask_b32_e64 v28, 0, v28, s[28:29]
	s_mov_b32 s28, 0x42b17218
	v_cmp_nlt_f32_e64 s[28:29], s28, v18
	v_cndmask_b32_e64 v18, v30, v28, s[28:29]
	v_add_f32_e32 v31, 1.0, v18
	v_cvt_f64_f32_e32 v[28:29], v31
	v_add_f32_e32 v32, -1.0, v31
	v_sub_f32_e32 v33, v32, v31
	v_sub_f32_e32 v32, v18, v32
	v_frexp_exp_i32_f64_e32 v28, v[28:29]
	v_add_f32_e32 v29, 1.0, v33
	v_add_f32_e32 v29, v32, v29
	v_frexp_mant_f32_e32 v32, v31
	s_mov_b32 s28, 0x3f2aaaab
	v_cmp_gt_f32_e64 s[28:29], s28, v32
	s_mov_b32 s34, 0x7f800000
	v_subbrev_co_u32_e64 v28, s[28:29], 0, v28, s[28:29]
	v_sub_u32_e32 v32, 0, v28
	v_ldexp_f32 v31, v31, v32
	v_ldexp_f32 v29, v29, v32
	v_add_f32_e32 v32, -1.0, v31
	v_add_f32_e32 v35, 1.0, v31
	v_add_f32_e32 v33, 1.0, v32
	v_add_f32_e32 v36, -1.0, v35
	v_sub_f32_e32 v33, v31, v33
	v_sub_f32_e32 v31, v31, v36
	v_add_f32_e32 v33, v29, v33
	v_add_f32_e32 v29, v29, v31
	;; [unrolled: 1-line block ×3, first 2 shown]
	v_rcp_f32_e32 v36, v31
	v_add_f32_e32 v34, v32, v33
	v_sub_f32_e32 v32, v32, v34
	v_add_f32_e32 v32, v33, v32
	v_sub_f32_e32 v33, v35, v31
	v_add_f32_e32 v29, v29, v33
	v_mul_f32_e32 v33, v34, v36
	v_mul_f32_e32 v35, v31, v33
	v_fma_f32 v37, v33, v31, -v35
	v_fmac_f32_e32 v37, v33, v29
	v_add_f32_e32 v38, v35, v37
	v_sub_f32_e32 v39, v34, v38
	v_sub_f32_e32 v34, v34, v39
	;; [unrolled: 1-line block ×4, first 2 shown]
	v_add_f32_e32 v32, v32, v34
	v_sub_f32_e32 v34, v35, v37
	v_add_f32_e32 v32, v34, v32
	v_add_f32_e32 v34, v39, v32
	v_mul_f32_e32 v35, v36, v34
	v_mul_f32_e32 v37, v31, v35
	v_fma_f32 v31, v35, v31, -v37
	v_fmac_f32_e32 v31, v35, v29
	v_sub_f32_e32 v29, v39, v34
	v_add_f32_e32 v29, v32, v29
	v_add_f32_e32 v32, v37, v31
	v_sub_f32_e32 v38, v34, v32
	v_sub_f32_e32 v34, v34, v38
	v_sub_f32_e32 v37, v32, v37
	v_sub_f32_e32 v32, v34, v32
	v_add_f32_e32 v29, v29, v32
	v_sub_f32_e32 v31, v37, v31
	v_add_f32_e32 v29, v31, v29
	v_add_f32_e32 v31, v33, v35
	;; [unrolled: 1-line block ×3, first 2 shown]
	v_sub_f32_e32 v32, v31, v33
	v_mul_f32_e32 v29, v36, v29
	v_sub_f32_e32 v32, v35, v32
	v_add_f32_e32 v29, v32, v29
	v_cvt_f32_i32_e32 v28, v28
	v_add_f32_e32 v32, v31, v29
	v_mul_f32_e32 v33, v32, v32
	v_mov_b32_e32 v34, 0x3ecc95a3
	v_fmac_f32_e32 v34, 0x3e9b6dac, v33
	v_mov_b32_e32 v35, 0x3f2aaada
	v_fmac_f32_e32 v35, v33, v34
	s_mov_b32 s28, 0x3f317218
	v_mul_f32_e32 v34, 0x3f317218, v28
	v_fma_f32 v36, v28, s28, -v34
	v_fmac_f32_e32 v36, 0xb102e308, v28
	v_sub_f32_e32 v28, v32, v31
	v_sub_f32_e32 v28, v29, v28
	v_add_f32_e32 v29, v34, v36
	v_sub_f32_e32 v31, v29, v34
	v_ldexp_f32 v34, v32, 1
	v_mul_f32_e32 v32, v32, v33
	v_mul_f32_e32 v32, v32, v35
	v_add_f32_e32 v33, v34, v32
	v_sub_f32_e32 v34, v33, v34
	v_ldexp_f32 v28, v28, 1
	v_sub_f32_e32 v32, v32, v34
	v_add_f32_e32 v28, v28, v32
	v_add_f32_e32 v32, v33, v28
	v_sub_f32_e32 v33, v32, v33
	v_sub_f32_e32 v28, v28, v33
	v_add_f32_e32 v33, v29, v32
	v_sub_f32_e32 v34, v33, v29
	v_sub_f32_e32 v35, v33, v34
	;; [unrolled: 1-line block ×5, first 2 shown]
	v_add_f32_e32 v29, v32, v29
	v_add_f32_e32 v32, v31, v28
	v_sub_f32_e32 v34, v32, v31
	v_sub_f32_e32 v35, v32, v34
	;; [unrolled: 1-line block ×4, first 2 shown]
	v_add_f32_e32 v29, v32, v29
	v_add_f32_e32 v28, v28, v31
	;; [unrolled: 1-line block ×3, first 2 shown]
	v_sub_f32_e32 v32, v31, v33
	v_sub_f32_e32 v29, v29, v32
	v_add_f32_e32 v28, v28, v29
	v_add_f32_e32 v28, v31, v28
	v_cmp_neq_f32_e64 s[28:29], s34, v18
	v_cndmask_b32_e64 v28, v30, v28, s[28:29]
	s_mov_b32 s28, 0x33800000
	v_cmp_lt_f32_e64 s[28:29], |v18|, s28
	v_cndmask_b32_e64 v18, v28, v18, s[28:29]
	v_add_f32_e32 v18, v27, v18
	v_cvt_f16_f32_e32 v18, v18
	v_cvt_f32_f16_e32 v32, v18
.LBB355_298:
	s_or_b64 exec, exec, s[30:31]
	v_cvt_f32_f16_sdwa v27, v8 dst_sel:DWORD dst_unused:UNUSED_PAD src0_sel:WORD_1
	v_max_f32_e32 v29, v32, v32
	v_cmp_u_f16_e64 s[30:31], v18, v18
	v_cmp_u_f16_sdwa s[28:29], v8, v8 src0_sel:WORD_1 src1_sel:WORD_1
	v_min_f32_e32 v28, v29, v27
	v_max_f32_e32 v8, v29, v27
	v_cndmask_b32_e64 v28, v28, v32, s[30:31]
	v_cndmask_b32_e64 v8, v8, v32, s[30:31]
	;; [unrolled: 1-line block ×4, first 2 shown]
	s_movk_i32 s36, 0x1f8
	v_cmp_neq_f32_e64 s[30:31], v28, v8
	v_cmp_class_f32_e64 s[34:35], v28, s36
	s_or_b64 s[30:31], s[30:31], s[34:35]
	s_and_saveexec_b64 s[34:35], s[30:31]
	s_cbranch_execz .LBB355_300
; %bb.299:
	v_sub_f32_e32 v18, v28, v8
	s_mov_b32 s30, 0x3fb8aa3b
	v_mul_f32_e32 v28, 0x3fb8aa3b, v18
	v_fma_f32 v29, v18, s30, -v28
	v_rndne_f32_e32 v30, v28
	v_fmac_f32_e32 v29, 0x32a5705f, v18
	v_sub_f32_e32 v28, v28, v30
	v_add_f32_e32 v28, v28, v29
	v_exp_f32_e32 v28, v28
	v_cvt_i32_f32_e32 v29, v30
	s_mov_b32 s30, 0xc2ce8ed0
	v_cmp_ngt_f32_e64 s[30:31], s30, v18
	v_mov_b32_e32 v30, 0x7f800000
	v_ldexp_f32 v28, v28, v29
	v_cndmask_b32_e64 v28, 0, v28, s[30:31]
	s_mov_b32 s30, 0x42b17218
	v_cmp_nlt_f32_e64 s[30:31], s30, v18
	v_cndmask_b32_e64 v18, v30, v28, s[30:31]
	v_add_f32_e32 v31, 1.0, v18
	v_cvt_f64_f32_e32 v[28:29], v31
	v_add_f32_e32 v32, -1.0, v31
	v_sub_f32_e32 v33, v32, v31
	v_sub_f32_e32 v32, v18, v32
	v_frexp_exp_i32_f64_e32 v28, v[28:29]
	v_add_f32_e32 v29, 1.0, v33
	v_add_f32_e32 v29, v32, v29
	v_frexp_mant_f32_e32 v32, v31
	s_mov_b32 s30, 0x3f2aaaab
	v_cmp_gt_f32_e64 s[30:31], s30, v32
	s_mov_b32 s37, 0x7f800000
	v_subbrev_co_u32_e64 v28, s[30:31], 0, v28, s[30:31]
	v_sub_u32_e32 v32, 0, v28
	v_ldexp_f32 v31, v31, v32
	v_ldexp_f32 v29, v29, v32
	v_add_f32_e32 v32, -1.0, v31
	v_add_f32_e32 v35, 1.0, v31
	v_add_f32_e32 v33, 1.0, v32
	v_add_f32_e32 v36, -1.0, v35
	v_sub_f32_e32 v33, v31, v33
	v_sub_f32_e32 v31, v31, v36
	v_add_f32_e32 v33, v29, v33
	v_add_f32_e32 v29, v29, v31
	;; [unrolled: 1-line block ×3, first 2 shown]
	v_rcp_f32_e32 v36, v31
	v_add_f32_e32 v34, v32, v33
	v_sub_f32_e32 v32, v32, v34
	v_add_f32_e32 v32, v33, v32
	v_sub_f32_e32 v33, v35, v31
	v_add_f32_e32 v29, v29, v33
	v_mul_f32_e32 v33, v34, v36
	v_mul_f32_e32 v35, v31, v33
	v_fma_f32 v37, v33, v31, -v35
	v_fmac_f32_e32 v37, v33, v29
	v_add_f32_e32 v38, v35, v37
	v_sub_f32_e32 v39, v34, v38
	v_sub_f32_e32 v34, v34, v39
	;; [unrolled: 1-line block ×4, first 2 shown]
	v_add_f32_e32 v32, v32, v34
	v_sub_f32_e32 v34, v35, v37
	v_add_f32_e32 v32, v34, v32
	v_add_f32_e32 v34, v39, v32
	v_mul_f32_e32 v35, v36, v34
	v_mul_f32_e32 v37, v31, v35
	v_fma_f32 v31, v35, v31, -v37
	v_fmac_f32_e32 v31, v35, v29
	v_sub_f32_e32 v29, v39, v34
	v_add_f32_e32 v29, v32, v29
	v_add_f32_e32 v32, v37, v31
	v_sub_f32_e32 v38, v34, v32
	v_sub_f32_e32 v34, v34, v38
	;; [unrolled: 1-line block ×4, first 2 shown]
	v_add_f32_e32 v29, v29, v32
	v_sub_f32_e32 v31, v37, v31
	v_add_f32_e32 v29, v31, v29
	v_add_f32_e32 v31, v33, v35
	;; [unrolled: 1-line block ×3, first 2 shown]
	v_sub_f32_e32 v32, v31, v33
	v_mul_f32_e32 v29, v36, v29
	v_sub_f32_e32 v32, v35, v32
	v_add_f32_e32 v29, v32, v29
	v_cvt_f32_i32_e32 v28, v28
	v_add_f32_e32 v32, v31, v29
	v_mul_f32_e32 v33, v32, v32
	v_mov_b32_e32 v34, 0x3ecc95a3
	v_fmac_f32_e32 v34, 0x3e9b6dac, v33
	v_mov_b32_e32 v35, 0x3f2aaada
	v_fmac_f32_e32 v35, v33, v34
	s_mov_b32 s30, 0x3f317218
	v_mul_f32_e32 v34, 0x3f317218, v28
	v_fma_f32 v36, v28, s30, -v34
	v_fmac_f32_e32 v36, 0xb102e308, v28
	v_sub_f32_e32 v28, v32, v31
	v_sub_f32_e32 v28, v29, v28
	v_add_f32_e32 v29, v34, v36
	v_sub_f32_e32 v31, v29, v34
	v_ldexp_f32 v34, v32, 1
	v_mul_f32_e32 v32, v32, v33
	v_mul_f32_e32 v32, v32, v35
	v_add_f32_e32 v33, v34, v32
	v_sub_f32_e32 v34, v33, v34
	v_ldexp_f32 v28, v28, 1
	v_sub_f32_e32 v32, v32, v34
	v_add_f32_e32 v28, v28, v32
	v_add_f32_e32 v32, v33, v28
	v_sub_f32_e32 v33, v32, v33
	v_sub_f32_e32 v28, v28, v33
	v_add_f32_e32 v33, v29, v32
	v_sub_f32_e32 v34, v33, v29
	v_sub_f32_e32 v35, v33, v34
	;; [unrolled: 1-line block ×5, first 2 shown]
	v_add_f32_e32 v29, v32, v29
	v_add_f32_e32 v32, v31, v28
	v_sub_f32_e32 v34, v32, v31
	v_sub_f32_e32 v35, v32, v34
	;; [unrolled: 1-line block ×4, first 2 shown]
	v_add_f32_e32 v29, v32, v29
	v_add_f32_e32 v28, v28, v31
	;; [unrolled: 1-line block ×3, first 2 shown]
	v_sub_f32_e32 v32, v31, v33
	v_sub_f32_e32 v29, v29, v32
	v_add_f32_e32 v28, v28, v29
	v_add_f32_e32 v28, v31, v28
	v_cmp_neq_f32_e64 s[30:31], s37, v18
	v_cndmask_b32_e64 v28, v30, v28, s[30:31]
	s_mov_b32 s30, 0x33800000
	v_cmp_lt_f32_e64 s[30:31], |v18|, s30
	v_cndmask_b32_e64 v18, v28, v18, s[30:31]
	v_add_f32_e32 v8, v8, v18
	v_cvt_f16_f32_e32 v18, v8
	v_cvt_f32_f16_e32 v32, v18
.LBB355_300:
	s_or_b64 exec, exec, s[34:35]
	v_cvt_f32_f16_e32 v8, v1
	v_max_f32_e32 v28, v32, v32
	v_cmp_u_f16_e64 s[34:35], v18, v18
	v_cmp_u_f16_e64 s[30:31], v1, v1
	v_min_f32_e32 v29, v28, v8
	v_max_f32_e32 v28, v28, v8
	v_cndmask_b32_e64 v29, v29, v32, s[34:35]
	v_cndmask_b32_e64 v28, v28, v32, s[34:35]
	;; [unrolled: 1-line block ×4, first 2 shown]
	v_cmp_neq_f32_e64 s[34:35], v29, v28
	v_cmp_class_f32_e64 s[36:37], v29, s36
	s_or_b64 s[34:35], s[34:35], s[36:37]
	s_and_saveexec_b64 s[36:37], s[34:35]
	s_cbranch_execz .LBB355_302
; %bb.301:
	v_sub_f32_e32 v18, v29, v28
	s_mov_b32 s34, 0x3fb8aa3b
	v_mul_f32_e32 v29, 0x3fb8aa3b, v18
	v_fma_f32 v30, v18, s34, -v29
	v_rndne_f32_e32 v31, v29
	v_fmac_f32_e32 v30, 0x32a5705f, v18
	v_sub_f32_e32 v29, v29, v31
	v_add_f32_e32 v29, v29, v30
	v_exp_f32_e32 v29, v29
	v_cvt_i32_f32_e32 v30, v31
	s_mov_b32 s34, 0xc2ce8ed0
	v_cmp_ngt_f32_e64 s[34:35], s34, v18
	v_mov_b32_e32 v31, 0x7f800000
	v_ldexp_f32 v29, v29, v30
	v_cndmask_b32_e64 v29, 0, v29, s[34:35]
	s_mov_b32 s34, 0x42b17218
	v_cmp_nlt_f32_e64 s[34:35], s34, v18
	v_cndmask_b32_e64 v18, v31, v29, s[34:35]
	v_add_f32_e32 v32, 1.0, v18
	v_cvt_f64_f32_e32 v[29:30], v32
	v_add_f32_e32 v33, -1.0, v32
	v_sub_f32_e32 v34, v33, v32
	v_sub_f32_e32 v33, v18, v33
	v_frexp_exp_i32_f64_e32 v29, v[29:30]
	v_add_f32_e32 v30, 1.0, v34
	v_add_f32_e32 v30, v33, v30
	v_frexp_mant_f32_e32 v33, v32
	s_mov_b32 s34, 0x3f2aaaab
	v_cmp_gt_f32_e64 s[34:35], s34, v33
	s_mov_b32 s38, 0x7f800000
	v_subbrev_co_u32_e64 v29, s[34:35], 0, v29, s[34:35]
	v_sub_u32_e32 v33, 0, v29
	v_ldexp_f32 v32, v32, v33
	v_ldexp_f32 v30, v30, v33
	v_add_f32_e32 v33, -1.0, v32
	v_add_f32_e32 v36, 1.0, v32
	v_add_f32_e32 v34, 1.0, v33
	v_add_f32_e32 v37, -1.0, v36
	v_sub_f32_e32 v34, v32, v34
	v_sub_f32_e32 v32, v32, v37
	v_add_f32_e32 v34, v30, v34
	v_add_f32_e32 v30, v30, v32
	;; [unrolled: 1-line block ×3, first 2 shown]
	v_rcp_f32_e32 v37, v32
	v_add_f32_e32 v35, v33, v34
	v_sub_f32_e32 v33, v33, v35
	v_add_f32_e32 v33, v34, v33
	v_sub_f32_e32 v34, v36, v32
	v_add_f32_e32 v30, v30, v34
	v_mul_f32_e32 v34, v35, v37
	v_mul_f32_e32 v36, v32, v34
	v_fma_f32 v38, v34, v32, -v36
	v_fmac_f32_e32 v38, v34, v30
	v_add_f32_e32 v39, v36, v38
	v_sub_f32_e32 v40, v35, v39
	v_sub_f32_e32 v35, v35, v40
	;; [unrolled: 1-line block ×4, first 2 shown]
	v_add_f32_e32 v33, v33, v35
	v_sub_f32_e32 v35, v36, v38
	v_add_f32_e32 v33, v35, v33
	v_add_f32_e32 v35, v40, v33
	v_mul_f32_e32 v36, v37, v35
	v_mul_f32_e32 v38, v32, v36
	v_fma_f32 v32, v36, v32, -v38
	v_fmac_f32_e32 v32, v36, v30
	v_sub_f32_e32 v30, v40, v35
	v_add_f32_e32 v30, v33, v30
	v_add_f32_e32 v33, v38, v32
	v_sub_f32_e32 v39, v35, v33
	v_sub_f32_e32 v35, v35, v39
	;; [unrolled: 1-line block ×4, first 2 shown]
	v_add_f32_e32 v30, v30, v33
	v_sub_f32_e32 v32, v38, v32
	v_add_f32_e32 v30, v32, v30
	v_add_f32_e32 v32, v34, v36
	;; [unrolled: 1-line block ×3, first 2 shown]
	v_sub_f32_e32 v33, v32, v34
	v_mul_f32_e32 v30, v37, v30
	v_sub_f32_e32 v33, v36, v33
	v_add_f32_e32 v30, v33, v30
	v_cvt_f32_i32_e32 v29, v29
	v_add_f32_e32 v33, v32, v30
	v_mul_f32_e32 v34, v33, v33
	v_mov_b32_e32 v35, 0x3ecc95a3
	v_fmac_f32_e32 v35, 0x3e9b6dac, v34
	v_mov_b32_e32 v36, 0x3f2aaada
	v_fmac_f32_e32 v36, v34, v35
	s_mov_b32 s34, 0x3f317218
	v_mul_f32_e32 v35, 0x3f317218, v29
	v_fma_f32 v37, v29, s34, -v35
	v_fmac_f32_e32 v37, 0xb102e308, v29
	v_sub_f32_e32 v29, v33, v32
	v_sub_f32_e32 v29, v30, v29
	v_add_f32_e32 v30, v35, v37
	v_sub_f32_e32 v32, v30, v35
	v_ldexp_f32 v35, v33, 1
	v_mul_f32_e32 v33, v33, v34
	v_mul_f32_e32 v33, v33, v36
	v_add_f32_e32 v34, v35, v33
	v_sub_f32_e32 v35, v34, v35
	v_ldexp_f32 v29, v29, 1
	v_sub_f32_e32 v33, v33, v35
	v_add_f32_e32 v29, v29, v33
	v_add_f32_e32 v33, v34, v29
	v_sub_f32_e32 v34, v33, v34
	v_sub_f32_e32 v29, v29, v34
	v_add_f32_e32 v34, v30, v33
	v_sub_f32_e32 v35, v34, v30
	v_sub_f32_e32 v36, v34, v35
	;; [unrolled: 1-line block ×5, first 2 shown]
	v_add_f32_e32 v30, v33, v30
	v_add_f32_e32 v33, v32, v29
	v_sub_f32_e32 v35, v33, v32
	v_sub_f32_e32 v36, v33, v35
	;; [unrolled: 1-line block ×4, first 2 shown]
	v_add_f32_e32 v30, v33, v30
	v_add_f32_e32 v29, v29, v32
	;; [unrolled: 1-line block ×3, first 2 shown]
	v_sub_f32_e32 v33, v32, v34
	v_sub_f32_e32 v30, v30, v33
	v_add_f32_e32 v29, v29, v30
	v_add_f32_e32 v29, v32, v29
	v_cmp_neq_f32_e64 s[34:35], s38, v18
	v_cndmask_b32_e64 v29, v31, v29, s[34:35]
	s_mov_b32 s34, 0x33800000
	v_cmp_lt_f32_e64 s[34:35], |v18|, s34
	v_cndmask_b32_e64 v18, v29, v18, s[34:35]
	v_add_f32_e32 v18, v28, v18
	v_cvt_f16_f32_e32 v18, v18
	v_cvt_f32_f16_e32 v32, v18
.LBB355_302:
	s_or_b64 exec, exec, s[36:37]
	v_cvt_f32_f16_sdwa v28, v1 dst_sel:DWORD dst_unused:UNUSED_PAD src0_sel:WORD_1
	v_max_f32_e32 v30, v32, v32
	v_cmp_u_f16_e64 s[36:37], v18, v18
	v_cmp_u_f16_sdwa s[34:35], v1, v1 src0_sel:WORD_1 src1_sel:WORD_1
	v_min_f32_e32 v29, v30, v28
	v_max_f32_e32 v1, v30, v28
	v_cndmask_b32_e64 v29, v29, v32, s[36:37]
	v_cndmask_b32_e64 v1, v1, v32, s[36:37]
	;; [unrolled: 1-line block ×4, first 2 shown]
	s_movk_i32 s40, 0x1f8
	v_cmp_neq_f32_e64 s[36:37], v29, v1
	v_cmp_class_f32_e64 s[38:39], v29, s40
	s_or_b64 s[36:37], s[36:37], s[38:39]
	s_and_saveexec_b64 s[38:39], s[36:37]
	s_cbranch_execz .LBB355_304
; %bb.303:
	v_sub_f32_e32 v18, v29, v1
	s_mov_b32 s36, 0x3fb8aa3b
	v_mul_f32_e32 v29, 0x3fb8aa3b, v18
	v_fma_f32 v30, v18, s36, -v29
	v_rndne_f32_e32 v31, v29
	v_fmac_f32_e32 v30, 0x32a5705f, v18
	v_sub_f32_e32 v29, v29, v31
	v_add_f32_e32 v29, v29, v30
	v_exp_f32_e32 v29, v29
	v_cvt_i32_f32_e32 v30, v31
	s_mov_b32 s36, 0xc2ce8ed0
	v_cmp_ngt_f32_e64 s[36:37], s36, v18
	v_mov_b32_e32 v31, 0x7f800000
	v_ldexp_f32 v29, v29, v30
	v_cndmask_b32_e64 v29, 0, v29, s[36:37]
	s_mov_b32 s36, 0x42b17218
	v_cmp_nlt_f32_e64 s[36:37], s36, v18
	v_cndmask_b32_e64 v18, v31, v29, s[36:37]
	v_add_f32_e32 v32, 1.0, v18
	v_cvt_f64_f32_e32 v[29:30], v32
	v_add_f32_e32 v33, -1.0, v32
	v_sub_f32_e32 v34, v33, v32
	v_sub_f32_e32 v33, v18, v33
	v_frexp_exp_i32_f64_e32 v29, v[29:30]
	v_add_f32_e32 v30, 1.0, v34
	v_add_f32_e32 v30, v33, v30
	v_frexp_mant_f32_e32 v33, v32
	s_mov_b32 s36, 0x3f2aaaab
	v_cmp_gt_f32_e64 s[36:37], s36, v33
	s_mov_b32 s41, 0x7f800000
	v_subbrev_co_u32_e64 v29, s[36:37], 0, v29, s[36:37]
	v_sub_u32_e32 v33, 0, v29
	v_ldexp_f32 v32, v32, v33
	v_ldexp_f32 v30, v30, v33
	v_add_f32_e32 v33, -1.0, v32
	v_add_f32_e32 v36, 1.0, v32
	v_add_f32_e32 v34, 1.0, v33
	v_add_f32_e32 v37, -1.0, v36
	v_sub_f32_e32 v34, v32, v34
	v_sub_f32_e32 v32, v32, v37
	v_add_f32_e32 v34, v30, v34
	v_add_f32_e32 v30, v30, v32
	;; [unrolled: 1-line block ×3, first 2 shown]
	v_rcp_f32_e32 v37, v32
	v_add_f32_e32 v35, v33, v34
	v_sub_f32_e32 v33, v33, v35
	v_add_f32_e32 v33, v34, v33
	v_sub_f32_e32 v34, v36, v32
	v_add_f32_e32 v30, v30, v34
	v_mul_f32_e32 v34, v35, v37
	v_mul_f32_e32 v36, v32, v34
	v_fma_f32 v38, v34, v32, -v36
	v_fmac_f32_e32 v38, v34, v30
	v_add_f32_e32 v39, v36, v38
	v_sub_f32_e32 v40, v35, v39
	v_sub_f32_e32 v35, v35, v40
	;; [unrolled: 1-line block ×4, first 2 shown]
	v_add_f32_e32 v33, v33, v35
	v_sub_f32_e32 v35, v36, v38
	v_add_f32_e32 v33, v35, v33
	v_add_f32_e32 v35, v40, v33
	v_mul_f32_e32 v36, v37, v35
	v_mul_f32_e32 v38, v32, v36
	v_fma_f32 v32, v36, v32, -v38
	v_fmac_f32_e32 v32, v36, v30
	v_sub_f32_e32 v30, v40, v35
	v_add_f32_e32 v30, v33, v30
	v_add_f32_e32 v33, v38, v32
	v_sub_f32_e32 v39, v35, v33
	v_sub_f32_e32 v35, v35, v39
	;; [unrolled: 1-line block ×4, first 2 shown]
	v_add_f32_e32 v30, v30, v33
	v_sub_f32_e32 v32, v38, v32
	v_add_f32_e32 v30, v32, v30
	v_add_f32_e32 v32, v34, v36
	;; [unrolled: 1-line block ×3, first 2 shown]
	v_sub_f32_e32 v33, v32, v34
	v_mul_f32_e32 v30, v37, v30
	v_sub_f32_e32 v33, v36, v33
	v_add_f32_e32 v30, v33, v30
	v_cvt_f32_i32_e32 v29, v29
	v_add_f32_e32 v33, v32, v30
	v_mul_f32_e32 v34, v33, v33
	v_mov_b32_e32 v35, 0x3ecc95a3
	v_fmac_f32_e32 v35, 0x3e9b6dac, v34
	v_mov_b32_e32 v36, 0x3f2aaada
	v_fmac_f32_e32 v36, v34, v35
	s_mov_b32 s36, 0x3f317218
	v_mul_f32_e32 v35, 0x3f317218, v29
	v_fma_f32 v37, v29, s36, -v35
	v_fmac_f32_e32 v37, 0xb102e308, v29
	v_sub_f32_e32 v29, v33, v32
	v_sub_f32_e32 v29, v30, v29
	v_add_f32_e32 v30, v35, v37
	v_sub_f32_e32 v32, v30, v35
	v_ldexp_f32 v35, v33, 1
	v_mul_f32_e32 v33, v33, v34
	v_mul_f32_e32 v33, v33, v36
	v_add_f32_e32 v34, v35, v33
	v_sub_f32_e32 v35, v34, v35
	v_ldexp_f32 v29, v29, 1
	v_sub_f32_e32 v33, v33, v35
	v_add_f32_e32 v29, v29, v33
	v_add_f32_e32 v33, v34, v29
	v_sub_f32_e32 v34, v33, v34
	v_sub_f32_e32 v29, v29, v34
	v_add_f32_e32 v34, v30, v33
	v_sub_f32_e32 v35, v34, v30
	v_sub_f32_e32 v36, v34, v35
	;; [unrolled: 1-line block ×5, first 2 shown]
	v_add_f32_e32 v30, v33, v30
	v_add_f32_e32 v33, v32, v29
	v_sub_f32_e32 v35, v33, v32
	v_sub_f32_e32 v36, v33, v35
	;; [unrolled: 1-line block ×4, first 2 shown]
	v_add_f32_e32 v30, v33, v30
	v_add_f32_e32 v29, v29, v32
	v_add_f32_e32 v32, v34, v30
	v_sub_f32_e32 v33, v32, v34
	v_sub_f32_e32 v30, v30, v33
	v_add_f32_e32 v29, v29, v30
	v_add_f32_e32 v29, v32, v29
	v_cmp_neq_f32_e64 s[36:37], s41, v18
	v_cndmask_b32_e64 v29, v31, v29, s[36:37]
	s_mov_b32 s36, 0x33800000
	v_cmp_lt_f32_e64 s[36:37], |v18|, s36
	v_cndmask_b32_e64 v18, v29, v18, s[36:37]
	v_add_f32_e32 v1, v1, v18
	v_cvt_f16_f32_e32 v18, v1
	v_cvt_f32_f16_e32 v32, v18
.LBB355_304:
	s_or_b64 exec, exec, s[38:39]
	v_cvt_f32_f16_e32 v1, v2
	v_max_f32_e32 v29, v32, v32
	v_cmp_u_f16_e64 s[38:39], v18, v18
	v_cmp_u_f16_e64 s[36:37], v2, v2
	v_min_f32_e32 v30, v29, v1
	v_max_f32_e32 v29, v29, v1
	v_cndmask_b32_e64 v30, v30, v32, s[38:39]
	v_cndmask_b32_e64 v29, v29, v32, s[38:39]
	;; [unrolled: 1-line block ×4, first 2 shown]
	v_cmp_neq_f32_e64 s[38:39], v30, v29
	v_cmp_class_f32_e64 s[40:41], v30, s40
	s_or_b64 s[38:39], s[38:39], s[40:41]
	s_and_saveexec_b64 s[40:41], s[38:39]
	s_cbranch_execz .LBB355_306
; %bb.305:
	v_sub_f32_e32 v18, v30, v29
	s_mov_b32 s38, 0x3fb8aa3b
	v_mul_f32_e32 v30, 0x3fb8aa3b, v18
	v_fma_f32 v31, v18, s38, -v30
	v_rndne_f32_e32 v32, v30
	v_fmac_f32_e32 v31, 0x32a5705f, v18
	v_sub_f32_e32 v30, v30, v32
	v_add_f32_e32 v30, v30, v31
	v_exp_f32_e32 v30, v30
	v_cvt_i32_f32_e32 v31, v32
	s_mov_b32 s38, 0xc2ce8ed0
	v_cmp_ngt_f32_e64 s[38:39], s38, v18
	v_mov_b32_e32 v32, 0x7f800000
	v_ldexp_f32 v30, v30, v31
	v_cndmask_b32_e64 v30, 0, v30, s[38:39]
	s_mov_b32 s38, 0x42b17218
	v_cmp_nlt_f32_e64 s[38:39], s38, v18
	v_cndmask_b32_e64 v18, v32, v30, s[38:39]
	v_add_f32_e32 v33, 1.0, v18
	v_cvt_f64_f32_e32 v[30:31], v33
	v_add_f32_e32 v34, -1.0, v33
	v_sub_f32_e32 v35, v34, v33
	v_sub_f32_e32 v34, v18, v34
	v_frexp_exp_i32_f64_e32 v30, v[30:31]
	v_add_f32_e32 v31, 1.0, v35
	v_add_f32_e32 v31, v34, v31
	v_frexp_mant_f32_e32 v34, v33
	s_mov_b32 s38, 0x3f2aaaab
	v_cmp_gt_f32_e64 s[38:39], s38, v34
	s_mov_b32 s42, 0x7f800000
	v_subbrev_co_u32_e64 v30, s[38:39], 0, v30, s[38:39]
	v_sub_u32_e32 v34, 0, v30
	v_ldexp_f32 v33, v33, v34
	v_ldexp_f32 v31, v31, v34
	v_add_f32_e32 v34, -1.0, v33
	v_add_f32_e32 v37, 1.0, v33
	v_add_f32_e32 v35, 1.0, v34
	v_add_f32_e32 v38, -1.0, v37
	v_sub_f32_e32 v35, v33, v35
	v_sub_f32_e32 v33, v33, v38
	v_add_f32_e32 v35, v31, v35
	v_add_f32_e32 v31, v31, v33
	;; [unrolled: 1-line block ×3, first 2 shown]
	v_rcp_f32_e32 v38, v33
	v_add_f32_e32 v36, v34, v35
	v_sub_f32_e32 v34, v34, v36
	v_add_f32_e32 v34, v35, v34
	v_sub_f32_e32 v35, v37, v33
	v_add_f32_e32 v31, v31, v35
	v_mul_f32_e32 v35, v36, v38
	v_mul_f32_e32 v37, v33, v35
	v_fma_f32 v39, v35, v33, -v37
	v_fmac_f32_e32 v39, v35, v31
	v_add_f32_e32 v40, v37, v39
	v_sub_f32_e32 v41, v36, v40
	v_sub_f32_e32 v36, v36, v41
	;; [unrolled: 1-line block ×4, first 2 shown]
	v_add_f32_e32 v34, v34, v36
	v_sub_f32_e32 v36, v37, v39
	v_add_f32_e32 v34, v36, v34
	v_add_f32_e32 v36, v41, v34
	v_mul_f32_e32 v37, v38, v36
	v_mul_f32_e32 v39, v33, v37
	v_fma_f32 v33, v37, v33, -v39
	v_fmac_f32_e32 v33, v37, v31
	v_sub_f32_e32 v31, v41, v36
	v_add_f32_e32 v31, v34, v31
	v_add_f32_e32 v34, v39, v33
	v_sub_f32_e32 v40, v36, v34
	v_sub_f32_e32 v36, v36, v40
	;; [unrolled: 1-line block ×4, first 2 shown]
	v_add_f32_e32 v31, v31, v34
	v_sub_f32_e32 v33, v39, v33
	v_add_f32_e32 v31, v33, v31
	v_add_f32_e32 v33, v35, v37
	;; [unrolled: 1-line block ×3, first 2 shown]
	v_sub_f32_e32 v34, v33, v35
	v_mul_f32_e32 v31, v38, v31
	v_sub_f32_e32 v34, v37, v34
	v_add_f32_e32 v31, v34, v31
	v_cvt_f32_i32_e32 v30, v30
	v_add_f32_e32 v34, v33, v31
	v_mul_f32_e32 v35, v34, v34
	v_mov_b32_e32 v36, 0x3ecc95a3
	v_fmac_f32_e32 v36, 0x3e9b6dac, v35
	v_mov_b32_e32 v37, 0x3f2aaada
	v_fmac_f32_e32 v37, v35, v36
	s_mov_b32 s38, 0x3f317218
	v_mul_f32_e32 v36, 0x3f317218, v30
	v_fma_f32 v38, v30, s38, -v36
	v_fmac_f32_e32 v38, 0xb102e308, v30
	v_sub_f32_e32 v30, v34, v33
	v_sub_f32_e32 v30, v31, v30
	v_add_f32_e32 v31, v36, v38
	v_sub_f32_e32 v33, v31, v36
	v_ldexp_f32 v36, v34, 1
	v_mul_f32_e32 v34, v34, v35
	v_mul_f32_e32 v34, v34, v37
	v_add_f32_e32 v35, v36, v34
	v_sub_f32_e32 v36, v35, v36
	v_ldexp_f32 v30, v30, 1
	v_sub_f32_e32 v34, v34, v36
	v_add_f32_e32 v30, v30, v34
	v_add_f32_e32 v34, v35, v30
	v_sub_f32_e32 v35, v34, v35
	v_sub_f32_e32 v30, v30, v35
	v_add_f32_e32 v35, v31, v34
	v_sub_f32_e32 v36, v35, v31
	v_sub_f32_e32 v37, v35, v36
	;; [unrolled: 1-line block ×5, first 2 shown]
	v_add_f32_e32 v31, v34, v31
	v_add_f32_e32 v34, v33, v30
	v_sub_f32_e32 v36, v34, v33
	v_sub_f32_e32 v37, v34, v36
	;; [unrolled: 1-line block ×4, first 2 shown]
	v_add_f32_e32 v31, v34, v31
	v_add_f32_e32 v30, v30, v33
	;; [unrolled: 1-line block ×3, first 2 shown]
	v_sub_f32_e32 v34, v33, v35
	v_sub_f32_e32 v31, v31, v34
	v_add_f32_e32 v30, v30, v31
	v_add_f32_e32 v30, v33, v30
	v_cmp_neq_f32_e64 s[38:39], s42, v18
	v_cndmask_b32_e64 v30, v32, v30, s[38:39]
	s_mov_b32 s38, 0x33800000
	v_cmp_lt_f32_e64 s[38:39], |v18|, s38
	v_cndmask_b32_e64 v18, v30, v18, s[38:39]
	v_add_f32_e32 v18, v29, v18
	v_cvt_f16_f32_e32 v18, v18
	v_cvt_f32_f16_e32 v32, v18
.LBB355_306:
	s_or_b64 exec, exec, s[40:41]
	v_cvt_f32_f16_sdwa v29, v2 dst_sel:DWORD dst_unused:UNUSED_PAD src0_sel:WORD_1
	v_max_f32_e32 v31, v32, v32
	v_cmp_u_f16_e64 s[40:41], v18, v18
	v_cmp_u_f16_sdwa s[38:39], v2, v2 src0_sel:WORD_1 src1_sel:WORD_1
	v_min_f32_e32 v30, v31, v29
	v_max_f32_e32 v2, v31, v29
	v_cndmask_b32_e64 v30, v30, v32, s[40:41]
	v_cndmask_b32_e64 v2, v2, v32, s[40:41]
	;; [unrolled: 1-line block ×4, first 2 shown]
	s_movk_i32 s44, 0x1f8
	v_cmp_neq_f32_e64 s[40:41], v30, v2
	v_cmp_class_f32_e64 s[42:43], v30, s44
	s_or_b64 s[40:41], s[40:41], s[42:43]
	s_and_saveexec_b64 s[42:43], s[40:41]
	s_cbranch_execz .LBB355_308
; %bb.307:
	v_sub_f32_e32 v18, v30, v2
	s_mov_b32 s40, 0x3fb8aa3b
	v_mul_f32_e32 v30, 0x3fb8aa3b, v18
	v_fma_f32 v31, v18, s40, -v30
	v_rndne_f32_e32 v32, v30
	v_fmac_f32_e32 v31, 0x32a5705f, v18
	v_sub_f32_e32 v30, v30, v32
	v_add_f32_e32 v30, v30, v31
	v_exp_f32_e32 v30, v30
	v_cvt_i32_f32_e32 v31, v32
	s_mov_b32 s40, 0xc2ce8ed0
	v_cmp_ngt_f32_e64 s[40:41], s40, v18
	v_mov_b32_e32 v32, 0x7f800000
	v_ldexp_f32 v30, v30, v31
	v_cndmask_b32_e64 v30, 0, v30, s[40:41]
	s_mov_b32 s40, 0x42b17218
	v_cmp_nlt_f32_e64 s[40:41], s40, v18
	v_cndmask_b32_e64 v18, v32, v30, s[40:41]
	v_add_f32_e32 v33, 1.0, v18
	v_cvt_f64_f32_e32 v[30:31], v33
	v_add_f32_e32 v34, -1.0, v33
	v_sub_f32_e32 v35, v34, v33
	v_sub_f32_e32 v34, v18, v34
	v_frexp_exp_i32_f64_e32 v30, v[30:31]
	v_add_f32_e32 v31, 1.0, v35
	v_add_f32_e32 v31, v34, v31
	v_frexp_mant_f32_e32 v34, v33
	s_mov_b32 s40, 0x3f2aaaab
	v_cmp_gt_f32_e64 s[40:41], s40, v34
	s_mov_b32 s45, 0x7f800000
	v_subbrev_co_u32_e64 v30, s[40:41], 0, v30, s[40:41]
	v_sub_u32_e32 v34, 0, v30
	v_ldexp_f32 v33, v33, v34
	v_ldexp_f32 v31, v31, v34
	v_add_f32_e32 v34, -1.0, v33
	v_add_f32_e32 v37, 1.0, v33
	v_add_f32_e32 v35, 1.0, v34
	v_add_f32_e32 v38, -1.0, v37
	v_sub_f32_e32 v35, v33, v35
	v_sub_f32_e32 v33, v33, v38
	v_add_f32_e32 v35, v31, v35
	v_add_f32_e32 v31, v31, v33
	;; [unrolled: 1-line block ×3, first 2 shown]
	v_rcp_f32_e32 v38, v33
	v_add_f32_e32 v36, v34, v35
	v_sub_f32_e32 v34, v34, v36
	v_add_f32_e32 v34, v35, v34
	v_sub_f32_e32 v35, v37, v33
	v_add_f32_e32 v31, v31, v35
	v_mul_f32_e32 v35, v36, v38
	v_mul_f32_e32 v37, v33, v35
	v_fma_f32 v39, v35, v33, -v37
	v_fmac_f32_e32 v39, v35, v31
	v_add_f32_e32 v40, v37, v39
	v_sub_f32_e32 v41, v36, v40
	v_sub_f32_e32 v36, v36, v41
	;; [unrolled: 1-line block ×4, first 2 shown]
	v_add_f32_e32 v34, v34, v36
	v_sub_f32_e32 v36, v37, v39
	v_add_f32_e32 v34, v36, v34
	v_add_f32_e32 v36, v41, v34
	v_mul_f32_e32 v37, v38, v36
	v_mul_f32_e32 v39, v33, v37
	v_fma_f32 v33, v37, v33, -v39
	v_fmac_f32_e32 v33, v37, v31
	v_sub_f32_e32 v31, v41, v36
	v_add_f32_e32 v31, v34, v31
	v_add_f32_e32 v34, v39, v33
	v_sub_f32_e32 v40, v36, v34
	v_sub_f32_e32 v36, v36, v40
	;; [unrolled: 1-line block ×4, first 2 shown]
	v_add_f32_e32 v31, v31, v34
	v_sub_f32_e32 v33, v39, v33
	v_add_f32_e32 v31, v33, v31
	v_add_f32_e32 v33, v35, v37
	;; [unrolled: 1-line block ×3, first 2 shown]
	v_sub_f32_e32 v34, v33, v35
	v_mul_f32_e32 v31, v38, v31
	v_sub_f32_e32 v34, v37, v34
	v_add_f32_e32 v31, v34, v31
	v_cvt_f32_i32_e32 v30, v30
	v_add_f32_e32 v34, v33, v31
	v_mul_f32_e32 v35, v34, v34
	v_mov_b32_e32 v36, 0x3ecc95a3
	v_fmac_f32_e32 v36, 0x3e9b6dac, v35
	v_mov_b32_e32 v37, 0x3f2aaada
	v_fmac_f32_e32 v37, v35, v36
	s_mov_b32 s40, 0x3f317218
	v_mul_f32_e32 v36, 0x3f317218, v30
	v_fma_f32 v38, v30, s40, -v36
	v_fmac_f32_e32 v38, 0xb102e308, v30
	v_sub_f32_e32 v30, v34, v33
	v_sub_f32_e32 v30, v31, v30
	v_add_f32_e32 v31, v36, v38
	v_sub_f32_e32 v33, v31, v36
	v_ldexp_f32 v36, v34, 1
	v_mul_f32_e32 v34, v34, v35
	v_mul_f32_e32 v34, v34, v37
	v_add_f32_e32 v35, v36, v34
	v_sub_f32_e32 v36, v35, v36
	v_ldexp_f32 v30, v30, 1
	v_sub_f32_e32 v34, v34, v36
	v_add_f32_e32 v30, v30, v34
	v_add_f32_e32 v34, v35, v30
	v_sub_f32_e32 v35, v34, v35
	v_sub_f32_e32 v30, v30, v35
	v_add_f32_e32 v35, v31, v34
	v_sub_f32_e32 v36, v35, v31
	v_sub_f32_e32 v37, v35, v36
	;; [unrolled: 1-line block ×5, first 2 shown]
	v_add_f32_e32 v31, v34, v31
	v_add_f32_e32 v34, v33, v30
	v_sub_f32_e32 v36, v34, v33
	v_sub_f32_e32 v37, v34, v36
	;; [unrolled: 1-line block ×4, first 2 shown]
	v_add_f32_e32 v31, v34, v31
	v_add_f32_e32 v30, v30, v33
	;; [unrolled: 1-line block ×3, first 2 shown]
	v_sub_f32_e32 v34, v33, v35
	v_sub_f32_e32 v31, v31, v34
	v_add_f32_e32 v30, v30, v31
	v_add_f32_e32 v30, v33, v30
	v_cmp_neq_f32_e64 s[40:41], s45, v18
	v_cndmask_b32_e64 v30, v32, v30, s[40:41]
	s_mov_b32 s40, 0x33800000
	v_cmp_lt_f32_e64 s[40:41], |v18|, s40
	v_cndmask_b32_e64 v18, v30, v18, s[40:41]
	v_add_f32_e32 v2, v2, v18
	v_cvt_f16_f32_e32 v18, v2
	v_cvt_f32_f16_e32 v32, v18
.LBB355_308:
	s_or_b64 exec, exec, s[42:43]
	v_cvt_f32_f16_e32 v2, v3
	v_max_f32_e32 v30, v32, v32
	v_cmp_u_f16_e64 s[42:43], v18, v18
	v_cmp_u_f16_e64 s[40:41], v3, v3
	v_min_f32_e32 v31, v30, v2
	v_max_f32_e32 v30, v30, v2
	v_cndmask_b32_e64 v31, v31, v32, s[42:43]
	v_cndmask_b32_e64 v30, v30, v32, s[42:43]
	;; [unrolled: 1-line block ×4, first 2 shown]
	v_cmp_neq_f32_e64 s[42:43], v31, v30
	v_cmp_class_f32_e64 s[44:45], v31, s44
	s_or_b64 s[42:43], s[42:43], s[44:45]
	s_and_saveexec_b64 s[44:45], s[42:43]
	s_cbranch_execz .LBB355_310
; %bb.309:
	v_sub_f32_e32 v18, v31, v30
	s_mov_b32 s42, 0x3fb8aa3b
	v_mul_f32_e32 v31, 0x3fb8aa3b, v18
	v_fma_f32 v32, v18, s42, -v31
	v_rndne_f32_e32 v33, v31
	v_fmac_f32_e32 v32, 0x32a5705f, v18
	v_sub_f32_e32 v31, v31, v33
	v_add_f32_e32 v31, v31, v32
	v_exp_f32_e32 v31, v31
	v_cvt_i32_f32_e32 v32, v33
	s_mov_b32 s42, 0xc2ce8ed0
	v_cmp_ngt_f32_e64 s[42:43], s42, v18
	v_mov_b32_e32 v33, 0x7f800000
	v_ldexp_f32 v31, v31, v32
	v_cndmask_b32_e64 v31, 0, v31, s[42:43]
	s_mov_b32 s42, 0x42b17218
	v_cmp_nlt_f32_e64 s[42:43], s42, v18
	v_cndmask_b32_e64 v18, v33, v31, s[42:43]
	v_add_f32_e32 v34, 1.0, v18
	v_cvt_f64_f32_e32 v[31:32], v34
	v_add_f32_e32 v35, -1.0, v34
	v_sub_f32_e32 v36, v35, v34
	v_sub_f32_e32 v35, v18, v35
	v_frexp_exp_i32_f64_e32 v31, v[31:32]
	v_add_f32_e32 v32, 1.0, v36
	v_add_f32_e32 v32, v35, v32
	v_frexp_mant_f32_e32 v35, v34
	s_mov_b32 s42, 0x3f2aaaab
	v_cmp_gt_f32_e64 s[42:43], s42, v35
	s_mov_b32 s46, 0x7f800000
	v_subbrev_co_u32_e64 v31, s[42:43], 0, v31, s[42:43]
	v_sub_u32_e32 v35, 0, v31
	v_ldexp_f32 v34, v34, v35
	v_ldexp_f32 v32, v32, v35
	v_add_f32_e32 v35, -1.0, v34
	v_add_f32_e32 v38, 1.0, v34
	v_add_f32_e32 v36, 1.0, v35
	v_add_f32_e32 v39, -1.0, v38
	v_sub_f32_e32 v36, v34, v36
	v_sub_f32_e32 v34, v34, v39
	v_add_f32_e32 v36, v32, v36
	v_add_f32_e32 v32, v32, v34
	;; [unrolled: 1-line block ×3, first 2 shown]
	v_rcp_f32_e32 v39, v34
	v_add_f32_e32 v37, v35, v36
	v_sub_f32_e32 v35, v35, v37
	v_add_f32_e32 v35, v36, v35
	v_sub_f32_e32 v36, v38, v34
	v_add_f32_e32 v32, v32, v36
	v_mul_f32_e32 v36, v37, v39
	v_mul_f32_e32 v38, v34, v36
	v_fma_f32 v40, v36, v34, -v38
	v_fmac_f32_e32 v40, v36, v32
	v_add_f32_e32 v41, v38, v40
	v_sub_f32_e32 v42, v37, v41
	v_sub_f32_e32 v37, v37, v42
	;; [unrolled: 1-line block ×4, first 2 shown]
	v_add_f32_e32 v35, v35, v37
	v_sub_f32_e32 v37, v38, v40
	v_add_f32_e32 v35, v37, v35
	v_add_f32_e32 v37, v42, v35
	v_mul_f32_e32 v38, v39, v37
	v_mul_f32_e32 v40, v34, v38
	v_fma_f32 v34, v38, v34, -v40
	v_fmac_f32_e32 v34, v38, v32
	v_sub_f32_e32 v32, v42, v37
	v_add_f32_e32 v32, v35, v32
	v_add_f32_e32 v35, v40, v34
	v_sub_f32_e32 v41, v37, v35
	v_sub_f32_e32 v37, v37, v41
	;; [unrolled: 1-line block ×4, first 2 shown]
	v_add_f32_e32 v32, v32, v35
	v_sub_f32_e32 v34, v40, v34
	v_add_f32_e32 v32, v34, v32
	v_add_f32_e32 v34, v36, v38
	;; [unrolled: 1-line block ×3, first 2 shown]
	v_sub_f32_e32 v35, v34, v36
	v_mul_f32_e32 v32, v39, v32
	v_sub_f32_e32 v35, v38, v35
	v_add_f32_e32 v32, v35, v32
	v_cvt_f32_i32_e32 v31, v31
	v_add_f32_e32 v35, v34, v32
	v_mul_f32_e32 v36, v35, v35
	v_mov_b32_e32 v37, 0x3ecc95a3
	v_fmac_f32_e32 v37, 0x3e9b6dac, v36
	v_mov_b32_e32 v38, 0x3f2aaada
	v_fmac_f32_e32 v38, v36, v37
	s_mov_b32 s42, 0x3f317218
	v_mul_f32_e32 v37, 0x3f317218, v31
	v_fma_f32 v39, v31, s42, -v37
	v_fmac_f32_e32 v39, 0xb102e308, v31
	v_sub_f32_e32 v31, v35, v34
	v_sub_f32_e32 v31, v32, v31
	v_add_f32_e32 v32, v37, v39
	v_sub_f32_e32 v34, v32, v37
	v_ldexp_f32 v37, v35, 1
	v_mul_f32_e32 v35, v35, v36
	v_mul_f32_e32 v35, v35, v38
	v_add_f32_e32 v36, v37, v35
	v_sub_f32_e32 v37, v36, v37
	v_ldexp_f32 v31, v31, 1
	v_sub_f32_e32 v35, v35, v37
	v_add_f32_e32 v31, v31, v35
	v_add_f32_e32 v35, v36, v31
	v_sub_f32_e32 v36, v35, v36
	v_sub_f32_e32 v31, v31, v36
	v_add_f32_e32 v36, v32, v35
	v_sub_f32_e32 v37, v36, v32
	v_sub_f32_e32 v38, v36, v37
	;; [unrolled: 1-line block ×5, first 2 shown]
	v_add_f32_e32 v32, v35, v32
	v_add_f32_e32 v35, v34, v31
	v_sub_f32_e32 v37, v35, v34
	v_sub_f32_e32 v38, v35, v37
	;; [unrolled: 1-line block ×4, first 2 shown]
	v_add_f32_e32 v32, v35, v32
	v_add_f32_e32 v31, v31, v34
	v_add_f32_e32 v34, v36, v32
	v_sub_f32_e32 v35, v34, v36
	v_sub_f32_e32 v32, v32, v35
	v_add_f32_e32 v31, v31, v32
	v_add_f32_e32 v31, v34, v31
	v_cmp_neq_f32_e64 s[42:43], s46, v18
	v_cndmask_b32_e64 v31, v33, v31, s[42:43]
	s_mov_b32 s42, 0x33800000
	v_cmp_lt_f32_e64 s[42:43], |v18|, s42
	v_cndmask_b32_e64 v18, v31, v18, s[42:43]
	v_add_f32_e32 v18, v30, v18
	v_cvt_f16_f32_e32 v18, v18
	v_cvt_f32_f16_e32 v32, v18
.LBB355_310:
	s_or_b64 exec, exec, s[44:45]
	v_cvt_f32_f16_sdwa v30, v3 dst_sel:DWORD dst_unused:UNUSED_PAD src0_sel:WORD_1
	v_max_f32_e32 v33, v32, v32
	v_cmp_u_f16_e64 s[44:45], v18, v18
	v_cmp_u_f16_sdwa s[42:43], v3, v3 src0_sel:WORD_1 src1_sel:WORD_1
	v_min_f32_e32 v31, v33, v30
	v_max_f32_e32 v3, v33, v30
	v_cndmask_b32_e64 v31, v31, v32, s[44:45]
	v_cndmask_b32_e64 v3, v3, v32, s[44:45]
	;; [unrolled: 1-line block ×4, first 2 shown]
	s_movk_i32 s52, 0x1f8
	v_cmp_neq_f32_e64 s[44:45], v31, v3
	v_cmp_class_f32_e64 s[46:47], v31, s52
	s_or_b64 s[44:45], s[44:45], s[46:47]
	s_and_saveexec_b64 s[46:47], s[44:45]
	s_cbranch_execz .LBB355_312
; %bb.311:
	v_sub_f32_e32 v18, v31, v3
	s_mov_b32 s44, 0x3fb8aa3b
	v_mul_f32_e32 v31, 0x3fb8aa3b, v18
	v_fma_f32 v32, v18, s44, -v31
	v_rndne_f32_e32 v33, v31
	v_fmac_f32_e32 v32, 0x32a5705f, v18
	v_sub_f32_e32 v31, v31, v33
	v_add_f32_e32 v31, v31, v32
	v_exp_f32_e32 v31, v31
	v_cvt_i32_f32_e32 v32, v33
	s_mov_b32 s44, 0xc2ce8ed0
	v_cmp_ngt_f32_e64 s[44:45], s44, v18
	v_mov_b32_e32 v33, 0x7f800000
	v_ldexp_f32 v31, v31, v32
	v_cndmask_b32_e64 v31, 0, v31, s[44:45]
	s_mov_b32 s44, 0x42b17218
	v_cmp_nlt_f32_e64 s[44:45], s44, v18
	v_cndmask_b32_e64 v18, v33, v31, s[44:45]
	v_add_f32_e32 v34, 1.0, v18
	v_cvt_f64_f32_e32 v[31:32], v34
	v_add_f32_e32 v35, -1.0, v34
	v_sub_f32_e32 v36, v35, v34
	v_sub_f32_e32 v35, v18, v35
	v_frexp_exp_i32_f64_e32 v31, v[31:32]
	v_add_f32_e32 v32, 1.0, v36
	v_add_f32_e32 v32, v35, v32
	v_frexp_mant_f32_e32 v35, v34
	s_mov_b32 s44, 0x3f2aaaab
	v_cmp_gt_f32_e64 s[44:45], s44, v35
	s_mov_b32 s53, 0x7f800000
	v_subbrev_co_u32_e64 v31, s[44:45], 0, v31, s[44:45]
	v_sub_u32_e32 v35, 0, v31
	v_ldexp_f32 v34, v34, v35
	v_ldexp_f32 v32, v32, v35
	v_add_f32_e32 v35, -1.0, v34
	v_add_f32_e32 v38, 1.0, v34
	v_add_f32_e32 v36, 1.0, v35
	v_add_f32_e32 v39, -1.0, v38
	v_sub_f32_e32 v36, v34, v36
	v_sub_f32_e32 v34, v34, v39
	v_add_f32_e32 v36, v32, v36
	v_add_f32_e32 v32, v32, v34
	;; [unrolled: 1-line block ×3, first 2 shown]
	v_rcp_f32_e32 v39, v34
	v_add_f32_e32 v37, v35, v36
	v_sub_f32_e32 v35, v35, v37
	v_add_f32_e32 v35, v36, v35
	v_sub_f32_e32 v36, v38, v34
	v_add_f32_e32 v32, v32, v36
	v_mul_f32_e32 v36, v37, v39
	v_mul_f32_e32 v38, v34, v36
	v_fma_f32 v40, v36, v34, -v38
	v_fmac_f32_e32 v40, v36, v32
	v_add_f32_e32 v41, v38, v40
	v_sub_f32_e32 v42, v37, v41
	v_sub_f32_e32 v37, v37, v42
	;; [unrolled: 1-line block ×4, first 2 shown]
	v_add_f32_e32 v35, v35, v37
	v_sub_f32_e32 v37, v38, v40
	v_add_f32_e32 v35, v37, v35
	v_add_f32_e32 v37, v42, v35
	v_mul_f32_e32 v38, v39, v37
	v_mul_f32_e32 v40, v34, v38
	v_fma_f32 v34, v38, v34, -v40
	v_fmac_f32_e32 v34, v38, v32
	v_sub_f32_e32 v32, v42, v37
	v_add_f32_e32 v32, v35, v32
	v_add_f32_e32 v35, v40, v34
	v_sub_f32_e32 v41, v37, v35
	v_sub_f32_e32 v37, v37, v41
	;; [unrolled: 1-line block ×4, first 2 shown]
	v_add_f32_e32 v32, v32, v35
	v_sub_f32_e32 v34, v40, v34
	v_add_f32_e32 v32, v34, v32
	v_add_f32_e32 v34, v36, v38
	;; [unrolled: 1-line block ×3, first 2 shown]
	v_sub_f32_e32 v35, v34, v36
	v_mul_f32_e32 v32, v39, v32
	v_sub_f32_e32 v35, v38, v35
	v_add_f32_e32 v32, v35, v32
	v_cvt_f32_i32_e32 v31, v31
	v_add_f32_e32 v35, v34, v32
	v_mul_f32_e32 v36, v35, v35
	v_mov_b32_e32 v37, 0x3ecc95a3
	v_fmac_f32_e32 v37, 0x3e9b6dac, v36
	v_mov_b32_e32 v38, 0x3f2aaada
	v_fmac_f32_e32 v38, v36, v37
	s_mov_b32 s44, 0x3f317218
	v_mul_f32_e32 v37, 0x3f317218, v31
	v_fma_f32 v39, v31, s44, -v37
	v_fmac_f32_e32 v39, 0xb102e308, v31
	v_sub_f32_e32 v31, v35, v34
	v_sub_f32_e32 v31, v32, v31
	v_add_f32_e32 v32, v37, v39
	v_sub_f32_e32 v34, v32, v37
	v_ldexp_f32 v37, v35, 1
	v_mul_f32_e32 v35, v35, v36
	v_mul_f32_e32 v35, v35, v38
	v_add_f32_e32 v36, v37, v35
	v_sub_f32_e32 v37, v36, v37
	v_ldexp_f32 v31, v31, 1
	v_sub_f32_e32 v35, v35, v37
	v_add_f32_e32 v31, v31, v35
	v_add_f32_e32 v35, v36, v31
	v_sub_f32_e32 v36, v35, v36
	v_sub_f32_e32 v31, v31, v36
	v_add_f32_e32 v36, v32, v35
	v_sub_f32_e32 v37, v36, v32
	v_sub_f32_e32 v38, v36, v37
	v_sub_f32_e32 v34, v39, v34
	v_sub_f32_e32 v32, v32, v38
	v_sub_f32_e32 v35, v35, v37
	v_add_f32_e32 v32, v35, v32
	v_add_f32_e32 v35, v34, v31
	v_sub_f32_e32 v37, v35, v34
	v_sub_f32_e32 v38, v35, v37
	;; [unrolled: 1-line block ×4, first 2 shown]
	v_add_f32_e32 v32, v35, v32
	v_add_f32_e32 v31, v31, v34
	;; [unrolled: 1-line block ×3, first 2 shown]
	v_sub_f32_e32 v35, v34, v36
	v_sub_f32_e32 v32, v32, v35
	v_add_f32_e32 v31, v31, v32
	v_add_f32_e32 v31, v34, v31
	v_cmp_neq_f32_e64 s[44:45], s53, v18
	v_cndmask_b32_e64 v31, v33, v31, s[44:45]
	s_mov_b32 s44, 0x33800000
	v_cmp_lt_f32_e64 s[44:45], |v18|, s44
	v_cndmask_b32_e64 v18, v31, v18, s[44:45]
	v_add_f32_e32 v3, v3, v18
	v_cvt_f16_f32_e32 v18, v3
	v_cvt_f32_f16_e32 v32, v18
.LBB355_312:
	s_or_b64 exec, exec, s[46:47]
	v_cvt_f32_f16_e32 v3, v4
	v_max_f32_e32 v31, v32, v32
	v_cmp_u_f16_e64 s[46:47], v18, v18
	v_cmp_u_f16_e64 s[44:45], v4, v4
	v_min_f32_e32 v33, v31, v3
	v_max_f32_e32 v31, v31, v3
	v_cndmask_b32_e64 v33, v33, v32, s[46:47]
	v_cndmask_b32_e64 v31, v31, v32, s[46:47]
	;; [unrolled: 1-line block ×4, first 2 shown]
	v_cmp_neq_f32_e64 s[46:47], v33, v31
	v_cmp_class_f32_e64 s[52:53], v33, s52
	s_or_b64 s[46:47], s[46:47], s[52:53]
	s_and_saveexec_b64 s[52:53], s[46:47]
	s_cbranch_execz .LBB355_314
; %bb.313:
	v_sub_f32_e32 v18, v33, v31
	s_mov_b32 s46, 0x3fb8aa3b
	v_mul_f32_e32 v32, 0x3fb8aa3b, v18
	v_fma_f32 v33, v18, s46, -v32
	v_rndne_f32_e32 v34, v32
	v_fmac_f32_e32 v33, 0x32a5705f, v18
	v_sub_f32_e32 v32, v32, v34
	v_add_f32_e32 v32, v32, v33
	v_exp_f32_e32 v32, v32
	v_cvt_i32_f32_e32 v33, v34
	s_mov_b32 s46, 0xc2ce8ed0
	v_cmp_ngt_f32_e64 s[46:47], s46, v18
	v_mov_b32_e32 v34, 0x7f800000
	v_ldexp_f32 v32, v32, v33
	v_cndmask_b32_e64 v32, 0, v32, s[46:47]
	s_mov_b32 s46, 0x42b17218
	v_cmp_nlt_f32_e64 s[46:47], s46, v18
	v_cndmask_b32_e64 v18, v34, v32, s[46:47]
	v_add_f32_e32 v35, 1.0, v18
	v_cvt_f64_f32_e32 v[32:33], v35
	v_add_f32_e32 v36, -1.0, v35
	v_sub_f32_e32 v37, v36, v35
	v_sub_f32_e32 v36, v18, v36
	v_frexp_exp_i32_f64_e32 v32, v[32:33]
	v_add_f32_e32 v33, 1.0, v37
	v_add_f32_e32 v33, v36, v33
	v_frexp_mant_f32_e32 v36, v35
	s_mov_b32 s46, 0x3f2aaaab
	v_cmp_gt_f32_e64 s[46:47], s46, v36
	s_mov_b32 s54, 0x7f800000
	v_subbrev_co_u32_e64 v32, s[46:47], 0, v32, s[46:47]
	v_sub_u32_e32 v36, 0, v32
	v_ldexp_f32 v35, v35, v36
	v_ldexp_f32 v33, v33, v36
	v_add_f32_e32 v36, -1.0, v35
	v_add_f32_e32 v39, 1.0, v35
	v_add_f32_e32 v37, 1.0, v36
	v_add_f32_e32 v40, -1.0, v39
	v_sub_f32_e32 v37, v35, v37
	v_sub_f32_e32 v35, v35, v40
	v_add_f32_e32 v37, v33, v37
	v_add_f32_e32 v33, v33, v35
	;; [unrolled: 1-line block ×3, first 2 shown]
	v_rcp_f32_e32 v40, v35
	v_add_f32_e32 v38, v36, v37
	v_sub_f32_e32 v36, v36, v38
	v_add_f32_e32 v36, v37, v36
	v_sub_f32_e32 v37, v39, v35
	v_add_f32_e32 v33, v33, v37
	v_mul_f32_e32 v37, v38, v40
	v_mul_f32_e32 v39, v35, v37
	v_fma_f32 v41, v37, v35, -v39
	v_fmac_f32_e32 v41, v37, v33
	v_add_f32_e32 v42, v39, v41
	v_sub_f32_e32 v43, v38, v42
	v_sub_f32_e32 v38, v38, v43
	;; [unrolled: 1-line block ×4, first 2 shown]
	v_add_f32_e32 v36, v36, v38
	v_sub_f32_e32 v38, v39, v41
	v_add_f32_e32 v36, v38, v36
	v_add_f32_e32 v38, v43, v36
	v_mul_f32_e32 v39, v40, v38
	v_mul_f32_e32 v41, v35, v39
	v_fma_f32 v35, v39, v35, -v41
	v_fmac_f32_e32 v35, v39, v33
	v_sub_f32_e32 v33, v43, v38
	v_add_f32_e32 v33, v36, v33
	v_add_f32_e32 v36, v41, v35
	v_sub_f32_e32 v42, v38, v36
	v_sub_f32_e32 v38, v38, v42
	;; [unrolled: 1-line block ×4, first 2 shown]
	v_add_f32_e32 v33, v33, v36
	v_sub_f32_e32 v35, v41, v35
	v_add_f32_e32 v33, v35, v33
	v_add_f32_e32 v35, v37, v39
	;; [unrolled: 1-line block ×3, first 2 shown]
	v_sub_f32_e32 v36, v35, v37
	v_mul_f32_e32 v33, v40, v33
	v_sub_f32_e32 v36, v39, v36
	v_add_f32_e32 v33, v36, v33
	v_cvt_f32_i32_e32 v32, v32
	v_add_f32_e32 v36, v35, v33
	v_mul_f32_e32 v37, v36, v36
	v_mov_b32_e32 v38, 0x3ecc95a3
	v_fmac_f32_e32 v38, 0x3e9b6dac, v37
	v_mov_b32_e32 v39, 0x3f2aaada
	v_fmac_f32_e32 v39, v37, v38
	s_mov_b32 s46, 0x3f317218
	v_mul_f32_e32 v38, 0x3f317218, v32
	v_fma_f32 v40, v32, s46, -v38
	v_fmac_f32_e32 v40, 0xb102e308, v32
	v_sub_f32_e32 v32, v36, v35
	v_sub_f32_e32 v32, v33, v32
	v_add_f32_e32 v33, v38, v40
	v_sub_f32_e32 v35, v33, v38
	v_ldexp_f32 v38, v36, 1
	v_mul_f32_e32 v36, v36, v37
	v_mul_f32_e32 v36, v36, v39
	v_add_f32_e32 v37, v38, v36
	v_sub_f32_e32 v38, v37, v38
	v_ldexp_f32 v32, v32, 1
	v_sub_f32_e32 v36, v36, v38
	v_add_f32_e32 v32, v32, v36
	v_add_f32_e32 v36, v37, v32
	v_sub_f32_e32 v37, v36, v37
	v_sub_f32_e32 v32, v32, v37
	v_add_f32_e32 v37, v33, v36
	v_sub_f32_e32 v38, v37, v33
	v_sub_f32_e32 v39, v37, v38
	;; [unrolled: 1-line block ×5, first 2 shown]
	v_add_f32_e32 v33, v36, v33
	v_add_f32_e32 v36, v35, v32
	v_sub_f32_e32 v38, v36, v35
	v_sub_f32_e32 v39, v36, v38
	;; [unrolled: 1-line block ×4, first 2 shown]
	v_add_f32_e32 v33, v36, v33
	v_add_f32_e32 v32, v32, v35
	;; [unrolled: 1-line block ×3, first 2 shown]
	v_sub_f32_e32 v36, v35, v37
	v_sub_f32_e32 v33, v33, v36
	v_add_f32_e32 v32, v32, v33
	v_add_f32_e32 v32, v35, v32
	v_cmp_neq_f32_e64 s[46:47], s54, v18
	v_cndmask_b32_e64 v32, v34, v32, s[46:47]
	s_mov_b32 s46, 0x33800000
	v_cmp_lt_f32_e64 s[46:47], |v18|, s46
	v_cndmask_b32_e64 v18, v32, v18, s[46:47]
	v_add_f32_e32 v18, v31, v18
	v_cvt_f16_f32_e32 v18, v18
	v_cvt_f32_f16_e32 v32, v18
.LBB355_314:
	s_or_b64 exec, exec, s[52:53]
	v_cvt_f32_f16_sdwa v31, v4 dst_sel:DWORD dst_unused:UNUSED_PAD src0_sel:WORD_1
	v_max_f32_e32 v34, v32, v32
	v_cmp_u_f16_e64 s[52:53], v18, v18
	v_cmp_u_f16_sdwa s[46:47], v4, v4 src0_sel:WORD_1 src1_sel:WORD_1
	v_min_f32_e32 v33, v34, v31
	v_max_f32_e32 v4, v34, v31
	v_cndmask_b32_e64 v33, v33, v32, s[52:53]
	v_cndmask_b32_e64 v4, v4, v32, s[52:53]
	;; [unrolled: 1-line block ×4, first 2 shown]
	s_movk_i32 s54, 0x1f8
	v_cmp_neq_f32_e64 s[52:53], v33, v4
	v_cmp_class_f32_e64 s[54:55], v33, s54
	s_or_b64 s[52:53], s[52:53], s[54:55]
	s_and_saveexec_b64 s[54:55], s[52:53]
	s_cbranch_execz .LBB355_316
; %bb.315:
	v_sub_f32_e32 v18, v33, v4
	s_mov_b32 s52, 0x3fb8aa3b
	v_mul_f32_e32 v32, 0x3fb8aa3b, v18
	v_fma_f32 v33, v18, s52, -v32
	v_rndne_f32_e32 v34, v32
	v_fmac_f32_e32 v33, 0x32a5705f, v18
	v_sub_f32_e32 v32, v32, v34
	v_add_f32_e32 v32, v32, v33
	v_exp_f32_e32 v32, v32
	v_cvt_i32_f32_e32 v33, v34
	s_mov_b32 s52, 0xc2ce8ed0
	v_cmp_ngt_f32_e64 s[52:53], s52, v18
	v_mov_b32_e32 v34, 0x7f800000
	v_ldexp_f32 v32, v32, v33
	v_cndmask_b32_e64 v32, 0, v32, s[52:53]
	s_mov_b32 s52, 0x42b17218
	v_cmp_nlt_f32_e64 s[52:53], s52, v18
	v_cndmask_b32_e64 v18, v34, v32, s[52:53]
	v_add_f32_e32 v35, 1.0, v18
	v_cvt_f64_f32_e32 v[32:33], v35
	v_add_f32_e32 v36, -1.0, v35
	v_sub_f32_e32 v37, v36, v35
	v_sub_f32_e32 v36, v18, v36
	v_frexp_exp_i32_f64_e32 v32, v[32:33]
	v_add_f32_e32 v33, 1.0, v37
	v_add_f32_e32 v33, v36, v33
	v_frexp_mant_f32_e32 v36, v35
	s_mov_b32 s52, 0x3f2aaaab
	v_cmp_gt_f32_e64 s[52:53], s52, v36
	s_mov_b32 s56, 0x7f800000
	v_subbrev_co_u32_e64 v32, s[52:53], 0, v32, s[52:53]
	v_sub_u32_e32 v36, 0, v32
	v_ldexp_f32 v35, v35, v36
	v_ldexp_f32 v33, v33, v36
	v_add_f32_e32 v36, -1.0, v35
	v_add_f32_e32 v39, 1.0, v35
	v_add_f32_e32 v37, 1.0, v36
	v_add_f32_e32 v40, -1.0, v39
	v_sub_f32_e32 v37, v35, v37
	v_sub_f32_e32 v35, v35, v40
	v_add_f32_e32 v37, v33, v37
	v_add_f32_e32 v33, v33, v35
	v_add_f32_e32 v35, v39, v33
	v_rcp_f32_e32 v40, v35
	v_add_f32_e32 v38, v36, v37
	v_sub_f32_e32 v36, v36, v38
	v_add_f32_e32 v36, v37, v36
	v_sub_f32_e32 v37, v39, v35
	v_add_f32_e32 v33, v33, v37
	v_mul_f32_e32 v37, v38, v40
	v_mul_f32_e32 v39, v35, v37
	v_fma_f32 v41, v37, v35, -v39
	v_fmac_f32_e32 v41, v37, v33
	v_add_f32_e32 v42, v39, v41
	v_sub_f32_e32 v43, v38, v42
	v_sub_f32_e32 v38, v38, v43
	;; [unrolled: 1-line block ×4, first 2 shown]
	v_add_f32_e32 v36, v36, v38
	v_sub_f32_e32 v38, v39, v41
	v_add_f32_e32 v36, v38, v36
	v_add_f32_e32 v38, v43, v36
	v_mul_f32_e32 v39, v40, v38
	v_mul_f32_e32 v41, v35, v39
	v_fma_f32 v35, v39, v35, -v41
	v_fmac_f32_e32 v35, v39, v33
	v_sub_f32_e32 v33, v43, v38
	v_add_f32_e32 v33, v36, v33
	v_add_f32_e32 v36, v41, v35
	v_sub_f32_e32 v42, v38, v36
	v_sub_f32_e32 v38, v38, v42
	;; [unrolled: 1-line block ×4, first 2 shown]
	v_add_f32_e32 v33, v33, v36
	v_sub_f32_e32 v35, v41, v35
	v_add_f32_e32 v33, v35, v33
	v_add_f32_e32 v35, v37, v39
	;; [unrolled: 1-line block ×3, first 2 shown]
	v_sub_f32_e32 v36, v35, v37
	v_mul_f32_e32 v33, v40, v33
	v_sub_f32_e32 v36, v39, v36
	v_add_f32_e32 v33, v36, v33
	v_cvt_f32_i32_e32 v32, v32
	v_add_f32_e32 v36, v35, v33
	v_mul_f32_e32 v37, v36, v36
	v_mov_b32_e32 v38, 0x3ecc95a3
	v_fmac_f32_e32 v38, 0x3e9b6dac, v37
	v_mov_b32_e32 v39, 0x3f2aaada
	v_fmac_f32_e32 v39, v37, v38
	s_mov_b32 s52, 0x3f317218
	v_mul_f32_e32 v38, 0x3f317218, v32
	v_fma_f32 v40, v32, s52, -v38
	v_fmac_f32_e32 v40, 0xb102e308, v32
	v_sub_f32_e32 v32, v36, v35
	v_sub_f32_e32 v32, v33, v32
	v_add_f32_e32 v33, v38, v40
	v_sub_f32_e32 v35, v33, v38
	v_ldexp_f32 v38, v36, 1
	v_mul_f32_e32 v36, v36, v37
	v_mul_f32_e32 v36, v36, v39
	v_add_f32_e32 v37, v38, v36
	v_sub_f32_e32 v38, v37, v38
	v_ldexp_f32 v32, v32, 1
	v_sub_f32_e32 v36, v36, v38
	v_add_f32_e32 v32, v32, v36
	v_add_f32_e32 v36, v37, v32
	v_sub_f32_e32 v37, v36, v37
	v_sub_f32_e32 v32, v32, v37
	v_add_f32_e32 v37, v33, v36
	v_sub_f32_e32 v38, v37, v33
	v_sub_f32_e32 v39, v37, v38
	;; [unrolled: 1-line block ×5, first 2 shown]
	v_add_f32_e32 v33, v36, v33
	v_add_f32_e32 v36, v35, v32
	v_sub_f32_e32 v38, v36, v35
	v_sub_f32_e32 v39, v36, v38
	v_sub_f32_e32 v35, v35, v39
	v_sub_f32_e32 v32, v32, v38
	v_add_f32_e32 v33, v36, v33
	v_add_f32_e32 v32, v32, v35
	;; [unrolled: 1-line block ×3, first 2 shown]
	v_sub_f32_e32 v36, v35, v37
	v_sub_f32_e32 v33, v33, v36
	v_add_f32_e32 v32, v32, v33
	v_add_f32_e32 v32, v35, v32
	v_cmp_neq_f32_e64 s[52:53], s56, v18
	v_cndmask_b32_e64 v32, v34, v32, s[52:53]
	s_mov_b32 s52, 0x33800000
	v_cmp_lt_f32_e64 s[52:53], |v18|, s52
	v_cndmask_b32_e64 v18, v32, v18, s[52:53]
	v_add_f32_e32 v4, v4, v18
	v_cvt_f16_f32_e32 v18, v4
.LBB355_316:
	s_or_b64 exec, exec, s[54:55]
	v_lshrrev_b32_e32 v4, 4, v0
	v_and_b32_e32 v4, 14, v4
	v_lshl_add_u32 v4, v0, 1, v4
	v_cmp_gt_u32_e64 s[52:53], 64, v0
	ds_write_b16 v4, v18
	s_waitcnt lgkmcnt(0)
	s_barrier
	s_and_saveexec_b64 s[60:61], s[52:53]
	s_cbranch_execz .LBB355_356
; %bb.317:
	v_lshrrev_b32_e32 v4, 2, v0
	v_and_b32_e32 v4, 62, v4
	v_lshlrev_b32_e32 v32, 3, v0
	v_add_u32_e32 v4, v4, v32
	ds_read_u16 v35, v4
	ds_read_u16 v33, v4 offset:2
	s_movk_i32 s74, 0x1f8
	s_waitcnt lgkmcnt(1)
	v_cvt_f32_f16_e32 v32, v35
	s_waitcnt lgkmcnt(0)
	v_cvt_f32_f16_e32 v34, v33
	v_cmp_u_f16_e64 s[52:53], v35, v35
	v_cmp_u_f16_e64 s[54:55], v33, v33
	v_min_f32_e32 v36, v32, v34
	v_max_f32_e32 v37, v32, v34
	v_cndmask_b32_e64 v36, v36, v32, s[52:53]
	v_cndmask_b32_e64 v37, v37, v32, s[52:53]
	;; [unrolled: 1-line block ×4, first 2 shown]
	v_cmp_neq_f32_e64 s[54:55], v36, v33
	v_cmp_class_f32_e64 s[56:57], v36, s74
	s_or_b64 s[54:55], s[54:55], s[56:57]
	v_mov_b32_e32 v34, v32
	s_and_saveexec_b64 s[56:57], s[54:55]
	s_cbranch_execz .LBB355_319
; %bb.318:
	v_sub_f32_e32 v34, v36, v33
	s_mov_b32 s54, 0x3fb8aa3b
	v_mul_f32_e32 v35, 0x3fb8aa3b, v34
	v_fma_f32 v36, v34, s54, -v35
	v_rndne_f32_e32 v37, v35
	v_fmac_f32_e32 v36, 0x32a5705f, v34
	v_sub_f32_e32 v35, v35, v37
	v_add_f32_e32 v35, v35, v36
	v_exp_f32_e32 v35, v35
	v_cvt_i32_f32_e32 v36, v37
	s_mov_b32 s54, 0xc2ce8ed0
	v_cmp_ngt_f32_e64 s[54:55], s54, v34
	s_mov_b32 s75, 0x7f800000
	v_ldexp_f32 v35, v35, v36
	v_cndmask_b32_e64 v35, 0, v35, s[54:55]
	s_mov_b32 s54, 0x42b17218
	v_mov_b32_e32 v36, 0x7f800000
	v_cmp_nlt_f32_e64 s[54:55], s54, v34
	v_cndmask_b32_e64 v37, v36, v35, s[54:55]
	v_add_f32_e32 v38, 1.0, v37
	v_cvt_f64_f32_e32 v[34:35], v38
	v_add_f32_e32 v39, -1.0, v38
	v_sub_f32_e32 v40, v39, v38
	v_sub_f32_e32 v39, v37, v39
	v_frexp_exp_i32_f64_e32 v34, v[34:35]
	v_add_f32_e32 v35, 1.0, v40
	v_add_f32_e32 v35, v39, v35
	v_frexp_mant_f32_e32 v39, v38
	s_mov_b32 s54, 0x3f2aaaab
	v_cmp_gt_f32_e64 s[54:55], s54, v39
	v_subbrev_co_u32_e64 v34, s[54:55], 0, v34, s[54:55]
	v_sub_u32_e32 v39, 0, v34
	v_ldexp_f32 v38, v38, v39
	v_ldexp_f32 v35, v35, v39
	v_add_f32_e32 v39, -1.0, v38
	v_add_f32_e32 v42, 1.0, v38
	v_add_f32_e32 v40, 1.0, v39
	v_add_f32_e32 v43, -1.0, v42
	v_sub_f32_e32 v40, v38, v40
	v_sub_f32_e32 v38, v38, v43
	v_add_f32_e32 v40, v35, v40
	v_add_f32_e32 v35, v35, v38
	;; [unrolled: 1-line block ×3, first 2 shown]
	v_rcp_f32_e32 v43, v38
	v_add_f32_e32 v41, v39, v40
	v_sub_f32_e32 v39, v39, v41
	v_add_f32_e32 v39, v40, v39
	v_sub_f32_e32 v40, v42, v38
	v_add_f32_e32 v35, v35, v40
	v_mul_f32_e32 v40, v41, v43
	v_mul_f32_e32 v42, v38, v40
	v_fma_f32 v44, v40, v38, -v42
	v_fmac_f32_e32 v44, v40, v35
	v_add_f32_e32 v45, v42, v44
	v_sub_f32_e32 v46, v41, v45
	v_sub_f32_e32 v41, v41, v46
	;; [unrolled: 1-line block ×4, first 2 shown]
	v_add_f32_e32 v39, v39, v41
	v_sub_f32_e32 v41, v42, v44
	v_add_f32_e32 v39, v41, v39
	v_add_f32_e32 v41, v46, v39
	v_mul_f32_e32 v42, v43, v41
	v_mul_f32_e32 v44, v38, v42
	v_fma_f32 v38, v42, v38, -v44
	v_fmac_f32_e32 v38, v42, v35
	v_sub_f32_e32 v35, v46, v41
	v_add_f32_e32 v35, v39, v35
	v_add_f32_e32 v39, v44, v38
	v_sub_f32_e32 v45, v41, v39
	v_sub_f32_e32 v41, v41, v45
	;; [unrolled: 1-line block ×4, first 2 shown]
	v_add_f32_e32 v35, v35, v39
	v_sub_f32_e32 v38, v44, v38
	v_add_f32_e32 v35, v38, v35
	v_add_f32_e32 v38, v40, v42
	;; [unrolled: 1-line block ×3, first 2 shown]
	v_sub_f32_e32 v39, v38, v40
	v_mul_f32_e32 v35, v43, v35
	v_sub_f32_e32 v39, v42, v39
	v_add_f32_e32 v35, v39, v35
	v_cvt_f32_i32_e32 v34, v34
	v_add_f32_e32 v39, v38, v35
	v_mul_f32_e32 v40, v39, v39
	v_mov_b32_e32 v41, 0x3ecc95a3
	v_fmac_f32_e32 v41, 0x3e9b6dac, v40
	v_mov_b32_e32 v42, 0x3f2aaada
	v_fmac_f32_e32 v42, v40, v41
	s_mov_b32 s54, 0x3f317218
	v_mul_f32_e32 v41, 0x3f317218, v34
	v_fma_f32 v43, v34, s54, -v41
	v_fmac_f32_e32 v43, 0xb102e308, v34
	v_sub_f32_e32 v34, v39, v38
	v_sub_f32_e32 v34, v35, v34
	v_add_f32_e32 v35, v41, v43
	v_sub_f32_e32 v38, v35, v41
	v_ldexp_f32 v41, v39, 1
	v_mul_f32_e32 v39, v39, v40
	v_mul_f32_e32 v39, v39, v42
	v_add_f32_e32 v40, v41, v39
	v_sub_f32_e32 v41, v40, v41
	v_ldexp_f32 v34, v34, 1
	v_sub_f32_e32 v39, v39, v41
	v_add_f32_e32 v34, v34, v39
	v_add_f32_e32 v39, v40, v34
	v_sub_f32_e32 v40, v39, v40
	v_sub_f32_e32 v34, v34, v40
	v_add_f32_e32 v40, v35, v39
	v_sub_f32_e32 v41, v40, v35
	v_sub_f32_e32 v42, v40, v41
	;; [unrolled: 1-line block ×5, first 2 shown]
	v_add_f32_e32 v35, v39, v35
	v_add_f32_e32 v39, v38, v34
	v_sub_f32_e32 v41, v39, v38
	v_sub_f32_e32 v42, v39, v41
	;; [unrolled: 1-line block ×4, first 2 shown]
	v_add_f32_e32 v35, v39, v35
	v_add_f32_e32 v34, v34, v38
	;; [unrolled: 1-line block ×3, first 2 shown]
	v_sub_f32_e32 v39, v38, v40
	v_sub_f32_e32 v35, v35, v39
	v_add_f32_e32 v34, v34, v35
	v_add_f32_e32 v34, v38, v34
	v_cmp_neq_f32_e64 s[54:55], s75, v37
	v_cndmask_b32_e64 v34, v36, v34, s[54:55]
	s_mov_b32 s54, 0x33800000
	v_cmp_lt_f32_e64 s[54:55], |v37|, s54
	v_cndmask_b32_e64 v34, v34, v37, s[54:55]
	v_add_f32_e32 v33, v33, v34
	v_cvt_f16_f32_e32 v35, v33
	v_cvt_f32_f16_e32 v34, v35
.LBB355_319:
	s_or_b64 exec, exec, s[56:57]
	ds_read_u16 v33, v4 offset:4
	v_max_f32_e32 v36, v34, v34
	v_cmp_u_f16_e64 s[54:55], v35, v35
	s_waitcnt lgkmcnt(0)
	v_cvt_f32_f16_e32 v37, v33
	v_min_f32_e32 v38, v36, v37
	v_max_f32_e32 v36, v36, v37
	v_cndmask_b32_e64 v38, v38, v34, s[54:55]
	v_cndmask_b32_e64 v39, v36, v34, s[54:55]
	v_cmp_u_f16_e64 s[54:55], v33, v33
	v_cndmask_b32_e64 v36, v38, v37, s[54:55]
	v_cndmask_b32_e64 v33, v39, v37, s[54:55]
	v_cmp_neq_f32_e64 s[54:55], v36, v33
	v_cmp_class_f32_e64 s[56:57], v36, s74
	s_or_b64 s[54:55], s[54:55], s[56:57]
	s_and_saveexec_b64 s[56:57], s[54:55]
	s_cbranch_execz .LBB355_321
; %bb.320:
	v_sub_f32_e32 v34, v36, v33
	s_mov_b32 s54, 0x3fb8aa3b
	v_mul_f32_e32 v35, 0x3fb8aa3b, v34
	v_fma_f32 v36, v34, s54, -v35
	v_rndne_f32_e32 v37, v35
	v_fmac_f32_e32 v36, 0x32a5705f, v34
	v_sub_f32_e32 v35, v35, v37
	v_add_f32_e32 v35, v35, v36
	v_exp_f32_e32 v35, v35
	v_cvt_i32_f32_e32 v36, v37
	s_mov_b32 s54, 0xc2ce8ed0
	v_cmp_ngt_f32_e64 s[54:55], s54, v34
	s_mov_b32 s74, 0x7f800000
	v_ldexp_f32 v35, v35, v36
	v_cndmask_b32_e64 v35, 0, v35, s[54:55]
	s_mov_b32 s54, 0x42b17218
	v_mov_b32_e32 v36, 0x7f800000
	v_cmp_nlt_f32_e64 s[54:55], s54, v34
	v_cndmask_b32_e64 v37, v36, v35, s[54:55]
	v_add_f32_e32 v38, 1.0, v37
	v_cvt_f64_f32_e32 v[34:35], v38
	v_add_f32_e32 v39, -1.0, v38
	v_sub_f32_e32 v40, v39, v38
	v_sub_f32_e32 v39, v37, v39
	v_frexp_exp_i32_f64_e32 v34, v[34:35]
	v_add_f32_e32 v35, 1.0, v40
	v_add_f32_e32 v35, v39, v35
	v_frexp_mant_f32_e32 v39, v38
	s_mov_b32 s54, 0x3f2aaaab
	v_cmp_gt_f32_e64 s[54:55], s54, v39
	v_subbrev_co_u32_e64 v34, s[54:55], 0, v34, s[54:55]
	v_sub_u32_e32 v39, 0, v34
	v_ldexp_f32 v38, v38, v39
	v_ldexp_f32 v35, v35, v39
	v_add_f32_e32 v39, -1.0, v38
	v_add_f32_e32 v42, 1.0, v38
	v_add_f32_e32 v40, 1.0, v39
	v_add_f32_e32 v43, -1.0, v42
	v_sub_f32_e32 v40, v38, v40
	v_sub_f32_e32 v38, v38, v43
	v_add_f32_e32 v40, v35, v40
	v_add_f32_e32 v35, v35, v38
	;; [unrolled: 1-line block ×3, first 2 shown]
	v_rcp_f32_e32 v43, v38
	v_add_f32_e32 v41, v39, v40
	v_sub_f32_e32 v39, v39, v41
	v_add_f32_e32 v39, v40, v39
	v_sub_f32_e32 v40, v42, v38
	v_add_f32_e32 v35, v35, v40
	v_mul_f32_e32 v40, v41, v43
	v_mul_f32_e32 v42, v38, v40
	v_fma_f32 v44, v40, v38, -v42
	v_fmac_f32_e32 v44, v40, v35
	v_add_f32_e32 v45, v42, v44
	v_sub_f32_e32 v46, v41, v45
	v_sub_f32_e32 v41, v41, v46
	;; [unrolled: 1-line block ×4, first 2 shown]
	v_add_f32_e32 v39, v39, v41
	v_sub_f32_e32 v41, v42, v44
	v_add_f32_e32 v39, v41, v39
	v_add_f32_e32 v41, v46, v39
	v_mul_f32_e32 v42, v43, v41
	v_mul_f32_e32 v44, v38, v42
	v_fma_f32 v38, v42, v38, -v44
	v_fmac_f32_e32 v38, v42, v35
	v_sub_f32_e32 v35, v46, v41
	v_add_f32_e32 v35, v39, v35
	v_add_f32_e32 v39, v44, v38
	v_sub_f32_e32 v45, v41, v39
	v_sub_f32_e32 v41, v41, v45
	;; [unrolled: 1-line block ×4, first 2 shown]
	v_add_f32_e32 v35, v35, v39
	v_sub_f32_e32 v38, v44, v38
	v_add_f32_e32 v35, v38, v35
	v_add_f32_e32 v38, v40, v42
	;; [unrolled: 1-line block ×3, first 2 shown]
	v_sub_f32_e32 v39, v38, v40
	v_mul_f32_e32 v35, v43, v35
	v_sub_f32_e32 v39, v42, v39
	v_add_f32_e32 v35, v39, v35
	v_cvt_f32_i32_e32 v34, v34
	v_add_f32_e32 v39, v38, v35
	v_mul_f32_e32 v40, v39, v39
	v_mov_b32_e32 v41, 0x3ecc95a3
	v_fmac_f32_e32 v41, 0x3e9b6dac, v40
	v_mov_b32_e32 v42, 0x3f2aaada
	v_fmac_f32_e32 v42, v40, v41
	s_mov_b32 s54, 0x3f317218
	v_mul_f32_e32 v41, 0x3f317218, v34
	v_fma_f32 v43, v34, s54, -v41
	v_fmac_f32_e32 v43, 0xb102e308, v34
	v_sub_f32_e32 v34, v39, v38
	v_sub_f32_e32 v34, v35, v34
	v_add_f32_e32 v35, v41, v43
	v_sub_f32_e32 v38, v35, v41
	v_ldexp_f32 v41, v39, 1
	v_mul_f32_e32 v39, v39, v40
	v_mul_f32_e32 v39, v39, v42
	v_add_f32_e32 v40, v41, v39
	v_sub_f32_e32 v41, v40, v41
	v_ldexp_f32 v34, v34, 1
	v_sub_f32_e32 v39, v39, v41
	v_add_f32_e32 v34, v34, v39
	v_add_f32_e32 v39, v40, v34
	v_sub_f32_e32 v40, v39, v40
	v_sub_f32_e32 v34, v34, v40
	v_add_f32_e32 v40, v35, v39
	v_sub_f32_e32 v41, v40, v35
	v_sub_f32_e32 v42, v40, v41
	;; [unrolled: 1-line block ×5, first 2 shown]
	v_add_f32_e32 v35, v39, v35
	v_add_f32_e32 v39, v38, v34
	v_sub_f32_e32 v41, v39, v38
	v_sub_f32_e32 v42, v39, v41
	;; [unrolled: 1-line block ×4, first 2 shown]
	v_add_f32_e32 v35, v39, v35
	v_add_f32_e32 v34, v34, v38
	v_add_f32_e32 v38, v40, v35
	v_sub_f32_e32 v39, v38, v40
	v_sub_f32_e32 v35, v35, v39
	v_add_f32_e32 v34, v34, v35
	v_add_f32_e32 v34, v38, v34
	v_cmp_neq_f32_e64 s[54:55], s74, v37
	v_cndmask_b32_e64 v34, v36, v34, s[54:55]
	s_mov_b32 s54, 0x33800000
	v_cmp_lt_f32_e64 s[54:55], |v37|, s54
	v_cndmask_b32_e64 v34, v34, v37, s[54:55]
	v_add_f32_e32 v33, v33, v34
	v_cvt_f16_f32_e32 v35, v33
	v_cvt_f32_f16_e32 v34, v35
.LBB355_321:
	s_or_b64 exec, exec, s[56:57]
	ds_read_u16 v33, v4 offset:6
	v_max_f32_e32 v37, v34, v34
	v_cmp_u_f16_e64 s[54:55], v35, v35
	s_movk_i32 s56, 0x1f8
	s_waitcnt lgkmcnt(0)
	v_cvt_f32_f16_e32 v36, v33
	v_min_f32_e32 v38, v37, v36
	v_max_f32_e32 v37, v37, v36
	v_cndmask_b32_e64 v38, v38, v34, s[54:55]
	v_cndmask_b32_e64 v37, v37, v34, s[54:55]
	v_cmp_u_f16_e64 s[54:55], v33, v33
	v_cndmask_b32_e64 v34, v38, v36, s[54:55]
	v_cndmask_b32_e64 v33, v37, v36, s[54:55]
	v_cmp_neq_f32_e64 s[54:55], v34, v33
	v_cmp_class_f32_e64 s[56:57], v34, s56
	s_or_b64 s[54:55], s[54:55], s[56:57]
	s_and_saveexec_b64 s[56:57], s[54:55]
	s_cbranch_execz .LBB355_323
; %bb.322:
	v_sub_f32_e32 v34, v34, v33
	s_mov_b32 s54, 0x3fb8aa3b
	v_mul_f32_e32 v35, 0x3fb8aa3b, v34
	v_fma_f32 v36, v34, s54, -v35
	v_rndne_f32_e32 v37, v35
	v_fmac_f32_e32 v36, 0x32a5705f, v34
	v_sub_f32_e32 v35, v35, v37
	v_add_f32_e32 v35, v35, v36
	v_exp_f32_e32 v35, v35
	v_cvt_i32_f32_e32 v36, v37
	s_mov_b32 s54, 0xc2ce8ed0
	v_cmp_ngt_f32_e64 s[54:55], s54, v34
	s_mov_b32 s74, 0x7f800000
	v_ldexp_f32 v35, v35, v36
	v_cndmask_b32_e64 v35, 0, v35, s[54:55]
	s_mov_b32 s54, 0x42b17218
	v_mov_b32_e32 v36, 0x7f800000
	v_cmp_nlt_f32_e64 s[54:55], s54, v34
	v_cndmask_b32_e64 v37, v36, v35, s[54:55]
	v_add_f32_e32 v38, 1.0, v37
	v_cvt_f64_f32_e32 v[34:35], v38
	v_add_f32_e32 v39, -1.0, v38
	v_sub_f32_e32 v40, v39, v38
	v_sub_f32_e32 v39, v37, v39
	v_frexp_exp_i32_f64_e32 v34, v[34:35]
	v_add_f32_e32 v35, 1.0, v40
	v_add_f32_e32 v35, v39, v35
	v_frexp_mant_f32_e32 v39, v38
	s_mov_b32 s54, 0x3f2aaaab
	v_cmp_gt_f32_e64 s[54:55], s54, v39
	v_subbrev_co_u32_e64 v34, s[54:55], 0, v34, s[54:55]
	v_sub_u32_e32 v39, 0, v34
	v_ldexp_f32 v38, v38, v39
	v_ldexp_f32 v35, v35, v39
	v_add_f32_e32 v39, -1.0, v38
	v_add_f32_e32 v42, 1.0, v38
	v_add_f32_e32 v40, 1.0, v39
	v_add_f32_e32 v43, -1.0, v42
	v_sub_f32_e32 v40, v38, v40
	v_sub_f32_e32 v38, v38, v43
	v_add_f32_e32 v40, v35, v40
	v_add_f32_e32 v35, v35, v38
	;; [unrolled: 1-line block ×3, first 2 shown]
	v_rcp_f32_e32 v43, v38
	v_add_f32_e32 v41, v39, v40
	v_sub_f32_e32 v39, v39, v41
	v_add_f32_e32 v39, v40, v39
	v_sub_f32_e32 v40, v42, v38
	v_add_f32_e32 v35, v35, v40
	v_mul_f32_e32 v40, v41, v43
	v_mul_f32_e32 v42, v38, v40
	v_fma_f32 v44, v40, v38, -v42
	v_fmac_f32_e32 v44, v40, v35
	v_add_f32_e32 v45, v42, v44
	v_sub_f32_e32 v46, v41, v45
	v_sub_f32_e32 v41, v41, v46
	;; [unrolled: 1-line block ×4, first 2 shown]
	v_add_f32_e32 v39, v39, v41
	v_sub_f32_e32 v41, v42, v44
	v_add_f32_e32 v39, v41, v39
	v_add_f32_e32 v41, v46, v39
	v_mul_f32_e32 v42, v43, v41
	v_mul_f32_e32 v44, v38, v42
	v_fma_f32 v38, v42, v38, -v44
	v_fmac_f32_e32 v38, v42, v35
	v_sub_f32_e32 v35, v46, v41
	v_add_f32_e32 v35, v39, v35
	v_add_f32_e32 v39, v44, v38
	v_sub_f32_e32 v45, v41, v39
	v_sub_f32_e32 v41, v41, v45
	;; [unrolled: 1-line block ×4, first 2 shown]
	v_add_f32_e32 v35, v35, v39
	v_sub_f32_e32 v38, v44, v38
	v_add_f32_e32 v35, v38, v35
	v_add_f32_e32 v38, v40, v42
	;; [unrolled: 1-line block ×3, first 2 shown]
	v_sub_f32_e32 v39, v38, v40
	v_mul_f32_e32 v35, v43, v35
	v_sub_f32_e32 v39, v42, v39
	v_add_f32_e32 v35, v39, v35
	v_cvt_f32_i32_e32 v34, v34
	v_add_f32_e32 v39, v38, v35
	v_mul_f32_e32 v40, v39, v39
	v_mov_b32_e32 v41, 0x3ecc95a3
	v_fmac_f32_e32 v41, 0x3e9b6dac, v40
	v_mov_b32_e32 v42, 0x3f2aaada
	v_fmac_f32_e32 v42, v40, v41
	s_mov_b32 s54, 0x3f317218
	v_mul_f32_e32 v41, 0x3f317218, v34
	v_fma_f32 v43, v34, s54, -v41
	v_fmac_f32_e32 v43, 0xb102e308, v34
	v_sub_f32_e32 v34, v39, v38
	v_sub_f32_e32 v34, v35, v34
	v_add_f32_e32 v35, v41, v43
	v_sub_f32_e32 v38, v35, v41
	v_ldexp_f32 v41, v39, 1
	v_mul_f32_e32 v39, v39, v40
	v_mul_f32_e32 v39, v39, v42
	v_add_f32_e32 v40, v41, v39
	v_sub_f32_e32 v41, v40, v41
	v_ldexp_f32 v34, v34, 1
	v_sub_f32_e32 v39, v39, v41
	v_add_f32_e32 v34, v34, v39
	v_add_f32_e32 v39, v40, v34
	v_sub_f32_e32 v40, v39, v40
	v_sub_f32_e32 v34, v34, v40
	v_add_f32_e32 v40, v35, v39
	v_sub_f32_e32 v41, v40, v35
	v_sub_f32_e32 v42, v40, v41
	;; [unrolled: 1-line block ×5, first 2 shown]
	v_add_f32_e32 v35, v39, v35
	v_add_f32_e32 v39, v38, v34
	v_sub_f32_e32 v41, v39, v38
	v_sub_f32_e32 v42, v39, v41
	;; [unrolled: 1-line block ×4, first 2 shown]
	v_add_f32_e32 v35, v39, v35
	v_add_f32_e32 v34, v34, v38
	;; [unrolled: 1-line block ×3, first 2 shown]
	v_sub_f32_e32 v39, v38, v40
	v_sub_f32_e32 v35, v35, v39
	v_add_f32_e32 v34, v34, v35
	v_add_f32_e32 v34, v38, v34
	v_cmp_neq_f32_e64 s[54:55], s74, v37
	v_cndmask_b32_e64 v34, v36, v34, s[54:55]
	s_mov_b32 s54, 0x33800000
	v_cmp_lt_f32_e64 s[54:55], |v37|, s54
	v_cndmask_b32_e64 v34, v34, v37, s[54:55]
	v_add_f32_e32 v33, v33, v34
	v_cvt_f16_f32_e32 v35, v33
.LBB355_323:
	s_or_b64 exec, exec, s[56:57]
	v_mbcnt_lo_u32_b32 v33, -1, 0
	v_mbcnt_hi_u32_b32 v33, -1, v33
	v_and_b32_e32 v34, 15, v33
	v_and_b32_e32 v36, 0xffff, v35
	v_cmp_ne_u32_e64 s[54:55], 0, v34
	s_nop 0
	v_mov_b32_dpp v37, v36 row_shr:1 row_mask:0xf bank_mask:0xf
	s_and_saveexec_b64 s[56:57], s[54:55]
	s_xor_b64 s[74:75], exec, s[56:57]
	s_cbranch_execz .LBB355_327
; %bb.324:
	v_cvt_f32_f16_e32 v38, v37
	v_cvt_f32_f16_e32 v39, v35
	v_cmp_u_f16_e64 s[54:55], v37, v37
	v_cmp_u_f16_e64 s[56:57], v35, v35
	v_min_f32_e32 v36, v38, v39
	v_max_f32_e32 v35, v38, v39
	v_cndmask_b32_e64 v36, v36, v38, s[54:55]
	v_cndmask_b32_e64 v35, v35, v38, s[54:55]
	;; [unrolled: 1-line block ×4, first 2 shown]
	s_movk_i32 s56, 0x1f8
	v_cmp_neq_f32_e64 s[54:55], v36, v35
	v_cmp_class_f32_e64 s[56:57], v36, s56
	s_or_b64 s[54:55], s[54:55], s[56:57]
	s_and_saveexec_b64 s[56:57], s[54:55]
	s_cbranch_execz .LBB355_326
; %bb.325:
	v_sub_f32_e32 v36, v36, v35
	s_mov_b32 s54, 0x3fb8aa3b
	v_mul_f32_e32 v37, 0x3fb8aa3b, v36
	v_fma_f32 v38, v36, s54, -v37
	v_rndne_f32_e32 v39, v37
	v_fmac_f32_e32 v38, 0x32a5705f, v36
	v_sub_f32_e32 v37, v37, v39
	v_add_f32_e32 v37, v37, v38
	v_exp_f32_e32 v37, v37
	v_cvt_i32_f32_e32 v38, v39
	s_mov_b32 s54, 0xc2ce8ed0
	v_cmp_ngt_f32_e64 s[54:55], s54, v36
	s_mov_b32 s77, 0x7f800000
	v_ldexp_f32 v37, v37, v38
	v_cndmask_b32_e64 v37, 0, v37, s[54:55]
	s_mov_b32 s54, 0x42b17218
	v_mov_b32_e32 v38, 0x7f800000
	v_cmp_nlt_f32_e64 s[54:55], s54, v36
	v_cndmask_b32_e64 v39, v38, v37, s[54:55]
	v_add_f32_e32 v40, 1.0, v39
	v_cvt_f64_f32_e32 v[36:37], v40
	v_add_f32_e32 v41, -1.0, v40
	v_sub_f32_e32 v42, v41, v40
	v_sub_f32_e32 v41, v39, v41
	v_frexp_exp_i32_f64_e32 v36, v[36:37]
	v_add_f32_e32 v37, 1.0, v42
	v_add_f32_e32 v37, v41, v37
	v_frexp_mant_f32_e32 v41, v40
	s_mov_b32 s54, 0x3f2aaaab
	v_cmp_gt_f32_e64 s[54:55], s54, v41
	v_subbrev_co_u32_e64 v36, s[54:55], 0, v36, s[54:55]
	v_sub_u32_e32 v41, 0, v36
	v_ldexp_f32 v40, v40, v41
	v_ldexp_f32 v37, v37, v41
	v_add_f32_e32 v41, -1.0, v40
	v_add_f32_e32 v44, 1.0, v40
	v_add_f32_e32 v42, 1.0, v41
	v_add_f32_e32 v45, -1.0, v44
	v_sub_f32_e32 v42, v40, v42
	v_sub_f32_e32 v40, v40, v45
	v_add_f32_e32 v42, v37, v42
	v_add_f32_e32 v37, v37, v40
	;; [unrolled: 1-line block ×3, first 2 shown]
	v_rcp_f32_e32 v45, v40
	v_add_f32_e32 v43, v41, v42
	v_sub_f32_e32 v41, v41, v43
	v_add_f32_e32 v41, v42, v41
	v_sub_f32_e32 v42, v44, v40
	v_add_f32_e32 v37, v37, v42
	v_mul_f32_e32 v42, v43, v45
	v_mul_f32_e32 v44, v40, v42
	v_fma_f32 v46, v42, v40, -v44
	v_fmac_f32_e32 v46, v42, v37
	v_add_f32_e32 v47, v44, v46
	v_sub_f32_e32 v48, v43, v47
	v_sub_f32_e32 v43, v43, v48
	;; [unrolled: 1-line block ×4, first 2 shown]
	v_add_f32_e32 v41, v41, v43
	v_sub_f32_e32 v43, v44, v46
	v_add_f32_e32 v41, v43, v41
	v_add_f32_e32 v43, v48, v41
	v_mul_f32_e32 v44, v45, v43
	v_mul_f32_e32 v46, v40, v44
	v_fma_f32 v40, v44, v40, -v46
	v_fmac_f32_e32 v40, v44, v37
	v_sub_f32_e32 v37, v48, v43
	v_add_f32_e32 v37, v41, v37
	v_add_f32_e32 v41, v46, v40
	v_sub_f32_e32 v47, v43, v41
	v_sub_f32_e32 v43, v43, v47
	;; [unrolled: 1-line block ×4, first 2 shown]
	v_add_f32_e32 v37, v37, v41
	v_sub_f32_e32 v40, v46, v40
	v_add_f32_e32 v37, v40, v37
	v_add_f32_e32 v40, v42, v44
	;; [unrolled: 1-line block ×3, first 2 shown]
	v_sub_f32_e32 v41, v40, v42
	v_mul_f32_e32 v37, v45, v37
	v_sub_f32_e32 v41, v44, v41
	v_add_f32_e32 v37, v41, v37
	v_cvt_f32_i32_e32 v36, v36
	v_add_f32_e32 v41, v40, v37
	v_mul_f32_e32 v42, v41, v41
	v_mov_b32_e32 v43, 0x3ecc95a3
	v_fmac_f32_e32 v43, 0x3e9b6dac, v42
	v_mov_b32_e32 v44, 0x3f2aaada
	v_fmac_f32_e32 v44, v42, v43
	s_mov_b32 s54, 0x3f317218
	v_mul_f32_e32 v43, 0x3f317218, v36
	v_fma_f32 v45, v36, s54, -v43
	v_fmac_f32_e32 v45, 0xb102e308, v36
	v_sub_f32_e32 v36, v41, v40
	v_sub_f32_e32 v36, v37, v36
	v_add_f32_e32 v37, v43, v45
	v_sub_f32_e32 v40, v37, v43
	v_ldexp_f32 v43, v41, 1
	v_mul_f32_e32 v41, v41, v42
	v_mul_f32_e32 v41, v41, v44
	v_add_f32_e32 v42, v43, v41
	v_sub_f32_e32 v43, v42, v43
	v_ldexp_f32 v36, v36, 1
	v_sub_f32_e32 v41, v41, v43
	v_add_f32_e32 v36, v36, v41
	v_add_f32_e32 v41, v42, v36
	v_sub_f32_e32 v42, v41, v42
	v_sub_f32_e32 v36, v36, v42
	v_add_f32_e32 v42, v37, v41
	v_sub_f32_e32 v43, v42, v37
	v_sub_f32_e32 v44, v42, v43
	;; [unrolled: 1-line block ×5, first 2 shown]
	v_add_f32_e32 v37, v41, v37
	v_add_f32_e32 v41, v40, v36
	v_sub_f32_e32 v43, v41, v40
	v_sub_f32_e32 v44, v41, v43
	;; [unrolled: 1-line block ×4, first 2 shown]
	v_add_f32_e32 v37, v41, v37
	v_add_f32_e32 v36, v36, v40
	;; [unrolled: 1-line block ×3, first 2 shown]
	v_sub_f32_e32 v41, v40, v42
	v_sub_f32_e32 v37, v37, v41
	v_add_f32_e32 v36, v36, v37
	v_add_f32_e32 v36, v40, v36
	v_cmp_neq_f32_e64 s[54:55], s77, v39
	v_cndmask_b32_e64 v36, v38, v36, s[54:55]
	s_mov_b32 s54, 0x33800000
	v_cmp_lt_f32_e64 s[54:55], |v39|, s54
	v_cndmask_b32_e64 v36, v36, v39, s[54:55]
	v_add_f32_e32 v35, v35, v36
	v_cvt_f16_f32_e32 v37, v35
.LBB355_326:
	s_or_b64 exec, exec, s[56:57]
	v_and_b32_e32 v36, 0xffff, v37
	v_mov_b32_e32 v35, v37
.LBB355_327:
	s_or_b64 exec, exec, s[74:75]
	v_mov_b32_dpp v37, v36 row_shr:2 row_mask:0xf bank_mask:0xf
	v_cmp_lt_u32_e64 s[54:55], 1, v34
	s_and_saveexec_b64 s[74:75], s[54:55]
	s_cbranch_execz .LBB355_331
; %bb.328:
	v_cvt_f32_f16_e32 v38, v37
	v_cvt_f32_f16_e32 v39, v35
	v_cmp_u_f16_e64 s[54:55], v37, v37
	v_cmp_u_f16_e64 s[56:57], v35, v35
	v_min_f32_e32 v36, v38, v39
	v_max_f32_e32 v35, v38, v39
	v_cndmask_b32_e64 v36, v36, v38, s[54:55]
	v_cndmask_b32_e64 v35, v35, v38, s[54:55]
	;; [unrolled: 1-line block ×4, first 2 shown]
	s_movk_i32 s56, 0x1f8
	v_cmp_neq_f32_e64 s[54:55], v36, v35
	v_cmp_class_f32_e64 s[56:57], v36, s56
	s_or_b64 s[54:55], s[54:55], s[56:57]
	s_and_saveexec_b64 s[56:57], s[54:55]
	s_cbranch_execz .LBB355_330
; %bb.329:
	v_sub_f32_e32 v36, v36, v35
	s_mov_b32 s54, 0x3fb8aa3b
	v_mul_f32_e32 v37, 0x3fb8aa3b, v36
	v_fma_f32 v38, v36, s54, -v37
	v_rndne_f32_e32 v39, v37
	v_fmac_f32_e32 v38, 0x32a5705f, v36
	v_sub_f32_e32 v37, v37, v39
	v_add_f32_e32 v37, v37, v38
	v_exp_f32_e32 v37, v37
	v_cvt_i32_f32_e32 v38, v39
	s_mov_b32 s54, 0xc2ce8ed0
	v_cmp_ngt_f32_e64 s[54:55], s54, v36
	s_mov_b32 s77, 0x7f800000
	v_ldexp_f32 v37, v37, v38
	v_cndmask_b32_e64 v37, 0, v37, s[54:55]
	s_mov_b32 s54, 0x42b17218
	v_mov_b32_e32 v38, 0x7f800000
	v_cmp_nlt_f32_e64 s[54:55], s54, v36
	v_cndmask_b32_e64 v39, v38, v37, s[54:55]
	v_add_f32_e32 v40, 1.0, v39
	v_cvt_f64_f32_e32 v[36:37], v40
	v_add_f32_e32 v41, -1.0, v40
	v_sub_f32_e32 v42, v41, v40
	v_sub_f32_e32 v41, v39, v41
	v_frexp_exp_i32_f64_e32 v36, v[36:37]
	v_add_f32_e32 v37, 1.0, v42
	v_add_f32_e32 v37, v41, v37
	v_frexp_mant_f32_e32 v41, v40
	s_mov_b32 s54, 0x3f2aaaab
	v_cmp_gt_f32_e64 s[54:55], s54, v41
	v_subbrev_co_u32_e64 v36, s[54:55], 0, v36, s[54:55]
	v_sub_u32_e32 v41, 0, v36
	v_ldexp_f32 v40, v40, v41
	v_ldexp_f32 v37, v37, v41
	v_add_f32_e32 v41, -1.0, v40
	v_add_f32_e32 v44, 1.0, v40
	v_add_f32_e32 v42, 1.0, v41
	v_add_f32_e32 v45, -1.0, v44
	v_sub_f32_e32 v42, v40, v42
	v_sub_f32_e32 v40, v40, v45
	v_add_f32_e32 v42, v37, v42
	v_add_f32_e32 v37, v37, v40
	;; [unrolled: 1-line block ×3, first 2 shown]
	v_rcp_f32_e32 v45, v40
	v_add_f32_e32 v43, v41, v42
	v_sub_f32_e32 v41, v41, v43
	v_add_f32_e32 v41, v42, v41
	v_sub_f32_e32 v42, v44, v40
	v_add_f32_e32 v37, v37, v42
	v_mul_f32_e32 v42, v43, v45
	v_mul_f32_e32 v44, v40, v42
	v_fma_f32 v46, v42, v40, -v44
	v_fmac_f32_e32 v46, v42, v37
	v_add_f32_e32 v47, v44, v46
	v_sub_f32_e32 v48, v43, v47
	v_sub_f32_e32 v43, v43, v48
	;; [unrolled: 1-line block ×4, first 2 shown]
	v_add_f32_e32 v41, v41, v43
	v_sub_f32_e32 v43, v44, v46
	v_add_f32_e32 v41, v43, v41
	v_add_f32_e32 v43, v48, v41
	v_mul_f32_e32 v44, v45, v43
	v_mul_f32_e32 v46, v40, v44
	v_fma_f32 v40, v44, v40, -v46
	v_fmac_f32_e32 v40, v44, v37
	v_sub_f32_e32 v37, v48, v43
	v_add_f32_e32 v37, v41, v37
	v_add_f32_e32 v41, v46, v40
	v_sub_f32_e32 v47, v43, v41
	v_sub_f32_e32 v43, v43, v47
	;; [unrolled: 1-line block ×4, first 2 shown]
	v_add_f32_e32 v37, v37, v41
	v_sub_f32_e32 v40, v46, v40
	v_add_f32_e32 v37, v40, v37
	v_add_f32_e32 v40, v42, v44
	;; [unrolled: 1-line block ×3, first 2 shown]
	v_sub_f32_e32 v41, v40, v42
	v_mul_f32_e32 v37, v45, v37
	v_sub_f32_e32 v41, v44, v41
	v_add_f32_e32 v37, v41, v37
	v_cvt_f32_i32_e32 v36, v36
	v_add_f32_e32 v41, v40, v37
	v_mul_f32_e32 v42, v41, v41
	v_mov_b32_e32 v43, 0x3ecc95a3
	v_fmac_f32_e32 v43, 0x3e9b6dac, v42
	v_mov_b32_e32 v44, 0x3f2aaada
	v_fmac_f32_e32 v44, v42, v43
	s_mov_b32 s54, 0x3f317218
	v_mul_f32_e32 v43, 0x3f317218, v36
	v_fma_f32 v45, v36, s54, -v43
	v_fmac_f32_e32 v45, 0xb102e308, v36
	v_sub_f32_e32 v36, v41, v40
	v_sub_f32_e32 v36, v37, v36
	v_add_f32_e32 v37, v43, v45
	v_sub_f32_e32 v40, v37, v43
	v_ldexp_f32 v43, v41, 1
	v_mul_f32_e32 v41, v41, v42
	v_mul_f32_e32 v41, v41, v44
	v_add_f32_e32 v42, v43, v41
	v_sub_f32_e32 v43, v42, v43
	v_ldexp_f32 v36, v36, 1
	v_sub_f32_e32 v41, v41, v43
	v_add_f32_e32 v36, v36, v41
	v_add_f32_e32 v41, v42, v36
	v_sub_f32_e32 v42, v41, v42
	v_sub_f32_e32 v36, v36, v42
	v_add_f32_e32 v42, v37, v41
	v_sub_f32_e32 v43, v42, v37
	v_sub_f32_e32 v44, v42, v43
	;; [unrolled: 1-line block ×5, first 2 shown]
	v_add_f32_e32 v37, v41, v37
	v_add_f32_e32 v41, v40, v36
	v_sub_f32_e32 v43, v41, v40
	v_sub_f32_e32 v44, v41, v43
	;; [unrolled: 1-line block ×4, first 2 shown]
	v_add_f32_e32 v37, v41, v37
	v_add_f32_e32 v36, v36, v40
	;; [unrolled: 1-line block ×3, first 2 shown]
	v_sub_f32_e32 v41, v40, v42
	v_sub_f32_e32 v37, v37, v41
	v_add_f32_e32 v36, v36, v37
	v_add_f32_e32 v36, v40, v36
	v_cmp_neq_f32_e64 s[54:55], s77, v39
	v_cndmask_b32_e64 v36, v38, v36, s[54:55]
	s_mov_b32 s54, 0x33800000
	v_cmp_lt_f32_e64 s[54:55], |v39|, s54
	v_cndmask_b32_e64 v36, v36, v39, s[54:55]
	v_add_f32_e32 v35, v35, v36
	v_cvt_f16_f32_e32 v37, v35
.LBB355_330:
	s_or_b64 exec, exec, s[56:57]
	v_and_b32_e32 v36, 0xffff, v37
	v_mov_b32_e32 v35, v37
.LBB355_331:
	s_or_b64 exec, exec, s[74:75]
	v_mov_b32_dpp v37, v36 row_shr:4 row_mask:0xf bank_mask:0xf
	v_cmp_lt_u32_e64 s[54:55], 3, v34
	s_and_saveexec_b64 s[74:75], s[54:55]
	s_cbranch_execz .LBB355_335
; %bb.332:
	v_cvt_f32_f16_e32 v38, v37
	v_cvt_f32_f16_e32 v39, v35
	v_cmp_u_f16_e64 s[54:55], v37, v37
	v_cmp_u_f16_e64 s[56:57], v35, v35
	v_min_f32_e32 v36, v38, v39
	v_max_f32_e32 v35, v38, v39
	v_cndmask_b32_e64 v36, v36, v38, s[54:55]
	v_cndmask_b32_e64 v35, v35, v38, s[54:55]
	;; [unrolled: 1-line block ×4, first 2 shown]
	s_movk_i32 s56, 0x1f8
	v_cmp_neq_f32_e64 s[54:55], v36, v35
	v_cmp_class_f32_e64 s[56:57], v36, s56
	s_or_b64 s[54:55], s[54:55], s[56:57]
	s_and_saveexec_b64 s[56:57], s[54:55]
	s_cbranch_execz .LBB355_334
; %bb.333:
	v_sub_f32_e32 v36, v36, v35
	s_mov_b32 s54, 0x3fb8aa3b
	v_mul_f32_e32 v37, 0x3fb8aa3b, v36
	v_fma_f32 v38, v36, s54, -v37
	v_rndne_f32_e32 v39, v37
	v_fmac_f32_e32 v38, 0x32a5705f, v36
	v_sub_f32_e32 v37, v37, v39
	v_add_f32_e32 v37, v37, v38
	v_exp_f32_e32 v37, v37
	v_cvt_i32_f32_e32 v38, v39
	s_mov_b32 s54, 0xc2ce8ed0
	v_cmp_ngt_f32_e64 s[54:55], s54, v36
	s_mov_b32 s77, 0x7f800000
	v_ldexp_f32 v37, v37, v38
	v_cndmask_b32_e64 v37, 0, v37, s[54:55]
	s_mov_b32 s54, 0x42b17218
	v_mov_b32_e32 v38, 0x7f800000
	v_cmp_nlt_f32_e64 s[54:55], s54, v36
	v_cndmask_b32_e64 v39, v38, v37, s[54:55]
	v_add_f32_e32 v40, 1.0, v39
	v_cvt_f64_f32_e32 v[36:37], v40
	v_add_f32_e32 v41, -1.0, v40
	v_sub_f32_e32 v42, v41, v40
	v_sub_f32_e32 v41, v39, v41
	v_frexp_exp_i32_f64_e32 v36, v[36:37]
	v_add_f32_e32 v37, 1.0, v42
	v_add_f32_e32 v37, v41, v37
	v_frexp_mant_f32_e32 v41, v40
	s_mov_b32 s54, 0x3f2aaaab
	v_cmp_gt_f32_e64 s[54:55], s54, v41
	v_subbrev_co_u32_e64 v36, s[54:55], 0, v36, s[54:55]
	v_sub_u32_e32 v41, 0, v36
	v_ldexp_f32 v40, v40, v41
	v_ldexp_f32 v37, v37, v41
	v_add_f32_e32 v41, -1.0, v40
	v_add_f32_e32 v44, 1.0, v40
	v_add_f32_e32 v42, 1.0, v41
	v_add_f32_e32 v45, -1.0, v44
	v_sub_f32_e32 v42, v40, v42
	v_sub_f32_e32 v40, v40, v45
	v_add_f32_e32 v42, v37, v42
	v_add_f32_e32 v37, v37, v40
	;; [unrolled: 1-line block ×3, first 2 shown]
	v_rcp_f32_e32 v45, v40
	v_add_f32_e32 v43, v41, v42
	v_sub_f32_e32 v41, v41, v43
	v_add_f32_e32 v41, v42, v41
	v_sub_f32_e32 v42, v44, v40
	v_add_f32_e32 v37, v37, v42
	v_mul_f32_e32 v42, v43, v45
	v_mul_f32_e32 v44, v40, v42
	v_fma_f32 v46, v42, v40, -v44
	v_fmac_f32_e32 v46, v42, v37
	v_add_f32_e32 v47, v44, v46
	v_sub_f32_e32 v48, v43, v47
	v_sub_f32_e32 v43, v43, v48
	;; [unrolled: 1-line block ×4, first 2 shown]
	v_add_f32_e32 v41, v41, v43
	v_sub_f32_e32 v43, v44, v46
	v_add_f32_e32 v41, v43, v41
	v_add_f32_e32 v43, v48, v41
	v_mul_f32_e32 v44, v45, v43
	v_mul_f32_e32 v46, v40, v44
	v_fma_f32 v40, v44, v40, -v46
	v_fmac_f32_e32 v40, v44, v37
	v_sub_f32_e32 v37, v48, v43
	v_add_f32_e32 v37, v41, v37
	v_add_f32_e32 v41, v46, v40
	v_sub_f32_e32 v47, v43, v41
	v_sub_f32_e32 v43, v43, v47
	;; [unrolled: 1-line block ×4, first 2 shown]
	v_add_f32_e32 v37, v37, v41
	v_sub_f32_e32 v40, v46, v40
	v_add_f32_e32 v37, v40, v37
	v_add_f32_e32 v40, v42, v44
	;; [unrolled: 1-line block ×3, first 2 shown]
	v_sub_f32_e32 v41, v40, v42
	v_mul_f32_e32 v37, v45, v37
	v_sub_f32_e32 v41, v44, v41
	v_add_f32_e32 v37, v41, v37
	v_cvt_f32_i32_e32 v36, v36
	v_add_f32_e32 v41, v40, v37
	v_mul_f32_e32 v42, v41, v41
	v_mov_b32_e32 v43, 0x3ecc95a3
	v_fmac_f32_e32 v43, 0x3e9b6dac, v42
	v_mov_b32_e32 v44, 0x3f2aaada
	v_fmac_f32_e32 v44, v42, v43
	s_mov_b32 s54, 0x3f317218
	v_mul_f32_e32 v43, 0x3f317218, v36
	v_fma_f32 v45, v36, s54, -v43
	v_fmac_f32_e32 v45, 0xb102e308, v36
	v_sub_f32_e32 v36, v41, v40
	v_sub_f32_e32 v36, v37, v36
	v_add_f32_e32 v37, v43, v45
	v_sub_f32_e32 v40, v37, v43
	v_ldexp_f32 v43, v41, 1
	v_mul_f32_e32 v41, v41, v42
	v_mul_f32_e32 v41, v41, v44
	v_add_f32_e32 v42, v43, v41
	v_sub_f32_e32 v43, v42, v43
	v_ldexp_f32 v36, v36, 1
	v_sub_f32_e32 v41, v41, v43
	v_add_f32_e32 v36, v36, v41
	v_add_f32_e32 v41, v42, v36
	v_sub_f32_e32 v42, v41, v42
	v_sub_f32_e32 v36, v36, v42
	v_add_f32_e32 v42, v37, v41
	v_sub_f32_e32 v43, v42, v37
	v_sub_f32_e32 v44, v42, v43
	;; [unrolled: 1-line block ×5, first 2 shown]
	v_add_f32_e32 v37, v41, v37
	v_add_f32_e32 v41, v40, v36
	v_sub_f32_e32 v43, v41, v40
	v_sub_f32_e32 v44, v41, v43
	;; [unrolled: 1-line block ×4, first 2 shown]
	v_add_f32_e32 v37, v41, v37
	v_add_f32_e32 v36, v36, v40
	;; [unrolled: 1-line block ×3, first 2 shown]
	v_sub_f32_e32 v41, v40, v42
	v_sub_f32_e32 v37, v37, v41
	v_add_f32_e32 v36, v36, v37
	v_add_f32_e32 v36, v40, v36
	v_cmp_neq_f32_e64 s[54:55], s77, v39
	v_cndmask_b32_e64 v36, v38, v36, s[54:55]
	s_mov_b32 s54, 0x33800000
	v_cmp_lt_f32_e64 s[54:55], |v39|, s54
	v_cndmask_b32_e64 v36, v36, v39, s[54:55]
	v_add_f32_e32 v35, v35, v36
	v_cvt_f16_f32_e32 v37, v35
.LBB355_334:
	s_or_b64 exec, exec, s[56:57]
	v_and_b32_e32 v36, 0xffff, v37
	v_mov_b32_e32 v35, v37
.LBB355_335:
	s_or_b64 exec, exec, s[74:75]
	v_mov_b32_dpp v37, v36 row_shr:8 row_mask:0xf bank_mask:0xf
	v_cmp_lt_u32_e64 s[54:55], 7, v34
	s_and_saveexec_b64 s[74:75], s[54:55]
	s_cbranch_execz .LBB355_339
; %bb.336:
	v_cvt_f32_f16_e32 v34, v37
	v_cvt_f32_f16_e32 v36, v35
	v_cmp_u_f16_e64 s[54:55], v37, v37
	v_cmp_u_f16_e64 s[56:57], v35, v35
	v_min_f32_e32 v38, v34, v36
	v_cndmask_b32_e64 v38, v38, v34, s[54:55]
	v_cndmask_b32_e64 v35, v38, v36, s[56:57]
	v_max_f32_e32 v38, v34, v36
	v_cndmask_b32_e64 v34, v38, v34, s[54:55]
	v_cndmask_b32_e64 v34, v34, v36, s[56:57]
	s_movk_i32 s56, 0x1f8
	v_cmp_neq_f32_e64 s[54:55], v35, v34
	v_cmp_class_f32_e64 s[56:57], v35, s56
	s_or_b64 s[54:55], s[54:55], s[56:57]
	s_and_saveexec_b64 s[56:57], s[54:55]
	s_cbranch_execz .LBB355_338
; %bb.337:
	v_sub_f32_e32 v35, v35, v34
	s_mov_b32 s54, 0x3fb8aa3b
	v_mul_f32_e32 v36, 0x3fb8aa3b, v35
	v_fma_f32 v37, v35, s54, -v36
	v_rndne_f32_e32 v38, v36
	v_fmac_f32_e32 v37, 0x32a5705f, v35
	v_sub_f32_e32 v36, v36, v38
	v_add_f32_e32 v36, v36, v37
	v_exp_f32_e32 v36, v36
	v_cvt_i32_f32_e32 v37, v38
	s_mov_b32 s54, 0xc2ce8ed0
	v_cmp_ngt_f32_e64 s[54:55], s54, v35
	s_mov_b32 s77, 0x7f800000
	v_ldexp_f32 v36, v36, v37
	v_cndmask_b32_e64 v36, 0, v36, s[54:55]
	s_mov_b32 s54, 0x42b17218
	v_mov_b32_e32 v37, 0x7f800000
	v_cmp_nlt_f32_e64 s[54:55], s54, v35
	v_cndmask_b32_e64 v38, v37, v36, s[54:55]
	v_add_f32_e32 v39, 1.0, v38
	v_cvt_f64_f32_e32 v[35:36], v39
	v_add_f32_e32 v40, -1.0, v39
	v_sub_f32_e32 v41, v40, v39
	v_sub_f32_e32 v40, v38, v40
	v_frexp_exp_i32_f64_e32 v35, v[35:36]
	v_add_f32_e32 v36, 1.0, v41
	v_add_f32_e32 v36, v40, v36
	v_frexp_mant_f32_e32 v40, v39
	s_mov_b32 s54, 0x3f2aaaab
	v_cmp_gt_f32_e64 s[54:55], s54, v40
	v_subbrev_co_u32_e64 v35, s[54:55], 0, v35, s[54:55]
	v_sub_u32_e32 v40, 0, v35
	v_ldexp_f32 v39, v39, v40
	v_ldexp_f32 v36, v36, v40
	v_add_f32_e32 v40, -1.0, v39
	v_add_f32_e32 v43, 1.0, v39
	v_add_f32_e32 v41, 1.0, v40
	v_add_f32_e32 v44, -1.0, v43
	v_sub_f32_e32 v41, v39, v41
	v_sub_f32_e32 v39, v39, v44
	v_add_f32_e32 v41, v36, v41
	v_add_f32_e32 v36, v36, v39
	;; [unrolled: 1-line block ×3, first 2 shown]
	v_rcp_f32_e32 v44, v39
	v_add_f32_e32 v42, v40, v41
	v_sub_f32_e32 v40, v40, v42
	v_add_f32_e32 v40, v41, v40
	v_sub_f32_e32 v41, v43, v39
	v_add_f32_e32 v36, v36, v41
	v_mul_f32_e32 v41, v42, v44
	v_mul_f32_e32 v43, v39, v41
	v_fma_f32 v45, v41, v39, -v43
	v_fmac_f32_e32 v45, v41, v36
	v_add_f32_e32 v46, v43, v45
	v_sub_f32_e32 v47, v42, v46
	v_sub_f32_e32 v42, v42, v47
	;; [unrolled: 1-line block ×4, first 2 shown]
	v_add_f32_e32 v40, v40, v42
	v_sub_f32_e32 v42, v43, v45
	v_add_f32_e32 v40, v42, v40
	v_add_f32_e32 v42, v47, v40
	v_mul_f32_e32 v43, v44, v42
	v_mul_f32_e32 v45, v39, v43
	v_fma_f32 v39, v43, v39, -v45
	v_fmac_f32_e32 v39, v43, v36
	v_sub_f32_e32 v36, v47, v42
	v_add_f32_e32 v36, v40, v36
	v_add_f32_e32 v40, v45, v39
	v_sub_f32_e32 v46, v42, v40
	v_sub_f32_e32 v42, v42, v46
	;; [unrolled: 1-line block ×4, first 2 shown]
	v_add_f32_e32 v36, v36, v40
	v_sub_f32_e32 v39, v45, v39
	v_add_f32_e32 v36, v39, v36
	v_add_f32_e32 v39, v41, v43
	;; [unrolled: 1-line block ×3, first 2 shown]
	v_sub_f32_e32 v40, v39, v41
	v_mul_f32_e32 v36, v44, v36
	v_sub_f32_e32 v40, v43, v40
	v_add_f32_e32 v36, v40, v36
	v_cvt_f32_i32_e32 v35, v35
	v_add_f32_e32 v40, v39, v36
	v_mul_f32_e32 v41, v40, v40
	v_mov_b32_e32 v42, 0x3ecc95a3
	v_fmac_f32_e32 v42, 0x3e9b6dac, v41
	v_mov_b32_e32 v43, 0x3f2aaada
	v_fmac_f32_e32 v43, v41, v42
	s_mov_b32 s54, 0x3f317218
	v_mul_f32_e32 v42, 0x3f317218, v35
	v_fma_f32 v44, v35, s54, -v42
	v_fmac_f32_e32 v44, 0xb102e308, v35
	v_sub_f32_e32 v35, v40, v39
	v_sub_f32_e32 v35, v36, v35
	v_add_f32_e32 v36, v42, v44
	v_sub_f32_e32 v39, v36, v42
	v_ldexp_f32 v42, v40, 1
	v_mul_f32_e32 v40, v40, v41
	v_mul_f32_e32 v40, v40, v43
	v_add_f32_e32 v41, v42, v40
	v_sub_f32_e32 v42, v41, v42
	v_ldexp_f32 v35, v35, 1
	v_sub_f32_e32 v40, v40, v42
	v_add_f32_e32 v35, v35, v40
	v_add_f32_e32 v40, v41, v35
	v_sub_f32_e32 v41, v40, v41
	v_sub_f32_e32 v35, v35, v41
	v_add_f32_e32 v41, v36, v40
	v_sub_f32_e32 v42, v41, v36
	v_sub_f32_e32 v43, v41, v42
	;; [unrolled: 1-line block ×5, first 2 shown]
	v_add_f32_e32 v36, v40, v36
	v_add_f32_e32 v40, v39, v35
	v_sub_f32_e32 v42, v40, v39
	v_sub_f32_e32 v43, v40, v42
	;; [unrolled: 1-line block ×4, first 2 shown]
	v_add_f32_e32 v36, v40, v36
	v_add_f32_e32 v35, v35, v39
	v_add_f32_e32 v39, v41, v36
	v_sub_f32_e32 v40, v39, v41
	v_sub_f32_e32 v36, v36, v40
	v_add_f32_e32 v35, v35, v36
	v_add_f32_e32 v35, v39, v35
	v_cmp_neq_f32_e64 s[54:55], s77, v38
	v_cndmask_b32_e64 v35, v37, v35, s[54:55]
	s_mov_b32 s54, 0x33800000
	v_cmp_lt_f32_e64 s[54:55], |v38|, s54
	v_cndmask_b32_e64 v35, v35, v38, s[54:55]
	v_add_f32_e32 v34, v34, v35
	v_cvt_f16_f32_e32 v37, v34
.LBB355_338:
	s_or_b64 exec, exec, s[56:57]
	v_and_b32_e32 v36, 0xffff, v37
	v_mov_b32_e32 v35, v37
.LBB355_339:
	s_or_b64 exec, exec, s[74:75]
	v_and_b32_e32 v34, 16, v33
	v_mov_b32_dpp v37, v36 row_bcast:15 row_mask:0xf bank_mask:0xf
	v_cmp_ne_u32_e64 s[54:55], 0, v34
	s_and_saveexec_b64 s[74:75], s[54:55]
	s_cbranch_execz .LBB355_343
; %bb.340:
	v_cvt_f32_f16_e32 v34, v37
	v_cvt_f32_f16_e32 v36, v35
	v_cmp_u_f16_e64 s[54:55], v37, v37
	v_cmp_u_f16_e64 s[56:57], v35, v35
	v_min_f32_e32 v38, v34, v36
	v_cndmask_b32_e64 v38, v38, v34, s[54:55]
	v_cndmask_b32_e64 v35, v38, v36, s[56:57]
	v_max_f32_e32 v38, v34, v36
	v_cndmask_b32_e64 v34, v38, v34, s[54:55]
	v_cndmask_b32_e64 v34, v34, v36, s[56:57]
	s_movk_i32 s56, 0x1f8
	v_cmp_neq_f32_e64 s[54:55], v35, v34
	v_cmp_class_f32_e64 s[56:57], v35, s56
	s_or_b64 s[54:55], s[54:55], s[56:57]
	s_and_saveexec_b64 s[56:57], s[54:55]
	s_cbranch_execz .LBB355_342
; %bb.341:
	v_sub_f32_e32 v35, v35, v34
	s_mov_b32 s54, 0x3fb8aa3b
	v_mul_f32_e32 v36, 0x3fb8aa3b, v35
	v_fma_f32 v37, v35, s54, -v36
	v_rndne_f32_e32 v38, v36
	v_fmac_f32_e32 v37, 0x32a5705f, v35
	v_sub_f32_e32 v36, v36, v38
	v_add_f32_e32 v36, v36, v37
	v_exp_f32_e32 v36, v36
	v_cvt_i32_f32_e32 v37, v38
	s_mov_b32 s54, 0xc2ce8ed0
	v_cmp_ngt_f32_e64 s[54:55], s54, v35
	s_mov_b32 s77, 0x7f800000
	v_ldexp_f32 v36, v36, v37
	v_cndmask_b32_e64 v36, 0, v36, s[54:55]
	s_mov_b32 s54, 0x42b17218
	v_mov_b32_e32 v37, 0x7f800000
	v_cmp_nlt_f32_e64 s[54:55], s54, v35
	v_cndmask_b32_e64 v38, v37, v36, s[54:55]
	v_add_f32_e32 v39, 1.0, v38
	v_cvt_f64_f32_e32 v[35:36], v39
	v_add_f32_e32 v40, -1.0, v39
	v_sub_f32_e32 v41, v40, v39
	v_sub_f32_e32 v40, v38, v40
	v_frexp_exp_i32_f64_e32 v35, v[35:36]
	v_add_f32_e32 v36, 1.0, v41
	v_add_f32_e32 v36, v40, v36
	v_frexp_mant_f32_e32 v40, v39
	s_mov_b32 s54, 0x3f2aaaab
	v_cmp_gt_f32_e64 s[54:55], s54, v40
	v_subbrev_co_u32_e64 v35, s[54:55], 0, v35, s[54:55]
	v_sub_u32_e32 v40, 0, v35
	v_ldexp_f32 v39, v39, v40
	v_ldexp_f32 v36, v36, v40
	v_add_f32_e32 v40, -1.0, v39
	v_add_f32_e32 v43, 1.0, v39
	v_add_f32_e32 v41, 1.0, v40
	v_add_f32_e32 v44, -1.0, v43
	v_sub_f32_e32 v41, v39, v41
	v_sub_f32_e32 v39, v39, v44
	v_add_f32_e32 v41, v36, v41
	v_add_f32_e32 v36, v36, v39
	;; [unrolled: 1-line block ×3, first 2 shown]
	v_rcp_f32_e32 v44, v39
	v_add_f32_e32 v42, v40, v41
	v_sub_f32_e32 v40, v40, v42
	v_add_f32_e32 v40, v41, v40
	v_sub_f32_e32 v41, v43, v39
	v_add_f32_e32 v36, v36, v41
	v_mul_f32_e32 v41, v42, v44
	v_mul_f32_e32 v43, v39, v41
	v_fma_f32 v45, v41, v39, -v43
	v_fmac_f32_e32 v45, v41, v36
	v_add_f32_e32 v46, v43, v45
	v_sub_f32_e32 v47, v42, v46
	v_sub_f32_e32 v42, v42, v47
	;; [unrolled: 1-line block ×4, first 2 shown]
	v_add_f32_e32 v40, v40, v42
	v_sub_f32_e32 v42, v43, v45
	v_add_f32_e32 v40, v42, v40
	v_add_f32_e32 v42, v47, v40
	v_mul_f32_e32 v43, v44, v42
	v_mul_f32_e32 v45, v39, v43
	v_fma_f32 v39, v43, v39, -v45
	v_fmac_f32_e32 v39, v43, v36
	v_sub_f32_e32 v36, v47, v42
	v_add_f32_e32 v36, v40, v36
	v_add_f32_e32 v40, v45, v39
	v_sub_f32_e32 v46, v42, v40
	v_sub_f32_e32 v42, v42, v46
	;; [unrolled: 1-line block ×4, first 2 shown]
	v_add_f32_e32 v36, v36, v40
	v_sub_f32_e32 v39, v45, v39
	v_add_f32_e32 v36, v39, v36
	v_add_f32_e32 v39, v41, v43
	;; [unrolled: 1-line block ×3, first 2 shown]
	v_sub_f32_e32 v40, v39, v41
	v_mul_f32_e32 v36, v44, v36
	v_sub_f32_e32 v40, v43, v40
	v_add_f32_e32 v36, v40, v36
	v_cvt_f32_i32_e32 v35, v35
	v_add_f32_e32 v40, v39, v36
	v_mul_f32_e32 v41, v40, v40
	v_mov_b32_e32 v42, 0x3ecc95a3
	v_fmac_f32_e32 v42, 0x3e9b6dac, v41
	v_mov_b32_e32 v43, 0x3f2aaada
	v_fmac_f32_e32 v43, v41, v42
	s_mov_b32 s54, 0x3f317218
	v_mul_f32_e32 v42, 0x3f317218, v35
	v_fma_f32 v44, v35, s54, -v42
	v_fmac_f32_e32 v44, 0xb102e308, v35
	v_sub_f32_e32 v35, v40, v39
	v_sub_f32_e32 v35, v36, v35
	v_add_f32_e32 v36, v42, v44
	v_sub_f32_e32 v39, v36, v42
	v_ldexp_f32 v42, v40, 1
	v_mul_f32_e32 v40, v40, v41
	v_mul_f32_e32 v40, v40, v43
	v_add_f32_e32 v41, v42, v40
	v_sub_f32_e32 v42, v41, v42
	v_ldexp_f32 v35, v35, 1
	v_sub_f32_e32 v40, v40, v42
	v_add_f32_e32 v35, v35, v40
	v_add_f32_e32 v40, v41, v35
	v_sub_f32_e32 v41, v40, v41
	v_sub_f32_e32 v35, v35, v41
	v_add_f32_e32 v41, v36, v40
	v_sub_f32_e32 v42, v41, v36
	v_sub_f32_e32 v43, v41, v42
	;; [unrolled: 1-line block ×5, first 2 shown]
	v_add_f32_e32 v36, v40, v36
	v_add_f32_e32 v40, v39, v35
	v_sub_f32_e32 v42, v40, v39
	v_sub_f32_e32 v43, v40, v42
	;; [unrolled: 1-line block ×4, first 2 shown]
	v_add_f32_e32 v36, v40, v36
	v_add_f32_e32 v35, v35, v39
	;; [unrolled: 1-line block ×3, first 2 shown]
	v_sub_f32_e32 v40, v39, v41
	v_sub_f32_e32 v36, v36, v40
	v_add_f32_e32 v35, v35, v36
	v_add_f32_e32 v35, v39, v35
	v_cmp_neq_f32_e64 s[54:55], s77, v38
	v_cndmask_b32_e64 v35, v37, v35, s[54:55]
	s_mov_b32 s54, 0x33800000
	v_cmp_lt_f32_e64 s[54:55], |v38|, s54
	v_cndmask_b32_e64 v35, v35, v38, s[54:55]
	v_add_f32_e32 v34, v34, v35
	v_cvt_f16_f32_e32 v37, v34
.LBB355_342:
	s_or_b64 exec, exec, s[56:57]
	v_and_b32_e32 v36, 0xffff, v37
	v_mov_b32_e32 v35, v37
.LBB355_343:
	s_or_b64 exec, exec, s[74:75]
	v_mov_b32_dpp v36, v36 row_bcast:31 row_mask:0xf bank_mask:0xf
	v_cmp_lt_u32_e64 s[54:55], 31, v33
	s_and_saveexec_b64 s[74:75], s[54:55]
	s_cbranch_execz .LBB355_347
; %bb.344:
	v_cvt_f32_f16_e32 v34, v36
	v_cvt_f32_f16_e32 v37, v35
	v_cmp_u_f16_e64 s[54:55], v36, v36
	v_cmp_u_f16_e64 s[56:57], v35, v35
	v_min_f32_e32 v38, v34, v37
	v_cndmask_b32_e64 v38, v38, v34, s[54:55]
	v_cndmask_b32_e64 v35, v38, v37, s[56:57]
	v_max_f32_e32 v38, v34, v37
	v_cndmask_b32_e64 v34, v38, v34, s[54:55]
	v_cndmask_b32_e64 v34, v34, v37, s[56:57]
	s_movk_i32 s56, 0x1f8
	v_cmp_neq_f32_e64 s[54:55], v35, v34
	v_cmp_class_f32_e64 s[56:57], v35, s56
	s_or_b64 s[54:55], s[54:55], s[56:57]
	s_and_saveexec_b64 s[56:57], s[54:55]
	s_cbranch_execz .LBB355_346
; %bb.345:
	v_sub_f32_e32 v35, v35, v34
	s_mov_b32 s54, 0x3fb8aa3b
	v_mul_f32_e32 v36, 0x3fb8aa3b, v35
	v_fma_f32 v37, v35, s54, -v36
	v_rndne_f32_e32 v38, v36
	v_fmac_f32_e32 v37, 0x32a5705f, v35
	v_sub_f32_e32 v36, v36, v38
	v_add_f32_e32 v36, v36, v37
	v_exp_f32_e32 v36, v36
	v_cvt_i32_f32_e32 v37, v38
	s_mov_b32 s54, 0xc2ce8ed0
	v_cmp_ngt_f32_e64 s[54:55], s54, v35
	s_mov_b32 s77, 0x7f800000
	v_ldexp_f32 v36, v36, v37
	v_cndmask_b32_e64 v36, 0, v36, s[54:55]
	s_mov_b32 s54, 0x42b17218
	v_mov_b32_e32 v37, 0x7f800000
	v_cmp_nlt_f32_e64 s[54:55], s54, v35
	v_cndmask_b32_e64 v38, v37, v36, s[54:55]
	v_add_f32_e32 v39, 1.0, v38
	v_cvt_f64_f32_e32 v[35:36], v39
	v_add_f32_e32 v40, -1.0, v39
	v_sub_f32_e32 v41, v40, v39
	v_sub_f32_e32 v40, v38, v40
	v_frexp_exp_i32_f64_e32 v35, v[35:36]
	v_add_f32_e32 v36, 1.0, v41
	v_add_f32_e32 v36, v40, v36
	v_frexp_mant_f32_e32 v40, v39
	s_mov_b32 s54, 0x3f2aaaab
	v_cmp_gt_f32_e64 s[54:55], s54, v40
	v_subbrev_co_u32_e64 v35, s[54:55], 0, v35, s[54:55]
	v_sub_u32_e32 v40, 0, v35
	v_ldexp_f32 v39, v39, v40
	v_ldexp_f32 v36, v36, v40
	v_add_f32_e32 v40, -1.0, v39
	v_add_f32_e32 v43, 1.0, v39
	v_add_f32_e32 v41, 1.0, v40
	v_add_f32_e32 v44, -1.0, v43
	v_sub_f32_e32 v41, v39, v41
	v_sub_f32_e32 v39, v39, v44
	v_add_f32_e32 v41, v36, v41
	v_add_f32_e32 v36, v36, v39
	v_add_f32_e32 v39, v43, v36
	v_rcp_f32_e32 v44, v39
	v_add_f32_e32 v42, v40, v41
	v_sub_f32_e32 v40, v40, v42
	v_add_f32_e32 v40, v41, v40
	v_sub_f32_e32 v41, v43, v39
	v_add_f32_e32 v36, v36, v41
	v_mul_f32_e32 v41, v42, v44
	v_mul_f32_e32 v43, v39, v41
	v_fma_f32 v45, v41, v39, -v43
	v_fmac_f32_e32 v45, v41, v36
	v_add_f32_e32 v46, v43, v45
	v_sub_f32_e32 v47, v42, v46
	v_sub_f32_e32 v42, v42, v47
	;; [unrolled: 1-line block ×4, first 2 shown]
	v_add_f32_e32 v40, v40, v42
	v_sub_f32_e32 v42, v43, v45
	v_add_f32_e32 v40, v42, v40
	v_add_f32_e32 v42, v47, v40
	v_mul_f32_e32 v43, v44, v42
	v_mul_f32_e32 v45, v39, v43
	v_fma_f32 v39, v43, v39, -v45
	v_fmac_f32_e32 v39, v43, v36
	v_sub_f32_e32 v36, v47, v42
	v_add_f32_e32 v36, v40, v36
	v_add_f32_e32 v40, v45, v39
	v_sub_f32_e32 v46, v42, v40
	v_sub_f32_e32 v42, v42, v46
	;; [unrolled: 1-line block ×4, first 2 shown]
	v_add_f32_e32 v36, v36, v40
	v_sub_f32_e32 v39, v45, v39
	v_add_f32_e32 v36, v39, v36
	v_add_f32_e32 v39, v41, v43
	;; [unrolled: 1-line block ×3, first 2 shown]
	v_sub_f32_e32 v40, v39, v41
	v_mul_f32_e32 v36, v44, v36
	v_sub_f32_e32 v40, v43, v40
	v_add_f32_e32 v36, v40, v36
	v_cvt_f32_i32_e32 v35, v35
	v_add_f32_e32 v40, v39, v36
	v_mul_f32_e32 v41, v40, v40
	v_mov_b32_e32 v42, 0x3ecc95a3
	v_fmac_f32_e32 v42, 0x3e9b6dac, v41
	v_mov_b32_e32 v43, 0x3f2aaada
	v_fmac_f32_e32 v43, v41, v42
	s_mov_b32 s54, 0x3f317218
	v_mul_f32_e32 v42, 0x3f317218, v35
	v_fma_f32 v44, v35, s54, -v42
	v_fmac_f32_e32 v44, 0xb102e308, v35
	v_sub_f32_e32 v35, v40, v39
	v_sub_f32_e32 v35, v36, v35
	v_add_f32_e32 v36, v42, v44
	v_sub_f32_e32 v39, v36, v42
	v_ldexp_f32 v42, v40, 1
	v_mul_f32_e32 v40, v40, v41
	v_mul_f32_e32 v40, v40, v43
	v_add_f32_e32 v41, v42, v40
	v_sub_f32_e32 v42, v41, v42
	v_ldexp_f32 v35, v35, 1
	v_sub_f32_e32 v40, v40, v42
	v_add_f32_e32 v35, v35, v40
	v_add_f32_e32 v40, v41, v35
	v_sub_f32_e32 v41, v40, v41
	v_sub_f32_e32 v35, v35, v41
	v_add_f32_e32 v41, v36, v40
	v_sub_f32_e32 v42, v41, v36
	v_sub_f32_e32 v43, v41, v42
	;; [unrolled: 1-line block ×5, first 2 shown]
	v_add_f32_e32 v36, v40, v36
	v_add_f32_e32 v40, v39, v35
	v_sub_f32_e32 v42, v40, v39
	v_sub_f32_e32 v43, v40, v42
	v_sub_f32_e32 v39, v39, v43
	v_sub_f32_e32 v35, v35, v42
	v_add_f32_e32 v36, v40, v36
	v_add_f32_e32 v35, v35, v39
	;; [unrolled: 1-line block ×3, first 2 shown]
	v_sub_f32_e32 v40, v39, v41
	v_sub_f32_e32 v36, v36, v40
	v_add_f32_e32 v35, v35, v36
	v_add_f32_e32 v35, v39, v35
	v_cmp_neq_f32_e64 s[54:55], s77, v38
	v_cndmask_b32_e64 v35, v37, v35, s[54:55]
	s_mov_b32 s54, 0x33800000
	v_cmp_lt_f32_e64 s[54:55], |v38|, s54
	v_cndmask_b32_e64 v35, v35, v38, s[54:55]
	v_add_f32_e32 v34, v34, v35
	v_cvt_f16_f32_e32 v36, v34
.LBB355_346:
	s_or_b64 exec, exec, s[56:57]
	v_mov_b32_e32 v35, v36
.LBB355_347:
	s_or_b64 exec, exec, s[74:75]
	v_add_u32_e32 v34, -1, v33
	v_and_b32_e32 v36, 64, v33
	v_cmp_lt_i32_e64 s[54:55], v34, v36
	v_cndmask_b32_e64 v33, v34, v33, s[54:55]
	v_lshlrev_b32_e32 v33, 2, v33
	v_and_b32_e32 v34, 0xffff, v35
	ds_bpermute_b32 v33, v33, v34
	v_max_f32_e32 v35, v32, v32
	s_movk_i32 s56, 0x1f8
	s_waitcnt lgkmcnt(0)
	v_cvt_f32_f16_e32 v34, v33
	v_cmp_u_f16_e64 s[54:55], v33, v33
	v_min_f32_e32 v36, v34, v35
	v_max_f32_e32 v35, v34, v35
	v_cndmask_b32_e64 v36, v36, v34, s[54:55]
	v_cndmask_b32_e64 v35, v35, v34, s[54:55]
	;; [unrolled: 1-line block ×4, first 2 shown]
	v_cmp_neq_f32_e64 s[52:53], v34, v32
	v_cmp_class_f32_e64 s[54:55], v34, s56
	s_or_b64 s[52:53], s[52:53], s[54:55]
	s_and_saveexec_b64 s[54:55], s[52:53]
	s_cbranch_execz .LBB355_349
; %bb.348:
	v_sub_f32_e32 v33, v34, v32
	s_mov_b32 s52, 0x3fb8aa3b
	v_mul_f32_e32 v34, 0x3fb8aa3b, v33
	v_fma_f32 v35, v33, s52, -v34
	v_rndne_f32_e32 v36, v34
	v_fmac_f32_e32 v35, 0x32a5705f, v33
	v_sub_f32_e32 v34, v34, v36
	v_add_f32_e32 v34, v34, v35
	v_exp_f32_e32 v34, v34
	v_cvt_i32_f32_e32 v35, v36
	s_mov_b32 s52, 0xc2ce8ed0
	v_cmp_ngt_f32_e64 s[52:53], s52, v33
	s_mov_b32 s57, 0x7f800000
	v_ldexp_f32 v34, v34, v35
	v_cndmask_b32_e64 v34, 0, v34, s[52:53]
	s_mov_b32 s52, 0x42b17218
	v_mov_b32_e32 v35, 0x7f800000
	v_cmp_nlt_f32_e64 s[52:53], s52, v33
	v_cndmask_b32_e64 v36, v35, v34, s[52:53]
	v_add_f32_e32 v37, 1.0, v36
	v_cvt_f64_f32_e32 v[33:34], v37
	v_add_f32_e32 v38, -1.0, v37
	v_sub_f32_e32 v39, v38, v37
	v_sub_f32_e32 v38, v36, v38
	v_frexp_exp_i32_f64_e32 v33, v[33:34]
	v_add_f32_e32 v34, 1.0, v39
	v_add_f32_e32 v34, v38, v34
	v_frexp_mant_f32_e32 v38, v37
	s_mov_b32 s52, 0x3f2aaaab
	v_cmp_gt_f32_e64 s[52:53], s52, v38
	v_subbrev_co_u32_e64 v33, s[52:53], 0, v33, s[52:53]
	v_sub_u32_e32 v38, 0, v33
	v_ldexp_f32 v37, v37, v38
	v_ldexp_f32 v34, v34, v38
	v_add_f32_e32 v38, -1.0, v37
	v_add_f32_e32 v41, 1.0, v37
	v_add_f32_e32 v39, 1.0, v38
	v_add_f32_e32 v42, -1.0, v41
	v_sub_f32_e32 v39, v37, v39
	v_sub_f32_e32 v37, v37, v42
	v_add_f32_e32 v39, v34, v39
	v_add_f32_e32 v34, v34, v37
	;; [unrolled: 1-line block ×3, first 2 shown]
	v_rcp_f32_e32 v42, v37
	v_add_f32_e32 v40, v38, v39
	v_sub_f32_e32 v38, v38, v40
	v_add_f32_e32 v38, v39, v38
	v_sub_f32_e32 v39, v41, v37
	v_add_f32_e32 v34, v34, v39
	v_mul_f32_e32 v39, v40, v42
	v_mul_f32_e32 v41, v37, v39
	v_fma_f32 v43, v39, v37, -v41
	v_fmac_f32_e32 v43, v39, v34
	v_add_f32_e32 v44, v41, v43
	v_sub_f32_e32 v45, v40, v44
	v_sub_f32_e32 v40, v40, v45
	;; [unrolled: 1-line block ×4, first 2 shown]
	v_add_f32_e32 v38, v38, v40
	v_sub_f32_e32 v40, v41, v43
	v_add_f32_e32 v38, v40, v38
	v_add_f32_e32 v40, v45, v38
	v_mul_f32_e32 v41, v42, v40
	v_mul_f32_e32 v43, v37, v41
	v_fma_f32 v37, v41, v37, -v43
	v_fmac_f32_e32 v37, v41, v34
	v_sub_f32_e32 v34, v45, v40
	v_add_f32_e32 v34, v38, v34
	v_add_f32_e32 v38, v43, v37
	v_sub_f32_e32 v44, v40, v38
	v_sub_f32_e32 v40, v40, v44
	;; [unrolled: 1-line block ×4, first 2 shown]
	v_add_f32_e32 v34, v34, v38
	v_sub_f32_e32 v37, v43, v37
	v_add_f32_e32 v34, v37, v34
	v_add_f32_e32 v37, v39, v41
	;; [unrolled: 1-line block ×3, first 2 shown]
	v_sub_f32_e32 v38, v37, v39
	v_mul_f32_e32 v34, v42, v34
	v_sub_f32_e32 v38, v41, v38
	v_add_f32_e32 v34, v38, v34
	v_cvt_f32_i32_e32 v33, v33
	v_add_f32_e32 v38, v37, v34
	v_mul_f32_e32 v39, v38, v38
	v_mov_b32_e32 v40, 0x3ecc95a3
	v_fmac_f32_e32 v40, 0x3e9b6dac, v39
	v_mov_b32_e32 v41, 0x3f2aaada
	v_fmac_f32_e32 v41, v39, v40
	s_mov_b32 s52, 0x3f317218
	v_mul_f32_e32 v40, 0x3f317218, v33
	v_fma_f32 v42, v33, s52, -v40
	v_fmac_f32_e32 v42, 0xb102e308, v33
	v_sub_f32_e32 v33, v38, v37
	v_sub_f32_e32 v33, v34, v33
	v_add_f32_e32 v34, v40, v42
	v_sub_f32_e32 v37, v34, v40
	v_ldexp_f32 v40, v38, 1
	v_mul_f32_e32 v38, v38, v39
	v_mul_f32_e32 v38, v38, v41
	v_add_f32_e32 v39, v40, v38
	v_sub_f32_e32 v40, v39, v40
	v_ldexp_f32 v33, v33, 1
	v_sub_f32_e32 v38, v38, v40
	v_add_f32_e32 v33, v33, v38
	v_add_f32_e32 v38, v39, v33
	v_sub_f32_e32 v39, v38, v39
	v_sub_f32_e32 v33, v33, v39
	v_add_f32_e32 v39, v34, v38
	v_sub_f32_e32 v40, v39, v34
	v_sub_f32_e32 v41, v39, v40
	;; [unrolled: 1-line block ×5, first 2 shown]
	v_add_f32_e32 v34, v38, v34
	v_add_f32_e32 v38, v37, v33
	v_sub_f32_e32 v40, v38, v37
	v_sub_f32_e32 v41, v38, v40
	v_sub_f32_e32 v37, v37, v41
	v_sub_f32_e32 v33, v33, v40
	v_add_f32_e32 v34, v38, v34
	v_add_f32_e32 v33, v33, v37
	;; [unrolled: 1-line block ×3, first 2 shown]
	v_sub_f32_e32 v38, v37, v39
	v_sub_f32_e32 v34, v34, v38
	v_add_f32_e32 v33, v33, v34
	v_add_f32_e32 v33, v37, v33
	v_cmp_neq_f32_e64 s[52:53], s57, v36
	v_cndmask_b32_e64 v33, v35, v33, s[52:53]
	s_mov_b32 s52, 0x33800000
	v_cmp_lt_f32_e64 s[52:53], |v36|, s52
	v_cndmask_b32_e64 v33, v33, v36, s[52:53]
	v_add_f32_e32 v32, v32, v33
	v_cvt_f16_f32_e32 v33, v32
.LBB355_349:
	s_or_b64 exec, exec, s[54:55]
	v_cndmask_b32_e64 v32, v33, v18, s[50:51]
	; wave barrier
	ds_write_b16 v4, v32
	; wave barrier
	ds_read_u16 v18, v4 offset:2
	v_cvt_f32_f16_e32 v33, v32
	v_cmp_u_f16_e64 s[50:51], v32, v32
	s_waitcnt lgkmcnt(0)
	v_cvt_f32_f16_e32 v35, v18
	v_cmp_u_f16_e64 s[52:53], v18, v18
	v_min_f32_e32 v34, v33, v35
	v_max_f32_e32 v18, v33, v35
	v_cndmask_b32_e64 v34, v34, v33, s[50:51]
	v_cndmask_b32_e64 v18, v18, v33, s[50:51]
	;; [unrolled: 1-line block ×4, first 2 shown]
	v_cmp_neq_f32_e64 s[50:51], v34, v18
	v_cmp_class_f32_e64 s[52:53], v34, s56
	s_or_b64 s[50:51], s[50:51], s[52:53]
	s_and_saveexec_b64 s[52:53], s[50:51]
	s_cbranch_execz .LBB355_351
; %bb.350:
	v_sub_f32_e32 v32, v34, v18
	s_mov_b32 s50, 0x3fb8aa3b
	v_mul_f32_e32 v33, 0x3fb8aa3b, v32
	v_fma_f32 v34, v32, s50, -v33
	v_rndne_f32_e32 v35, v33
	v_fmac_f32_e32 v34, 0x32a5705f, v32
	v_sub_f32_e32 v33, v33, v35
	v_add_f32_e32 v33, v33, v34
	v_exp_f32_e32 v33, v33
	v_cvt_i32_f32_e32 v34, v35
	s_mov_b32 s50, 0xc2ce8ed0
	v_cmp_ngt_f32_e64 s[50:51], s50, v32
	s_mov_b32 s54, 0x7f800000
	v_ldexp_f32 v33, v33, v34
	v_cndmask_b32_e64 v33, 0, v33, s[50:51]
	s_mov_b32 s50, 0x42b17218
	v_mov_b32_e32 v34, 0x7f800000
	v_cmp_nlt_f32_e64 s[50:51], s50, v32
	v_cndmask_b32_e64 v35, v34, v33, s[50:51]
	v_add_f32_e32 v36, 1.0, v35
	v_cvt_f64_f32_e32 v[32:33], v36
	v_add_f32_e32 v37, -1.0, v36
	v_sub_f32_e32 v38, v37, v36
	v_sub_f32_e32 v37, v35, v37
	v_frexp_exp_i32_f64_e32 v32, v[32:33]
	v_add_f32_e32 v33, 1.0, v38
	v_add_f32_e32 v33, v37, v33
	v_frexp_mant_f32_e32 v37, v36
	s_mov_b32 s50, 0x3f2aaaab
	v_cmp_gt_f32_e64 s[50:51], s50, v37
	v_subbrev_co_u32_e64 v32, s[50:51], 0, v32, s[50:51]
	v_sub_u32_e32 v37, 0, v32
	v_ldexp_f32 v36, v36, v37
	v_ldexp_f32 v33, v33, v37
	v_add_f32_e32 v37, -1.0, v36
	v_add_f32_e32 v40, 1.0, v36
	v_add_f32_e32 v38, 1.0, v37
	v_add_f32_e32 v41, -1.0, v40
	v_sub_f32_e32 v38, v36, v38
	v_sub_f32_e32 v36, v36, v41
	v_add_f32_e32 v38, v33, v38
	v_add_f32_e32 v33, v33, v36
	;; [unrolled: 1-line block ×3, first 2 shown]
	v_rcp_f32_e32 v41, v36
	v_add_f32_e32 v39, v37, v38
	v_sub_f32_e32 v37, v37, v39
	v_add_f32_e32 v37, v38, v37
	v_sub_f32_e32 v38, v40, v36
	v_add_f32_e32 v33, v33, v38
	v_mul_f32_e32 v38, v39, v41
	v_mul_f32_e32 v40, v36, v38
	v_fma_f32 v42, v38, v36, -v40
	v_fmac_f32_e32 v42, v38, v33
	v_add_f32_e32 v43, v40, v42
	v_sub_f32_e32 v44, v39, v43
	v_sub_f32_e32 v39, v39, v44
	;; [unrolled: 1-line block ×4, first 2 shown]
	v_add_f32_e32 v37, v37, v39
	v_sub_f32_e32 v39, v40, v42
	v_add_f32_e32 v37, v39, v37
	v_add_f32_e32 v39, v44, v37
	v_mul_f32_e32 v40, v41, v39
	v_mul_f32_e32 v42, v36, v40
	v_fma_f32 v36, v40, v36, -v42
	v_fmac_f32_e32 v36, v40, v33
	v_sub_f32_e32 v33, v44, v39
	v_add_f32_e32 v33, v37, v33
	v_add_f32_e32 v37, v42, v36
	v_sub_f32_e32 v43, v39, v37
	v_sub_f32_e32 v39, v39, v43
	;; [unrolled: 1-line block ×4, first 2 shown]
	v_add_f32_e32 v33, v33, v37
	v_sub_f32_e32 v36, v42, v36
	v_add_f32_e32 v33, v36, v33
	v_add_f32_e32 v36, v38, v40
	;; [unrolled: 1-line block ×3, first 2 shown]
	v_sub_f32_e32 v37, v36, v38
	v_mul_f32_e32 v33, v41, v33
	v_sub_f32_e32 v37, v40, v37
	v_add_f32_e32 v33, v37, v33
	v_cvt_f32_i32_e32 v32, v32
	v_add_f32_e32 v37, v36, v33
	v_mul_f32_e32 v38, v37, v37
	v_mov_b32_e32 v39, 0x3ecc95a3
	v_fmac_f32_e32 v39, 0x3e9b6dac, v38
	v_mov_b32_e32 v40, 0x3f2aaada
	v_fmac_f32_e32 v40, v38, v39
	s_mov_b32 s50, 0x3f317218
	v_mul_f32_e32 v39, 0x3f317218, v32
	v_fma_f32 v41, v32, s50, -v39
	v_fmac_f32_e32 v41, 0xb102e308, v32
	v_sub_f32_e32 v32, v37, v36
	v_sub_f32_e32 v32, v33, v32
	v_add_f32_e32 v33, v39, v41
	v_sub_f32_e32 v36, v33, v39
	v_ldexp_f32 v39, v37, 1
	v_mul_f32_e32 v37, v37, v38
	v_mul_f32_e32 v37, v37, v40
	v_add_f32_e32 v38, v39, v37
	v_sub_f32_e32 v39, v38, v39
	v_ldexp_f32 v32, v32, 1
	v_sub_f32_e32 v37, v37, v39
	v_add_f32_e32 v32, v32, v37
	v_add_f32_e32 v37, v38, v32
	v_sub_f32_e32 v38, v37, v38
	v_sub_f32_e32 v32, v32, v38
	v_add_f32_e32 v38, v33, v37
	v_sub_f32_e32 v39, v38, v33
	v_sub_f32_e32 v40, v38, v39
	;; [unrolled: 1-line block ×5, first 2 shown]
	v_add_f32_e32 v33, v37, v33
	v_add_f32_e32 v37, v36, v32
	v_sub_f32_e32 v39, v37, v36
	v_sub_f32_e32 v40, v37, v39
	;; [unrolled: 1-line block ×4, first 2 shown]
	v_add_f32_e32 v33, v37, v33
	v_add_f32_e32 v32, v32, v36
	;; [unrolled: 1-line block ×3, first 2 shown]
	v_sub_f32_e32 v37, v36, v38
	v_sub_f32_e32 v33, v33, v37
	v_add_f32_e32 v32, v32, v33
	v_add_f32_e32 v32, v36, v32
	v_cmp_neq_f32_e64 s[50:51], s54, v35
	v_cndmask_b32_e64 v32, v34, v32, s[50:51]
	s_mov_b32 s50, 0x33800000
	v_cmp_lt_f32_e64 s[50:51], |v35|, s50
	v_cndmask_b32_e64 v32, v32, v35, s[50:51]
	v_add_f32_e32 v18, v18, v32
	v_cvt_f16_f32_e32 v32, v18
	v_cvt_f32_f16_e32 v33, v32
.LBB355_351:
	s_or_b64 exec, exec, s[52:53]
	ds_read_u16 v18, v4 offset:4
	v_max_f32_e32 v34, v33, v33
	v_cmp_u_f16_e64 s[50:51], v32, v32
	s_movk_i32 s54, 0x1f8
	ds_write_b16 v4, v32 offset:2
	s_waitcnt lgkmcnt(1)
	v_cvt_f32_f16_e32 v35, v18
	v_min_f32_e32 v36, v34, v35
	v_max_f32_e32 v34, v34, v35
	v_cndmask_b32_e64 v36, v36, v33, s[50:51]
	v_cndmask_b32_e64 v37, v34, v33, s[50:51]
	v_cmp_u_f16_e64 s[50:51], v18, v18
	v_cndmask_b32_e64 v34, v36, v35, s[50:51]
	v_cndmask_b32_e64 v18, v37, v35, s[50:51]
	v_cmp_neq_f32_e64 s[50:51], v34, v18
	v_cmp_class_f32_e64 s[52:53], v34, s54
	s_or_b64 s[50:51], s[50:51], s[52:53]
	s_and_saveexec_b64 s[52:53], s[50:51]
	s_cbranch_execz .LBB355_353
; %bb.352:
	v_sub_f32_e32 v32, v34, v18
	s_mov_b32 s50, 0x3fb8aa3b
	v_mul_f32_e32 v33, 0x3fb8aa3b, v32
	v_fma_f32 v34, v32, s50, -v33
	v_rndne_f32_e32 v35, v33
	v_fmac_f32_e32 v34, 0x32a5705f, v32
	v_sub_f32_e32 v33, v33, v35
	v_add_f32_e32 v33, v33, v34
	v_exp_f32_e32 v33, v33
	v_cvt_i32_f32_e32 v34, v35
	s_mov_b32 s50, 0xc2ce8ed0
	v_cmp_ngt_f32_e64 s[50:51], s50, v32
	s_mov_b32 s55, 0x7f800000
	v_ldexp_f32 v33, v33, v34
	v_cndmask_b32_e64 v33, 0, v33, s[50:51]
	s_mov_b32 s50, 0x42b17218
	v_mov_b32_e32 v34, 0x7f800000
	v_cmp_nlt_f32_e64 s[50:51], s50, v32
	v_cndmask_b32_e64 v35, v34, v33, s[50:51]
	v_add_f32_e32 v36, 1.0, v35
	v_cvt_f64_f32_e32 v[32:33], v36
	v_add_f32_e32 v37, -1.0, v36
	v_sub_f32_e32 v38, v37, v36
	v_sub_f32_e32 v37, v35, v37
	v_frexp_exp_i32_f64_e32 v32, v[32:33]
	v_add_f32_e32 v33, 1.0, v38
	v_add_f32_e32 v33, v37, v33
	v_frexp_mant_f32_e32 v37, v36
	s_mov_b32 s50, 0x3f2aaaab
	v_cmp_gt_f32_e64 s[50:51], s50, v37
	v_subbrev_co_u32_e64 v32, s[50:51], 0, v32, s[50:51]
	v_sub_u32_e32 v37, 0, v32
	v_ldexp_f32 v36, v36, v37
	v_ldexp_f32 v33, v33, v37
	v_add_f32_e32 v37, -1.0, v36
	v_add_f32_e32 v40, 1.0, v36
	v_add_f32_e32 v38, 1.0, v37
	v_add_f32_e32 v41, -1.0, v40
	v_sub_f32_e32 v38, v36, v38
	v_sub_f32_e32 v36, v36, v41
	v_add_f32_e32 v38, v33, v38
	v_add_f32_e32 v33, v33, v36
	;; [unrolled: 1-line block ×3, first 2 shown]
	v_rcp_f32_e32 v41, v36
	v_add_f32_e32 v39, v37, v38
	v_sub_f32_e32 v37, v37, v39
	v_add_f32_e32 v37, v38, v37
	v_sub_f32_e32 v38, v40, v36
	v_add_f32_e32 v33, v33, v38
	v_mul_f32_e32 v38, v39, v41
	v_mul_f32_e32 v40, v36, v38
	v_fma_f32 v42, v38, v36, -v40
	v_fmac_f32_e32 v42, v38, v33
	v_add_f32_e32 v43, v40, v42
	v_sub_f32_e32 v44, v39, v43
	v_sub_f32_e32 v39, v39, v44
	v_sub_f32_e32 v40, v43, v40
	v_sub_f32_e32 v39, v39, v43
	v_add_f32_e32 v37, v37, v39
	v_sub_f32_e32 v39, v40, v42
	v_add_f32_e32 v37, v39, v37
	v_add_f32_e32 v39, v44, v37
	v_mul_f32_e32 v40, v41, v39
	v_mul_f32_e32 v42, v36, v40
	v_fma_f32 v36, v40, v36, -v42
	v_fmac_f32_e32 v36, v40, v33
	v_sub_f32_e32 v33, v44, v39
	v_add_f32_e32 v33, v37, v33
	v_add_f32_e32 v37, v42, v36
	v_sub_f32_e32 v43, v39, v37
	v_sub_f32_e32 v39, v39, v43
	;; [unrolled: 1-line block ×4, first 2 shown]
	v_add_f32_e32 v33, v33, v37
	v_sub_f32_e32 v36, v42, v36
	v_add_f32_e32 v33, v36, v33
	v_add_f32_e32 v36, v38, v40
	;; [unrolled: 1-line block ×3, first 2 shown]
	v_sub_f32_e32 v37, v36, v38
	v_mul_f32_e32 v33, v41, v33
	v_sub_f32_e32 v37, v40, v37
	v_add_f32_e32 v33, v37, v33
	v_cvt_f32_i32_e32 v32, v32
	v_add_f32_e32 v37, v36, v33
	v_mul_f32_e32 v38, v37, v37
	v_mov_b32_e32 v39, 0x3ecc95a3
	v_fmac_f32_e32 v39, 0x3e9b6dac, v38
	v_mov_b32_e32 v40, 0x3f2aaada
	v_fmac_f32_e32 v40, v38, v39
	s_mov_b32 s50, 0x3f317218
	v_mul_f32_e32 v39, 0x3f317218, v32
	v_fma_f32 v41, v32, s50, -v39
	v_fmac_f32_e32 v41, 0xb102e308, v32
	v_sub_f32_e32 v32, v37, v36
	v_sub_f32_e32 v32, v33, v32
	v_add_f32_e32 v33, v39, v41
	v_sub_f32_e32 v36, v33, v39
	v_ldexp_f32 v39, v37, 1
	v_mul_f32_e32 v37, v37, v38
	v_mul_f32_e32 v37, v37, v40
	v_add_f32_e32 v38, v39, v37
	v_sub_f32_e32 v39, v38, v39
	v_ldexp_f32 v32, v32, 1
	v_sub_f32_e32 v37, v37, v39
	v_add_f32_e32 v32, v32, v37
	v_add_f32_e32 v37, v38, v32
	v_sub_f32_e32 v38, v37, v38
	v_sub_f32_e32 v32, v32, v38
	v_add_f32_e32 v38, v33, v37
	v_sub_f32_e32 v39, v38, v33
	v_sub_f32_e32 v40, v38, v39
	;; [unrolled: 1-line block ×5, first 2 shown]
	v_add_f32_e32 v33, v37, v33
	v_add_f32_e32 v37, v36, v32
	v_sub_f32_e32 v39, v37, v36
	v_sub_f32_e32 v40, v37, v39
	v_sub_f32_e32 v36, v36, v40
	v_sub_f32_e32 v32, v32, v39
	v_add_f32_e32 v33, v37, v33
	v_add_f32_e32 v32, v32, v36
	;; [unrolled: 1-line block ×3, first 2 shown]
	v_sub_f32_e32 v37, v36, v38
	v_sub_f32_e32 v33, v33, v37
	v_add_f32_e32 v32, v32, v33
	v_add_f32_e32 v32, v36, v32
	v_cmp_neq_f32_e64 s[50:51], s55, v35
	v_cndmask_b32_e64 v32, v34, v32, s[50:51]
	s_mov_b32 s50, 0x33800000
	v_cmp_lt_f32_e64 s[50:51], |v35|, s50
	v_cndmask_b32_e64 v32, v32, v35, s[50:51]
	v_add_f32_e32 v18, v18, v32
	v_cvt_f16_f32_e32 v32, v18
	v_cvt_f32_f16_e32 v33, v32
.LBB355_353:
	s_or_b64 exec, exec, s[52:53]
	ds_read_u16 v18, v4 offset:6
	v_max_f32_e32 v35, v33, v33
	v_cmp_u_f16_e64 s[50:51], v32, v32
	ds_write_b16 v4, v32 offset:4
	s_waitcnt lgkmcnt(1)
	v_cvt_f32_f16_e32 v34, v18
	v_min_f32_e32 v36, v35, v34
	v_max_f32_e32 v35, v35, v34
	v_cndmask_b32_e64 v36, v36, v33, s[50:51]
	v_cndmask_b32_e64 v35, v35, v33, s[50:51]
	v_cmp_u_f16_e64 s[50:51], v18, v18
	v_cndmask_b32_e64 v33, v36, v34, s[50:51]
	v_cndmask_b32_e64 v18, v35, v34, s[50:51]
	v_cmp_neq_f32_e64 s[50:51], v33, v18
	v_cmp_class_f32_e64 s[52:53], v33, s54
	s_or_b64 s[50:51], s[50:51], s[52:53]
	s_and_saveexec_b64 s[52:53], s[50:51]
	s_cbranch_execz .LBB355_355
; %bb.354:
	v_sub_f32_e32 v32, v33, v18
	s_mov_b32 s50, 0x3fb8aa3b
	v_mul_f32_e32 v33, 0x3fb8aa3b, v32
	v_fma_f32 v34, v32, s50, -v33
	v_rndne_f32_e32 v35, v33
	v_fmac_f32_e32 v34, 0x32a5705f, v32
	v_sub_f32_e32 v33, v33, v35
	v_add_f32_e32 v33, v33, v34
	v_exp_f32_e32 v33, v33
	v_cvt_i32_f32_e32 v34, v35
	s_mov_b32 s50, 0xc2ce8ed0
	v_cmp_ngt_f32_e64 s[50:51], s50, v32
	s_mov_b32 s54, 0x7f800000
	v_ldexp_f32 v33, v33, v34
	v_cndmask_b32_e64 v33, 0, v33, s[50:51]
	s_mov_b32 s50, 0x42b17218
	v_mov_b32_e32 v34, 0x7f800000
	v_cmp_nlt_f32_e64 s[50:51], s50, v32
	v_cndmask_b32_e64 v35, v34, v33, s[50:51]
	v_add_f32_e32 v36, 1.0, v35
	v_cvt_f64_f32_e32 v[32:33], v36
	v_add_f32_e32 v37, -1.0, v36
	v_sub_f32_e32 v38, v37, v36
	v_sub_f32_e32 v37, v35, v37
	v_frexp_exp_i32_f64_e32 v32, v[32:33]
	v_add_f32_e32 v33, 1.0, v38
	v_add_f32_e32 v33, v37, v33
	v_frexp_mant_f32_e32 v37, v36
	s_mov_b32 s50, 0x3f2aaaab
	v_cmp_gt_f32_e64 s[50:51], s50, v37
	v_subbrev_co_u32_e64 v32, s[50:51], 0, v32, s[50:51]
	v_sub_u32_e32 v37, 0, v32
	v_ldexp_f32 v36, v36, v37
	v_ldexp_f32 v33, v33, v37
	v_add_f32_e32 v37, -1.0, v36
	v_add_f32_e32 v40, 1.0, v36
	v_add_f32_e32 v38, 1.0, v37
	v_add_f32_e32 v41, -1.0, v40
	v_sub_f32_e32 v38, v36, v38
	v_sub_f32_e32 v36, v36, v41
	v_add_f32_e32 v38, v33, v38
	v_add_f32_e32 v33, v33, v36
	;; [unrolled: 1-line block ×3, first 2 shown]
	v_rcp_f32_e32 v41, v36
	v_add_f32_e32 v39, v37, v38
	v_sub_f32_e32 v37, v37, v39
	v_add_f32_e32 v37, v38, v37
	v_sub_f32_e32 v38, v40, v36
	v_add_f32_e32 v33, v33, v38
	v_mul_f32_e32 v38, v39, v41
	v_mul_f32_e32 v40, v36, v38
	v_fma_f32 v42, v38, v36, -v40
	v_fmac_f32_e32 v42, v38, v33
	v_add_f32_e32 v43, v40, v42
	v_sub_f32_e32 v44, v39, v43
	v_sub_f32_e32 v39, v39, v44
	v_sub_f32_e32 v40, v43, v40
	v_sub_f32_e32 v39, v39, v43
	v_add_f32_e32 v37, v37, v39
	v_sub_f32_e32 v39, v40, v42
	v_add_f32_e32 v37, v39, v37
	v_add_f32_e32 v39, v44, v37
	v_mul_f32_e32 v40, v41, v39
	v_mul_f32_e32 v42, v36, v40
	v_fma_f32 v36, v40, v36, -v42
	v_fmac_f32_e32 v36, v40, v33
	v_sub_f32_e32 v33, v44, v39
	v_add_f32_e32 v33, v37, v33
	v_add_f32_e32 v37, v42, v36
	v_sub_f32_e32 v43, v39, v37
	v_sub_f32_e32 v39, v39, v43
	;; [unrolled: 1-line block ×4, first 2 shown]
	v_add_f32_e32 v33, v33, v37
	v_sub_f32_e32 v36, v42, v36
	v_add_f32_e32 v33, v36, v33
	v_add_f32_e32 v36, v38, v40
	;; [unrolled: 1-line block ×3, first 2 shown]
	v_sub_f32_e32 v37, v36, v38
	v_mul_f32_e32 v33, v41, v33
	v_sub_f32_e32 v37, v40, v37
	v_add_f32_e32 v33, v37, v33
	v_cvt_f32_i32_e32 v32, v32
	v_add_f32_e32 v37, v36, v33
	v_mul_f32_e32 v38, v37, v37
	v_mov_b32_e32 v39, 0x3ecc95a3
	v_fmac_f32_e32 v39, 0x3e9b6dac, v38
	v_mov_b32_e32 v40, 0x3f2aaada
	v_fmac_f32_e32 v40, v38, v39
	s_mov_b32 s50, 0x3f317218
	v_mul_f32_e32 v39, 0x3f317218, v32
	v_fma_f32 v41, v32, s50, -v39
	v_fmac_f32_e32 v41, 0xb102e308, v32
	v_sub_f32_e32 v32, v37, v36
	v_sub_f32_e32 v32, v33, v32
	v_add_f32_e32 v33, v39, v41
	v_sub_f32_e32 v36, v33, v39
	v_ldexp_f32 v39, v37, 1
	v_mul_f32_e32 v37, v37, v38
	v_mul_f32_e32 v37, v37, v40
	v_add_f32_e32 v38, v39, v37
	v_sub_f32_e32 v39, v38, v39
	v_ldexp_f32 v32, v32, 1
	v_sub_f32_e32 v37, v37, v39
	v_add_f32_e32 v32, v32, v37
	v_add_f32_e32 v37, v38, v32
	v_sub_f32_e32 v38, v37, v38
	v_sub_f32_e32 v32, v32, v38
	v_add_f32_e32 v38, v33, v37
	v_sub_f32_e32 v39, v38, v33
	v_sub_f32_e32 v40, v38, v39
	v_sub_f32_e32 v36, v41, v36
	v_sub_f32_e32 v33, v33, v40
	v_sub_f32_e32 v37, v37, v39
	v_add_f32_e32 v33, v37, v33
	v_add_f32_e32 v37, v36, v32
	v_sub_f32_e32 v39, v37, v36
	v_sub_f32_e32 v40, v37, v39
	;; [unrolled: 1-line block ×4, first 2 shown]
	v_add_f32_e32 v33, v37, v33
	v_add_f32_e32 v32, v32, v36
	;; [unrolled: 1-line block ×3, first 2 shown]
	v_sub_f32_e32 v37, v36, v38
	v_sub_f32_e32 v33, v33, v37
	v_add_f32_e32 v32, v32, v33
	v_add_f32_e32 v32, v36, v32
	v_cmp_neq_f32_e64 s[50:51], s54, v35
	v_cndmask_b32_e64 v32, v34, v32, s[50:51]
	s_mov_b32 s50, 0x33800000
	v_cmp_lt_f32_e64 s[50:51], |v35|, s50
	v_cndmask_b32_e64 v32, v32, v35, s[50:51]
	v_add_f32_e32 v18, v18, v32
	v_cvt_f16_f32_e32 v32, v18
.LBB355_355:
	s_or_b64 exec, exec, s[52:53]
	ds_write_b16 v4, v32 offset:6
.LBB355_356:
	s_or_b64 exec, exec, s[60:61]
	v_mov_b32_e32 v4, v13
	s_waitcnt lgkmcnt(0)
	s_barrier
	s_and_saveexec_b64 s[50:51], s[12:13]
	s_cbranch_execz .LBB355_360
; %bb.357:
	v_add_u32_e32 v4, -1, v0
	v_lshrrev_b32_e32 v13, 4, v4
	v_and_b32_e32 v13, 0xffffffe, v13
	v_lshl_add_u32 v4, v4, 1, v13
	ds_read_u16 v13, v4
	v_max_f32_e32 v4, v17, v17
	s_movk_i32 s52, 0x1f8
	s_waitcnt lgkmcnt(0)
	v_cvt_f32_f16_e32 v18, v13
	v_cmp_u_f16_e64 s[12:13], v13, v13
	v_min_f32_e32 v14, v18, v4
	v_max_f32_e32 v4, v18, v4
	v_cndmask_b32_e64 v14, v14, v18, s[12:13]
	v_cndmask_b32_e64 v4, v4, v18, s[12:13]
	;; [unrolled: 1-line block ×4, first 2 shown]
	v_cmp_neq_f32_e64 s[12:13], v14, v4
	v_cmp_class_f32_e64 s[48:49], v14, s52
	s_or_b64 s[12:13], s[12:13], s[48:49]
	s_and_saveexec_b64 s[48:49], s[12:13]
	s_cbranch_execz .LBB355_359
; %bb.358:
	v_sub_f32_e32 v13, v14, v4
	s_mov_b32 s12, 0x3fb8aa3b
	v_mul_f32_e32 v14, 0x3fb8aa3b, v13
	v_fma_f32 v15, v13, s12, -v14
	v_rndne_f32_e32 v17, v14
	v_fmac_f32_e32 v15, 0x32a5705f, v13
	v_sub_f32_e32 v14, v14, v17
	v_add_f32_e32 v14, v14, v15
	v_exp_f32_e32 v14, v14
	v_cvt_i32_f32_e32 v15, v17
	s_mov_b32 s12, 0xc2ce8ed0
	v_cmp_ngt_f32_e64 s[12:13], s12, v13
	s_mov_b32 s52, 0x7f800000
	v_ldexp_f32 v14, v14, v15
	v_cndmask_b32_e64 v14, 0, v14, s[12:13]
	s_mov_b32 s12, 0x42b17218
	v_mov_b32_e32 v15, 0x7f800000
	v_cmp_nlt_f32_e64 s[12:13], s12, v13
	v_cndmask_b32_e64 v17, v15, v14, s[12:13]
	v_add_f32_e32 v18, 1.0, v17
	v_cvt_f64_f32_e32 v[13:14], v18
	v_add_f32_e32 v32, -1.0, v18
	v_sub_f32_e32 v33, v32, v18
	v_sub_f32_e32 v32, v17, v32
	v_frexp_exp_i32_f64_e32 v13, v[13:14]
	v_add_f32_e32 v14, 1.0, v33
	v_add_f32_e32 v14, v32, v14
	v_frexp_mant_f32_e32 v32, v18
	s_mov_b32 s12, 0x3f2aaaab
	v_cmp_gt_f32_e64 s[12:13], s12, v32
	v_subbrev_co_u32_e64 v13, s[12:13], 0, v13, s[12:13]
	v_sub_u32_e32 v32, 0, v13
	v_ldexp_f32 v18, v18, v32
	v_ldexp_f32 v14, v14, v32
	v_add_f32_e32 v32, -1.0, v18
	v_add_f32_e32 v35, 1.0, v18
	v_add_f32_e32 v33, 1.0, v32
	v_add_f32_e32 v36, -1.0, v35
	v_sub_f32_e32 v33, v18, v33
	v_sub_f32_e32 v18, v18, v36
	v_add_f32_e32 v33, v14, v33
	v_add_f32_e32 v14, v14, v18
	;; [unrolled: 1-line block ×3, first 2 shown]
	v_rcp_f32_e32 v36, v18
	v_add_f32_e32 v34, v32, v33
	v_sub_f32_e32 v32, v32, v34
	v_add_f32_e32 v32, v33, v32
	v_sub_f32_e32 v33, v35, v18
	v_add_f32_e32 v14, v14, v33
	v_mul_f32_e32 v33, v34, v36
	v_mul_f32_e32 v35, v18, v33
	v_fma_f32 v37, v33, v18, -v35
	v_fmac_f32_e32 v37, v33, v14
	v_add_f32_e32 v38, v35, v37
	v_sub_f32_e32 v39, v34, v38
	v_sub_f32_e32 v34, v34, v39
	;; [unrolled: 1-line block ×4, first 2 shown]
	v_add_f32_e32 v32, v32, v34
	v_sub_f32_e32 v34, v35, v37
	v_add_f32_e32 v32, v34, v32
	v_add_f32_e32 v34, v39, v32
	v_mul_f32_e32 v35, v36, v34
	v_mul_f32_e32 v37, v18, v35
	v_fma_f32 v18, v35, v18, -v37
	v_fmac_f32_e32 v18, v35, v14
	v_sub_f32_e32 v14, v39, v34
	v_add_f32_e32 v14, v32, v14
	v_add_f32_e32 v32, v37, v18
	v_sub_f32_e32 v38, v34, v32
	v_sub_f32_e32 v34, v34, v38
	;; [unrolled: 1-line block ×4, first 2 shown]
	v_add_f32_e32 v14, v14, v32
	v_sub_f32_e32 v18, v37, v18
	v_add_f32_e32 v14, v18, v14
	v_add_f32_e32 v18, v33, v35
	;; [unrolled: 1-line block ×3, first 2 shown]
	v_sub_f32_e32 v32, v18, v33
	v_mul_f32_e32 v14, v36, v14
	v_sub_f32_e32 v32, v35, v32
	v_add_f32_e32 v14, v32, v14
	v_cvt_f32_i32_e32 v13, v13
	v_add_f32_e32 v32, v18, v14
	v_mul_f32_e32 v33, v32, v32
	v_mov_b32_e32 v34, 0x3ecc95a3
	v_fmac_f32_e32 v34, 0x3e9b6dac, v33
	v_mov_b32_e32 v35, 0x3f2aaada
	v_fmac_f32_e32 v35, v33, v34
	s_mov_b32 s12, 0x3f317218
	v_mul_f32_e32 v34, 0x3f317218, v13
	v_fma_f32 v36, v13, s12, -v34
	v_fmac_f32_e32 v36, 0xb102e308, v13
	v_sub_f32_e32 v13, v32, v18
	v_sub_f32_e32 v13, v14, v13
	v_add_f32_e32 v14, v34, v36
	v_sub_f32_e32 v18, v14, v34
	v_ldexp_f32 v34, v32, 1
	v_mul_f32_e32 v32, v32, v33
	v_mul_f32_e32 v32, v32, v35
	v_add_f32_e32 v33, v34, v32
	v_sub_f32_e32 v34, v33, v34
	v_ldexp_f32 v13, v13, 1
	v_sub_f32_e32 v32, v32, v34
	v_add_f32_e32 v13, v13, v32
	v_add_f32_e32 v32, v33, v13
	v_sub_f32_e32 v33, v32, v33
	v_sub_f32_e32 v13, v13, v33
	v_add_f32_e32 v33, v14, v32
	v_sub_f32_e32 v34, v33, v14
	v_sub_f32_e32 v35, v33, v34
	;; [unrolled: 1-line block ×5, first 2 shown]
	v_add_f32_e32 v14, v32, v14
	v_add_f32_e32 v32, v18, v13
	v_sub_f32_e32 v34, v32, v18
	v_sub_f32_e32 v35, v32, v34
	;; [unrolled: 1-line block ×4, first 2 shown]
	v_add_f32_e32 v14, v32, v14
	v_add_f32_e32 v13, v13, v18
	;; [unrolled: 1-line block ×3, first 2 shown]
	v_sub_f32_e32 v32, v18, v33
	v_sub_f32_e32 v14, v14, v32
	v_add_f32_e32 v13, v13, v14
	v_add_f32_e32 v13, v18, v13
	v_cmp_neq_f32_e64 s[12:13], s52, v17
	v_cndmask_b32_e64 v13, v15, v13, s[12:13]
	s_mov_b32 s12, 0x33800000
	v_cmp_lt_f32_e64 s[12:13], |v17|, s12
	v_cndmask_b32_e64 v13, v13, v17, s[12:13]
	v_add_f32_e32 v4, v4, v13
	v_cvt_f16_f32_e32 v13, v4
	v_cvt_f32_f16_e32 v18, v13
.LBB355_359:
	s_or_b64 exec, exec, s[48:49]
	v_max_f32_e32 v4, v21, v21
	v_max_f32_e32 v15, v18, v18
	v_min_f32_e32 v14, v15, v4
	v_max_f32_e32 v15, v15, v4
	v_mov_b32_e32 v4, v13
	v_mov_b32_e32 v17, v18
	;;#ASMSTART
	;;#ASMEND
.LBB355_360:
	s_or_b64 exec, exec, s[50:51]
	v_cmp_u_f16_e64 s[12:13], v4, v4
	v_cndmask_b32_e64 v14, v14, v17, s[12:13]
	v_cndmask_b32_e32 v18, v14, v21, vcc
	v_cndmask_b32_e64 v14, v15, v17, s[12:13]
	v_cndmask_b32_e32 v15, v14, v21, vcc
	s_movk_i32 s48, 0x1f8
	v_cmp_neq_f32_e32 vcc, v18, v15
	v_cmp_class_f32_e64 s[12:13], v18, s48
	s_or_b64 s[50:51], vcc, s[12:13]
	v_mov_b32_e32 v14, v13
	s_and_saveexec_b64 s[12:13], s[50:51]
	s_cbranch_execz .LBB355_362
; %bb.361:
	v_sub_f32_e32 v4, v18, v15
	s_mov_b32 s49, 0x3fb8aa3b
	v_mul_f32_e32 v14, 0x3fb8aa3b, v4
	v_fma_f32 v17, v4, s49, -v14
	v_rndne_f32_e32 v18, v14
	v_fmac_f32_e32 v17, 0x32a5705f, v4
	v_sub_f32_e32 v14, v14, v18
	v_add_f32_e32 v14, v14, v17
	v_exp_f32_e32 v14, v14
	v_cvt_i32_f32_e32 v17, v18
	s_mov_b32 s49, 0xc2ce8ed0
	v_cmp_ngt_f32_e32 vcc, s49, v4
	s_mov_b32 s49, 0x42b17218
	v_ldexp_f32 v14, v14, v17
	v_cndmask_b32_e32 v14, 0, v14, vcc
	v_mov_b32_e32 v21, 0x7f800000
	v_cmp_nlt_f32_e32 vcc, s49, v4
	v_cndmask_b32_e32 v4, v21, v14, vcc
	v_add_f32_e32 v14, 1.0, v4
	v_cvt_f64_f32_e32 v[17:18], v14
	v_add_f32_e32 v32, -1.0, v14
	v_sub_f32_e32 v33, v32, v14
	v_sub_f32_e32 v32, v4, v32
	v_frexp_exp_i32_f64_e32 v17, v[17:18]
	v_add_f32_e32 v18, 1.0, v33
	v_add_f32_e32 v18, v32, v18
	v_frexp_mant_f32_e32 v32, v14
	s_mov_b32 s50, 0x3f2aaaab
	v_cmp_gt_f32_e32 vcc, s50, v32
	s_mov_b32 s50, 0x3f317218
	s_mov_b32 s49, 0x7f800000
	v_subbrev_co_u32_e32 v17, vcc, 0, v17, vcc
	v_sub_u32_e32 v32, 0, v17
	v_ldexp_f32 v14, v14, v32
	v_ldexp_f32 v18, v18, v32
	v_add_f32_e32 v32, -1.0, v14
	v_add_f32_e32 v35, 1.0, v14
	v_add_f32_e32 v33, 1.0, v32
	v_add_f32_e32 v36, -1.0, v35
	v_sub_f32_e32 v33, v14, v33
	v_sub_f32_e32 v14, v14, v36
	v_add_f32_e32 v14, v18, v14
	v_add_f32_e32 v33, v18, v33
	v_add_f32_e32 v18, v35, v14
	v_rcp_f32_e32 v36, v18
	v_add_f32_e32 v34, v32, v33
	v_sub_f32_e32 v32, v32, v34
	v_add_f32_e32 v32, v33, v32
	v_sub_f32_e32 v33, v35, v18
	v_add_f32_e32 v14, v14, v33
	v_mul_f32_e32 v33, v34, v36
	v_mul_f32_e32 v35, v18, v33
	v_fma_f32 v37, v33, v18, -v35
	v_fmac_f32_e32 v37, v33, v14
	v_add_f32_e32 v38, v35, v37
	v_sub_f32_e32 v39, v34, v38
	v_sub_f32_e32 v34, v34, v39
	;; [unrolled: 1-line block ×4, first 2 shown]
	v_add_f32_e32 v32, v32, v34
	v_sub_f32_e32 v34, v35, v37
	v_add_f32_e32 v32, v34, v32
	v_add_f32_e32 v34, v39, v32
	v_mul_f32_e32 v35, v36, v34
	v_mul_f32_e32 v37, v18, v35
	v_fma_f32 v18, v35, v18, -v37
	v_fmac_f32_e32 v18, v35, v14
	v_sub_f32_e32 v14, v39, v34
	v_add_f32_e32 v14, v32, v14
	v_add_f32_e32 v32, v37, v18
	v_sub_f32_e32 v38, v34, v32
	v_sub_f32_e32 v34, v34, v38
	;; [unrolled: 1-line block ×4, first 2 shown]
	v_add_f32_e32 v14, v14, v32
	v_sub_f32_e32 v18, v37, v18
	v_add_f32_e32 v14, v18, v14
	v_add_f32_e32 v18, v33, v35
	;; [unrolled: 1-line block ×3, first 2 shown]
	v_sub_f32_e32 v32, v18, v33
	v_mul_f32_e32 v14, v36, v14
	v_sub_f32_e32 v32, v35, v32
	v_add_f32_e32 v14, v32, v14
	v_cvt_f32_i32_e32 v17, v17
	v_add_f32_e32 v32, v18, v14
	v_mul_f32_e32 v33, v32, v32
	v_mov_b32_e32 v34, 0x3ecc95a3
	v_fmac_f32_e32 v34, 0x3e9b6dac, v33
	v_mov_b32_e32 v35, 0x3f2aaada
	v_fmac_f32_e32 v35, v33, v34
	v_mul_f32_e32 v34, 0x3f317218, v17
	v_fma_f32 v36, v17, s50, -v34
	v_fmac_f32_e32 v36, 0xb102e308, v17
	v_sub_f32_e32 v17, v32, v18
	v_sub_f32_e32 v14, v14, v17
	v_add_f32_e32 v17, v34, v36
	v_sub_f32_e32 v18, v17, v34
	v_ldexp_f32 v34, v32, 1
	v_mul_f32_e32 v32, v32, v33
	v_mul_f32_e32 v32, v32, v35
	v_add_f32_e32 v33, v34, v32
	v_sub_f32_e32 v34, v33, v34
	v_ldexp_f32 v14, v14, 1
	v_sub_f32_e32 v32, v32, v34
	v_add_f32_e32 v14, v14, v32
	v_add_f32_e32 v32, v33, v14
	v_sub_f32_e32 v33, v32, v33
	v_sub_f32_e32 v14, v14, v33
	v_add_f32_e32 v33, v17, v32
	v_sub_f32_e32 v34, v33, v17
	v_sub_f32_e32 v35, v33, v34
	;; [unrolled: 1-line block ×5, first 2 shown]
	v_add_f32_e32 v17, v32, v17
	v_add_f32_e32 v32, v18, v14
	v_sub_f32_e32 v34, v32, v18
	v_sub_f32_e32 v35, v32, v34
	v_sub_f32_e32 v18, v18, v35
	v_sub_f32_e32 v14, v14, v34
	v_add_f32_e32 v17, v32, v17
	v_add_f32_e32 v14, v14, v18
	;; [unrolled: 1-line block ×3, first 2 shown]
	v_sub_f32_e32 v32, v18, v33
	v_sub_f32_e32 v17, v17, v32
	v_add_f32_e32 v14, v14, v17
	v_add_f32_e32 v14, v18, v14
	v_cmp_neq_f32_e32 vcc, s49, v4
	s_mov_b32 s49, 0x33800000
	v_cndmask_b32_e32 v14, v21, v14, vcc
	v_cmp_lt_f32_e64 vcc, |v4|, s49
	v_cndmask_b32_e32 v4, v14, v4, vcc
	v_add_f32_e32 v4, v15, v4
	v_cvt_f16_f32_e32 v4, v4
	v_cvt_f32_f16_e32 v17, v4
	v_mov_b32_e32 v14, v4
.LBB355_362:
	s_or_b64 exec, exec, s[12:13]
	v_max_f32_e32 v15, v9, v9
	v_max_f32_e32 v21, v17, v17
	v_min_f32_e32 v18, v21, v15
	v_cmp_u_f16_e32 vcc, v4, v4
	v_max_f32_e32 v15, v21, v15
	v_cndmask_b32_e32 v18, v18, v17, vcc
	v_cndmask_b32_e32 v15, v15, v17, vcc
	v_cndmask_b32_e64 v18, v18, v9, s[0:1]
	v_cndmask_b32_e64 v9, v15, v9, s[0:1]
	v_cmp_neq_f32_e32 vcc, v18, v9
	v_cmp_class_f32_e64 s[0:1], v18, s48
	s_or_b64 s[12:13], vcc, s[0:1]
	v_mov_b32_e32 v15, v14
	s_and_saveexec_b64 s[0:1], s[12:13]
	s_cbranch_execz .LBB355_364
; %bb.363:
	v_sub_f32_e32 v4, v18, v9
	s_mov_b32 s12, 0x3fb8aa3b
	v_mul_f32_e32 v15, 0x3fb8aa3b, v4
	v_fma_f32 v17, v4, s12, -v15
	v_rndne_f32_e32 v18, v15
	v_fmac_f32_e32 v17, 0x32a5705f, v4
	v_sub_f32_e32 v15, v15, v18
	v_add_f32_e32 v15, v15, v17
	v_exp_f32_e32 v15, v15
	v_cvt_i32_f32_e32 v17, v18
	s_mov_b32 s12, 0xc2ce8ed0
	v_cmp_ngt_f32_e32 vcc, s12, v4
	s_mov_b32 s12, 0x42b17218
	v_ldexp_f32 v15, v15, v17
	v_cndmask_b32_e32 v15, 0, v15, vcc
	v_mov_b32_e32 v21, 0x7f800000
	v_cmp_nlt_f32_e32 vcc, s12, v4
	v_cndmask_b32_e32 v4, v21, v15, vcc
	v_add_f32_e32 v15, 1.0, v4
	v_cvt_f64_f32_e32 v[17:18], v15
	v_add_f32_e32 v32, -1.0, v15
	v_sub_f32_e32 v33, v32, v15
	v_sub_f32_e32 v32, v4, v32
	v_frexp_exp_i32_f64_e32 v17, v[17:18]
	v_add_f32_e32 v18, 1.0, v33
	v_add_f32_e32 v18, v32, v18
	v_frexp_mant_f32_e32 v32, v15
	s_mov_b32 s13, 0x3f2aaaab
	v_cmp_gt_f32_e32 vcc, s13, v32
	s_mov_b32 s13, 0x3f317218
	s_mov_b32 s12, 0x7f800000
	v_subbrev_co_u32_e32 v17, vcc, 0, v17, vcc
	v_sub_u32_e32 v32, 0, v17
	v_ldexp_f32 v15, v15, v32
	v_ldexp_f32 v18, v18, v32
	v_add_f32_e32 v32, -1.0, v15
	v_add_f32_e32 v35, 1.0, v15
	v_add_f32_e32 v33, 1.0, v32
	v_add_f32_e32 v36, -1.0, v35
	v_sub_f32_e32 v33, v15, v33
	v_sub_f32_e32 v15, v15, v36
	v_add_f32_e32 v15, v18, v15
	v_add_f32_e32 v33, v18, v33
	;; [unrolled: 1-line block ×3, first 2 shown]
	v_rcp_f32_e32 v36, v18
	v_add_f32_e32 v34, v32, v33
	v_sub_f32_e32 v32, v32, v34
	v_add_f32_e32 v32, v33, v32
	v_sub_f32_e32 v33, v35, v18
	v_add_f32_e32 v15, v15, v33
	v_mul_f32_e32 v33, v34, v36
	v_mul_f32_e32 v35, v18, v33
	v_fma_f32 v37, v33, v18, -v35
	v_fmac_f32_e32 v37, v33, v15
	v_add_f32_e32 v38, v35, v37
	v_sub_f32_e32 v39, v34, v38
	v_sub_f32_e32 v34, v34, v39
	;; [unrolled: 1-line block ×4, first 2 shown]
	v_add_f32_e32 v32, v32, v34
	v_sub_f32_e32 v34, v35, v37
	v_add_f32_e32 v32, v34, v32
	v_add_f32_e32 v34, v39, v32
	v_mul_f32_e32 v35, v36, v34
	v_mul_f32_e32 v37, v18, v35
	v_fma_f32 v18, v35, v18, -v37
	v_fmac_f32_e32 v18, v35, v15
	v_sub_f32_e32 v15, v39, v34
	v_add_f32_e32 v15, v32, v15
	v_add_f32_e32 v32, v37, v18
	v_sub_f32_e32 v38, v34, v32
	v_sub_f32_e32 v34, v34, v38
	;; [unrolled: 1-line block ×4, first 2 shown]
	v_add_f32_e32 v15, v15, v32
	v_sub_f32_e32 v18, v37, v18
	v_add_f32_e32 v15, v18, v15
	v_add_f32_e32 v18, v33, v35
	;; [unrolled: 1-line block ×3, first 2 shown]
	v_sub_f32_e32 v32, v18, v33
	v_mul_f32_e32 v15, v36, v15
	v_sub_f32_e32 v32, v35, v32
	v_add_f32_e32 v15, v32, v15
	v_cvt_f32_i32_e32 v17, v17
	v_add_f32_e32 v32, v18, v15
	v_mul_f32_e32 v33, v32, v32
	v_mov_b32_e32 v34, 0x3ecc95a3
	v_fmac_f32_e32 v34, 0x3e9b6dac, v33
	v_mov_b32_e32 v35, 0x3f2aaada
	v_fmac_f32_e32 v35, v33, v34
	v_mul_f32_e32 v34, 0x3f317218, v17
	v_fma_f32 v36, v17, s13, -v34
	v_fmac_f32_e32 v36, 0xb102e308, v17
	v_sub_f32_e32 v17, v32, v18
	v_sub_f32_e32 v15, v15, v17
	v_add_f32_e32 v17, v34, v36
	v_sub_f32_e32 v18, v17, v34
	v_ldexp_f32 v34, v32, 1
	v_mul_f32_e32 v32, v32, v33
	v_mul_f32_e32 v32, v32, v35
	v_add_f32_e32 v33, v34, v32
	v_sub_f32_e32 v34, v33, v34
	v_ldexp_f32 v15, v15, 1
	v_sub_f32_e32 v32, v32, v34
	v_add_f32_e32 v15, v15, v32
	v_add_f32_e32 v32, v33, v15
	v_sub_f32_e32 v33, v32, v33
	v_sub_f32_e32 v15, v15, v33
	v_add_f32_e32 v33, v17, v32
	v_sub_f32_e32 v34, v33, v17
	v_sub_f32_e32 v35, v33, v34
	;; [unrolled: 1-line block ×5, first 2 shown]
	v_add_f32_e32 v17, v32, v17
	v_add_f32_e32 v32, v18, v15
	v_sub_f32_e32 v34, v32, v18
	v_sub_f32_e32 v35, v32, v34
	v_sub_f32_e32 v18, v18, v35
	v_sub_f32_e32 v15, v15, v34
	v_add_f32_e32 v17, v32, v17
	v_add_f32_e32 v15, v15, v18
	;; [unrolled: 1-line block ×3, first 2 shown]
	v_sub_f32_e32 v32, v18, v33
	v_sub_f32_e32 v17, v17, v32
	v_add_f32_e32 v15, v15, v17
	v_add_f32_e32 v15, v18, v15
	v_cmp_neq_f32_e32 vcc, s12, v4
	s_mov_b32 s12, 0x33800000
	v_cndmask_b32_e32 v15, v21, v15, vcc
	v_cmp_lt_f32_e64 vcc, |v4|, s12
	v_cndmask_b32_e32 v4, v15, v4, vcc
	v_add_f32_e32 v4, v9, v4
	v_cvt_f16_f32_e32 v4, v4
	v_cvt_f32_f16_e32 v17, v4
	v_mov_b32_e32 v15, v4
.LBB355_364:
	s_or_b64 exec, exec, s[0:1]
	v_max_f32_e32 v9, v16, v16
	v_max_f32_e32 v21, v17, v17
	v_min_f32_e32 v18, v21, v9
	v_cmp_u_f16_e32 vcc, v4, v4
	v_max_f32_e32 v9, v21, v9
	v_cndmask_b32_e32 v18, v18, v17, vcc
	v_cndmask_b32_e32 v9, v9, v17, vcc
	v_cndmask_b32_e64 v18, v18, v16, s[2:3]
	v_cndmask_b32_e64 v9, v9, v16, s[2:3]
	s_movk_i32 s2, 0x1f8
	v_cmp_neq_f32_e32 vcc, v18, v9
	v_cmp_class_f32_e64 s[0:1], v18, s2
	s_or_b64 s[12:13], vcc, s[0:1]
	v_mov_b32_e32 v16, v15
	s_and_saveexec_b64 s[0:1], s[12:13]
	s_cbranch_execz .LBB355_366
; %bb.365:
	v_sub_f32_e32 v4, v18, v9
	s_mov_b32 s3, 0x3fb8aa3b
	v_mul_f32_e32 v16, 0x3fb8aa3b, v4
	v_fma_f32 v17, v4, s3, -v16
	v_rndne_f32_e32 v18, v16
	v_fmac_f32_e32 v17, 0x32a5705f, v4
	v_sub_f32_e32 v16, v16, v18
	v_add_f32_e32 v16, v16, v17
	v_exp_f32_e32 v16, v16
	v_cvt_i32_f32_e32 v17, v18
	s_mov_b32 s3, 0xc2ce8ed0
	v_cmp_ngt_f32_e32 vcc, s3, v4
	s_mov_b32 s3, 0x42b17218
	v_ldexp_f32 v16, v16, v17
	v_cndmask_b32_e32 v16, 0, v16, vcc
	v_mov_b32_e32 v18, 0x7f800000
	v_cmp_nlt_f32_e32 vcc, s3, v4
	v_cndmask_b32_e32 v4, v18, v16, vcc
	v_add_f32_e32 v21, 1.0, v4
	v_cvt_f64_f32_e32 v[16:17], v21
	v_add_f32_e32 v32, -1.0, v21
	v_sub_f32_e32 v33, v32, v21
	v_sub_f32_e32 v32, v4, v32
	v_frexp_exp_i32_f64_e32 v16, v[16:17]
	v_add_f32_e32 v17, 1.0, v33
	v_add_f32_e32 v17, v32, v17
	v_frexp_mant_f32_e32 v32, v21
	s_mov_b32 s12, 0x3f2aaaab
	v_cmp_gt_f32_e32 vcc, s12, v32
	s_mov_b32 s12, 0x3f317218
	s_mov_b32 s3, 0x7f800000
	v_subbrev_co_u32_e32 v16, vcc, 0, v16, vcc
	v_sub_u32_e32 v32, 0, v16
	v_ldexp_f32 v21, v21, v32
	v_ldexp_f32 v17, v17, v32
	v_add_f32_e32 v32, -1.0, v21
	v_add_f32_e32 v35, 1.0, v21
	v_add_f32_e32 v33, 1.0, v32
	v_add_f32_e32 v36, -1.0, v35
	v_sub_f32_e32 v33, v21, v33
	v_sub_f32_e32 v21, v21, v36
	v_add_f32_e32 v33, v17, v33
	v_add_f32_e32 v17, v17, v21
	;; [unrolled: 1-line block ×3, first 2 shown]
	v_rcp_f32_e32 v36, v21
	v_add_f32_e32 v34, v32, v33
	v_sub_f32_e32 v32, v32, v34
	v_add_f32_e32 v32, v33, v32
	v_sub_f32_e32 v33, v35, v21
	v_add_f32_e32 v17, v17, v33
	v_mul_f32_e32 v33, v34, v36
	v_mul_f32_e32 v35, v21, v33
	v_fma_f32 v37, v33, v21, -v35
	v_fmac_f32_e32 v37, v33, v17
	v_add_f32_e32 v38, v35, v37
	v_sub_f32_e32 v39, v34, v38
	v_sub_f32_e32 v34, v34, v39
	v_sub_f32_e32 v35, v38, v35
	v_sub_f32_e32 v34, v34, v38
	v_add_f32_e32 v32, v32, v34
	v_sub_f32_e32 v34, v35, v37
	v_add_f32_e32 v32, v34, v32
	v_add_f32_e32 v34, v39, v32
	v_mul_f32_e32 v35, v36, v34
	v_mul_f32_e32 v37, v21, v35
	v_fma_f32 v21, v35, v21, -v37
	v_fmac_f32_e32 v21, v35, v17
	v_sub_f32_e32 v17, v39, v34
	v_add_f32_e32 v17, v32, v17
	v_add_f32_e32 v32, v37, v21
	v_sub_f32_e32 v38, v34, v32
	v_sub_f32_e32 v34, v34, v38
	;; [unrolled: 1-line block ×4, first 2 shown]
	v_add_f32_e32 v17, v17, v32
	v_sub_f32_e32 v21, v37, v21
	v_add_f32_e32 v17, v21, v17
	v_add_f32_e32 v21, v33, v35
	;; [unrolled: 1-line block ×3, first 2 shown]
	v_sub_f32_e32 v32, v21, v33
	v_mul_f32_e32 v17, v36, v17
	v_sub_f32_e32 v32, v35, v32
	v_add_f32_e32 v17, v32, v17
	v_cvt_f32_i32_e32 v16, v16
	v_add_f32_e32 v32, v21, v17
	v_mul_f32_e32 v33, v32, v32
	v_mov_b32_e32 v34, 0x3ecc95a3
	v_fmac_f32_e32 v34, 0x3e9b6dac, v33
	v_mov_b32_e32 v35, 0x3f2aaada
	v_fmac_f32_e32 v35, v33, v34
	v_mul_f32_e32 v34, 0x3f317218, v16
	v_fma_f32 v36, v16, s12, -v34
	v_fmac_f32_e32 v36, 0xb102e308, v16
	v_sub_f32_e32 v16, v32, v21
	v_sub_f32_e32 v16, v17, v16
	v_add_f32_e32 v17, v34, v36
	v_sub_f32_e32 v21, v17, v34
	v_ldexp_f32 v34, v32, 1
	v_mul_f32_e32 v32, v32, v33
	v_mul_f32_e32 v32, v32, v35
	v_add_f32_e32 v33, v34, v32
	v_sub_f32_e32 v34, v33, v34
	v_ldexp_f32 v16, v16, 1
	v_sub_f32_e32 v32, v32, v34
	v_add_f32_e32 v16, v16, v32
	v_add_f32_e32 v32, v33, v16
	v_sub_f32_e32 v33, v32, v33
	v_sub_f32_e32 v16, v16, v33
	v_add_f32_e32 v33, v17, v32
	v_sub_f32_e32 v34, v33, v17
	v_sub_f32_e32 v35, v33, v34
	;; [unrolled: 1-line block ×5, first 2 shown]
	v_add_f32_e32 v17, v32, v17
	v_add_f32_e32 v32, v21, v16
	v_sub_f32_e32 v34, v32, v21
	v_sub_f32_e32 v35, v32, v34
	;; [unrolled: 1-line block ×4, first 2 shown]
	v_add_f32_e32 v17, v32, v17
	v_add_f32_e32 v16, v16, v21
	v_add_f32_e32 v21, v33, v17
	v_sub_f32_e32 v32, v21, v33
	v_sub_f32_e32 v17, v17, v32
	v_add_f32_e32 v16, v16, v17
	v_add_f32_e32 v16, v21, v16
	v_cmp_neq_f32_e32 vcc, s3, v4
	s_mov_b32 s3, 0x33800000
	v_cndmask_b32_e32 v16, v18, v16, vcc
	v_cmp_lt_f32_e64 vcc, |v4|, s3
	v_cndmask_b32_e32 v4, v16, v4, vcc
	v_add_f32_e32 v4, v9, v4
	v_cvt_f16_f32_e32 v4, v4
	v_cvt_f32_f16_e32 v17, v4
	v_mov_b32_e32 v16, v4
.LBB355_366:
	s_or_b64 exec, exec, s[0:1]
	v_max_f32_e32 v9, v10, v10
	v_max_f32_e32 v18, v17, v17
	v_min_f32_e32 v21, v18, v9
	v_cmp_u_f16_e32 vcc, v4, v4
	v_max_f32_e32 v9, v18, v9
	v_cndmask_b32_e32 v21, v21, v17, vcc
	v_cndmask_b32_e32 v9, v9, v17, vcc
	v_cndmask_b32_e64 v21, v21, v10, s[4:5]
	v_cndmask_b32_e64 v9, v9, v10, s[4:5]
	v_cmp_neq_f32_e32 vcc, v21, v9
	v_cmp_class_f32_e64 s[0:1], v21, s2
	s_or_b64 s[2:3], vcc, s[0:1]
	v_mov_b32_e32 v18, v16
	s_and_saveexec_b64 s[0:1], s[2:3]
	s_cbranch_execz .LBB355_368
; %bb.367:
	v_sub_f32_e32 v4, v21, v9
	s_mov_b32 s2, 0x3fb8aa3b
	v_mul_f32_e32 v10, 0x3fb8aa3b, v4
	v_fma_f32 v17, v4, s2, -v10
	v_rndne_f32_e32 v18, v10
	v_fmac_f32_e32 v17, 0x32a5705f, v4
	v_sub_f32_e32 v10, v10, v18
	v_add_f32_e32 v10, v10, v17
	v_exp_f32_e32 v10, v10
	v_cvt_i32_f32_e32 v17, v18
	s_mov_b32 s2, 0xc2ce8ed0
	v_cmp_ngt_f32_e32 vcc, s2, v4
	s_mov_b32 s2, 0x42b17218
	v_ldexp_f32 v10, v10, v17
	v_cndmask_b32_e32 v10, 0, v10, vcc
	v_mov_b32_e32 v21, 0x7f800000
	v_cmp_nlt_f32_e32 vcc, s2, v4
	v_cndmask_b32_e32 v4, v21, v10, vcc
	v_add_f32_e32 v10, 1.0, v4
	v_cvt_f64_f32_e32 v[17:18], v10
	v_add_f32_e32 v32, -1.0, v10
	v_sub_f32_e32 v33, v32, v10
	v_sub_f32_e32 v32, v4, v32
	v_frexp_exp_i32_f64_e32 v17, v[17:18]
	v_add_f32_e32 v18, 1.0, v33
	v_add_f32_e32 v18, v32, v18
	v_frexp_mant_f32_e32 v32, v10
	s_mov_b32 s3, 0x3f2aaaab
	v_cmp_gt_f32_e32 vcc, s3, v32
	s_mov_b32 s3, 0x3f317218
	s_mov_b32 s2, 0x7f800000
	v_subbrev_co_u32_e32 v17, vcc, 0, v17, vcc
	v_sub_u32_e32 v32, 0, v17
	v_ldexp_f32 v10, v10, v32
	v_ldexp_f32 v18, v18, v32
	v_add_f32_e32 v32, -1.0, v10
	v_add_f32_e32 v35, 1.0, v10
	v_add_f32_e32 v33, 1.0, v32
	v_add_f32_e32 v36, -1.0, v35
	v_sub_f32_e32 v33, v10, v33
	v_sub_f32_e32 v10, v10, v36
	v_add_f32_e32 v10, v18, v10
	v_add_f32_e32 v33, v18, v33
	;; [unrolled: 1-line block ×3, first 2 shown]
	v_rcp_f32_e32 v36, v18
	v_add_f32_e32 v34, v32, v33
	v_sub_f32_e32 v32, v32, v34
	v_add_f32_e32 v32, v33, v32
	v_sub_f32_e32 v33, v35, v18
	v_add_f32_e32 v10, v10, v33
	v_mul_f32_e32 v33, v34, v36
	v_mul_f32_e32 v35, v18, v33
	v_fma_f32 v37, v33, v18, -v35
	v_fmac_f32_e32 v37, v33, v10
	v_add_f32_e32 v38, v35, v37
	v_sub_f32_e32 v39, v34, v38
	v_sub_f32_e32 v34, v34, v39
	;; [unrolled: 1-line block ×4, first 2 shown]
	v_add_f32_e32 v32, v32, v34
	v_sub_f32_e32 v34, v35, v37
	v_add_f32_e32 v32, v34, v32
	v_add_f32_e32 v34, v39, v32
	v_mul_f32_e32 v35, v36, v34
	v_mul_f32_e32 v37, v18, v35
	v_fma_f32 v18, v35, v18, -v37
	v_fmac_f32_e32 v18, v35, v10
	v_sub_f32_e32 v10, v39, v34
	v_add_f32_e32 v10, v32, v10
	v_add_f32_e32 v32, v37, v18
	v_sub_f32_e32 v38, v34, v32
	v_sub_f32_e32 v34, v34, v38
	;; [unrolled: 1-line block ×4, first 2 shown]
	v_add_f32_e32 v10, v10, v32
	v_sub_f32_e32 v18, v37, v18
	v_add_f32_e32 v10, v18, v10
	v_add_f32_e32 v18, v33, v35
	;; [unrolled: 1-line block ×3, first 2 shown]
	v_sub_f32_e32 v32, v18, v33
	v_mul_f32_e32 v10, v36, v10
	v_sub_f32_e32 v32, v35, v32
	v_add_f32_e32 v10, v32, v10
	v_cvt_f32_i32_e32 v17, v17
	v_add_f32_e32 v32, v18, v10
	v_mul_f32_e32 v33, v32, v32
	v_mov_b32_e32 v34, 0x3ecc95a3
	v_fmac_f32_e32 v34, 0x3e9b6dac, v33
	v_mov_b32_e32 v35, 0x3f2aaada
	v_fmac_f32_e32 v35, v33, v34
	v_mul_f32_e32 v34, 0x3f317218, v17
	v_fma_f32 v36, v17, s3, -v34
	v_fmac_f32_e32 v36, 0xb102e308, v17
	v_sub_f32_e32 v17, v32, v18
	v_sub_f32_e32 v10, v10, v17
	v_add_f32_e32 v17, v34, v36
	v_sub_f32_e32 v18, v17, v34
	v_ldexp_f32 v34, v32, 1
	v_mul_f32_e32 v32, v32, v33
	v_mul_f32_e32 v32, v32, v35
	v_add_f32_e32 v33, v34, v32
	v_sub_f32_e32 v34, v33, v34
	v_ldexp_f32 v10, v10, 1
	v_sub_f32_e32 v32, v32, v34
	v_add_f32_e32 v10, v10, v32
	v_add_f32_e32 v32, v33, v10
	v_sub_f32_e32 v33, v32, v33
	v_sub_f32_e32 v10, v10, v33
	v_add_f32_e32 v33, v17, v32
	v_sub_f32_e32 v34, v33, v17
	v_sub_f32_e32 v35, v33, v34
	;; [unrolled: 1-line block ×5, first 2 shown]
	v_add_f32_e32 v17, v32, v17
	v_add_f32_e32 v32, v18, v10
	v_sub_f32_e32 v34, v32, v18
	v_sub_f32_e32 v35, v32, v34
	;; [unrolled: 1-line block ×4, first 2 shown]
	v_add_f32_e32 v17, v32, v17
	v_add_f32_e32 v10, v10, v18
	;; [unrolled: 1-line block ×3, first 2 shown]
	v_sub_f32_e32 v32, v18, v33
	v_sub_f32_e32 v17, v17, v32
	v_add_f32_e32 v10, v10, v17
	v_add_f32_e32 v10, v18, v10
	v_cmp_neq_f32_e32 vcc, s2, v4
	s_mov_b32 s2, 0x33800000
	v_cndmask_b32_e32 v10, v21, v10, vcc
	v_cmp_lt_f32_e64 vcc, |v4|, s2
	v_cndmask_b32_e32 v4, v10, v4, vcc
	v_add_f32_e32 v4, v9, v4
	v_cvt_f16_f32_e32 v4, v4
	v_cvt_f32_f16_e32 v17, v4
	v_mov_b32_e32 v18, v4
.LBB355_368:
	s_or_b64 exec, exec, s[0:1]
	v_max_f32_e32 v9, v22, v22
	v_max_f32_e32 v21, v17, v17
	v_min_f32_e32 v10, v21, v9
	v_cmp_u_f16_e32 vcc, v4, v4
	v_max_f32_e32 v9, v21, v9
	v_cndmask_b32_e32 v10, v10, v17, vcc
	v_cndmask_b32_e32 v9, v9, v17, vcc
	v_cndmask_b32_e64 v10, v10, v22, s[6:7]
	v_cndmask_b32_e64 v9, v9, v22, s[6:7]
	s_movk_i32 s2, 0x1f8
	v_cmp_neq_f32_e32 vcc, v10, v9
	v_cmp_class_f32_e64 s[0:1], v10, s2
	s_or_b64 s[4:5], vcc, s[0:1]
	v_mov_b32_e32 v22, v18
	s_and_saveexec_b64 s[0:1], s[4:5]
	s_cbranch_execz .LBB355_370
; %bb.369:
	v_sub_f32_e32 v4, v10, v9
	s_mov_b32 s3, 0x3fb8aa3b
	v_mul_f32_e32 v10, 0x3fb8aa3b, v4
	v_fma_f32 v17, v4, s3, -v10
	v_rndne_f32_e32 v21, v10
	v_fmac_f32_e32 v17, 0x32a5705f, v4
	v_sub_f32_e32 v10, v10, v21
	v_add_f32_e32 v10, v10, v17
	v_exp_f32_e32 v10, v10
	v_cvt_i32_f32_e32 v17, v21
	s_mov_b32 s3, 0xc2ce8ed0
	v_cmp_ngt_f32_e32 vcc, s3, v4
	s_mov_b32 s3, 0x42b17218
	v_ldexp_f32 v10, v10, v17
	v_cndmask_b32_e32 v10, 0, v10, vcc
	v_mov_b32_e32 v17, 0x7f800000
	v_cmp_nlt_f32_e32 vcc, s3, v4
	v_cndmask_b32_e32 v4, v17, v10, vcc
	v_add_f32_e32 v10, 1.0, v4
	v_cvt_f64_f32_e32 v[21:22], v10
	v_add_f32_e32 v32, -1.0, v10
	v_sub_f32_e32 v33, v32, v10
	v_sub_f32_e32 v32, v4, v32
	v_frexp_exp_i32_f64_e32 v21, v[21:22]
	v_add_f32_e32 v22, 1.0, v33
	v_add_f32_e32 v22, v32, v22
	v_frexp_mant_f32_e32 v32, v10
	s_mov_b32 s4, 0x3f2aaaab
	v_cmp_gt_f32_e32 vcc, s4, v32
	s_mov_b32 s4, 0x3f317218
	s_mov_b32 s3, 0x7f800000
	v_subbrev_co_u32_e32 v21, vcc, 0, v21, vcc
	v_sub_u32_e32 v32, 0, v21
	v_ldexp_f32 v10, v10, v32
	v_ldexp_f32 v22, v22, v32
	v_add_f32_e32 v32, -1.0, v10
	v_add_f32_e32 v35, 1.0, v10
	v_add_f32_e32 v33, 1.0, v32
	v_add_f32_e32 v36, -1.0, v35
	v_sub_f32_e32 v33, v10, v33
	v_sub_f32_e32 v10, v10, v36
	v_add_f32_e32 v10, v22, v10
	v_add_f32_e32 v33, v22, v33
	;; [unrolled: 1-line block ×3, first 2 shown]
	v_rcp_f32_e32 v36, v22
	v_add_f32_e32 v34, v32, v33
	v_sub_f32_e32 v32, v32, v34
	v_add_f32_e32 v32, v33, v32
	v_sub_f32_e32 v33, v35, v22
	v_add_f32_e32 v10, v10, v33
	v_mul_f32_e32 v33, v34, v36
	v_mul_f32_e32 v35, v22, v33
	v_fma_f32 v37, v33, v22, -v35
	v_fmac_f32_e32 v37, v33, v10
	v_add_f32_e32 v38, v35, v37
	v_sub_f32_e32 v39, v34, v38
	v_sub_f32_e32 v34, v34, v39
	;; [unrolled: 1-line block ×4, first 2 shown]
	v_add_f32_e32 v32, v32, v34
	v_sub_f32_e32 v34, v35, v37
	v_add_f32_e32 v32, v34, v32
	v_add_f32_e32 v34, v39, v32
	v_mul_f32_e32 v35, v36, v34
	v_mul_f32_e32 v37, v22, v35
	v_fma_f32 v22, v35, v22, -v37
	v_fmac_f32_e32 v22, v35, v10
	v_sub_f32_e32 v10, v39, v34
	v_add_f32_e32 v10, v32, v10
	v_add_f32_e32 v32, v37, v22
	v_sub_f32_e32 v38, v34, v32
	v_sub_f32_e32 v34, v34, v38
	;; [unrolled: 1-line block ×4, first 2 shown]
	v_add_f32_e32 v10, v10, v32
	v_sub_f32_e32 v22, v37, v22
	v_add_f32_e32 v10, v22, v10
	v_add_f32_e32 v22, v33, v35
	;; [unrolled: 1-line block ×3, first 2 shown]
	v_sub_f32_e32 v32, v22, v33
	v_mul_f32_e32 v10, v36, v10
	v_sub_f32_e32 v32, v35, v32
	v_add_f32_e32 v10, v32, v10
	v_cvt_f32_i32_e32 v21, v21
	v_add_f32_e32 v32, v22, v10
	v_mul_f32_e32 v33, v32, v32
	v_mov_b32_e32 v34, 0x3ecc95a3
	v_fmac_f32_e32 v34, 0x3e9b6dac, v33
	v_mov_b32_e32 v35, 0x3f2aaada
	v_fmac_f32_e32 v35, v33, v34
	v_mul_f32_e32 v34, 0x3f317218, v21
	v_fma_f32 v36, v21, s4, -v34
	v_fmac_f32_e32 v36, 0xb102e308, v21
	v_sub_f32_e32 v21, v32, v22
	v_sub_f32_e32 v10, v10, v21
	v_add_f32_e32 v21, v34, v36
	v_sub_f32_e32 v22, v21, v34
	v_ldexp_f32 v34, v32, 1
	v_mul_f32_e32 v32, v32, v33
	v_mul_f32_e32 v32, v32, v35
	v_add_f32_e32 v33, v34, v32
	v_sub_f32_e32 v34, v33, v34
	v_ldexp_f32 v10, v10, 1
	v_sub_f32_e32 v32, v32, v34
	v_add_f32_e32 v10, v10, v32
	v_add_f32_e32 v32, v33, v10
	v_sub_f32_e32 v33, v32, v33
	v_sub_f32_e32 v10, v10, v33
	v_add_f32_e32 v33, v21, v32
	v_sub_f32_e32 v34, v33, v21
	v_sub_f32_e32 v35, v33, v34
	;; [unrolled: 1-line block ×5, first 2 shown]
	v_add_f32_e32 v21, v32, v21
	v_add_f32_e32 v32, v22, v10
	v_sub_f32_e32 v34, v32, v22
	v_sub_f32_e32 v35, v32, v34
	;; [unrolled: 1-line block ×4, first 2 shown]
	v_add_f32_e32 v21, v32, v21
	v_add_f32_e32 v10, v10, v22
	;; [unrolled: 1-line block ×3, first 2 shown]
	v_sub_f32_e32 v32, v22, v33
	v_sub_f32_e32 v21, v21, v32
	v_add_f32_e32 v10, v10, v21
	v_add_f32_e32 v10, v22, v10
	v_cmp_neq_f32_e32 vcc, s3, v4
	s_mov_b32 s3, 0x33800000
	v_cndmask_b32_e32 v10, v17, v10, vcc
	v_cmp_lt_f32_e64 vcc, |v4|, s3
	v_cndmask_b32_e32 v4, v10, v4, vcc
	v_add_f32_e32 v4, v9, v4
	v_cvt_f16_f32_e32 v4, v4
	v_cvt_f32_f16_e32 v17, v4
	v_mov_b32_e32 v22, v4
.LBB355_370:
	s_or_b64 exec, exec, s[0:1]
	v_max_f32_e32 v9, v11, v11
	v_max_f32_e32 v21, v17, v17
	v_min_f32_e32 v10, v21, v9
	v_cmp_u_f16_e32 vcc, v4, v4
	v_max_f32_e32 v9, v21, v9
	v_cndmask_b32_e32 v10, v10, v17, vcc
	v_cndmask_b32_e32 v9, v9, v17, vcc
	v_cndmask_b32_e64 v10, v10, v11, s[8:9]
	v_cndmask_b32_e64 v9, v9, v11, s[8:9]
	v_cmp_neq_f32_e32 vcc, v10, v9
	v_cmp_class_f32_e64 s[0:1], v10, s2
	s_or_b64 s[2:3], vcc, s[0:1]
	v_mov_b32_e32 v44, v22
	s_and_saveexec_b64 s[0:1], s[2:3]
	s_cbranch_execz .LBB355_372
; %bb.371:
	v_sub_f32_e32 v4, v10, v9
	s_mov_b32 s2, 0x3fb8aa3b
	v_mul_f32_e32 v10, 0x3fb8aa3b, v4
	v_fma_f32 v11, v4, s2, -v10
	v_rndne_f32_e32 v17, v10
	v_fmac_f32_e32 v11, 0x32a5705f, v4
	v_sub_f32_e32 v10, v10, v17
	v_add_f32_e32 v10, v10, v11
	v_exp_f32_e32 v10, v10
	v_cvt_i32_f32_e32 v11, v17
	s_mov_b32 s2, 0xc2ce8ed0
	v_cmp_ngt_f32_e32 vcc, s2, v4
	s_mov_b32 s2, 0x42b17218
	v_ldexp_f32 v10, v10, v11
	v_cndmask_b32_e32 v10, 0, v10, vcc
	v_mov_b32_e32 v17, 0x7f800000
	v_cmp_nlt_f32_e32 vcc, s2, v4
	v_cndmask_b32_e32 v4, v17, v10, vcc
	v_add_f32_e32 v21, 1.0, v4
	v_cvt_f64_f32_e32 v[10:11], v21
	v_add_f32_e32 v32, -1.0, v21
	v_sub_f32_e32 v33, v32, v21
	v_sub_f32_e32 v32, v4, v32
	v_frexp_exp_i32_f64_e32 v10, v[10:11]
	v_add_f32_e32 v11, 1.0, v33
	v_add_f32_e32 v11, v32, v11
	v_frexp_mant_f32_e32 v32, v21
	s_mov_b32 s3, 0x3f2aaaab
	v_cmp_gt_f32_e32 vcc, s3, v32
	s_mov_b32 s3, 0x3f317218
	s_mov_b32 s2, 0x7f800000
	v_subbrev_co_u32_e32 v10, vcc, 0, v10, vcc
	v_sub_u32_e32 v32, 0, v10
	v_ldexp_f32 v21, v21, v32
	v_ldexp_f32 v11, v11, v32
	v_add_f32_e32 v32, -1.0, v21
	v_add_f32_e32 v35, 1.0, v21
	v_add_f32_e32 v33, 1.0, v32
	v_add_f32_e32 v36, -1.0, v35
	v_sub_f32_e32 v33, v21, v33
	v_sub_f32_e32 v21, v21, v36
	v_add_f32_e32 v33, v11, v33
	v_add_f32_e32 v11, v11, v21
	;; [unrolled: 1-line block ×3, first 2 shown]
	v_rcp_f32_e32 v36, v21
	v_add_f32_e32 v34, v32, v33
	v_sub_f32_e32 v32, v32, v34
	v_add_f32_e32 v32, v33, v32
	v_sub_f32_e32 v33, v35, v21
	v_add_f32_e32 v11, v11, v33
	v_mul_f32_e32 v33, v34, v36
	v_mul_f32_e32 v35, v21, v33
	v_fma_f32 v37, v33, v21, -v35
	v_fmac_f32_e32 v37, v33, v11
	v_add_f32_e32 v38, v35, v37
	v_sub_f32_e32 v39, v34, v38
	v_sub_f32_e32 v34, v34, v39
	;; [unrolled: 1-line block ×4, first 2 shown]
	v_add_f32_e32 v32, v32, v34
	v_sub_f32_e32 v34, v35, v37
	v_add_f32_e32 v32, v34, v32
	v_add_f32_e32 v34, v39, v32
	v_mul_f32_e32 v35, v36, v34
	v_mul_f32_e32 v37, v21, v35
	v_fma_f32 v21, v35, v21, -v37
	v_fmac_f32_e32 v21, v35, v11
	v_sub_f32_e32 v11, v39, v34
	v_add_f32_e32 v11, v32, v11
	v_add_f32_e32 v32, v37, v21
	v_sub_f32_e32 v38, v34, v32
	v_sub_f32_e32 v34, v34, v38
	;; [unrolled: 1-line block ×4, first 2 shown]
	v_add_f32_e32 v11, v11, v32
	v_sub_f32_e32 v21, v37, v21
	v_add_f32_e32 v11, v21, v11
	v_add_f32_e32 v21, v33, v35
	;; [unrolled: 1-line block ×3, first 2 shown]
	v_sub_f32_e32 v32, v21, v33
	v_mul_f32_e32 v11, v36, v11
	v_sub_f32_e32 v32, v35, v32
	v_add_f32_e32 v11, v32, v11
	v_cvt_f32_i32_e32 v10, v10
	v_add_f32_e32 v32, v21, v11
	v_mul_f32_e32 v33, v32, v32
	v_mov_b32_e32 v34, 0x3ecc95a3
	v_fmac_f32_e32 v34, 0x3e9b6dac, v33
	v_mov_b32_e32 v35, 0x3f2aaada
	v_fmac_f32_e32 v35, v33, v34
	v_mul_f32_e32 v34, 0x3f317218, v10
	v_fma_f32 v36, v10, s3, -v34
	v_fmac_f32_e32 v36, 0xb102e308, v10
	v_sub_f32_e32 v10, v32, v21
	v_sub_f32_e32 v10, v11, v10
	v_add_f32_e32 v11, v34, v36
	v_sub_f32_e32 v21, v11, v34
	v_ldexp_f32 v34, v32, 1
	v_mul_f32_e32 v32, v32, v33
	v_mul_f32_e32 v32, v32, v35
	v_add_f32_e32 v33, v34, v32
	v_sub_f32_e32 v34, v33, v34
	v_ldexp_f32 v10, v10, 1
	v_sub_f32_e32 v32, v32, v34
	v_add_f32_e32 v10, v10, v32
	v_add_f32_e32 v32, v33, v10
	v_sub_f32_e32 v33, v32, v33
	v_sub_f32_e32 v10, v10, v33
	v_add_f32_e32 v33, v11, v32
	v_sub_f32_e32 v34, v33, v11
	v_sub_f32_e32 v35, v33, v34
	;; [unrolled: 1-line block ×5, first 2 shown]
	v_add_f32_e32 v11, v32, v11
	v_add_f32_e32 v32, v21, v10
	v_sub_f32_e32 v34, v32, v21
	v_sub_f32_e32 v35, v32, v34
	;; [unrolled: 1-line block ×4, first 2 shown]
	v_add_f32_e32 v11, v32, v11
	v_add_f32_e32 v10, v10, v21
	;; [unrolled: 1-line block ×3, first 2 shown]
	v_sub_f32_e32 v32, v21, v33
	v_sub_f32_e32 v11, v11, v32
	v_add_f32_e32 v10, v10, v11
	v_add_f32_e32 v10, v21, v10
	v_cmp_neq_f32_e32 vcc, s2, v4
	s_mov_b32 s2, 0x33800000
	v_cndmask_b32_e32 v10, v17, v10, vcc
	v_cmp_lt_f32_e64 vcc, |v4|, s2
	v_cndmask_b32_e32 v4, v10, v4, vcc
	v_add_f32_e32 v4, v9, v4
	v_cvt_f16_f32_e32 v4, v4
	v_cvt_f32_f16_e32 v17, v4
	v_mov_b32_e32 v44, v4
.LBB355_372:
	s_or_b64 exec, exec, s[0:1]
	v_max_f32_e32 v9, v23, v23
	v_max_f32_e32 v11, v17, v17
	v_min_f32_e32 v10, v11, v9
	v_cmp_u_f16_e32 vcc, v4, v4
	v_max_f32_e32 v9, v11, v9
	v_cndmask_b32_e32 v10, v10, v17, vcc
	v_cndmask_b32_e32 v9, v9, v17, vcc
	v_cndmask_b32_e64 v10, v10, v23, s[10:11]
	v_cndmask_b32_e64 v9, v9, v23, s[10:11]
	s_movk_i32 s2, 0x1f8
	v_cmp_neq_f32_e32 vcc, v10, v9
	v_cmp_class_f32_e64 s[0:1], v10, s2
	s_or_b64 s[4:5], vcc, s[0:1]
	v_mov_b32_e32 v23, v44
	s_and_saveexec_b64 s[0:1], s[4:5]
	s_cbranch_execz .LBB355_374
; %bb.373:
	v_sub_f32_e32 v4, v10, v9
	s_mov_b32 s3, 0x3fb8aa3b
	v_mul_f32_e32 v10, 0x3fb8aa3b, v4
	v_fma_f32 v11, v4, s3, -v10
	v_rndne_f32_e32 v17, v10
	v_fmac_f32_e32 v11, 0x32a5705f, v4
	v_sub_f32_e32 v10, v10, v17
	v_add_f32_e32 v10, v10, v11
	v_exp_f32_e32 v10, v10
	v_cvt_i32_f32_e32 v11, v17
	s_mov_b32 s3, 0xc2ce8ed0
	v_cmp_ngt_f32_e32 vcc, s3, v4
	s_mov_b32 s3, 0x42b17218
	v_ldexp_f32 v10, v10, v11
	v_cndmask_b32_e32 v10, 0, v10, vcc
	v_mov_b32_e32 v17, 0x7f800000
	v_cmp_nlt_f32_e32 vcc, s3, v4
	v_cndmask_b32_e32 v4, v17, v10, vcc
	v_add_f32_e32 v21, 1.0, v4
	v_cvt_f64_f32_e32 v[10:11], v21
	v_add_f32_e32 v23, -1.0, v21
	v_sub_f32_e32 v32, v23, v21
	v_sub_f32_e32 v23, v4, v23
	v_frexp_exp_i32_f64_e32 v10, v[10:11]
	v_add_f32_e32 v11, 1.0, v32
	v_add_f32_e32 v11, v23, v11
	v_frexp_mant_f32_e32 v23, v21
	s_mov_b32 s4, 0x3f2aaaab
	v_cmp_gt_f32_e32 vcc, s4, v23
	s_mov_b32 s4, 0x3f317218
	s_mov_b32 s3, 0x7f800000
	v_subbrev_co_u32_e32 v10, vcc, 0, v10, vcc
	v_sub_u32_e32 v23, 0, v10
	v_ldexp_f32 v21, v21, v23
	v_ldexp_f32 v11, v11, v23
	v_add_f32_e32 v23, -1.0, v21
	v_add_f32_e32 v34, 1.0, v21
	v_add_f32_e32 v32, 1.0, v23
	v_add_f32_e32 v35, -1.0, v34
	v_sub_f32_e32 v32, v21, v32
	v_sub_f32_e32 v21, v21, v35
	v_add_f32_e32 v32, v11, v32
	v_add_f32_e32 v11, v11, v21
	;; [unrolled: 1-line block ×3, first 2 shown]
	v_rcp_f32_e32 v35, v21
	v_add_f32_e32 v33, v23, v32
	v_sub_f32_e32 v23, v23, v33
	v_add_f32_e32 v23, v32, v23
	v_sub_f32_e32 v32, v34, v21
	v_add_f32_e32 v11, v11, v32
	v_mul_f32_e32 v32, v33, v35
	v_mul_f32_e32 v34, v21, v32
	v_fma_f32 v36, v32, v21, -v34
	v_fmac_f32_e32 v36, v32, v11
	v_add_f32_e32 v37, v34, v36
	v_sub_f32_e32 v38, v33, v37
	v_sub_f32_e32 v33, v33, v38
	;; [unrolled: 1-line block ×4, first 2 shown]
	v_add_f32_e32 v23, v23, v33
	v_sub_f32_e32 v33, v34, v36
	v_add_f32_e32 v23, v33, v23
	v_add_f32_e32 v33, v38, v23
	v_mul_f32_e32 v34, v35, v33
	v_mul_f32_e32 v36, v21, v34
	v_fma_f32 v21, v34, v21, -v36
	v_fmac_f32_e32 v21, v34, v11
	v_sub_f32_e32 v11, v38, v33
	v_add_f32_e32 v11, v23, v11
	v_add_f32_e32 v23, v36, v21
	v_sub_f32_e32 v37, v33, v23
	v_sub_f32_e32 v33, v33, v37
	v_sub_f32_e32 v36, v23, v36
	v_sub_f32_e32 v23, v33, v23
	v_add_f32_e32 v11, v11, v23
	v_sub_f32_e32 v21, v36, v21
	v_add_f32_e32 v11, v21, v11
	v_add_f32_e32 v21, v32, v34
	;; [unrolled: 1-line block ×3, first 2 shown]
	v_sub_f32_e32 v23, v21, v32
	v_mul_f32_e32 v11, v35, v11
	v_sub_f32_e32 v23, v34, v23
	v_add_f32_e32 v11, v23, v11
	v_cvt_f32_i32_e32 v10, v10
	v_add_f32_e32 v23, v21, v11
	v_mul_f32_e32 v32, v23, v23
	v_mov_b32_e32 v33, 0x3ecc95a3
	v_fmac_f32_e32 v33, 0x3e9b6dac, v32
	v_mov_b32_e32 v34, 0x3f2aaada
	v_fmac_f32_e32 v34, v32, v33
	v_mul_f32_e32 v33, 0x3f317218, v10
	v_fma_f32 v35, v10, s4, -v33
	v_fmac_f32_e32 v35, 0xb102e308, v10
	v_sub_f32_e32 v10, v23, v21
	v_sub_f32_e32 v10, v11, v10
	v_add_f32_e32 v11, v33, v35
	v_sub_f32_e32 v21, v11, v33
	v_ldexp_f32 v33, v23, 1
	v_mul_f32_e32 v23, v23, v32
	v_mul_f32_e32 v23, v23, v34
	v_add_f32_e32 v32, v33, v23
	v_sub_f32_e32 v33, v32, v33
	v_ldexp_f32 v10, v10, 1
	v_sub_f32_e32 v23, v23, v33
	v_add_f32_e32 v10, v10, v23
	v_add_f32_e32 v23, v32, v10
	v_sub_f32_e32 v32, v23, v32
	v_sub_f32_e32 v10, v10, v32
	v_add_f32_e32 v32, v11, v23
	v_sub_f32_e32 v33, v32, v11
	v_sub_f32_e32 v34, v32, v33
	;; [unrolled: 1-line block ×5, first 2 shown]
	v_add_f32_e32 v11, v23, v11
	v_add_f32_e32 v23, v21, v10
	v_sub_f32_e32 v33, v23, v21
	v_sub_f32_e32 v34, v23, v33
	;; [unrolled: 1-line block ×4, first 2 shown]
	v_add_f32_e32 v11, v23, v11
	v_add_f32_e32 v10, v10, v21
	;; [unrolled: 1-line block ×3, first 2 shown]
	v_sub_f32_e32 v23, v21, v32
	v_sub_f32_e32 v11, v11, v23
	v_add_f32_e32 v10, v10, v11
	v_add_f32_e32 v10, v21, v10
	v_cmp_neq_f32_e32 vcc, s3, v4
	s_mov_b32 s3, 0x33800000
	v_cndmask_b32_e32 v10, v17, v10, vcc
	v_cmp_lt_f32_e64 vcc, |v4|, s3
	v_cndmask_b32_e32 v4, v10, v4, vcc
	v_add_f32_e32 v4, v9, v4
	v_cvt_f16_f32_e32 v4, v4
	v_cvt_f32_f16_e32 v17, v4
	v_mov_b32_e32 v23, v4
.LBB355_374:
	s_or_b64 exec, exec, s[0:1]
	v_max_f32_e32 v9, v12, v12
	v_max_f32_e32 v11, v17, v17
	v_min_f32_e32 v10, v11, v9
	v_cmp_u_f16_e32 vcc, v4, v4
	v_max_f32_e32 v9, v11, v9
	v_cndmask_b32_e32 v10, v10, v17, vcc
	v_cndmask_b32_e32 v9, v9, v17, vcc
	v_cndmask_b32_e64 v10, v10, v12, s[14:15]
	v_cndmask_b32_e64 v9, v9, v12, s[14:15]
	v_cmp_neq_f32_e32 vcc, v10, v9
	v_cmp_class_f32_e64 s[0:1], v10, s2
	s_or_b64 s[2:3], vcc, s[0:1]
	v_mov_b32_e32 v45, v23
	s_and_saveexec_b64 s[0:1], s[2:3]
	s_cbranch_execz .LBB355_376
; %bb.375:
	v_sub_f32_e32 v4, v10, v9
	s_mov_b32 s2, 0x3fb8aa3b
	v_mul_f32_e32 v10, 0x3fb8aa3b, v4
	v_fma_f32 v11, v4, s2, -v10
	v_rndne_f32_e32 v12, v10
	v_fmac_f32_e32 v11, 0x32a5705f, v4
	v_sub_f32_e32 v10, v10, v12
	v_add_f32_e32 v10, v10, v11
	v_exp_f32_e32 v10, v10
	v_cvt_i32_f32_e32 v11, v12
	s_mov_b32 s2, 0xc2ce8ed0
	v_cmp_ngt_f32_e32 vcc, s2, v4
	s_mov_b32 s2, 0x42b17218
	v_ldexp_f32 v10, v10, v11
	v_cndmask_b32_e32 v10, 0, v10, vcc
	v_mov_b32_e32 v12, 0x7f800000
	v_cmp_nlt_f32_e32 vcc, s2, v4
	v_cndmask_b32_e32 v4, v12, v10, vcc
	v_add_f32_e32 v17, 1.0, v4
	v_cvt_f64_f32_e32 v[10:11], v17
	v_add_f32_e32 v21, -1.0, v17
	v_sub_f32_e32 v32, v21, v17
	v_sub_f32_e32 v21, v4, v21
	v_frexp_exp_i32_f64_e32 v10, v[10:11]
	v_add_f32_e32 v11, 1.0, v32
	v_add_f32_e32 v11, v21, v11
	v_frexp_mant_f32_e32 v21, v17
	s_mov_b32 s3, 0x3f2aaaab
	v_cmp_gt_f32_e32 vcc, s3, v21
	s_mov_b32 s3, 0x3f317218
	s_mov_b32 s2, 0x7f800000
	v_subbrev_co_u32_e32 v10, vcc, 0, v10, vcc
	v_sub_u32_e32 v21, 0, v10
	v_ldexp_f32 v17, v17, v21
	v_ldexp_f32 v11, v11, v21
	v_add_f32_e32 v21, -1.0, v17
	v_add_f32_e32 v34, 1.0, v17
	v_add_f32_e32 v32, 1.0, v21
	v_add_f32_e32 v35, -1.0, v34
	v_sub_f32_e32 v32, v17, v32
	v_sub_f32_e32 v17, v17, v35
	v_add_f32_e32 v32, v11, v32
	v_add_f32_e32 v11, v11, v17
	;; [unrolled: 1-line block ×3, first 2 shown]
	v_rcp_f32_e32 v35, v17
	v_add_f32_e32 v33, v21, v32
	v_sub_f32_e32 v21, v21, v33
	v_add_f32_e32 v21, v32, v21
	v_sub_f32_e32 v32, v34, v17
	v_add_f32_e32 v11, v11, v32
	v_mul_f32_e32 v32, v33, v35
	v_mul_f32_e32 v34, v17, v32
	v_fma_f32 v36, v32, v17, -v34
	v_fmac_f32_e32 v36, v32, v11
	v_add_f32_e32 v37, v34, v36
	v_sub_f32_e32 v38, v33, v37
	v_sub_f32_e32 v33, v33, v38
	;; [unrolled: 1-line block ×4, first 2 shown]
	v_add_f32_e32 v21, v21, v33
	v_sub_f32_e32 v33, v34, v36
	v_add_f32_e32 v21, v33, v21
	v_add_f32_e32 v33, v38, v21
	v_mul_f32_e32 v34, v35, v33
	v_mul_f32_e32 v36, v17, v34
	v_fma_f32 v17, v34, v17, -v36
	v_fmac_f32_e32 v17, v34, v11
	v_sub_f32_e32 v11, v38, v33
	v_add_f32_e32 v11, v21, v11
	v_add_f32_e32 v21, v36, v17
	v_sub_f32_e32 v37, v33, v21
	v_sub_f32_e32 v33, v33, v37
	;; [unrolled: 1-line block ×4, first 2 shown]
	v_add_f32_e32 v11, v11, v21
	v_sub_f32_e32 v17, v36, v17
	v_add_f32_e32 v11, v17, v11
	v_add_f32_e32 v17, v32, v34
	;; [unrolled: 1-line block ×3, first 2 shown]
	v_sub_f32_e32 v21, v17, v32
	v_mul_f32_e32 v11, v35, v11
	v_sub_f32_e32 v21, v34, v21
	v_add_f32_e32 v11, v21, v11
	v_cvt_f32_i32_e32 v10, v10
	v_add_f32_e32 v21, v17, v11
	v_mul_f32_e32 v32, v21, v21
	v_mov_b32_e32 v33, 0x3ecc95a3
	v_fmac_f32_e32 v33, 0x3e9b6dac, v32
	v_mov_b32_e32 v34, 0x3f2aaada
	v_fmac_f32_e32 v34, v32, v33
	v_mul_f32_e32 v33, 0x3f317218, v10
	v_fma_f32 v35, v10, s3, -v33
	v_fmac_f32_e32 v35, 0xb102e308, v10
	v_sub_f32_e32 v10, v21, v17
	v_sub_f32_e32 v10, v11, v10
	v_add_f32_e32 v11, v33, v35
	v_sub_f32_e32 v17, v11, v33
	v_ldexp_f32 v33, v21, 1
	v_mul_f32_e32 v21, v21, v32
	v_mul_f32_e32 v21, v21, v34
	v_add_f32_e32 v32, v33, v21
	v_sub_f32_e32 v33, v32, v33
	v_ldexp_f32 v10, v10, 1
	v_sub_f32_e32 v21, v21, v33
	v_add_f32_e32 v10, v10, v21
	v_add_f32_e32 v21, v32, v10
	v_sub_f32_e32 v32, v21, v32
	v_sub_f32_e32 v10, v10, v32
	v_add_f32_e32 v32, v11, v21
	v_sub_f32_e32 v33, v32, v11
	v_sub_f32_e32 v34, v32, v33
	v_sub_f32_e32 v17, v35, v17
	v_sub_f32_e32 v11, v11, v34
	v_sub_f32_e32 v21, v21, v33
	v_add_f32_e32 v11, v21, v11
	v_add_f32_e32 v21, v17, v10
	v_sub_f32_e32 v33, v21, v17
	v_sub_f32_e32 v34, v21, v33
	;; [unrolled: 1-line block ×4, first 2 shown]
	v_add_f32_e32 v11, v21, v11
	v_add_f32_e32 v10, v10, v17
	;; [unrolled: 1-line block ×3, first 2 shown]
	v_sub_f32_e32 v21, v17, v32
	v_sub_f32_e32 v11, v11, v21
	v_add_f32_e32 v10, v10, v11
	v_add_f32_e32 v10, v17, v10
	v_cmp_neq_f32_e32 vcc, s2, v4
	s_mov_b32 s2, 0x33800000
	v_cndmask_b32_e32 v10, v12, v10, vcc
	v_cmp_lt_f32_e64 vcc, |v4|, s2
	v_cndmask_b32_e32 v4, v10, v4, vcc
	v_add_f32_e32 v4, v9, v4
	v_cvt_f16_f32_e32 v4, v4
	v_cvt_f32_f16_e32 v17, v4
	v_mov_b32_e32 v45, v4
.LBB355_376:
	s_or_b64 exec, exec, s[0:1]
	v_max_f32_e32 v9, v24, v24
	v_max_f32_e32 v11, v17, v17
	v_min_f32_e32 v10, v11, v9
	v_cmp_u_f16_e32 vcc, v4, v4
	v_max_f32_e32 v9, v11, v9
	v_cndmask_b32_e32 v10, v10, v17, vcc
	v_cndmask_b32_e32 v9, v9, v17, vcc
	v_cndmask_b32_e64 v10, v10, v24, s[16:17]
	v_cndmask_b32_e64 v9, v9, v24, s[16:17]
	s_movk_i32 s2, 0x1f8
	v_cmp_neq_f32_e32 vcc, v10, v9
	v_cmp_class_f32_e64 s[0:1], v10, s2
	s_or_b64 s[4:5], vcc, s[0:1]
	v_mov_b32_e32 v24, v45
	s_and_saveexec_b64 s[0:1], s[4:5]
	s_cbranch_execz .LBB355_378
; %bb.377:
	v_sub_f32_e32 v4, v10, v9
	s_mov_b32 s3, 0x3fb8aa3b
	v_mul_f32_e32 v10, 0x3fb8aa3b, v4
	v_fma_f32 v11, v4, s3, -v10
	v_rndne_f32_e32 v12, v10
	v_fmac_f32_e32 v11, 0x32a5705f, v4
	v_sub_f32_e32 v10, v10, v12
	v_add_f32_e32 v10, v10, v11
	v_exp_f32_e32 v10, v10
	v_cvt_i32_f32_e32 v11, v12
	s_mov_b32 s3, 0xc2ce8ed0
	v_cmp_ngt_f32_e32 vcc, s3, v4
	s_mov_b32 s3, 0x42b17218
	v_ldexp_f32 v10, v10, v11
	v_cndmask_b32_e32 v10, 0, v10, vcc
	v_mov_b32_e32 v12, 0x7f800000
	v_cmp_nlt_f32_e32 vcc, s3, v4
	v_cndmask_b32_e32 v4, v12, v10, vcc
	v_add_f32_e32 v17, 1.0, v4
	v_cvt_f64_f32_e32 v[10:11], v17
	v_add_f32_e32 v21, -1.0, v17
	v_sub_f32_e32 v24, v21, v17
	v_sub_f32_e32 v21, v4, v21
	v_frexp_exp_i32_f64_e32 v10, v[10:11]
	v_add_f32_e32 v11, 1.0, v24
	v_add_f32_e32 v11, v21, v11
	v_frexp_mant_f32_e32 v21, v17
	s_mov_b32 s4, 0x3f2aaaab
	v_cmp_gt_f32_e32 vcc, s4, v21
	s_mov_b32 s4, 0x3f317218
	s_mov_b32 s3, 0x7f800000
	v_subbrev_co_u32_e32 v10, vcc, 0, v10, vcc
	v_sub_u32_e32 v21, 0, v10
	v_ldexp_f32 v17, v17, v21
	v_ldexp_f32 v11, v11, v21
	v_add_f32_e32 v21, -1.0, v17
	v_add_f32_e32 v33, 1.0, v17
	v_add_f32_e32 v24, 1.0, v21
	v_add_f32_e32 v34, -1.0, v33
	v_sub_f32_e32 v24, v17, v24
	v_sub_f32_e32 v17, v17, v34
	v_add_f32_e32 v24, v11, v24
	v_add_f32_e32 v11, v11, v17
	;; [unrolled: 1-line block ×3, first 2 shown]
	v_rcp_f32_e32 v34, v17
	v_add_f32_e32 v32, v21, v24
	v_sub_f32_e32 v21, v21, v32
	v_add_f32_e32 v21, v24, v21
	v_sub_f32_e32 v24, v33, v17
	v_add_f32_e32 v11, v11, v24
	v_mul_f32_e32 v24, v32, v34
	v_mul_f32_e32 v33, v17, v24
	v_fma_f32 v35, v24, v17, -v33
	v_fmac_f32_e32 v35, v24, v11
	v_add_f32_e32 v36, v33, v35
	v_sub_f32_e32 v37, v32, v36
	v_sub_f32_e32 v32, v32, v37
	;; [unrolled: 1-line block ×4, first 2 shown]
	v_add_f32_e32 v21, v21, v32
	v_sub_f32_e32 v32, v33, v35
	v_add_f32_e32 v21, v32, v21
	v_add_f32_e32 v32, v37, v21
	v_mul_f32_e32 v33, v34, v32
	v_mul_f32_e32 v35, v17, v33
	v_fma_f32 v17, v33, v17, -v35
	v_fmac_f32_e32 v17, v33, v11
	v_sub_f32_e32 v11, v37, v32
	v_add_f32_e32 v11, v21, v11
	v_add_f32_e32 v21, v35, v17
	v_sub_f32_e32 v36, v32, v21
	v_sub_f32_e32 v32, v32, v36
	;; [unrolled: 1-line block ×4, first 2 shown]
	v_add_f32_e32 v11, v11, v21
	v_sub_f32_e32 v17, v35, v17
	v_add_f32_e32 v11, v17, v11
	v_add_f32_e32 v17, v24, v33
	;; [unrolled: 1-line block ×3, first 2 shown]
	v_sub_f32_e32 v21, v17, v24
	v_mul_f32_e32 v11, v34, v11
	v_sub_f32_e32 v21, v33, v21
	v_add_f32_e32 v11, v21, v11
	v_cvt_f32_i32_e32 v10, v10
	v_add_f32_e32 v21, v17, v11
	v_mul_f32_e32 v24, v21, v21
	v_mov_b32_e32 v32, 0x3ecc95a3
	v_fmac_f32_e32 v32, 0x3e9b6dac, v24
	v_mov_b32_e32 v33, 0x3f2aaada
	v_fmac_f32_e32 v33, v24, v32
	v_mul_f32_e32 v32, 0x3f317218, v10
	v_fma_f32 v34, v10, s4, -v32
	v_fmac_f32_e32 v34, 0xb102e308, v10
	v_sub_f32_e32 v10, v21, v17
	v_sub_f32_e32 v10, v11, v10
	v_add_f32_e32 v11, v32, v34
	v_sub_f32_e32 v17, v11, v32
	v_ldexp_f32 v32, v21, 1
	v_mul_f32_e32 v21, v21, v24
	v_mul_f32_e32 v21, v21, v33
	v_add_f32_e32 v24, v32, v21
	v_sub_f32_e32 v32, v24, v32
	v_ldexp_f32 v10, v10, 1
	v_sub_f32_e32 v21, v21, v32
	v_add_f32_e32 v10, v10, v21
	v_add_f32_e32 v21, v24, v10
	v_sub_f32_e32 v24, v21, v24
	v_sub_f32_e32 v10, v10, v24
	v_add_f32_e32 v24, v11, v21
	v_sub_f32_e32 v32, v24, v11
	v_sub_f32_e32 v33, v24, v32
	;; [unrolled: 1-line block ×5, first 2 shown]
	v_add_f32_e32 v11, v21, v11
	v_add_f32_e32 v21, v17, v10
	v_sub_f32_e32 v32, v21, v17
	v_sub_f32_e32 v33, v21, v32
	;; [unrolled: 1-line block ×4, first 2 shown]
	v_add_f32_e32 v11, v21, v11
	v_add_f32_e32 v10, v10, v17
	;; [unrolled: 1-line block ×3, first 2 shown]
	v_sub_f32_e32 v21, v17, v24
	v_sub_f32_e32 v11, v11, v21
	v_add_f32_e32 v10, v10, v11
	v_add_f32_e32 v10, v17, v10
	v_cmp_neq_f32_e32 vcc, s3, v4
	s_mov_b32 s3, 0x33800000
	v_cndmask_b32_e32 v10, v12, v10, vcc
	v_cmp_lt_f32_e64 vcc, |v4|, s3
	v_cndmask_b32_e32 v4, v10, v4, vcc
	v_add_f32_e32 v4, v9, v4
	v_cvt_f16_f32_e32 v4, v4
	v_cvt_f32_f16_e32 v17, v4
	v_mov_b32_e32 v24, v4
.LBB355_378:
	s_or_b64 exec, exec, s[0:1]
	v_max_f32_e32 v10, v5, v5
	v_max_f32_e32 v11, v17, v17
	v_min_f32_e32 v9, v11, v10
	v_cmp_u_f16_e32 vcc, v4, v4
	v_max_f32_e32 v10, v11, v10
	v_cndmask_b32_e32 v9, v9, v17, vcc
	v_cndmask_b32_e32 v10, v10, v17, vcc
	v_cndmask_b32_e64 v9, v9, v5, s[18:19]
	v_cndmask_b32_e64 v5, v10, v5, s[18:19]
	v_cmp_neq_f32_e32 vcc, v9, v5
	v_cmp_class_f32_e64 s[0:1], v9, s2
	s_or_b64 s[2:3], vcc, s[0:1]
	v_mov_b32_e32 v46, v24
	s_and_saveexec_b64 s[0:1], s[2:3]
	s_cbranch_execz .LBB355_380
; %bb.379:
	v_sub_f32_e32 v4, v9, v5
	s_mov_b32 s2, 0x3fb8aa3b
	v_mul_f32_e32 v9, 0x3fb8aa3b, v4
	v_fma_f32 v10, v4, s2, -v9
	v_rndne_f32_e32 v11, v9
	v_fmac_f32_e32 v10, 0x32a5705f, v4
	v_sub_f32_e32 v9, v9, v11
	v_add_f32_e32 v9, v9, v10
	v_exp_f32_e32 v9, v9
	v_cvt_i32_f32_e32 v10, v11
	s_mov_b32 s2, 0xc2ce8ed0
	v_cmp_ngt_f32_e32 vcc, s2, v4
	s_mov_b32 s2, 0x42b17218
	v_ldexp_f32 v9, v9, v10
	v_cndmask_b32_e32 v9, 0, v9, vcc
	v_mov_b32_e32 v11, 0x7f800000
	v_cmp_nlt_f32_e32 vcc, s2, v4
	v_cndmask_b32_e32 v4, v11, v9, vcc
	v_add_f32_e32 v12, 1.0, v4
	v_cvt_f64_f32_e32 v[9:10], v12
	v_add_f32_e32 v17, -1.0, v12
	v_sub_f32_e32 v21, v17, v12
	v_sub_f32_e32 v17, v4, v17
	v_frexp_exp_i32_f64_e32 v9, v[9:10]
	v_add_f32_e32 v10, 1.0, v21
	v_add_f32_e32 v10, v17, v10
	v_frexp_mant_f32_e32 v17, v12
	s_mov_b32 s3, 0x3f2aaaab
	v_cmp_gt_f32_e32 vcc, s3, v17
	s_mov_b32 s3, 0x3f317218
	s_mov_b32 s2, 0x7f800000
	v_subbrev_co_u32_e32 v9, vcc, 0, v9, vcc
	v_sub_u32_e32 v17, 0, v9
	v_ldexp_f32 v12, v12, v17
	v_ldexp_f32 v10, v10, v17
	v_add_f32_e32 v17, -1.0, v12
	v_add_f32_e32 v33, 1.0, v12
	v_add_f32_e32 v21, 1.0, v17
	v_add_f32_e32 v34, -1.0, v33
	v_sub_f32_e32 v21, v12, v21
	v_sub_f32_e32 v12, v12, v34
	v_add_f32_e32 v21, v10, v21
	v_add_f32_e32 v10, v10, v12
	;; [unrolled: 1-line block ×3, first 2 shown]
	v_rcp_f32_e32 v34, v12
	v_add_f32_e32 v32, v17, v21
	v_sub_f32_e32 v17, v17, v32
	v_add_f32_e32 v17, v21, v17
	v_sub_f32_e32 v21, v33, v12
	v_add_f32_e32 v10, v10, v21
	v_mul_f32_e32 v21, v32, v34
	v_mul_f32_e32 v33, v12, v21
	v_fma_f32 v35, v21, v12, -v33
	v_fmac_f32_e32 v35, v21, v10
	v_add_f32_e32 v36, v33, v35
	v_sub_f32_e32 v37, v32, v36
	v_sub_f32_e32 v32, v32, v37
	;; [unrolled: 1-line block ×4, first 2 shown]
	v_add_f32_e32 v17, v17, v32
	v_sub_f32_e32 v32, v33, v35
	v_add_f32_e32 v17, v32, v17
	v_add_f32_e32 v32, v37, v17
	v_mul_f32_e32 v33, v34, v32
	v_mul_f32_e32 v35, v12, v33
	v_fma_f32 v12, v33, v12, -v35
	v_fmac_f32_e32 v12, v33, v10
	v_sub_f32_e32 v10, v37, v32
	v_add_f32_e32 v10, v17, v10
	v_add_f32_e32 v17, v35, v12
	v_sub_f32_e32 v36, v32, v17
	v_sub_f32_e32 v32, v32, v36
	;; [unrolled: 1-line block ×4, first 2 shown]
	v_add_f32_e32 v10, v10, v17
	v_sub_f32_e32 v12, v35, v12
	v_add_f32_e32 v10, v12, v10
	v_add_f32_e32 v12, v21, v33
	;; [unrolled: 1-line block ×3, first 2 shown]
	v_sub_f32_e32 v17, v12, v21
	v_mul_f32_e32 v10, v34, v10
	v_sub_f32_e32 v17, v33, v17
	v_add_f32_e32 v10, v17, v10
	v_cvt_f32_i32_e32 v9, v9
	v_add_f32_e32 v17, v12, v10
	v_mul_f32_e32 v21, v17, v17
	v_mov_b32_e32 v32, 0x3ecc95a3
	v_fmac_f32_e32 v32, 0x3e9b6dac, v21
	v_mov_b32_e32 v33, 0x3f2aaada
	v_fmac_f32_e32 v33, v21, v32
	v_mul_f32_e32 v32, 0x3f317218, v9
	v_fma_f32 v34, v9, s3, -v32
	v_fmac_f32_e32 v34, 0xb102e308, v9
	v_sub_f32_e32 v9, v17, v12
	v_sub_f32_e32 v9, v10, v9
	v_add_f32_e32 v10, v32, v34
	v_sub_f32_e32 v12, v10, v32
	v_ldexp_f32 v32, v17, 1
	v_mul_f32_e32 v17, v17, v21
	v_mul_f32_e32 v17, v17, v33
	v_add_f32_e32 v21, v32, v17
	v_sub_f32_e32 v32, v21, v32
	v_ldexp_f32 v9, v9, 1
	v_sub_f32_e32 v17, v17, v32
	v_add_f32_e32 v9, v9, v17
	v_add_f32_e32 v17, v21, v9
	v_sub_f32_e32 v21, v17, v21
	v_sub_f32_e32 v9, v9, v21
	v_add_f32_e32 v21, v10, v17
	v_sub_f32_e32 v32, v21, v10
	v_sub_f32_e32 v33, v21, v32
	v_sub_f32_e32 v12, v34, v12
	v_sub_f32_e32 v10, v10, v33
	v_sub_f32_e32 v17, v17, v32
	v_add_f32_e32 v10, v17, v10
	v_add_f32_e32 v17, v12, v9
	v_sub_f32_e32 v32, v17, v12
	v_sub_f32_e32 v33, v17, v32
	;; [unrolled: 1-line block ×4, first 2 shown]
	v_add_f32_e32 v10, v17, v10
	v_add_f32_e32 v9, v9, v12
	;; [unrolled: 1-line block ×3, first 2 shown]
	v_sub_f32_e32 v17, v12, v21
	v_sub_f32_e32 v10, v10, v17
	v_add_f32_e32 v9, v9, v10
	v_add_f32_e32 v9, v12, v9
	v_cmp_neq_f32_e32 vcc, s2, v4
	s_mov_b32 s2, 0x33800000
	v_cndmask_b32_e32 v9, v11, v9, vcc
	v_cmp_lt_f32_e64 vcc, |v4|, s2
	v_cndmask_b32_e32 v4, v9, v4, vcc
	v_add_f32_e32 v4, v5, v4
	v_cvt_f16_f32_e32 v4, v4
	v_cvt_f32_f16_e32 v17, v4
	v_mov_b32_e32 v46, v4
.LBB355_380:
	s_or_b64 exec, exec, s[0:1]
	v_max_f32_e32 v5, v25, v25
	v_max_f32_e32 v10, v17, v17
	v_min_f32_e32 v9, v10, v5
	v_cmp_u_f16_e32 vcc, v4, v4
	v_max_f32_e32 v5, v10, v5
	v_cndmask_b32_e32 v9, v9, v17, vcc
	v_cndmask_b32_e32 v5, v5, v17, vcc
	v_cndmask_b32_e64 v9, v9, v25, s[20:21]
	v_cndmask_b32_e64 v5, v5, v25, s[20:21]
	s_movk_i32 s2, 0x1f8
	v_cmp_neq_f32_e32 vcc, v9, v5
	v_cmp_class_f32_e64 s[0:1], v9, s2
	s_or_b64 s[4:5], vcc, s[0:1]
	v_mov_b32_e32 v25, v46
	s_and_saveexec_b64 s[0:1], s[4:5]
	s_cbranch_execz .LBB355_382
; %bb.381:
	v_sub_f32_e32 v4, v9, v5
	s_mov_b32 s3, 0x3fb8aa3b
	v_mul_f32_e32 v9, 0x3fb8aa3b, v4
	v_fma_f32 v10, v4, s3, -v9
	v_rndne_f32_e32 v11, v9
	v_fmac_f32_e32 v10, 0x32a5705f, v4
	v_sub_f32_e32 v9, v9, v11
	v_add_f32_e32 v9, v9, v10
	v_exp_f32_e32 v9, v9
	v_cvt_i32_f32_e32 v10, v11
	s_mov_b32 s3, 0xc2ce8ed0
	v_cmp_ngt_f32_e32 vcc, s3, v4
	s_mov_b32 s3, 0x42b17218
	v_ldexp_f32 v9, v9, v10
	v_cndmask_b32_e32 v9, 0, v9, vcc
	v_mov_b32_e32 v11, 0x7f800000
	v_cmp_nlt_f32_e32 vcc, s3, v4
	v_cndmask_b32_e32 v4, v11, v9, vcc
	v_add_f32_e32 v12, 1.0, v4
	v_cvt_f64_f32_e32 v[9:10], v12
	v_add_f32_e32 v17, -1.0, v12
	v_sub_f32_e32 v21, v17, v12
	v_sub_f32_e32 v17, v4, v17
	v_frexp_exp_i32_f64_e32 v9, v[9:10]
	v_add_f32_e32 v10, 1.0, v21
	v_add_f32_e32 v10, v17, v10
	v_frexp_mant_f32_e32 v17, v12
	s_mov_b32 s4, 0x3f2aaaab
	v_cmp_gt_f32_e32 vcc, s4, v17
	s_mov_b32 s4, 0x3f317218
	s_mov_b32 s3, 0x7f800000
	v_subbrev_co_u32_e32 v9, vcc, 0, v9, vcc
	v_sub_u32_e32 v17, 0, v9
	v_ldexp_f32 v12, v12, v17
	v_ldexp_f32 v10, v10, v17
	v_add_f32_e32 v17, -1.0, v12
	v_add_f32_e32 v32, 1.0, v12
	v_add_f32_e32 v21, 1.0, v17
	v_add_f32_e32 v33, -1.0, v32
	v_sub_f32_e32 v21, v12, v21
	v_sub_f32_e32 v12, v12, v33
	v_add_f32_e32 v21, v10, v21
	v_add_f32_e32 v10, v10, v12
	;; [unrolled: 1-line block ×3, first 2 shown]
	v_rcp_f32_e32 v33, v12
	v_add_f32_e32 v25, v17, v21
	v_sub_f32_e32 v17, v17, v25
	v_add_f32_e32 v17, v21, v17
	v_sub_f32_e32 v21, v32, v12
	v_add_f32_e32 v10, v10, v21
	v_mul_f32_e32 v21, v25, v33
	v_mul_f32_e32 v32, v12, v21
	v_fma_f32 v34, v21, v12, -v32
	v_fmac_f32_e32 v34, v21, v10
	v_add_f32_e32 v35, v32, v34
	v_sub_f32_e32 v36, v25, v35
	v_sub_f32_e32 v25, v25, v36
	;; [unrolled: 1-line block ×4, first 2 shown]
	v_add_f32_e32 v17, v17, v25
	v_sub_f32_e32 v25, v32, v34
	v_add_f32_e32 v17, v25, v17
	v_add_f32_e32 v25, v36, v17
	v_mul_f32_e32 v32, v33, v25
	v_mul_f32_e32 v34, v12, v32
	v_fma_f32 v12, v32, v12, -v34
	v_fmac_f32_e32 v12, v32, v10
	v_sub_f32_e32 v10, v36, v25
	v_add_f32_e32 v10, v17, v10
	v_add_f32_e32 v17, v34, v12
	v_sub_f32_e32 v35, v25, v17
	v_sub_f32_e32 v25, v25, v35
	;; [unrolled: 1-line block ×4, first 2 shown]
	v_add_f32_e32 v10, v10, v17
	v_sub_f32_e32 v12, v34, v12
	v_add_f32_e32 v10, v12, v10
	v_add_f32_e32 v12, v21, v32
	;; [unrolled: 1-line block ×3, first 2 shown]
	v_sub_f32_e32 v17, v12, v21
	v_mul_f32_e32 v10, v33, v10
	v_sub_f32_e32 v17, v32, v17
	v_add_f32_e32 v10, v17, v10
	v_cvt_f32_i32_e32 v9, v9
	v_add_f32_e32 v17, v12, v10
	v_mul_f32_e32 v21, v17, v17
	v_mov_b32_e32 v25, 0x3ecc95a3
	v_fmac_f32_e32 v25, 0x3e9b6dac, v21
	v_mov_b32_e32 v32, 0x3f2aaada
	v_fmac_f32_e32 v32, v21, v25
	v_mul_f32_e32 v25, 0x3f317218, v9
	v_fma_f32 v33, v9, s4, -v25
	v_fmac_f32_e32 v33, 0xb102e308, v9
	v_sub_f32_e32 v9, v17, v12
	v_sub_f32_e32 v9, v10, v9
	v_add_f32_e32 v10, v25, v33
	v_sub_f32_e32 v12, v10, v25
	v_ldexp_f32 v25, v17, 1
	v_mul_f32_e32 v17, v17, v21
	v_mul_f32_e32 v17, v17, v32
	v_add_f32_e32 v21, v25, v17
	v_sub_f32_e32 v25, v21, v25
	v_ldexp_f32 v9, v9, 1
	v_sub_f32_e32 v17, v17, v25
	v_add_f32_e32 v9, v9, v17
	v_add_f32_e32 v17, v21, v9
	v_sub_f32_e32 v21, v17, v21
	v_sub_f32_e32 v9, v9, v21
	v_add_f32_e32 v21, v10, v17
	v_sub_f32_e32 v25, v21, v10
	v_sub_f32_e32 v32, v21, v25
	;; [unrolled: 1-line block ×5, first 2 shown]
	v_add_f32_e32 v10, v17, v10
	v_add_f32_e32 v17, v12, v9
	v_sub_f32_e32 v25, v17, v12
	v_sub_f32_e32 v32, v17, v25
	;; [unrolled: 1-line block ×4, first 2 shown]
	v_add_f32_e32 v10, v17, v10
	v_add_f32_e32 v9, v9, v12
	;; [unrolled: 1-line block ×3, first 2 shown]
	v_sub_f32_e32 v17, v12, v21
	v_sub_f32_e32 v10, v10, v17
	v_add_f32_e32 v9, v9, v10
	v_add_f32_e32 v9, v12, v9
	v_cmp_neq_f32_e32 vcc, s3, v4
	s_mov_b32 s3, 0x33800000
	v_cndmask_b32_e32 v9, v11, v9, vcc
	v_cmp_lt_f32_e64 vcc, |v4|, s3
	v_cndmask_b32_e32 v4, v9, v4, vcc
	v_add_f32_e32 v4, v5, v4
	v_cvt_f16_f32_e32 v4, v4
	v_cvt_f32_f16_e32 v17, v4
	v_mov_b32_e32 v25, v4
.LBB355_382:
	s_or_b64 exec, exec, s[0:1]
	v_max_f32_e32 v5, v6, v6
	v_max_f32_e32 v10, v17, v17
	v_min_f32_e32 v9, v10, v5
	v_cmp_u_f16_e32 vcc, v4, v4
	v_max_f32_e32 v5, v10, v5
	v_cndmask_b32_e32 v9, v9, v17, vcc
	v_cndmask_b32_e32 v5, v5, v17, vcc
	v_cndmask_b32_e64 v9, v9, v6, s[22:23]
	v_cndmask_b32_e64 v5, v5, v6, s[22:23]
	v_cmp_neq_f32_e32 vcc, v9, v5
	v_cmp_class_f32_e64 s[0:1], v9, s2
	s_or_b64 s[2:3], vcc, s[0:1]
	v_mov_b32_e32 v32, v25
	s_and_saveexec_b64 s[0:1], s[2:3]
	s_cbranch_execz .LBB355_384
; %bb.383:
	v_sub_f32_e32 v4, v9, v5
	s_mov_b32 s2, 0x3fb8aa3b
	v_mul_f32_e32 v6, 0x3fb8aa3b, v4
	v_fma_f32 v9, v4, s2, -v6
	v_rndne_f32_e32 v10, v6
	v_fmac_f32_e32 v9, 0x32a5705f, v4
	v_sub_f32_e32 v6, v6, v10
	v_add_f32_e32 v6, v6, v9
	v_exp_f32_e32 v6, v6
	v_cvt_i32_f32_e32 v9, v10
	s_mov_b32 s2, 0xc2ce8ed0
	v_cmp_ngt_f32_e32 vcc, s2, v4
	s_mov_b32 s2, 0x42b17218
	v_ldexp_f32 v6, v6, v9
	v_cndmask_b32_e32 v6, 0, v6, vcc
	v_mov_b32_e32 v11, 0x7f800000
	v_cmp_nlt_f32_e32 vcc, s2, v4
	v_cndmask_b32_e32 v4, v11, v6, vcc
	v_add_f32_e32 v6, 1.0, v4
	v_cvt_f64_f32_e32 v[9:10], v6
	v_add_f32_e32 v12, -1.0, v6
	v_sub_f32_e32 v17, v12, v6
	v_sub_f32_e32 v12, v4, v12
	v_frexp_exp_i32_f64_e32 v9, v[9:10]
	v_add_f32_e32 v10, 1.0, v17
	v_add_f32_e32 v10, v12, v10
	v_frexp_mant_f32_e32 v12, v6
	s_mov_b32 s3, 0x3f2aaaab
	v_cmp_gt_f32_e32 vcc, s3, v12
	s_mov_b32 s3, 0x3f317218
	s_mov_b32 s2, 0x7f800000
	v_subbrev_co_u32_e32 v9, vcc, 0, v9, vcc
	v_sub_u32_e32 v12, 0, v9
	v_ldexp_f32 v6, v6, v12
	v_ldexp_f32 v10, v10, v12
	v_add_f32_e32 v12, -1.0, v6
	v_add_f32_e32 v32, 1.0, v6
	v_add_f32_e32 v17, 1.0, v12
	v_add_f32_e32 v33, -1.0, v32
	v_sub_f32_e32 v17, v6, v17
	v_sub_f32_e32 v6, v6, v33
	v_add_f32_e32 v6, v10, v6
	v_add_f32_e32 v17, v10, v17
	;; [unrolled: 1-line block ×3, first 2 shown]
	v_rcp_f32_e32 v33, v10
	v_add_f32_e32 v21, v12, v17
	v_sub_f32_e32 v12, v12, v21
	v_add_f32_e32 v12, v17, v12
	v_sub_f32_e32 v17, v32, v10
	v_add_f32_e32 v6, v6, v17
	v_mul_f32_e32 v17, v21, v33
	v_mul_f32_e32 v32, v10, v17
	v_fma_f32 v34, v17, v10, -v32
	v_fmac_f32_e32 v34, v17, v6
	v_add_f32_e32 v35, v32, v34
	v_sub_f32_e32 v36, v21, v35
	v_sub_f32_e32 v21, v21, v36
	;; [unrolled: 1-line block ×4, first 2 shown]
	v_add_f32_e32 v12, v12, v21
	v_sub_f32_e32 v21, v32, v34
	v_add_f32_e32 v12, v21, v12
	v_add_f32_e32 v21, v36, v12
	v_mul_f32_e32 v32, v33, v21
	v_mul_f32_e32 v34, v10, v32
	v_fma_f32 v10, v32, v10, -v34
	v_fmac_f32_e32 v10, v32, v6
	v_sub_f32_e32 v6, v36, v21
	v_add_f32_e32 v6, v12, v6
	v_add_f32_e32 v12, v34, v10
	v_sub_f32_e32 v35, v21, v12
	v_sub_f32_e32 v21, v21, v35
	v_sub_f32_e32 v34, v12, v34
	v_sub_f32_e32 v12, v21, v12
	v_add_f32_e32 v6, v6, v12
	v_sub_f32_e32 v10, v34, v10
	v_add_f32_e32 v6, v10, v6
	v_add_f32_e32 v10, v17, v32
	;; [unrolled: 1-line block ×3, first 2 shown]
	v_sub_f32_e32 v12, v10, v17
	v_mul_f32_e32 v6, v33, v6
	v_sub_f32_e32 v12, v32, v12
	v_add_f32_e32 v6, v12, v6
	v_cvt_f32_i32_e32 v9, v9
	v_add_f32_e32 v12, v10, v6
	v_mul_f32_e32 v17, v12, v12
	v_mov_b32_e32 v21, 0x3ecc95a3
	v_fmac_f32_e32 v21, 0x3e9b6dac, v17
	v_mov_b32_e32 v32, 0x3f2aaada
	v_fmac_f32_e32 v32, v17, v21
	v_mul_f32_e32 v21, 0x3f317218, v9
	v_fma_f32 v33, v9, s3, -v21
	v_fmac_f32_e32 v33, 0xb102e308, v9
	v_sub_f32_e32 v9, v12, v10
	v_sub_f32_e32 v6, v6, v9
	v_add_f32_e32 v9, v21, v33
	v_sub_f32_e32 v10, v9, v21
	v_ldexp_f32 v21, v12, 1
	v_mul_f32_e32 v12, v12, v17
	v_mul_f32_e32 v12, v12, v32
	v_add_f32_e32 v17, v21, v12
	v_sub_f32_e32 v21, v17, v21
	v_ldexp_f32 v6, v6, 1
	v_sub_f32_e32 v12, v12, v21
	v_add_f32_e32 v6, v6, v12
	v_add_f32_e32 v12, v17, v6
	v_sub_f32_e32 v17, v12, v17
	v_sub_f32_e32 v6, v6, v17
	v_add_f32_e32 v17, v9, v12
	v_sub_f32_e32 v21, v17, v9
	v_sub_f32_e32 v32, v17, v21
	;; [unrolled: 1-line block ×5, first 2 shown]
	v_add_f32_e32 v9, v12, v9
	v_add_f32_e32 v12, v10, v6
	v_sub_f32_e32 v21, v12, v10
	v_sub_f32_e32 v32, v12, v21
	;; [unrolled: 1-line block ×4, first 2 shown]
	v_add_f32_e32 v9, v12, v9
	v_add_f32_e32 v6, v6, v10
	;; [unrolled: 1-line block ×3, first 2 shown]
	v_sub_f32_e32 v12, v10, v17
	v_sub_f32_e32 v9, v9, v12
	v_add_f32_e32 v6, v6, v9
	v_add_f32_e32 v6, v10, v6
	v_cmp_neq_f32_e32 vcc, s2, v4
	s_mov_b32 s2, 0x33800000
	v_cndmask_b32_e32 v6, v11, v6, vcc
	v_cmp_lt_f32_e64 vcc, |v4|, s2
	v_cndmask_b32_e32 v4, v6, v4, vcc
	v_add_f32_e32 v4, v5, v4
	v_cvt_f16_f32_e32 v4, v4
	v_cvt_f32_f16_e32 v17, v4
	v_mov_b32_e32 v32, v4
.LBB355_384:
	s_or_b64 exec, exec, s[0:1]
	v_max_f32_e32 v5, v26, v26
	v_max_f32_e32 v9, v17, v17
	v_min_f32_e32 v6, v9, v5
	v_cmp_u_f16_e32 vcc, v4, v4
	v_max_f32_e32 v5, v9, v5
	v_cndmask_b32_e32 v6, v6, v17, vcc
	v_cndmask_b32_e32 v5, v5, v17, vcc
	v_cndmask_b32_e64 v6, v6, v26, s[24:25]
	v_cndmask_b32_e64 v5, v5, v26, s[24:25]
	s_movk_i32 s2, 0x1f8
	v_cmp_neq_f32_e32 vcc, v6, v5
	v_cmp_class_f32_e64 s[0:1], v6, s2
	s_or_b64 s[4:5], vcc, s[0:1]
	v_mov_b32_e32 v26, v32
	s_and_saveexec_b64 s[0:1], s[4:5]
	s_cbranch_execz .LBB355_386
; %bb.385:
	v_sub_f32_e32 v4, v6, v5
	s_mov_b32 s3, 0x3fb8aa3b
	v_mul_f32_e32 v6, 0x3fb8aa3b, v4
	v_fma_f32 v9, v4, s3, -v6
	v_rndne_f32_e32 v10, v6
	v_fmac_f32_e32 v9, 0x32a5705f, v4
	v_sub_f32_e32 v6, v6, v10
	v_add_f32_e32 v6, v6, v9
	v_exp_f32_e32 v6, v6
	v_cvt_i32_f32_e32 v9, v10
	s_mov_b32 s3, 0xc2ce8ed0
	v_cmp_ngt_f32_e32 vcc, s3, v4
	s_mov_b32 s3, 0x42b17218
	v_ldexp_f32 v6, v6, v9
	v_cndmask_b32_e32 v6, 0, v6, vcc
	v_mov_b32_e32 v11, 0x7f800000
	v_cmp_nlt_f32_e32 vcc, s3, v4
	v_cndmask_b32_e32 v4, v11, v6, vcc
	v_add_f32_e32 v6, 1.0, v4
	v_cvt_f64_f32_e32 v[9:10], v6
	v_add_f32_e32 v12, -1.0, v6
	v_sub_f32_e32 v17, v12, v6
	v_sub_f32_e32 v12, v4, v12
	v_frexp_exp_i32_f64_e32 v9, v[9:10]
	v_add_f32_e32 v10, 1.0, v17
	v_add_f32_e32 v10, v12, v10
	v_frexp_mant_f32_e32 v12, v6
	s_mov_b32 s4, 0x3f2aaaab
	v_cmp_gt_f32_e32 vcc, s4, v12
	s_mov_b32 s4, 0x3f317218
	s_mov_b32 s3, 0x7f800000
	v_subbrev_co_u32_e32 v9, vcc, 0, v9, vcc
	v_sub_u32_e32 v12, 0, v9
	v_ldexp_f32 v6, v6, v12
	v_ldexp_f32 v10, v10, v12
	v_add_f32_e32 v12, -1.0, v6
	v_add_f32_e32 v26, 1.0, v6
	v_add_f32_e32 v17, 1.0, v12
	v_add_f32_e32 v33, -1.0, v26
	v_sub_f32_e32 v17, v6, v17
	v_sub_f32_e32 v6, v6, v33
	v_add_f32_e32 v6, v10, v6
	v_add_f32_e32 v17, v10, v17
	;; [unrolled: 1-line block ×3, first 2 shown]
	v_rcp_f32_e32 v33, v10
	v_add_f32_e32 v21, v12, v17
	v_sub_f32_e32 v12, v12, v21
	v_add_f32_e32 v12, v17, v12
	v_sub_f32_e32 v17, v26, v10
	v_add_f32_e32 v6, v6, v17
	v_mul_f32_e32 v17, v21, v33
	v_mul_f32_e32 v26, v10, v17
	v_fma_f32 v34, v17, v10, -v26
	v_fmac_f32_e32 v34, v17, v6
	v_add_f32_e32 v35, v26, v34
	v_sub_f32_e32 v36, v21, v35
	v_sub_f32_e32 v21, v21, v36
	;; [unrolled: 1-line block ×4, first 2 shown]
	v_add_f32_e32 v12, v12, v21
	v_sub_f32_e32 v21, v26, v34
	v_add_f32_e32 v12, v21, v12
	v_add_f32_e32 v21, v36, v12
	v_mul_f32_e32 v26, v33, v21
	v_mul_f32_e32 v34, v10, v26
	v_fma_f32 v10, v26, v10, -v34
	v_fmac_f32_e32 v10, v26, v6
	v_sub_f32_e32 v6, v36, v21
	v_add_f32_e32 v6, v12, v6
	v_add_f32_e32 v12, v34, v10
	v_sub_f32_e32 v35, v21, v12
	v_sub_f32_e32 v21, v21, v35
	v_sub_f32_e32 v34, v12, v34
	v_sub_f32_e32 v12, v21, v12
	v_add_f32_e32 v6, v6, v12
	v_sub_f32_e32 v10, v34, v10
	v_add_f32_e32 v6, v10, v6
	v_add_f32_e32 v10, v17, v26
	;; [unrolled: 1-line block ×3, first 2 shown]
	v_sub_f32_e32 v12, v10, v17
	v_mul_f32_e32 v6, v33, v6
	v_sub_f32_e32 v12, v26, v12
	v_add_f32_e32 v6, v12, v6
	v_cvt_f32_i32_e32 v9, v9
	v_add_f32_e32 v12, v10, v6
	v_mul_f32_e32 v17, v12, v12
	v_mov_b32_e32 v21, 0x3ecc95a3
	v_fmac_f32_e32 v21, 0x3e9b6dac, v17
	v_mov_b32_e32 v26, 0x3f2aaada
	v_fmac_f32_e32 v26, v17, v21
	v_mul_f32_e32 v21, 0x3f317218, v9
	v_fma_f32 v33, v9, s4, -v21
	v_fmac_f32_e32 v33, 0xb102e308, v9
	v_sub_f32_e32 v9, v12, v10
	v_sub_f32_e32 v6, v6, v9
	v_add_f32_e32 v9, v21, v33
	v_sub_f32_e32 v10, v9, v21
	v_ldexp_f32 v21, v12, 1
	v_mul_f32_e32 v12, v12, v17
	v_mul_f32_e32 v12, v12, v26
	v_add_f32_e32 v17, v21, v12
	v_sub_f32_e32 v21, v17, v21
	v_ldexp_f32 v6, v6, 1
	v_sub_f32_e32 v12, v12, v21
	v_add_f32_e32 v6, v6, v12
	v_add_f32_e32 v12, v17, v6
	v_sub_f32_e32 v17, v12, v17
	v_sub_f32_e32 v6, v6, v17
	v_add_f32_e32 v17, v9, v12
	v_sub_f32_e32 v21, v17, v9
	v_sub_f32_e32 v26, v17, v21
	;; [unrolled: 1-line block ×5, first 2 shown]
	v_add_f32_e32 v9, v12, v9
	v_add_f32_e32 v12, v10, v6
	v_sub_f32_e32 v21, v12, v10
	v_sub_f32_e32 v26, v12, v21
	;; [unrolled: 1-line block ×4, first 2 shown]
	v_add_f32_e32 v9, v12, v9
	v_add_f32_e32 v6, v6, v10
	;; [unrolled: 1-line block ×3, first 2 shown]
	v_sub_f32_e32 v12, v10, v17
	v_sub_f32_e32 v9, v9, v12
	v_add_f32_e32 v6, v6, v9
	v_add_f32_e32 v6, v10, v6
	v_cmp_neq_f32_e32 vcc, s3, v4
	s_mov_b32 s3, 0x33800000
	v_cndmask_b32_e32 v6, v11, v6, vcc
	v_cmp_lt_f32_e64 vcc, |v4|, s3
	v_cndmask_b32_e32 v4, v6, v4, vcc
	v_add_f32_e32 v4, v5, v4
	v_cvt_f16_f32_e32 v4, v4
	v_cvt_f32_f16_e32 v17, v4
	v_mov_b32_e32 v26, v4
.LBB355_386:
	s_or_b64 exec, exec, s[0:1]
	v_max_f32_e32 v5, v7, v7
	v_max_f32_e32 v9, v17, v17
	v_min_f32_e32 v6, v9, v5
	v_cmp_u_f16_e32 vcc, v4, v4
	v_max_f32_e32 v5, v9, v5
	v_cndmask_b32_e32 v6, v6, v17, vcc
	v_cndmask_b32_e32 v5, v5, v17, vcc
	v_cndmask_b32_e64 v6, v6, v7, s[26:27]
	v_cndmask_b32_e64 v5, v5, v7, s[26:27]
	v_cmp_neq_f32_e32 vcc, v6, v5
	v_cmp_class_f32_e64 s[0:1], v6, s2
	s_or_b64 s[2:3], vcc, s[0:1]
	v_mov_b32_e32 v33, v26
	s_and_saveexec_b64 s[0:1], s[2:3]
	s_cbranch_execz .LBB355_388
; %bb.387:
	v_sub_f32_e32 v4, v6, v5
	s_mov_b32 s2, 0x3fb8aa3b
	v_mul_f32_e32 v6, 0x3fb8aa3b, v4
	v_fma_f32 v7, v4, s2, -v6
	v_rndne_f32_e32 v9, v6
	v_fmac_f32_e32 v7, 0x32a5705f, v4
	v_sub_f32_e32 v6, v6, v9
	v_add_f32_e32 v6, v6, v7
	v_exp_f32_e32 v6, v6
	v_cvt_i32_f32_e32 v7, v9
	s_mov_b32 s2, 0xc2ce8ed0
	v_cmp_ngt_f32_e32 vcc, s2, v4
	s_mov_b32 s2, 0x42b17218
	v_ldexp_f32 v6, v6, v7
	v_cndmask_b32_e32 v6, 0, v6, vcc
	v_mov_b32_e32 v9, 0x7f800000
	v_cmp_nlt_f32_e32 vcc, s2, v4
	v_cndmask_b32_e32 v4, v9, v6, vcc
	v_add_f32_e32 v10, 1.0, v4
	v_cvt_f64_f32_e32 v[6:7], v10
	v_add_f32_e32 v11, -1.0, v10
	v_sub_f32_e32 v12, v11, v10
	v_sub_f32_e32 v11, v4, v11
	v_frexp_exp_i32_f64_e32 v6, v[6:7]
	v_add_f32_e32 v7, 1.0, v12
	v_add_f32_e32 v7, v11, v7
	v_frexp_mant_f32_e32 v11, v10
	s_mov_b32 s3, 0x3f2aaaab
	v_cmp_gt_f32_e32 vcc, s3, v11
	s_mov_b32 s3, 0x3f317218
	s_mov_b32 s2, 0x7f800000
	v_subbrev_co_u32_e32 v6, vcc, 0, v6, vcc
	v_sub_u32_e32 v11, 0, v6
	v_ldexp_f32 v10, v10, v11
	v_ldexp_f32 v7, v7, v11
	v_add_f32_e32 v11, -1.0, v10
	v_add_f32_e32 v21, 1.0, v10
	v_add_f32_e32 v12, 1.0, v11
	v_add_f32_e32 v33, -1.0, v21
	v_sub_f32_e32 v12, v10, v12
	v_sub_f32_e32 v10, v10, v33
	v_add_f32_e32 v12, v7, v12
	v_add_f32_e32 v7, v7, v10
	;; [unrolled: 1-line block ×3, first 2 shown]
	v_rcp_f32_e32 v33, v10
	v_add_f32_e32 v17, v11, v12
	v_sub_f32_e32 v11, v11, v17
	v_add_f32_e32 v11, v12, v11
	v_sub_f32_e32 v12, v21, v10
	v_add_f32_e32 v7, v7, v12
	v_mul_f32_e32 v12, v17, v33
	v_mul_f32_e32 v21, v10, v12
	v_fma_f32 v34, v12, v10, -v21
	v_fmac_f32_e32 v34, v12, v7
	v_add_f32_e32 v35, v21, v34
	v_sub_f32_e32 v36, v17, v35
	v_sub_f32_e32 v17, v17, v36
	;; [unrolled: 1-line block ×4, first 2 shown]
	v_add_f32_e32 v11, v11, v17
	v_sub_f32_e32 v17, v21, v34
	v_add_f32_e32 v11, v17, v11
	v_add_f32_e32 v17, v36, v11
	v_mul_f32_e32 v21, v33, v17
	v_mul_f32_e32 v34, v10, v21
	v_fma_f32 v10, v21, v10, -v34
	v_fmac_f32_e32 v10, v21, v7
	v_sub_f32_e32 v7, v36, v17
	v_add_f32_e32 v7, v11, v7
	v_add_f32_e32 v11, v34, v10
	v_sub_f32_e32 v35, v17, v11
	v_sub_f32_e32 v17, v17, v35
	;; [unrolled: 1-line block ×4, first 2 shown]
	v_add_f32_e32 v7, v7, v11
	v_sub_f32_e32 v10, v34, v10
	v_add_f32_e32 v7, v10, v7
	v_add_f32_e32 v10, v12, v21
	v_add_f32_e32 v7, v35, v7
	v_sub_f32_e32 v11, v10, v12
	v_mul_f32_e32 v7, v33, v7
	v_sub_f32_e32 v11, v21, v11
	v_add_f32_e32 v7, v11, v7
	v_cvt_f32_i32_e32 v6, v6
	v_add_f32_e32 v11, v10, v7
	v_mul_f32_e32 v12, v11, v11
	v_mov_b32_e32 v17, 0x3ecc95a3
	v_fmac_f32_e32 v17, 0x3e9b6dac, v12
	v_mov_b32_e32 v21, 0x3f2aaada
	v_fmac_f32_e32 v21, v12, v17
	v_mul_f32_e32 v17, 0x3f317218, v6
	v_fma_f32 v33, v6, s3, -v17
	v_fmac_f32_e32 v33, 0xb102e308, v6
	v_sub_f32_e32 v6, v11, v10
	v_sub_f32_e32 v6, v7, v6
	v_add_f32_e32 v7, v17, v33
	v_sub_f32_e32 v10, v7, v17
	v_ldexp_f32 v17, v11, 1
	v_mul_f32_e32 v11, v11, v12
	v_mul_f32_e32 v11, v11, v21
	v_add_f32_e32 v12, v17, v11
	v_sub_f32_e32 v17, v12, v17
	v_ldexp_f32 v6, v6, 1
	v_sub_f32_e32 v11, v11, v17
	v_add_f32_e32 v6, v6, v11
	v_add_f32_e32 v11, v12, v6
	v_sub_f32_e32 v12, v11, v12
	v_sub_f32_e32 v6, v6, v12
	v_add_f32_e32 v12, v7, v11
	v_sub_f32_e32 v17, v12, v7
	v_sub_f32_e32 v21, v12, v17
	;; [unrolled: 1-line block ×5, first 2 shown]
	v_add_f32_e32 v7, v11, v7
	v_add_f32_e32 v11, v10, v6
	v_sub_f32_e32 v17, v11, v10
	v_sub_f32_e32 v21, v11, v17
	;; [unrolled: 1-line block ×4, first 2 shown]
	v_add_f32_e32 v7, v11, v7
	v_add_f32_e32 v6, v6, v10
	;; [unrolled: 1-line block ×3, first 2 shown]
	v_sub_f32_e32 v11, v10, v12
	v_sub_f32_e32 v7, v7, v11
	v_add_f32_e32 v6, v6, v7
	v_add_f32_e32 v6, v10, v6
	v_cmp_neq_f32_e32 vcc, s2, v4
	s_mov_b32 s2, 0x33800000
	v_cndmask_b32_e32 v6, v9, v6, vcc
	v_cmp_lt_f32_e64 vcc, |v4|, s2
	v_cndmask_b32_e32 v4, v6, v4, vcc
	v_add_f32_e32 v4, v5, v4
	v_cvt_f16_f32_e32 v4, v4
	v_cvt_f32_f16_e32 v17, v4
	v_mov_b32_e32 v33, v4
.LBB355_388:
	s_or_b64 exec, exec, s[0:1]
	v_max_f32_e32 v5, v27, v27
	v_max_f32_e32 v7, v17, v17
	v_min_f32_e32 v6, v7, v5
	v_cmp_u_f16_e32 vcc, v4, v4
	v_max_f32_e32 v5, v7, v5
	v_cndmask_b32_e32 v6, v6, v17, vcc
	v_cndmask_b32_e32 v5, v5, v17, vcc
	v_cndmask_b32_e64 v6, v6, v27, s[28:29]
	v_cndmask_b32_e64 v5, v5, v27, s[28:29]
	s_movk_i32 s2, 0x1f8
	v_cmp_neq_f32_e32 vcc, v6, v5
	v_cmp_class_f32_e64 s[0:1], v6, s2
	s_or_b64 s[4:5], vcc, s[0:1]
	v_mov_b32_e32 v27, v33
	s_and_saveexec_b64 s[0:1], s[4:5]
	s_cbranch_execz .LBB355_390
; %bb.389:
	v_sub_f32_e32 v4, v6, v5
	s_mov_b32 s3, 0x3fb8aa3b
	v_mul_f32_e32 v6, 0x3fb8aa3b, v4
	v_fma_f32 v7, v4, s3, -v6
	v_rndne_f32_e32 v9, v6
	v_fmac_f32_e32 v7, 0x32a5705f, v4
	v_sub_f32_e32 v6, v6, v9
	v_add_f32_e32 v6, v6, v7
	v_exp_f32_e32 v6, v6
	v_cvt_i32_f32_e32 v7, v9
	s_mov_b32 s3, 0xc2ce8ed0
	v_cmp_ngt_f32_e32 vcc, s3, v4
	s_mov_b32 s3, 0x42b17218
	v_ldexp_f32 v6, v6, v7
	v_cndmask_b32_e32 v6, 0, v6, vcc
	v_mov_b32_e32 v9, 0x7f800000
	v_cmp_nlt_f32_e32 vcc, s3, v4
	v_cndmask_b32_e32 v4, v9, v6, vcc
	v_add_f32_e32 v10, 1.0, v4
	v_cvt_f64_f32_e32 v[6:7], v10
	v_add_f32_e32 v11, -1.0, v10
	v_sub_f32_e32 v12, v11, v10
	v_sub_f32_e32 v11, v4, v11
	v_frexp_exp_i32_f64_e32 v6, v[6:7]
	v_add_f32_e32 v7, 1.0, v12
	v_add_f32_e32 v7, v11, v7
	v_frexp_mant_f32_e32 v11, v10
	s_mov_b32 s4, 0x3f2aaaab
	v_cmp_gt_f32_e32 vcc, s4, v11
	s_mov_b32 s4, 0x3f317218
	s_mov_b32 s3, 0x7f800000
	v_subbrev_co_u32_e32 v6, vcc, 0, v6, vcc
	v_sub_u32_e32 v11, 0, v6
	v_ldexp_f32 v10, v10, v11
	v_ldexp_f32 v7, v7, v11
	v_add_f32_e32 v11, -1.0, v10
	v_add_f32_e32 v21, 1.0, v10
	v_add_f32_e32 v12, 1.0, v11
	v_add_f32_e32 v27, -1.0, v21
	v_sub_f32_e32 v12, v10, v12
	v_sub_f32_e32 v10, v10, v27
	v_add_f32_e32 v12, v7, v12
	v_add_f32_e32 v7, v7, v10
	;; [unrolled: 1-line block ×3, first 2 shown]
	v_rcp_f32_e32 v27, v10
	v_add_f32_e32 v17, v11, v12
	v_sub_f32_e32 v11, v11, v17
	v_add_f32_e32 v11, v12, v11
	v_sub_f32_e32 v12, v21, v10
	v_add_f32_e32 v7, v7, v12
	v_mul_f32_e32 v12, v17, v27
	v_mul_f32_e32 v21, v10, v12
	v_fma_f32 v34, v12, v10, -v21
	v_fmac_f32_e32 v34, v12, v7
	v_add_f32_e32 v35, v21, v34
	v_sub_f32_e32 v36, v17, v35
	v_sub_f32_e32 v17, v17, v36
	;; [unrolled: 1-line block ×4, first 2 shown]
	v_add_f32_e32 v11, v11, v17
	v_sub_f32_e32 v17, v21, v34
	v_add_f32_e32 v11, v17, v11
	v_add_f32_e32 v17, v36, v11
	v_mul_f32_e32 v21, v27, v17
	v_mul_f32_e32 v34, v10, v21
	v_fma_f32 v10, v21, v10, -v34
	v_fmac_f32_e32 v10, v21, v7
	v_sub_f32_e32 v7, v36, v17
	v_add_f32_e32 v7, v11, v7
	v_add_f32_e32 v11, v34, v10
	v_sub_f32_e32 v35, v17, v11
	v_sub_f32_e32 v17, v17, v35
	;; [unrolled: 1-line block ×4, first 2 shown]
	v_add_f32_e32 v7, v7, v11
	v_sub_f32_e32 v10, v34, v10
	v_add_f32_e32 v7, v10, v7
	v_add_f32_e32 v10, v12, v21
	;; [unrolled: 1-line block ×3, first 2 shown]
	v_sub_f32_e32 v11, v10, v12
	v_mul_f32_e32 v7, v27, v7
	v_sub_f32_e32 v11, v21, v11
	v_add_f32_e32 v7, v11, v7
	v_cvt_f32_i32_e32 v6, v6
	v_add_f32_e32 v11, v10, v7
	v_mul_f32_e32 v12, v11, v11
	v_mov_b32_e32 v17, 0x3ecc95a3
	v_fmac_f32_e32 v17, 0x3e9b6dac, v12
	v_mov_b32_e32 v21, 0x3f2aaada
	v_fmac_f32_e32 v21, v12, v17
	v_mul_f32_e32 v17, 0x3f317218, v6
	v_fma_f32 v27, v6, s4, -v17
	v_fmac_f32_e32 v27, 0xb102e308, v6
	v_sub_f32_e32 v6, v11, v10
	v_sub_f32_e32 v6, v7, v6
	v_add_f32_e32 v7, v17, v27
	v_sub_f32_e32 v10, v7, v17
	v_ldexp_f32 v17, v11, 1
	v_mul_f32_e32 v11, v11, v12
	v_mul_f32_e32 v11, v11, v21
	v_add_f32_e32 v12, v17, v11
	v_sub_f32_e32 v17, v12, v17
	v_ldexp_f32 v6, v6, 1
	v_sub_f32_e32 v11, v11, v17
	v_add_f32_e32 v6, v6, v11
	v_add_f32_e32 v11, v12, v6
	v_sub_f32_e32 v12, v11, v12
	v_sub_f32_e32 v6, v6, v12
	v_add_f32_e32 v12, v7, v11
	v_sub_f32_e32 v17, v12, v7
	v_sub_f32_e32 v21, v12, v17
	;; [unrolled: 1-line block ×5, first 2 shown]
	v_add_f32_e32 v7, v11, v7
	v_add_f32_e32 v11, v10, v6
	v_sub_f32_e32 v17, v11, v10
	v_sub_f32_e32 v21, v11, v17
	;; [unrolled: 1-line block ×4, first 2 shown]
	v_add_f32_e32 v7, v11, v7
	v_add_f32_e32 v6, v6, v10
	;; [unrolled: 1-line block ×3, first 2 shown]
	v_sub_f32_e32 v11, v10, v12
	v_sub_f32_e32 v7, v7, v11
	v_add_f32_e32 v6, v6, v7
	v_add_f32_e32 v6, v10, v6
	v_cmp_neq_f32_e32 vcc, s3, v4
	s_mov_b32 s3, 0x33800000
	v_cndmask_b32_e32 v6, v9, v6, vcc
	v_cmp_lt_f32_e64 vcc, |v4|, s3
	v_cndmask_b32_e32 v4, v6, v4, vcc
	v_add_f32_e32 v4, v5, v4
	v_cvt_f16_f32_e32 v4, v4
	v_cvt_f32_f16_e32 v17, v4
	v_mov_b32_e32 v27, v4
.LBB355_390:
	s_or_b64 exec, exec, s[0:1]
	v_max_f32_e32 v5, v8, v8
	v_max_f32_e32 v7, v17, v17
	v_min_f32_e32 v6, v7, v5
	v_cmp_u_f16_e32 vcc, v4, v4
	v_max_f32_e32 v5, v7, v5
	v_cndmask_b32_e32 v6, v6, v17, vcc
	v_cndmask_b32_e32 v5, v5, v17, vcc
	v_cndmask_b32_e64 v6, v6, v8, s[30:31]
	v_cndmask_b32_e64 v5, v5, v8, s[30:31]
	v_cmp_neq_f32_e32 vcc, v6, v5
	v_cmp_class_f32_e64 s[0:1], v6, s2
	s_or_b64 s[2:3], vcc, s[0:1]
	v_mov_b32_e32 v34, v27
	s_and_saveexec_b64 s[0:1], s[2:3]
	s_cbranch_execz .LBB355_392
; %bb.391:
	v_sub_f32_e32 v4, v6, v5
	s_mov_b32 s2, 0x3fb8aa3b
	v_mul_f32_e32 v6, 0x3fb8aa3b, v4
	v_fma_f32 v7, v4, s2, -v6
	v_rndne_f32_e32 v8, v6
	v_fmac_f32_e32 v7, 0x32a5705f, v4
	v_sub_f32_e32 v6, v6, v8
	v_add_f32_e32 v6, v6, v7
	v_exp_f32_e32 v6, v6
	v_cvt_i32_f32_e32 v7, v8
	s_mov_b32 s2, 0xc2ce8ed0
	v_cmp_ngt_f32_e32 vcc, s2, v4
	s_mov_b32 s2, 0x42b17218
	v_ldexp_f32 v6, v6, v7
	v_cndmask_b32_e32 v6, 0, v6, vcc
	v_mov_b32_e32 v8, 0x7f800000
	v_cmp_nlt_f32_e32 vcc, s2, v4
	v_cndmask_b32_e32 v4, v8, v6, vcc
	v_add_f32_e32 v9, 1.0, v4
	v_cvt_f64_f32_e32 v[6:7], v9
	v_add_f32_e32 v10, -1.0, v9
	v_sub_f32_e32 v11, v10, v9
	v_sub_f32_e32 v10, v4, v10
	v_frexp_exp_i32_f64_e32 v6, v[6:7]
	v_add_f32_e32 v7, 1.0, v11
	v_add_f32_e32 v7, v10, v7
	v_frexp_mant_f32_e32 v10, v9
	s_mov_b32 s3, 0x3f2aaaab
	v_cmp_gt_f32_e32 vcc, s3, v10
	s_mov_b32 s3, 0x3f317218
	s_mov_b32 s2, 0x7f800000
	v_subbrev_co_u32_e32 v6, vcc, 0, v6, vcc
	v_sub_u32_e32 v10, 0, v6
	v_ldexp_f32 v9, v9, v10
	v_ldexp_f32 v7, v7, v10
	v_add_f32_e32 v10, -1.0, v9
	v_add_f32_e32 v17, 1.0, v9
	v_add_f32_e32 v11, 1.0, v10
	v_add_f32_e32 v21, -1.0, v17
	v_sub_f32_e32 v11, v9, v11
	v_sub_f32_e32 v9, v9, v21
	v_add_f32_e32 v11, v7, v11
	v_add_f32_e32 v7, v7, v9
	;; [unrolled: 1-line block ×3, first 2 shown]
	v_rcp_f32_e32 v21, v9
	v_add_f32_e32 v12, v10, v11
	v_sub_f32_e32 v10, v10, v12
	v_add_f32_e32 v10, v11, v10
	v_sub_f32_e32 v11, v17, v9
	v_add_f32_e32 v7, v7, v11
	v_mul_f32_e32 v11, v12, v21
	v_mul_f32_e32 v17, v9, v11
	v_fma_f32 v34, v11, v9, -v17
	v_fmac_f32_e32 v34, v11, v7
	v_add_f32_e32 v35, v17, v34
	v_sub_f32_e32 v36, v12, v35
	v_sub_f32_e32 v12, v12, v36
	;; [unrolled: 1-line block ×4, first 2 shown]
	v_add_f32_e32 v10, v10, v12
	v_sub_f32_e32 v12, v17, v34
	v_add_f32_e32 v10, v12, v10
	v_add_f32_e32 v12, v36, v10
	v_mul_f32_e32 v17, v21, v12
	v_mul_f32_e32 v34, v9, v17
	v_fma_f32 v9, v17, v9, -v34
	v_fmac_f32_e32 v9, v17, v7
	v_sub_f32_e32 v7, v36, v12
	v_add_f32_e32 v7, v10, v7
	v_add_f32_e32 v10, v34, v9
	v_sub_f32_e32 v35, v12, v10
	v_sub_f32_e32 v12, v12, v35
	;; [unrolled: 1-line block ×4, first 2 shown]
	v_add_f32_e32 v7, v7, v10
	v_sub_f32_e32 v9, v34, v9
	v_add_f32_e32 v7, v9, v7
	v_add_f32_e32 v9, v11, v17
	;; [unrolled: 1-line block ×3, first 2 shown]
	v_sub_f32_e32 v10, v9, v11
	v_mul_f32_e32 v7, v21, v7
	v_sub_f32_e32 v10, v17, v10
	v_add_f32_e32 v7, v10, v7
	v_cvt_f32_i32_e32 v6, v6
	v_add_f32_e32 v10, v9, v7
	v_mul_f32_e32 v11, v10, v10
	v_mov_b32_e32 v12, 0x3ecc95a3
	v_fmac_f32_e32 v12, 0x3e9b6dac, v11
	v_mov_b32_e32 v17, 0x3f2aaada
	v_fmac_f32_e32 v17, v11, v12
	v_mul_f32_e32 v12, 0x3f317218, v6
	v_fma_f32 v21, v6, s3, -v12
	v_fmac_f32_e32 v21, 0xb102e308, v6
	v_sub_f32_e32 v6, v10, v9
	v_sub_f32_e32 v6, v7, v6
	v_add_f32_e32 v7, v12, v21
	v_sub_f32_e32 v9, v7, v12
	v_ldexp_f32 v12, v10, 1
	v_mul_f32_e32 v10, v10, v11
	v_mul_f32_e32 v10, v10, v17
	v_add_f32_e32 v11, v12, v10
	v_sub_f32_e32 v12, v11, v12
	v_ldexp_f32 v6, v6, 1
	v_sub_f32_e32 v10, v10, v12
	v_add_f32_e32 v6, v6, v10
	v_add_f32_e32 v10, v11, v6
	v_sub_f32_e32 v11, v10, v11
	v_sub_f32_e32 v6, v6, v11
	v_add_f32_e32 v11, v7, v10
	v_sub_f32_e32 v12, v11, v7
	v_sub_f32_e32 v17, v11, v12
	;; [unrolled: 1-line block ×5, first 2 shown]
	v_add_f32_e32 v7, v10, v7
	v_add_f32_e32 v10, v9, v6
	v_sub_f32_e32 v12, v10, v9
	v_sub_f32_e32 v17, v10, v12
	;; [unrolled: 1-line block ×4, first 2 shown]
	v_add_f32_e32 v7, v10, v7
	v_add_f32_e32 v6, v6, v9
	;; [unrolled: 1-line block ×3, first 2 shown]
	v_sub_f32_e32 v10, v9, v11
	v_sub_f32_e32 v7, v7, v10
	v_add_f32_e32 v6, v6, v7
	v_add_f32_e32 v6, v9, v6
	v_cmp_neq_f32_e32 vcc, s2, v4
	s_mov_b32 s2, 0x33800000
	v_cndmask_b32_e32 v6, v8, v6, vcc
	v_cmp_lt_f32_e64 vcc, |v4|, s2
	v_cndmask_b32_e32 v4, v6, v4, vcc
	v_add_f32_e32 v4, v5, v4
	v_cvt_f16_f32_e32 v4, v4
	v_cvt_f32_f16_e32 v17, v4
	v_mov_b32_e32 v34, v4
.LBB355_392:
	s_or_b64 exec, exec, s[0:1]
	v_max_f32_e32 v5, v28, v28
	v_max_f32_e32 v7, v17, v17
	v_min_f32_e32 v6, v7, v5
	v_cmp_u_f16_e32 vcc, v4, v4
	v_max_f32_e32 v5, v7, v5
	v_cndmask_b32_e32 v6, v6, v17, vcc
	v_cndmask_b32_e32 v5, v5, v17, vcc
	v_cndmask_b32_e64 v6, v6, v28, s[34:35]
	v_cndmask_b32_e64 v5, v5, v28, s[34:35]
	s_movk_i32 s2, 0x1f8
	v_cmp_neq_f32_e32 vcc, v6, v5
	v_cmp_class_f32_e64 s[0:1], v6, s2
	s_or_b64 s[4:5], vcc, s[0:1]
	v_mov_b32_e32 v28, v34
	s_and_saveexec_b64 s[0:1], s[4:5]
	s_cbranch_execz .LBB355_394
; %bb.393:
	v_sub_f32_e32 v4, v6, v5
	s_mov_b32 s3, 0x3fb8aa3b
	v_mul_f32_e32 v6, 0x3fb8aa3b, v4
	v_fma_f32 v7, v4, s3, -v6
	v_rndne_f32_e32 v8, v6
	v_fmac_f32_e32 v7, 0x32a5705f, v4
	v_sub_f32_e32 v6, v6, v8
	v_add_f32_e32 v6, v6, v7
	v_exp_f32_e32 v6, v6
	v_cvt_i32_f32_e32 v7, v8
	s_mov_b32 s3, 0xc2ce8ed0
	v_cmp_ngt_f32_e32 vcc, s3, v4
	s_mov_b32 s3, 0x42b17218
	v_ldexp_f32 v6, v6, v7
	v_cndmask_b32_e32 v6, 0, v6, vcc
	v_mov_b32_e32 v8, 0x7f800000
	v_cmp_nlt_f32_e32 vcc, s3, v4
	v_cndmask_b32_e32 v4, v8, v6, vcc
	v_add_f32_e32 v9, 1.0, v4
	v_cvt_f64_f32_e32 v[6:7], v9
	v_add_f32_e32 v10, -1.0, v9
	v_sub_f32_e32 v11, v10, v9
	v_sub_f32_e32 v10, v4, v10
	v_frexp_exp_i32_f64_e32 v6, v[6:7]
	v_add_f32_e32 v7, 1.0, v11
	v_add_f32_e32 v7, v10, v7
	v_frexp_mant_f32_e32 v10, v9
	s_mov_b32 s4, 0x3f2aaaab
	v_cmp_gt_f32_e32 vcc, s4, v10
	s_mov_b32 s4, 0x3f317218
	s_mov_b32 s3, 0x7f800000
	v_subbrev_co_u32_e32 v6, vcc, 0, v6, vcc
	v_sub_u32_e32 v10, 0, v6
	v_ldexp_f32 v9, v9, v10
	v_ldexp_f32 v7, v7, v10
	v_add_f32_e32 v10, -1.0, v9
	v_add_f32_e32 v17, 1.0, v9
	v_add_f32_e32 v11, 1.0, v10
	v_add_f32_e32 v21, -1.0, v17
	v_sub_f32_e32 v11, v9, v11
	v_sub_f32_e32 v9, v9, v21
	v_add_f32_e32 v11, v7, v11
	v_add_f32_e32 v7, v7, v9
	;; [unrolled: 1-line block ×3, first 2 shown]
	v_rcp_f32_e32 v21, v9
	v_add_f32_e32 v12, v10, v11
	v_sub_f32_e32 v10, v10, v12
	v_add_f32_e32 v10, v11, v10
	v_sub_f32_e32 v11, v17, v9
	v_add_f32_e32 v7, v7, v11
	v_mul_f32_e32 v11, v12, v21
	v_mul_f32_e32 v17, v9, v11
	v_fma_f32 v28, v11, v9, -v17
	v_fmac_f32_e32 v28, v11, v7
	v_add_f32_e32 v35, v17, v28
	v_sub_f32_e32 v36, v12, v35
	v_sub_f32_e32 v12, v12, v36
	;; [unrolled: 1-line block ×4, first 2 shown]
	v_add_f32_e32 v10, v10, v12
	v_sub_f32_e32 v12, v17, v28
	v_add_f32_e32 v10, v12, v10
	v_add_f32_e32 v12, v36, v10
	v_mul_f32_e32 v17, v21, v12
	v_mul_f32_e32 v28, v9, v17
	v_fma_f32 v9, v17, v9, -v28
	v_fmac_f32_e32 v9, v17, v7
	v_sub_f32_e32 v7, v36, v12
	v_add_f32_e32 v7, v10, v7
	v_add_f32_e32 v10, v28, v9
	v_sub_f32_e32 v35, v12, v10
	v_sub_f32_e32 v12, v12, v35
	;; [unrolled: 1-line block ×4, first 2 shown]
	v_add_f32_e32 v7, v7, v10
	v_sub_f32_e32 v9, v28, v9
	v_add_f32_e32 v7, v9, v7
	v_add_f32_e32 v9, v11, v17
	;; [unrolled: 1-line block ×3, first 2 shown]
	v_sub_f32_e32 v10, v9, v11
	v_mul_f32_e32 v7, v21, v7
	v_sub_f32_e32 v10, v17, v10
	v_add_f32_e32 v7, v10, v7
	v_cvt_f32_i32_e32 v6, v6
	v_add_f32_e32 v10, v9, v7
	v_mul_f32_e32 v11, v10, v10
	v_mov_b32_e32 v12, 0x3ecc95a3
	v_fmac_f32_e32 v12, 0x3e9b6dac, v11
	v_mov_b32_e32 v17, 0x3f2aaada
	v_fmac_f32_e32 v17, v11, v12
	v_mul_f32_e32 v12, 0x3f317218, v6
	v_fma_f32 v21, v6, s4, -v12
	v_fmac_f32_e32 v21, 0xb102e308, v6
	v_sub_f32_e32 v6, v10, v9
	v_sub_f32_e32 v6, v7, v6
	v_add_f32_e32 v7, v12, v21
	v_sub_f32_e32 v9, v7, v12
	v_ldexp_f32 v12, v10, 1
	v_mul_f32_e32 v10, v10, v11
	v_mul_f32_e32 v10, v10, v17
	v_add_f32_e32 v11, v12, v10
	v_sub_f32_e32 v12, v11, v12
	v_ldexp_f32 v6, v6, 1
	v_sub_f32_e32 v10, v10, v12
	v_add_f32_e32 v6, v6, v10
	v_add_f32_e32 v10, v11, v6
	v_sub_f32_e32 v11, v10, v11
	v_sub_f32_e32 v6, v6, v11
	v_add_f32_e32 v11, v7, v10
	v_sub_f32_e32 v12, v11, v7
	v_sub_f32_e32 v17, v11, v12
	;; [unrolled: 1-line block ×5, first 2 shown]
	v_add_f32_e32 v7, v10, v7
	v_add_f32_e32 v10, v9, v6
	v_sub_f32_e32 v12, v10, v9
	v_sub_f32_e32 v17, v10, v12
	;; [unrolled: 1-line block ×4, first 2 shown]
	v_add_f32_e32 v7, v10, v7
	v_add_f32_e32 v6, v6, v9
	v_add_f32_e32 v9, v11, v7
	v_sub_f32_e32 v10, v9, v11
	v_sub_f32_e32 v7, v7, v10
	v_add_f32_e32 v6, v6, v7
	v_add_f32_e32 v6, v9, v6
	v_cmp_neq_f32_e32 vcc, s3, v4
	s_mov_b32 s3, 0x33800000
	v_cndmask_b32_e32 v6, v8, v6, vcc
	v_cmp_lt_f32_e64 vcc, |v4|, s3
	v_cndmask_b32_e32 v4, v6, v4, vcc
	v_add_f32_e32 v4, v5, v4
	v_cvt_f16_f32_e32 v4, v4
	v_cvt_f32_f16_e32 v17, v4
	v_mov_b32_e32 v28, v4
.LBB355_394:
	s_or_b64 exec, exec, s[0:1]
	v_max_f32_e32 v6, v1, v1
	v_max_f32_e32 v7, v17, v17
	v_min_f32_e32 v5, v7, v6
	v_cmp_u_f16_e32 vcc, v4, v4
	v_max_f32_e32 v6, v7, v6
	v_cndmask_b32_e32 v5, v5, v17, vcc
	v_cndmask_b32_e32 v6, v6, v17, vcc
	v_cndmask_b32_e64 v5, v5, v1, s[36:37]
	v_cndmask_b32_e64 v1, v6, v1, s[36:37]
	v_cmp_neq_f32_e32 vcc, v5, v1
	v_cmp_class_f32_e64 s[0:1], v5, s2
	s_or_b64 s[2:3], vcc, s[0:1]
	v_mov_b32_e32 v35, v28
	s_and_saveexec_b64 s[0:1], s[2:3]
	s_cbranch_execz .LBB355_396
; %bb.395:
	v_sub_f32_e32 v4, v5, v1
	s_mov_b32 s2, 0x3fb8aa3b
	v_mul_f32_e32 v5, 0x3fb8aa3b, v4
	v_fma_f32 v6, v4, s2, -v5
	v_rndne_f32_e32 v7, v5
	v_fmac_f32_e32 v6, 0x32a5705f, v4
	v_sub_f32_e32 v5, v5, v7
	v_add_f32_e32 v5, v5, v6
	v_exp_f32_e32 v5, v5
	v_cvt_i32_f32_e32 v6, v7
	s_mov_b32 s2, 0xc2ce8ed0
	v_cmp_ngt_f32_e32 vcc, s2, v4
	s_mov_b32 s2, 0x42b17218
	v_ldexp_f32 v5, v5, v6
	v_cndmask_b32_e32 v5, 0, v5, vcc
	v_mov_b32_e32 v6, 0x7f800000
	v_cmp_nlt_f32_e32 vcc, s2, v4
	v_cndmask_b32_e32 v7, v6, v5, vcc
	v_add_f32_e32 v8, 1.0, v7
	v_cvt_f64_f32_e32 v[4:5], v8
	v_add_f32_e32 v9, -1.0, v8
	v_sub_f32_e32 v10, v9, v8
	v_sub_f32_e32 v9, v7, v9
	v_frexp_exp_i32_f64_e32 v4, v[4:5]
	v_add_f32_e32 v5, 1.0, v10
	v_add_f32_e32 v5, v9, v5
	v_frexp_mant_f32_e32 v9, v8
	s_mov_b32 s3, 0x3f2aaaab
	v_cmp_gt_f32_e32 vcc, s3, v9
	s_mov_b32 s3, 0x3f317218
	s_mov_b32 s2, 0x7f800000
	v_subbrev_co_u32_e32 v4, vcc, 0, v4, vcc
	v_sub_u32_e32 v9, 0, v4
	v_ldexp_f32 v8, v8, v9
	v_ldexp_f32 v5, v5, v9
	v_add_f32_e32 v9, -1.0, v8
	v_add_f32_e32 v12, 1.0, v8
	v_add_f32_e32 v10, 1.0, v9
	v_add_f32_e32 v17, -1.0, v12
	v_sub_f32_e32 v10, v8, v10
	v_sub_f32_e32 v8, v8, v17
	v_add_f32_e32 v10, v5, v10
	v_add_f32_e32 v5, v5, v8
	;; [unrolled: 1-line block ×3, first 2 shown]
	v_rcp_f32_e32 v17, v8
	v_add_f32_e32 v11, v9, v10
	v_sub_f32_e32 v9, v9, v11
	v_add_f32_e32 v9, v10, v9
	v_sub_f32_e32 v10, v12, v8
	v_add_f32_e32 v5, v5, v10
	v_mul_f32_e32 v10, v11, v17
	v_mul_f32_e32 v12, v8, v10
	v_fma_f32 v21, v10, v8, -v12
	v_fmac_f32_e32 v21, v10, v5
	v_add_f32_e32 v35, v12, v21
	v_sub_f32_e32 v36, v11, v35
	v_sub_f32_e32 v11, v11, v36
	;; [unrolled: 1-line block ×4, first 2 shown]
	v_add_f32_e32 v9, v9, v11
	v_sub_f32_e32 v11, v12, v21
	v_add_f32_e32 v9, v11, v9
	v_add_f32_e32 v11, v36, v9
	v_mul_f32_e32 v12, v17, v11
	v_mul_f32_e32 v21, v8, v12
	v_fma_f32 v8, v12, v8, -v21
	v_fmac_f32_e32 v8, v12, v5
	v_sub_f32_e32 v5, v36, v11
	v_add_f32_e32 v5, v9, v5
	v_add_f32_e32 v9, v21, v8
	v_sub_f32_e32 v35, v11, v9
	v_sub_f32_e32 v11, v11, v35
	;; [unrolled: 1-line block ×4, first 2 shown]
	v_add_f32_e32 v5, v5, v9
	v_sub_f32_e32 v8, v21, v8
	v_add_f32_e32 v5, v8, v5
	v_add_f32_e32 v8, v10, v12
	;; [unrolled: 1-line block ×3, first 2 shown]
	v_sub_f32_e32 v9, v8, v10
	v_mul_f32_e32 v5, v17, v5
	v_sub_f32_e32 v9, v12, v9
	v_add_f32_e32 v5, v9, v5
	v_cvt_f32_i32_e32 v4, v4
	v_add_f32_e32 v9, v8, v5
	v_mul_f32_e32 v10, v9, v9
	v_mov_b32_e32 v11, 0x3ecc95a3
	v_fmac_f32_e32 v11, 0x3e9b6dac, v10
	v_mov_b32_e32 v12, 0x3f2aaada
	v_fmac_f32_e32 v12, v10, v11
	v_mul_f32_e32 v11, 0x3f317218, v4
	v_fma_f32 v17, v4, s3, -v11
	v_fmac_f32_e32 v17, 0xb102e308, v4
	v_sub_f32_e32 v4, v9, v8
	v_sub_f32_e32 v4, v5, v4
	v_add_f32_e32 v5, v11, v17
	v_sub_f32_e32 v8, v5, v11
	v_ldexp_f32 v11, v9, 1
	v_mul_f32_e32 v9, v9, v10
	v_mul_f32_e32 v9, v9, v12
	v_add_f32_e32 v10, v11, v9
	v_sub_f32_e32 v11, v10, v11
	v_ldexp_f32 v4, v4, 1
	v_sub_f32_e32 v9, v9, v11
	v_add_f32_e32 v4, v4, v9
	v_add_f32_e32 v9, v10, v4
	v_sub_f32_e32 v10, v9, v10
	v_sub_f32_e32 v4, v4, v10
	v_add_f32_e32 v10, v5, v9
	v_sub_f32_e32 v11, v10, v5
	v_sub_f32_e32 v12, v10, v11
	;; [unrolled: 1-line block ×5, first 2 shown]
	v_add_f32_e32 v5, v9, v5
	v_add_f32_e32 v9, v8, v4
	v_sub_f32_e32 v11, v9, v8
	v_sub_f32_e32 v12, v9, v11
	;; [unrolled: 1-line block ×4, first 2 shown]
	v_add_f32_e32 v5, v9, v5
	v_add_f32_e32 v4, v4, v8
	;; [unrolled: 1-line block ×3, first 2 shown]
	v_sub_f32_e32 v9, v8, v10
	v_sub_f32_e32 v5, v5, v9
	v_add_f32_e32 v4, v4, v5
	v_add_f32_e32 v4, v8, v4
	v_cmp_neq_f32_e32 vcc, s2, v7
	s_mov_b32 s2, 0x33800000
	v_cndmask_b32_e32 v4, v6, v4, vcc
	v_cmp_lt_f32_e64 vcc, |v7|, s2
	v_cndmask_b32_e32 v4, v4, v7, vcc
	v_add_f32_e32 v1, v1, v4
	v_cvt_f16_f32_e32 v4, v1
	v_cvt_f32_f16_e32 v17, v4
	v_mov_b32_e32 v35, v4
.LBB355_396:
	s_or_b64 exec, exec, s[0:1]
	v_max_f32_e32 v1, v29, v29
	v_max_f32_e32 v6, v17, v17
	v_min_f32_e32 v5, v6, v1
	v_cmp_u_f16_e32 vcc, v4, v4
	v_max_f32_e32 v1, v6, v1
	v_cndmask_b32_e32 v5, v5, v17, vcc
	v_cndmask_b32_e32 v1, v1, v17, vcc
	v_cndmask_b32_e64 v5, v5, v29, s[38:39]
	v_cndmask_b32_e64 v1, v1, v29, s[38:39]
	s_movk_i32 s2, 0x1f8
	v_cmp_neq_f32_e32 vcc, v5, v1
	v_cmp_class_f32_e64 s[0:1], v5, s2
	s_or_b64 s[4:5], vcc, s[0:1]
	v_mov_b32_e32 v29, v35
	s_and_saveexec_b64 s[0:1], s[4:5]
	s_cbranch_execz .LBB355_398
; %bb.397:
	v_sub_f32_e32 v4, v5, v1
	s_mov_b32 s3, 0x3fb8aa3b
	v_mul_f32_e32 v5, 0x3fb8aa3b, v4
	v_fma_f32 v6, v4, s3, -v5
	v_rndne_f32_e32 v7, v5
	v_fmac_f32_e32 v6, 0x32a5705f, v4
	v_sub_f32_e32 v5, v5, v7
	v_add_f32_e32 v5, v5, v6
	v_exp_f32_e32 v5, v5
	v_cvt_i32_f32_e32 v6, v7
	s_mov_b32 s3, 0xc2ce8ed0
	v_cmp_ngt_f32_e32 vcc, s3, v4
	s_mov_b32 s3, 0x42b17218
	v_ldexp_f32 v5, v5, v6
	v_cndmask_b32_e32 v5, 0, v5, vcc
	v_mov_b32_e32 v6, 0x7f800000
	v_cmp_nlt_f32_e32 vcc, s3, v4
	v_cndmask_b32_e32 v7, v6, v5, vcc
	v_add_f32_e32 v8, 1.0, v7
	v_cvt_f64_f32_e32 v[4:5], v8
	v_add_f32_e32 v9, -1.0, v8
	v_sub_f32_e32 v10, v9, v8
	v_sub_f32_e32 v9, v7, v9
	v_frexp_exp_i32_f64_e32 v4, v[4:5]
	v_add_f32_e32 v5, 1.0, v10
	v_add_f32_e32 v5, v9, v5
	v_frexp_mant_f32_e32 v9, v8
	s_mov_b32 s4, 0x3f2aaaab
	v_cmp_gt_f32_e32 vcc, s4, v9
	s_mov_b32 s4, 0x3f317218
	s_mov_b32 s3, 0x7f800000
	v_subbrev_co_u32_e32 v4, vcc, 0, v4, vcc
	v_sub_u32_e32 v9, 0, v4
	v_ldexp_f32 v8, v8, v9
	v_ldexp_f32 v5, v5, v9
	v_add_f32_e32 v9, -1.0, v8
	v_add_f32_e32 v12, 1.0, v8
	v_add_f32_e32 v10, 1.0, v9
	v_add_f32_e32 v17, -1.0, v12
	v_sub_f32_e32 v10, v8, v10
	v_sub_f32_e32 v8, v8, v17
	v_add_f32_e32 v10, v5, v10
	v_add_f32_e32 v5, v5, v8
	;; [unrolled: 1-line block ×3, first 2 shown]
	v_rcp_f32_e32 v17, v8
	v_add_f32_e32 v11, v9, v10
	v_sub_f32_e32 v9, v9, v11
	v_add_f32_e32 v9, v10, v9
	v_sub_f32_e32 v10, v12, v8
	v_add_f32_e32 v5, v5, v10
	v_mul_f32_e32 v10, v11, v17
	v_mul_f32_e32 v12, v8, v10
	v_fma_f32 v21, v10, v8, -v12
	v_fmac_f32_e32 v21, v10, v5
	v_add_f32_e32 v29, v12, v21
	v_sub_f32_e32 v36, v11, v29
	v_sub_f32_e32 v11, v11, v36
	;; [unrolled: 1-line block ×4, first 2 shown]
	v_add_f32_e32 v9, v9, v11
	v_sub_f32_e32 v11, v12, v21
	v_add_f32_e32 v9, v11, v9
	v_add_f32_e32 v11, v36, v9
	v_mul_f32_e32 v12, v17, v11
	v_mul_f32_e32 v21, v8, v12
	v_fma_f32 v8, v12, v8, -v21
	v_fmac_f32_e32 v8, v12, v5
	v_sub_f32_e32 v5, v36, v11
	v_add_f32_e32 v5, v9, v5
	v_add_f32_e32 v9, v21, v8
	v_sub_f32_e32 v29, v11, v9
	v_sub_f32_e32 v11, v11, v29
	;; [unrolled: 1-line block ×4, first 2 shown]
	v_add_f32_e32 v5, v5, v9
	v_sub_f32_e32 v8, v21, v8
	v_add_f32_e32 v5, v8, v5
	v_add_f32_e32 v8, v10, v12
	;; [unrolled: 1-line block ×3, first 2 shown]
	v_sub_f32_e32 v9, v8, v10
	v_mul_f32_e32 v5, v17, v5
	v_sub_f32_e32 v9, v12, v9
	v_add_f32_e32 v5, v9, v5
	v_cvt_f32_i32_e32 v4, v4
	v_add_f32_e32 v9, v8, v5
	v_mul_f32_e32 v10, v9, v9
	v_mov_b32_e32 v11, 0x3ecc95a3
	v_fmac_f32_e32 v11, 0x3e9b6dac, v10
	v_mov_b32_e32 v12, 0x3f2aaada
	v_fmac_f32_e32 v12, v10, v11
	v_mul_f32_e32 v11, 0x3f317218, v4
	v_fma_f32 v17, v4, s4, -v11
	v_fmac_f32_e32 v17, 0xb102e308, v4
	v_sub_f32_e32 v4, v9, v8
	v_sub_f32_e32 v4, v5, v4
	v_add_f32_e32 v5, v11, v17
	v_sub_f32_e32 v8, v5, v11
	v_ldexp_f32 v11, v9, 1
	v_mul_f32_e32 v9, v9, v10
	v_mul_f32_e32 v9, v9, v12
	v_add_f32_e32 v10, v11, v9
	v_sub_f32_e32 v11, v10, v11
	v_ldexp_f32 v4, v4, 1
	v_sub_f32_e32 v9, v9, v11
	v_add_f32_e32 v4, v4, v9
	v_add_f32_e32 v9, v10, v4
	v_sub_f32_e32 v10, v9, v10
	v_sub_f32_e32 v4, v4, v10
	v_add_f32_e32 v10, v5, v9
	v_sub_f32_e32 v11, v10, v5
	v_sub_f32_e32 v12, v10, v11
	;; [unrolled: 1-line block ×5, first 2 shown]
	v_add_f32_e32 v5, v9, v5
	v_add_f32_e32 v9, v8, v4
	v_sub_f32_e32 v11, v9, v8
	v_sub_f32_e32 v12, v9, v11
	;; [unrolled: 1-line block ×4, first 2 shown]
	v_add_f32_e32 v5, v9, v5
	v_add_f32_e32 v4, v4, v8
	;; [unrolled: 1-line block ×3, first 2 shown]
	v_sub_f32_e32 v9, v8, v10
	v_sub_f32_e32 v5, v5, v9
	v_add_f32_e32 v4, v4, v5
	v_add_f32_e32 v4, v8, v4
	v_cmp_neq_f32_e32 vcc, s3, v7
	s_mov_b32 s3, 0x33800000
	v_cndmask_b32_e32 v4, v6, v4, vcc
	v_cmp_lt_f32_e64 vcc, |v7|, s3
	v_cndmask_b32_e32 v4, v4, v7, vcc
	v_add_f32_e32 v1, v1, v4
	v_cvt_f16_f32_e32 v4, v1
	v_cvt_f32_f16_e32 v17, v4
	v_mov_b32_e32 v29, v4
.LBB355_398:
	s_or_b64 exec, exec, s[0:1]
	v_max_f32_e32 v1, v2, v2
	v_max_f32_e32 v6, v17, v17
	v_min_f32_e32 v5, v6, v1
	v_cmp_u_f16_e32 vcc, v4, v4
	v_max_f32_e32 v1, v6, v1
	v_cndmask_b32_e32 v5, v5, v17, vcc
	v_cndmask_b32_e32 v1, v1, v17, vcc
	v_cndmask_b32_e64 v5, v5, v2, s[40:41]
	v_cndmask_b32_e64 v1, v1, v2, s[40:41]
	v_cmp_neq_f32_e32 vcc, v5, v1
	v_cmp_class_f32_e64 s[0:1], v5, s2
	s_or_b64 s[2:3], vcc, s[0:1]
	v_mov_b32_e32 v36, v29
	s_and_saveexec_b64 s[0:1], s[2:3]
	s_cbranch_execz .LBB355_400
; %bb.399:
	v_sub_f32_e32 v2, v5, v1
	s_mov_b32 s2, 0x3fb8aa3b
	v_mul_f32_e32 v4, 0x3fb8aa3b, v2
	v_fma_f32 v5, v2, s2, -v4
	v_rndne_f32_e32 v6, v4
	v_fmac_f32_e32 v5, 0x32a5705f, v2
	v_sub_f32_e32 v4, v4, v6
	v_add_f32_e32 v4, v4, v5
	v_exp_f32_e32 v4, v4
	v_cvt_i32_f32_e32 v5, v6
	s_mov_b32 s2, 0xc2ce8ed0
	v_cmp_ngt_f32_e32 vcc, s2, v2
	s_mov_b32 s2, 0x42b17218
	v_ldexp_f32 v4, v4, v5
	v_cndmask_b32_e32 v4, 0, v4, vcc
	v_mov_b32_e32 v6, 0x7f800000
	v_cmp_nlt_f32_e32 vcc, s2, v2
	v_cndmask_b32_e32 v2, v6, v4, vcc
	v_add_f32_e32 v7, 1.0, v2
	v_cvt_f64_f32_e32 v[4:5], v7
	v_add_f32_e32 v8, -1.0, v7
	v_sub_f32_e32 v9, v8, v7
	v_sub_f32_e32 v8, v2, v8
	v_frexp_exp_i32_f64_e32 v4, v[4:5]
	v_add_f32_e32 v5, 1.0, v9
	v_add_f32_e32 v5, v8, v5
	v_frexp_mant_f32_e32 v8, v7
	s_mov_b32 s3, 0x3f2aaaab
	v_cmp_gt_f32_e32 vcc, s3, v8
	s_mov_b32 s3, 0x3f317218
	s_mov_b32 s2, 0x7f800000
	v_subbrev_co_u32_e32 v4, vcc, 0, v4, vcc
	v_sub_u32_e32 v8, 0, v4
	v_ldexp_f32 v7, v7, v8
	v_ldexp_f32 v5, v5, v8
	v_add_f32_e32 v8, -1.0, v7
	v_add_f32_e32 v11, 1.0, v7
	v_add_f32_e32 v9, 1.0, v8
	v_add_f32_e32 v12, -1.0, v11
	v_sub_f32_e32 v9, v7, v9
	v_sub_f32_e32 v7, v7, v12
	v_add_f32_e32 v9, v5, v9
	v_add_f32_e32 v5, v5, v7
	;; [unrolled: 1-line block ×3, first 2 shown]
	v_rcp_f32_e32 v12, v7
	v_add_f32_e32 v10, v8, v9
	v_sub_f32_e32 v8, v8, v10
	v_add_f32_e32 v8, v9, v8
	v_sub_f32_e32 v9, v11, v7
	v_add_f32_e32 v5, v5, v9
	v_mul_f32_e32 v9, v10, v12
	v_mul_f32_e32 v11, v7, v9
	v_fma_f32 v17, v9, v7, -v11
	v_fmac_f32_e32 v17, v9, v5
	v_add_f32_e32 v21, v11, v17
	v_sub_f32_e32 v36, v10, v21
	v_sub_f32_e32 v10, v10, v36
	;; [unrolled: 1-line block ×4, first 2 shown]
	v_add_f32_e32 v8, v8, v10
	v_sub_f32_e32 v10, v11, v17
	v_add_f32_e32 v8, v10, v8
	v_add_f32_e32 v10, v36, v8
	v_mul_f32_e32 v11, v12, v10
	v_mul_f32_e32 v17, v7, v11
	v_fma_f32 v7, v11, v7, -v17
	v_fmac_f32_e32 v7, v11, v5
	v_sub_f32_e32 v5, v36, v10
	v_add_f32_e32 v5, v8, v5
	v_add_f32_e32 v8, v17, v7
	v_sub_f32_e32 v21, v10, v8
	v_sub_f32_e32 v10, v10, v21
	;; [unrolled: 1-line block ×4, first 2 shown]
	v_add_f32_e32 v5, v5, v8
	v_sub_f32_e32 v7, v17, v7
	v_add_f32_e32 v5, v7, v5
	v_add_f32_e32 v7, v9, v11
	;; [unrolled: 1-line block ×3, first 2 shown]
	v_sub_f32_e32 v8, v7, v9
	v_mul_f32_e32 v5, v12, v5
	v_sub_f32_e32 v8, v11, v8
	v_add_f32_e32 v5, v8, v5
	v_cvt_f32_i32_e32 v4, v4
	v_add_f32_e32 v8, v7, v5
	v_mul_f32_e32 v9, v8, v8
	v_mov_b32_e32 v10, 0x3ecc95a3
	v_fmac_f32_e32 v10, 0x3e9b6dac, v9
	v_mov_b32_e32 v11, 0x3f2aaada
	v_fmac_f32_e32 v11, v9, v10
	v_mul_f32_e32 v10, 0x3f317218, v4
	v_fma_f32 v12, v4, s3, -v10
	v_fmac_f32_e32 v12, 0xb102e308, v4
	v_sub_f32_e32 v4, v8, v7
	v_sub_f32_e32 v4, v5, v4
	v_add_f32_e32 v5, v10, v12
	v_sub_f32_e32 v7, v5, v10
	v_ldexp_f32 v10, v8, 1
	v_mul_f32_e32 v8, v8, v9
	v_mul_f32_e32 v8, v8, v11
	v_add_f32_e32 v9, v10, v8
	v_sub_f32_e32 v10, v9, v10
	v_ldexp_f32 v4, v4, 1
	v_sub_f32_e32 v8, v8, v10
	v_add_f32_e32 v4, v4, v8
	v_add_f32_e32 v8, v9, v4
	v_sub_f32_e32 v9, v8, v9
	v_sub_f32_e32 v4, v4, v9
	v_add_f32_e32 v9, v5, v8
	v_sub_f32_e32 v10, v9, v5
	v_sub_f32_e32 v11, v9, v10
	;; [unrolled: 1-line block ×5, first 2 shown]
	v_add_f32_e32 v5, v8, v5
	v_add_f32_e32 v8, v7, v4
	v_sub_f32_e32 v10, v8, v7
	v_sub_f32_e32 v11, v8, v10
	;; [unrolled: 1-line block ×4, first 2 shown]
	v_add_f32_e32 v5, v8, v5
	v_add_f32_e32 v4, v4, v7
	;; [unrolled: 1-line block ×3, first 2 shown]
	v_sub_f32_e32 v8, v7, v9
	v_sub_f32_e32 v5, v5, v8
	v_add_f32_e32 v4, v4, v5
	v_add_f32_e32 v4, v7, v4
	v_cmp_neq_f32_e32 vcc, s2, v2
	s_mov_b32 s2, 0x33800000
	v_cndmask_b32_e32 v4, v6, v4, vcc
	v_cmp_lt_f32_e64 vcc, |v2|, s2
	v_cndmask_b32_e32 v2, v4, v2, vcc
	v_add_f32_e32 v1, v1, v2
	v_cvt_f16_f32_e32 v4, v1
	v_cvt_f32_f16_e32 v17, v4
	v_mov_b32_e32 v36, v4
.LBB355_400:
	s_or_b64 exec, exec, s[0:1]
	v_max_f32_e32 v1, v30, v30
	v_max_f32_e32 v5, v17, v17
	v_min_f32_e32 v2, v5, v1
	v_cmp_u_f16_e32 vcc, v4, v4
	v_max_f32_e32 v1, v5, v1
	v_cndmask_b32_e32 v2, v2, v17, vcc
	v_cndmask_b32_e32 v1, v1, v17, vcc
	v_cndmask_b32_e64 v2, v2, v30, s[42:43]
	v_cndmask_b32_e64 v1, v1, v30, s[42:43]
	s_movk_i32 s2, 0x1f8
	v_cmp_neq_f32_e32 vcc, v2, v1
	v_cmp_class_f32_e64 s[0:1], v2, s2
	s_or_b64 s[4:5], vcc, s[0:1]
	v_mov_b32_e32 v30, v36
	s_and_saveexec_b64 s[0:1], s[4:5]
	s_cbranch_execz .LBB355_402
; %bb.401:
	v_sub_f32_e32 v2, v2, v1
	s_mov_b32 s3, 0x3fb8aa3b
	v_mul_f32_e32 v4, 0x3fb8aa3b, v2
	v_fma_f32 v5, v2, s3, -v4
	v_rndne_f32_e32 v6, v4
	v_fmac_f32_e32 v5, 0x32a5705f, v2
	v_sub_f32_e32 v4, v4, v6
	v_add_f32_e32 v4, v4, v5
	v_exp_f32_e32 v4, v4
	v_cvt_i32_f32_e32 v5, v6
	s_mov_b32 s3, 0xc2ce8ed0
	v_cmp_ngt_f32_e32 vcc, s3, v2
	s_mov_b32 s3, 0x42b17218
	v_ldexp_f32 v4, v4, v5
	v_cndmask_b32_e32 v4, 0, v4, vcc
	v_mov_b32_e32 v6, 0x7f800000
	v_cmp_nlt_f32_e32 vcc, s3, v2
	v_cndmask_b32_e32 v2, v6, v4, vcc
	v_add_f32_e32 v7, 1.0, v2
	v_cvt_f64_f32_e32 v[4:5], v7
	v_add_f32_e32 v8, -1.0, v7
	v_sub_f32_e32 v9, v8, v7
	v_sub_f32_e32 v8, v2, v8
	v_frexp_exp_i32_f64_e32 v4, v[4:5]
	v_add_f32_e32 v5, 1.0, v9
	v_add_f32_e32 v5, v8, v5
	v_frexp_mant_f32_e32 v8, v7
	s_mov_b32 s4, 0x3f2aaaab
	v_cmp_gt_f32_e32 vcc, s4, v8
	s_mov_b32 s4, 0x3f317218
	s_mov_b32 s3, 0x7f800000
	v_subbrev_co_u32_e32 v4, vcc, 0, v4, vcc
	v_sub_u32_e32 v8, 0, v4
	v_ldexp_f32 v7, v7, v8
	v_ldexp_f32 v5, v5, v8
	v_add_f32_e32 v8, -1.0, v7
	v_add_f32_e32 v11, 1.0, v7
	v_add_f32_e32 v9, 1.0, v8
	v_add_f32_e32 v12, -1.0, v11
	v_sub_f32_e32 v9, v7, v9
	v_sub_f32_e32 v7, v7, v12
	v_add_f32_e32 v9, v5, v9
	v_add_f32_e32 v5, v5, v7
	;; [unrolled: 1-line block ×3, first 2 shown]
	v_rcp_f32_e32 v12, v7
	v_add_f32_e32 v10, v8, v9
	v_sub_f32_e32 v8, v8, v10
	v_add_f32_e32 v8, v9, v8
	v_sub_f32_e32 v9, v11, v7
	v_add_f32_e32 v5, v5, v9
	v_mul_f32_e32 v9, v10, v12
	v_mul_f32_e32 v11, v7, v9
	v_fma_f32 v17, v9, v7, -v11
	v_fmac_f32_e32 v17, v9, v5
	v_add_f32_e32 v21, v11, v17
	v_sub_f32_e32 v30, v10, v21
	v_sub_f32_e32 v10, v10, v30
	;; [unrolled: 1-line block ×4, first 2 shown]
	v_add_f32_e32 v8, v8, v10
	v_sub_f32_e32 v10, v11, v17
	v_add_f32_e32 v8, v10, v8
	v_add_f32_e32 v10, v30, v8
	v_mul_f32_e32 v11, v12, v10
	v_mul_f32_e32 v17, v7, v11
	v_fma_f32 v7, v11, v7, -v17
	v_fmac_f32_e32 v7, v11, v5
	v_sub_f32_e32 v5, v30, v10
	v_add_f32_e32 v5, v8, v5
	v_add_f32_e32 v8, v17, v7
	v_sub_f32_e32 v21, v10, v8
	v_sub_f32_e32 v10, v10, v21
	v_sub_f32_e32 v17, v8, v17
	v_sub_f32_e32 v8, v10, v8
	v_add_f32_e32 v5, v5, v8
	v_sub_f32_e32 v7, v17, v7
	v_add_f32_e32 v5, v7, v5
	v_add_f32_e32 v7, v9, v11
	;; [unrolled: 1-line block ×3, first 2 shown]
	v_sub_f32_e32 v8, v7, v9
	v_mul_f32_e32 v5, v12, v5
	v_sub_f32_e32 v8, v11, v8
	v_add_f32_e32 v5, v8, v5
	v_cvt_f32_i32_e32 v4, v4
	v_add_f32_e32 v8, v7, v5
	v_mul_f32_e32 v9, v8, v8
	v_mov_b32_e32 v10, 0x3ecc95a3
	v_fmac_f32_e32 v10, 0x3e9b6dac, v9
	v_mov_b32_e32 v11, 0x3f2aaada
	v_fmac_f32_e32 v11, v9, v10
	v_mul_f32_e32 v10, 0x3f317218, v4
	v_fma_f32 v12, v4, s4, -v10
	v_fmac_f32_e32 v12, 0xb102e308, v4
	v_sub_f32_e32 v4, v8, v7
	v_sub_f32_e32 v4, v5, v4
	v_add_f32_e32 v5, v10, v12
	v_sub_f32_e32 v7, v5, v10
	v_ldexp_f32 v10, v8, 1
	v_mul_f32_e32 v8, v8, v9
	v_mul_f32_e32 v8, v8, v11
	v_add_f32_e32 v9, v10, v8
	v_sub_f32_e32 v10, v9, v10
	v_ldexp_f32 v4, v4, 1
	v_sub_f32_e32 v8, v8, v10
	v_add_f32_e32 v4, v4, v8
	v_add_f32_e32 v8, v9, v4
	v_sub_f32_e32 v9, v8, v9
	v_sub_f32_e32 v4, v4, v9
	v_add_f32_e32 v9, v5, v8
	v_sub_f32_e32 v10, v9, v5
	v_sub_f32_e32 v11, v9, v10
	;; [unrolled: 1-line block ×5, first 2 shown]
	v_add_f32_e32 v5, v8, v5
	v_add_f32_e32 v8, v7, v4
	v_sub_f32_e32 v10, v8, v7
	v_sub_f32_e32 v11, v8, v10
	;; [unrolled: 1-line block ×4, first 2 shown]
	v_add_f32_e32 v5, v8, v5
	v_add_f32_e32 v4, v4, v7
	;; [unrolled: 1-line block ×3, first 2 shown]
	v_sub_f32_e32 v8, v7, v9
	v_sub_f32_e32 v5, v5, v8
	v_add_f32_e32 v4, v4, v5
	v_add_f32_e32 v4, v7, v4
	v_cmp_neq_f32_e32 vcc, s3, v2
	s_mov_b32 s3, 0x33800000
	v_cndmask_b32_e32 v4, v6, v4, vcc
	v_cmp_lt_f32_e64 vcc, |v2|, s3
	v_cndmask_b32_e32 v2, v4, v2, vcc
	v_add_f32_e32 v1, v1, v2
	v_cvt_f16_f32_e32 v4, v1
	v_cvt_f32_f16_e32 v17, v4
	v_mov_b32_e32 v30, v4
.LBB355_402:
	s_or_b64 exec, exec, s[0:1]
	v_max_f32_e32 v1, v3, v3
	v_max_f32_e32 v5, v17, v17
	v_min_f32_e32 v2, v5, v1
	v_cmp_u_f16_e32 vcc, v4, v4
	v_max_f32_e32 v1, v5, v1
	v_cndmask_b32_e32 v2, v2, v17, vcc
	v_cndmask_b32_e32 v1, v1, v17, vcc
	v_cndmask_b32_e64 v2, v2, v3, s[44:45]
	v_cndmask_b32_e64 v1, v1, v3, s[44:45]
	v_cmp_neq_f32_e32 vcc, v2, v1
	v_cmp_class_f32_e64 s[0:1], v2, s2
	s_or_b64 s[2:3], vcc, s[0:1]
	v_mov_b32_e32 v37, v30
	s_and_saveexec_b64 s[0:1], s[2:3]
	s_cbranch_execz .LBB355_404
; %bb.403:
	v_sub_f32_e32 v2, v2, v1
	s_mov_b32 s2, 0x3fb8aa3b
	v_mul_f32_e32 v3, 0x3fb8aa3b, v2
	v_fma_f32 v4, v2, s2, -v3
	v_rndne_f32_e32 v5, v3
	v_fmac_f32_e32 v4, 0x32a5705f, v2
	v_sub_f32_e32 v3, v3, v5
	v_add_f32_e32 v3, v3, v4
	v_exp_f32_e32 v3, v3
	v_cvt_i32_f32_e32 v4, v5
	s_mov_b32 s2, 0xc2ce8ed0
	v_cmp_ngt_f32_e32 vcc, s2, v2
	s_mov_b32 s2, 0x42b17218
	v_ldexp_f32 v3, v3, v4
	v_cndmask_b32_e32 v3, 0, v3, vcc
	v_mov_b32_e32 v4, 0x7f800000
	v_cmp_nlt_f32_e32 vcc, s2, v2
	v_cndmask_b32_e32 v5, v4, v3, vcc
	v_add_f32_e32 v6, 1.0, v5
	v_cvt_f64_f32_e32 v[2:3], v6
	v_add_f32_e32 v7, -1.0, v6
	v_sub_f32_e32 v8, v7, v6
	v_sub_f32_e32 v7, v5, v7
	v_frexp_exp_i32_f64_e32 v2, v[2:3]
	v_add_f32_e32 v3, 1.0, v8
	v_add_f32_e32 v3, v7, v3
	v_frexp_mant_f32_e32 v7, v6
	s_mov_b32 s3, 0x3f2aaaab
	v_cmp_gt_f32_e32 vcc, s3, v7
	s_mov_b32 s3, 0x3f317218
	s_mov_b32 s2, 0x7f800000
	v_subbrev_co_u32_e32 v2, vcc, 0, v2, vcc
	v_sub_u32_e32 v7, 0, v2
	v_ldexp_f32 v6, v6, v7
	v_ldexp_f32 v3, v3, v7
	v_add_f32_e32 v7, -1.0, v6
	v_add_f32_e32 v10, 1.0, v6
	v_add_f32_e32 v8, 1.0, v7
	v_add_f32_e32 v11, -1.0, v10
	v_sub_f32_e32 v8, v6, v8
	v_sub_f32_e32 v6, v6, v11
	v_add_f32_e32 v8, v3, v8
	v_add_f32_e32 v3, v3, v6
	;; [unrolled: 1-line block ×3, first 2 shown]
	v_rcp_f32_e32 v11, v6
	v_add_f32_e32 v9, v7, v8
	v_sub_f32_e32 v7, v7, v9
	v_add_f32_e32 v7, v8, v7
	v_sub_f32_e32 v8, v10, v6
	v_add_f32_e32 v3, v3, v8
	v_mul_f32_e32 v8, v9, v11
	v_mul_f32_e32 v10, v6, v8
	v_fma_f32 v12, v8, v6, -v10
	v_fmac_f32_e32 v12, v8, v3
	v_add_f32_e32 v17, v10, v12
	v_sub_f32_e32 v21, v9, v17
	v_sub_f32_e32 v9, v9, v21
	;; [unrolled: 1-line block ×4, first 2 shown]
	v_add_f32_e32 v7, v7, v9
	v_sub_f32_e32 v9, v10, v12
	v_add_f32_e32 v7, v9, v7
	v_add_f32_e32 v9, v21, v7
	v_mul_f32_e32 v10, v11, v9
	v_mul_f32_e32 v12, v6, v10
	v_fma_f32 v6, v10, v6, -v12
	v_fmac_f32_e32 v6, v10, v3
	v_sub_f32_e32 v3, v21, v9
	v_add_f32_e32 v3, v7, v3
	v_add_f32_e32 v7, v12, v6
	v_sub_f32_e32 v17, v9, v7
	v_sub_f32_e32 v9, v9, v17
	;; [unrolled: 1-line block ×4, first 2 shown]
	v_add_f32_e32 v3, v3, v7
	v_sub_f32_e32 v6, v12, v6
	v_add_f32_e32 v3, v6, v3
	v_add_f32_e32 v6, v8, v10
	v_add_f32_e32 v3, v17, v3
	v_sub_f32_e32 v7, v6, v8
	v_mul_f32_e32 v3, v11, v3
	v_sub_f32_e32 v7, v10, v7
	v_add_f32_e32 v3, v7, v3
	v_cvt_f32_i32_e32 v2, v2
	v_add_f32_e32 v7, v6, v3
	v_mul_f32_e32 v8, v7, v7
	v_mov_b32_e32 v9, 0x3ecc95a3
	v_fmac_f32_e32 v9, 0x3e9b6dac, v8
	v_mov_b32_e32 v10, 0x3f2aaada
	v_fmac_f32_e32 v10, v8, v9
	v_mul_f32_e32 v9, 0x3f317218, v2
	v_fma_f32 v11, v2, s3, -v9
	v_fmac_f32_e32 v11, 0xb102e308, v2
	v_sub_f32_e32 v2, v7, v6
	v_sub_f32_e32 v2, v3, v2
	v_add_f32_e32 v3, v9, v11
	v_sub_f32_e32 v6, v3, v9
	v_ldexp_f32 v9, v7, 1
	v_mul_f32_e32 v7, v7, v8
	v_mul_f32_e32 v7, v7, v10
	v_add_f32_e32 v8, v9, v7
	v_sub_f32_e32 v9, v8, v9
	v_ldexp_f32 v2, v2, 1
	v_sub_f32_e32 v7, v7, v9
	v_add_f32_e32 v2, v2, v7
	v_add_f32_e32 v7, v8, v2
	v_sub_f32_e32 v8, v7, v8
	v_sub_f32_e32 v2, v2, v8
	v_add_f32_e32 v8, v3, v7
	v_sub_f32_e32 v9, v8, v3
	v_sub_f32_e32 v10, v8, v9
	;; [unrolled: 1-line block ×5, first 2 shown]
	v_add_f32_e32 v3, v7, v3
	v_add_f32_e32 v7, v6, v2
	v_sub_f32_e32 v9, v7, v6
	v_sub_f32_e32 v10, v7, v9
	;; [unrolled: 1-line block ×4, first 2 shown]
	v_add_f32_e32 v3, v7, v3
	v_add_f32_e32 v2, v2, v6
	;; [unrolled: 1-line block ×3, first 2 shown]
	v_sub_f32_e32 v7, v6, v8
	v_sub_f32_e32 v3, v3, v7
	v_add_f32_e32 v2, v2, v3
	v_add_f32_e32 v2, v6, v2
	v_cmp_neq_f32_e32 vcc, s2, v5
	s_mov_b32 s2, 0x33800000
	v_cndmask_b32_e32 v2, v4, v2, vcc
	v_cmp_lt_f32_e64 vcc, |v5|, s2
	v_cndmask_b32_e32 v2, v2, v5, vcc
	v_add_f32_e32 v1, v1, v2
	v_cvt_f16_f32_e32 v4, v1
	v_cvt_f32_f16_e32 v17, v4
	v_mov_b32_e32 v37, v4
.LBB355_404:
	s_or_b64 exec, exec, s[0:1]
	v_max_f32_e32 v1, v31, v31
	v_max_f32_e32 v3, v17, v17
	v_min_f32_e32 v2, v3, v1
	v_cmp_u_f16_e32 vcc, v4, v4
	v_max_f32_e32 v1, v3, v1
	v_cndmask_b32_e32 v2, v2, v17, vcc
	v_cndmask_b32_e32 v1, v1, v17, vcc
	v_cndmask_b32_e64 v2, v2, v31, s[46:47]
	v_cndmask_b32_e64 v1, v1, v31, s[46:47]
	s_movk_i32 s0, 0x1f8
	v_cmp_neq_f32_e32 vcc, v2, v1
	v_cmp_class_f32_e64 s[0:1], v2, s0
	s_or_b64 s[2:3], vcc, s[0:1]
	v_mov_b32_e32 v17, v37
	s_and_saveexec_b64 s[0:1], s[2:3]
	s_cbranch_execz .LBB355_406
; %bb.405:
	v_sub_f32_e32 v2, v2, v1
	s_mov_b32 s2, 0x3fb8aa3b
	v_mul_f32_e32 v3, 0x3fb8aa3b, v2
	v_fma_f32 v4, v2, s2, -v3
	v_rndne_f32_e32 v5, v3
	v_fmac_f32_e32 v4, 0x32a5705f, v2
	v_sub_f32_e32 v3, v3, v5
	v_add_f32_e32 v3, v3, v4
	v_exp_f32_e32 v3, v3
	v_cvt_i32_f32_e32 v4, v5
	s_mov_b32 s2, 0xc2ce8ed0
	v_cmp_ngt_f32_e32 vcc, s2, v2
	s_mov_b32 s2, 0x42b17218
	v_ldexp_f32 v3, v3, v4
	v_cndmask_b32_e32 v3, 0, v3, vcc
	v_mov_b32_e32 v4, 0x7f800000
	v_cmp_nlt_f32_e32 vcc, s2, v2
	v_cndmask_b32_e32 v5, v4, v3, vcc
	v_add_f32_e32 v6, 1.0, v5
	v_cvt_f64_f32_e32 v[2:3], v6
	v_add_f32_e32 v7, -1.0, v6
	v_sub_f32_e32 v8, v7, v6
	v_sub_f32_e32 v7, v5, v7
	v_frexp_exp_i32_f64_e32 v2, v[2:3]
	v_add_f32_e32 v3, 1.0, v8
	v_add_f32_e32 v3, v7, v3
	v_frexp_mant_f32_e32 v7, v6
	s_mov_b32 s3, 0x3f2aaaab
	v_cmp_gt_f32_e32 vcc, s3, v7
	s_mov_b32 s3, 0x3f317218
	s_mov_b32 s2, 0x7f800000
	v_subbrev_co_u32_e32 v2, vcc, 0, v2, vcc
	v_sub_u32_e32 v7, 0, v2
	v_ldexp_f32 v6, v6, v7
	v_ldexp_f32 v3, v3, v7
	v_add_f32_e32 v7, -1.0, v6
	v_add_f32_e32 v10, 1.0, v6
	v_add_f32_e32 v8, 1.0, v7
	v_add_f32_e32 v11, -1.0, v10
	v_sub_f32_e32 v8, v6, v8
	v_sub_f32_e32 v6, v6, v11
	v_add_f32_e32 v8, v3, v8
	v_add_f32_e32 v3, v3, v6
	;; [unrolled: 1-line block ×3, first 2 shown]
	v_rcp_f32_e32 v11, v6
	v_add_f32_e32 v9, v7, v8
	v_sub_f32_e32 v7, v7, v9
	v_add_f32_e32 v7, v8, v7
	v_sub_f32_e32 v8, v10, v6
	v_add_f32_e32 v3, v3, v8
	v_mul_f32_e32 v8, v9, v11
	v_mul_f32_e32 v10, v6, v8
	v_fma_f32 v12, v8, v6, -v10
	v_fmac_f32_e32 v12, v8, v3
	v_add_f32_e32 v17, v10, v12
	v_sub_f32_e32 v21, v9, v17
	v_sub_f32_e32 v9, v9, v21
	;; [unrolled: 1-line block ×4, first 2 shown]
	v_add_f32_e32 v7, v7, v9
	v_sub_f32_e32 v9, v10, v12
	v_add_f32_e32 v7, v9, v7
	v_add_f32_e32 v9, v21, v7
	v_mul_f32_e32 v10, v11, v9
	v_mul_f32_e32 v12, v6, v10
	v_fma_f32 v6, v10, v6, -v12
	v_fmac_f32_e32 v6, v10, v3
	v_sub_f32_e32 v3, v21, v9
	v_add_f32_e32 v3, v7, v3
	v_add_f32_e32 v7, v12, v6
	v_sub_f32_e32 v17, v9, v7
	v_sub_f32_e32 v9, v9, v17
	;; [unrolled: 1-line block ×4, first 2 shown]
	v_add_f32_e32 v3, v3, v7
	v_sub_f32_e32 v6, v12, v6
	v_add_f32_e32 v3, v6, v3
	v_add_f32_e32 v6, v8, v10
	;; [unrolled: 1-line block ×3, first 2 shown]
	v_sub_f32_e32 v7, v6, v8
	v_mul_f32_e32 v3, v11, v3
	v_sub_f32_e32 v7, v10, v7
	v_add_f32_e32 v3, v7, v3
	v_cvt_f32_i32_e32 v2, v2
	v_add_f32_e32 v7, v6, v3
	v_mul_f32_e32 v8, v7, v7
	v_mov_b32_e32 v9, 0x3ecc95a3
	v_fmac_f32_e32 v9, 0x3e9b6dac, v8
	v_mov_b32_e32 v10, 0x3f2aaada
	v_fmac_f32_e32 v10, v8, v9
	v_mul_f32_e32 v9, 0x3f317218, v2
	v_fma_f32 v11, v2, s3, -v9
	v_fmac_f32_e32 v11, 0xb102e308, v2
	v_sub_f32_e32 v2, v7, v6
	v_sub_f32_e32 v2, v3, v2
	v_add_f32_e32 v3, v9, v11
	v_sub_f32_e32 v6, v3, v9
	v_ldexp_f32 v9, v7, 1
	v_mul_f32_e32 v7, v7, v8
	v_mul_f32_e32 v7, v7, v10
	v_add_f32_e32 v8, v9, v7
	v_sub_f32_e32 v9, v8, v9
	v_ldexp_f32 v2, v2, 1
	v_sub_f32_e32 v7, v7, v9
	v_add_f32_e32 v2, v2, v7
	v_add_f32_e32 v7, v8, v2
	v_sub_f32_e32 v8, v7, v8
	v_sub_f32_e32 v2, v2, v8
	v_add_f32_e32 v8, v3, v7
	v_sub_f32_e32 v9, v8, v3
	v_sub_f32_e32 v10, v8, v9
	;; [unrolled: 1-line block ×5, first 2 shown]
	v_add_f32_e32 v3, v7, v3
	v_add_f32_e32 v7, v6, v2
	v_sub_f32_e32 v9, v7, v6
	v_sub_f32_e32 v10, v7, v9
	v_sub_f32_e32 v6, v6, v10
	v_sub_f32_e32 v2, v2, v9
	v_add_f32_e32 v3, v7, v3
	v_add_f32_e32 v2, v2, v6
	;; [unrolled: 1-line block ×3, first 2 shown]
	v_sub_f32_e32 v7, v6, v8
	v_sub_f32_e32 v3, v3, v7
	v_add_f32_e32 v2, v2, v3
	v_add_f32_e32 v2, v6, v2
	v_cmp_neq_f32_e32 vcc, s2, v5
	s_mov_b32 s2, 0x33800000
	v_cndmask_b32_e32 v2, v4, v2, vcc
	v_cmp_lt_f32_e64 vcc, |v5|, s2
	v_cndmask_b32_e32 v2, v2, v5, vcc
	v_add_f32_e32 v1, v1, v2
	v_cvt_f16_f32_e32 v17, v1
.LBB355_406:
	s_or_b64 exec, exec, s[0:1]
	s_movk_i32 s0, 0xff
	v_cmp_eq_u32_e32 vcc, s0, v0
	s_and_saveexec_b64 s[0:1], vcc
	s_cbranch_execz .LBB355_408
; %bb.407:
	s_mov_b32 s2, 0x20000
	v_mov_b32_e32 v1, 0
	v_or_b32_sdwa v2, v17, s2 dst_sel:DWORD dst_unused:UNUSED_PAD src0_sel:WORD_0 src1_sel:DWORD
	global_store_dword v1, v2, s[72:73] offset:256
.LBB355_408:
	s_or_b64 exec, exec, s[0:1]
.LBB355_409:
	s_add_u32 s0, s64, s68
	s_addc_u32 s1, s65, s69
	s_add_u32 s0, s0, s70
	s_addc_u32 s1, s1, s71
	s_mov_b64 s[2:3], -1
	s_and_b64 vcc, exec, s[66:67]
	s_waitcnt vmcnt(0) lgkmcnt(0)
	s_barrier
	s_cbranch_vccz .LBB355_411
; %bb.410:
	s_mov_b32 s2, 0x5040100
	v_perm_b32 v4, v23, v44, s2
	v_perm_b32 v3, v22, v18, s2
	;; [unrolled: 1-line block ×4, first 2 shown]
	ds_write_b128 v20, v[1:4]
	v_perm_b32 v4, v27, v33, s2
	v_perm_b32 v3, v26, v32, s2
	v_perm_b32 v2, v25, v46, s2
	v_perm_b32 v1, v24, v45, s2
	ds_write_b128 v20, v[1:4] offset:16
	v_perm_b32 v4, v17, v37, s2
	v_perm_b32 v3, v30, v36, s2
	v_perm_b32 v2, v29, v35, s2
	v_perm_b32 v1, v28, v34, s2
	v_mov_b32_e32 v51, s1
	v_add_co_u32_e32 v52, vcc, s0, v19
	ds_write_b128 v20, v[1:4] offset:32
	s_waitcnt lgkmcnt(0)
	s_barrier
	ds_read_u16 v1, v19
	ds_read_u16 v2, v19 offset:512
	ds_read_u16 v3, v19 offset:1024
	;; [unrolled: 1-line block ×23, first 2 shown]
	v_addc_co_u32_e32 v51, vcc, 0, v51, vcc
	s_movk_i32 s2, 0x1000
	s_waitcnt lgkmcnt(14)
	global_store_short v19, v1, s[0:1]
	global_store_short v19, v2, s[0:1] offset:512
	global_store_short v19, v3, s[0:1] offset:1024
	;; [unrolled: 1-line block ×7, first 2 shown]
	v_add_co_u32_e32 v1, vcc, s2, v52
	v_addc_co_u32_e32 v2, vcc, 0, v51, vcc
	global_store_short v[1:2], v9, off
	global_store_short v[1:2], v10, off offset:512
	s_waitcnt lgkmcnt(13)
	global_store_short v[1:2], v11, off offset:1024
	s_waitcnt lgkmcnt(12)
	;; [unrolled: 2-line block ×6, first 2 shown]
	global_store_short v[1:2], v39, off offset:3584
	v_add_co_u32_e32 v1, vcc, 0x2000, v52
	v_addc_co_u32_e32 v2, vcc, 0, v51, vcc
	s_waitcnt lgkmcnt(7)
	global_store_short v[1:2], v40, off
	s_waitcnt lgkmcnt(6)
	global_store_short v[1:2], v41, off offset:512
	s_waitcnt lgkmcnt(5)
	global_store_short v[1:2], v42, off offset:1024
	;; [unrolled: 2-line block ×7, first 2 shown]
	s_mov_b64 s[2:3], 0
.LBB355_411:
	s_andn2_b64 vcc, exec, s[2:3]
	s_cbranch_vccnz .LBB355_468
; %bb.412:
	s_mov_b32 s2, 0x5040100
	v_perm_b32 v4, v23, v44, s2
	v_perm_b32 v3, v22, v18, s2
	;; [unrolled: 1-line block ×4, first 2 shown]
	ds_write_b128 v20, v[1:4]
	v_perm_b32 v4, v27, v33, s2
	v_perm_b32 v3, v26, v32, s2
	;; [unrolled: 1-line block ×4, first 2 shown]
	ds_write_b128 v20, v[1:4] offset:16
	v_perm_b32 v4, v17, v37, s2
	v_perm_b32 v3, v30, v36, s2
	v_perm_b32 v2, v29, v35, s2
	v_perm_b32 v1, v28, v34, s2
	ds_write_b128 v20, v[1:4] offset:32
	s_waitcnt vmcnt(0) lgkmcnt(0)
	s_barrier
	ds_read_u16 v5, v19
	ds_read_u16 v4, v19 offset:512
	ds_read_u16 v7, v19 offset:1024
	ds_read_u16 v8, v19 offset:1536
	ds_read_u16 v6, v19 offset:2048
	ds_read_u16 v9, v19 offset:2560
	ds_read_u16 v13, v19 offset:3072
	ds_read_u16 v14, v19 offset:3584
	ds_read_u16 v18, v19 offset:4096
	ds_read_u16 v23, v19 offset:4608
	ds_read_u16 v22, v19 offset:5120
	ds_read_u16 v20, v19 offset:5632
	ds_read_u16 v21, v19 offset:6144
	ds_read_u16 v16, v19 offset:6656
	ds_read_u16 v15, v19 offset:7168
	ds_read_u16 v17, v19 offset:7680
	ds_read_u16 v24, v19 offset:8192
	ds_read_u16 v26, v19 offset:8704
	ds_read_u16 v27, v19 offset:9216
	ds_read_u16 v25, v19 offset:9728
	ds_read_u16 v10, v19 offset:10240
	ds_read_u16 v11, v19 offset:10752
	ds_read_u16 v12, v19 offset:11264
	ds_read_u16 v28, v19 offset:11776
	v_mov_b32_e32 v3, s1
	v_add_co_u32_e32 v2, vcc, s0, v19
	v_addc_co_u32_e32 v3, vcc, 0, v3, vcc
	v_mov_b32_e32 v1, 0
	v_cmp_gt_u32_e32 vcc, s33, v0
	s_and_saveexec_b64 s[0:1], vcc
	s_cbranch_execz .LBB355_414
; %bb.413:
	s_waitcnt lgkmcnt(14)
	global_store_short v[2:3], v5, off
.LBB355_414:
	s_or_b64 exec, exec, s[0:1]
	v_or_b32_e32 v19, 0x100, v0
	v_cmp_gt_u32_e32 vcc, s33, v19
	s_and_saveexec_b64 s[0:1], vcc
	s_cbranch_execz .LBB355_416
; %bb.415:
	s_waitcnt lgkmcnt(14)
	global_store_short v[2:3], v4, off offset:512
.LBB355_416:
	s_or_b64 exec, exec, s[0:1]
	v_or_b32_e32 v19, 0x200, v0
	v_cmp_gt_u32_e32 vcc, s33, v19
	s_and_saveexec_b64 s[0:1], vcc
	s_cbranch_execz .LBB355_418
; %bb.417:
	s_waitcnt lgkmcnt(14)
	global_store_short v[2:3], v7, off offset:1024
.LBB355_418:
	;; [unrolled: 9-line block ×7, first 2 shown]
	s_or_b64 exec, exec, s[0:1]
	v_or_b32_e32 v19, 0x800, v0
	v_cmp_gt_u32_e32 vcc, s33, v19
	s_and_saveexec_b64 s[0:1], vcc
	s_cbranch_execz .LBB355_430
; %bb.429:
	v_add_co_u32_e32 v29, vcc, 0x1000, v2
	v_addc_co_u32_e32 v30, vcc, 0, v3, vcc
	s_waitcnt lgkmcnt(14)
	global_store_short v[29:30], v18, off
.LBB355_430:
	s_or_b64 exec, exec, s[0:1]
	v_or_b32_e32 v19, 0x900, v0
	v_cmp_gt_u32_e32 vcc, s33, v19
	s_and_saveexec_b64 s[0:1], vcc
	s_cbranch_execz .LBB355_432
; %bb.431:
	v_add_co_u32_e32 v29, vcc, 0x1000, v2
	v_addc_co_u32_e32 v30, vcc, 0, v3, vcc
	s_waitcnt lgkmcnt(14)
	global_store_short v[29:30], v23, off offset:512
.LBB355_432:
	s_or_b64 exec, exec, s[0:1]
	v_or_b32_e32 v19, 0xa00, v0
	v_cmp_gt_u32_e32 vcc, s33, v19
	s_and_saveexec_b64 s[0:1], vcc
	s_cbranch_execz .LBB355_434
; %bb.433:
	v_add_co_u32_e32 v29, vcc, 0x1000, v2
	v_addc_co_u32_e32 v30, vcc, 0, v3, vcc
	s_waitcnt lgkmcnt(13)
	global_store_short v[29:30], v22, off offset:1024
.LBB355_434:
	s_or_b64 exec, exec, s[0:1]
	v_or_b32_e32 v19, 0xb00, v0
	v_cmp_gt_u32_e32 vcc, s33, v19
	s_and_saveexec_b64 s[0:1], vcc
	s_cbranch_execz .LBB355_436
; %bb.435:
	v_add_co_u32_e32 v29, vcc, 0x1000, v2
	v_addc_co_u32_e32 v30, vcc, 0, v3, vcc
	s_waitcnt lgkmcnt(12)
	global_store_short v[29:30], v20, off offset:1536
.LBB355_436:
	s_or_b64 exec, exec, s[0:1]
	v_or_b32_e32 v19, 0xc00, v0
	v_cmp_gt_u32_e32 vcc, s33, v19
	s_and_saveexec_b64 s[0:1], vcc
	s_cbranch_execz .LBB355_438
; %bb.437:
	v_add_co_u32_e32 v29, vcc, 0x1000, v2
	v_addc_co_u32_e32 v30, vcc, 0, v3, vcc
	s_waitcnt lgkmcnt(11)
	global_store_short v[29:30], v21, off offset:2048
.LBB355_438:
	s_or_b64 exec, exec, s[0:1]
	v_or_b32_e32 v19, 0xd00, v0
	v_cmp_gt_u32_e32 vcc, s33, v19
	s_and_saveexec_b64 s[0:1], vcc
	s_cbranch_execz .LBB355_440
; %bb.439:
	v_add_co_u32_e32 v29, vcc, 0x1000, v2
	v_addc_co_u32_e32 v30, vcc, 0, v3, vcc
	s_waitcnt lgkmcnt(10)
	global_store_short v[29:30], v16, off offset:2560
.LBB355_440:
	s_or_b64 exec, exec, s[0:1]
	v_or_b32_e32 v19, 0xe00, v0
	v_cmp_gt_u32_e32 vcc, s33, v19
	s_and_saveexec_b64 s[0:1], vcc
	s_cbranch_execz .LBB355_442
; %bb.441:
	v_add_co_u32_e32 v29, vcc, 0x1000, v2
	v_addc_co_u32_e32 v30, vcc, 0, v3, vcc
	s_waitcnt lgkmcnt(9)
	global_store_short v[29:30], v15, off offset:3072
.LBB355_442:
	s_or_b64 exec, exec, s[0:1]
	v_or_b32_e32 v19, 0xf00, v0
	v_cmp_gt_u32_e32 vcc, s33, v19
	s_and_saveexec_b64 s[0:1], vcc
	s_cbranch_execz .LBB355_444
; %bb.443:
	v_add_co_u32_e32 v29, vcc, 0x1000, v2
	v_addc_co_u32_e32 v30, vcc, 0, v3, vcc
	s_waitcnt lgkmcnt(8)
	global_store_short v[29:30], v17, off offset:3584
.LBB355_444:
	s_or_b64 exec, exec, s[0:1]
	v_or_b32_e32 v19, 0x1000, v0
	v_cmp_gt_u32_e32 vcc, s33, v19
	s_and_saveexec_b64 s[0:1], vcc
	s_cbranch_execz .LBB355_446
; %bb.445:
	v_add_co_u32_e32 v29, vcc, 0x2000, v2
	v_addc_co_u32_e32 v30, vcc, 0, v3, vcc
	s_waitcnt lgkmcnt(7)
	global_store_short v[29:30], v24, off
.LBB355_446:
	s_or_b64 exec, exec, s[0:1]
	v_or_b32_e32 v19, 0x1100, v0
	v_cmp_gt_u32_e32 vcc, s33, v19
	s_and_saveexec_b64 s[0:1], vcc
	s_cbranch_execz .LBB355_448
; %bb.447:
	v_add_co_u32_e32 v29, vcc, 0x2000, v2
	v_addc_co_u32_e32 v30, vcc, 0, v3, vcc
	s_waitcnt lgkmcnt(6)
	global_store_short v[29:30], v26, off offset:512
.LBB355_448:
	s_or_b64 exec, exec, s[0:1]
	v_or_b32_e32 v19, 0x1200, v0
	v_cmp_gt_u32_e32 vcc, s33, v19
	s_and_saveexec_b64 s[0:1], vcc
	s_cbranch_execz .LBB355_450
; %bb.449:
	v_add_co_u32_e32 v29, vcc, 0x2000, v2
	v_addc_co_u32_e32 v30, vcc, 0, v3, vcc
	s_waitcnt lgkmcnt(5)
	global_store_short v[29:30], v27, off offset:1024
.LBB355_450:
	;; [unrolled: 11-line block ×7, first 2 shown]
	s_or_b64 exec, exec, s[0:1]
	v_cmp_lt_u64_e64 s[0:1], s[62:63], 2
	s_and_b64 vcc, exec, s[0:1]
	s_cbranch_vccnz .LBB355_468
; %bb.461:
	s_add_u32 s0, s33, -1
	s_addc_u32 s1, s76, -1
	s_mul_i32 s5, s1, 0xaaaaaaab
	s_mul_hi_u32 s6, s0, 0xaaaaaaab
	s_mul_hi_u32 s4, s1, 0xaaaaaaab
	s_add_u32 s5, s5, s6
	s_mul_i32 s3, s0, 0xaaaaaaaa
	s_addc_u32 s4, s4, 0
	s_mul_hi_u32 s2, s0, 0xaaaaaaaa
	s_add_u32 s3, s3, s5
	s_addc_u32 s2, s2, 0
	s_add_u32 s2, s4, s2
	s_addc_u32 s3, 0, 0
	s_mul_i32 s5, s1, 0xaaaaaaaa
	s_mul_hi_u32 s4, s1, 0xaaaaaaaa
	s_add_u32 s2, s5, s2
	s_addc_u32 s3, s4, s3
	s_lshr_b64 s[2:3], s[2:3], 4
	v_cmp_eq_u64_e32 vcc, s[2:3], v[0:1]
	s_and_saveexec_b64 s[2:3], vcc
	s_cbranch_execz .LBB355_468
; %bb.462:
	v_mul_hi_u32_u24_e32 v1, 24, v0
	v_mul_u32_u24_e32 v0, 24, v0
	v_mov_b32_e32 v2, s1
	v_sub_co_u32_e32 v0, vcc, s0, v0
	v_subb_co_u32_e32 v1, vcc, v2, v1, vcc
	v_cmp_lt_i64_e32 vcc, 11, v[0:1]
	s_mov_b64 s[0:1], 0
	s_mov_b64 s[8:9], 0
	;; [unrolled: 1-line block ×4, first 2 shown]
	s_and_saveexec_b64 s[2:3], vcc
	s_xor_b64 s[2:3], exec, s[2:3]
	s_cbranch_execnz .LBB355_469
; %bb.463:
	s_andn2_saveexec_b64 s[2:3], s[2:3]
	s_cbranch_execnz .LBB355_514
.LBB355_464:
	s_or_b64 exec, exec, s[2:3]
	s_and_saveexec_b64 s[2:3], s[8:9]
	s_cbranch_execnz .LBB355_531
.LBB355_465:
	s_or_b64 exec, exec, s[2:3]
	s_and_saveexec_b64 s[2:3], s[6:7]
	s_cbranch_execnz .LBB355_532
.LBB355_466:
	s_or_b64 exec, exec, s[2:3]
	s_and_saveexec_b64 s[2:3], s[4:5]
	s_xor_b64 s[2:3], exec, s[2:3]
	s_cbranch_execnz .LBB355_533
.LBB355_467:
	s_or_b64 exec, exec, s[2:3]
	s_and_b64 exec, exec, s[0:1]
	s_cbranch_execnz .LBB355_534
.LBB355_468:
	s_endpgm
.LBB355_469:
	v_cmp_lt_i64_e32 vcc, 17, v[0:1]
	s_and_saveexec_b64 s[10:11], vcc
	s_xor_b64 s[10:11], exec, s[10:11]
	s_cbranch_execz .LBB355_491
; %bb.470:
	v_cmp_lt_i64_e32 vcc, 20, v[0:1]
	s_and_saveexec_b64 s[12:13], vcc
	s_xor_b64 s[12:13], exec, s[12:13]
	s_cbranch_execz .LBB355_480
; %bb.471:
	v_cmp_lt_i64_e32 vcc, 21, v[0:1]
	s_mov_b64 s[14:15], 0
	s_and_saveexec_b64 s[4:5], vcc
	s_xor_b64 s[4:5], exec, s[4:5]
	s_cbranch_execz .LBB355_477
; %bb.472:
	v_cmp_lt_i64_e32 vcc, 22, v[0:1]
	s_and_saveexec_b64 s[14:15], vcc
	s_xor_b64 s[14:15], exec, s[14:15]
	s_cbranch_execz .LBB355_474
; %bb.473:
	v_mov_b32_e32 v2, 0
	s_waitcnt lgkmcnt(0)
	global_store_short v2, v28, s[58:59]
.LBB355_474:
	s_or_saveexec_b64 s[14:15], s[14:15]
	s_mov_b64 s[16:17], 0
	s_xor_b64 exec, exec, s[14:15]
; %bb.475:
	s_mov_b64 s[16:17], exec
; %bb.476:
	s_or_b64 exec, exec, s[14:15]
	s_and_b64 s[14:15], s[16:17], exec
.LBB355_477:
	s_andn2_saveexec_b64 s[4:5], s[4:5]
; %bb.478:
	s_mov_b64 s[6:7], exec
; %bb.479:
	s_or_b64 exec, exec, s[4:5]
	s_and_b64 s[4:5], s[14:15], exec
	s_and_b64 s[6:7], s[6:7], exec
                                        ; implicit-def: $vgpr27
                                        ; implicit-def: $vgpr25
.LBB355_480:
	s_andn2_saveexec_b64 s[12:13], s[12:13]
	s_cbranch_execz .LBB355_490
; %bb.481:
	v_cmp_lt_i64_e32 vcc, 18, v[0:1]
	s_mov_b64 s[14:15], 0
	s_and_saveexec_b64 s[8:9], vcc
	s_xor_b64 s[8:9], exec, s[8:9]
	s_cbranch_execz .LBB355_487
; %bb.482:
	v_cmp_lt_i64_e32 vcc, 19, v[0:1]
	s_and_saveexec_b64 s[16:17], vcc
	s_xor_b64 s[16:17], exec, s[16:17]
; %bb.483:
	s_mov_b64 s[14:15], exec
                                        ; implicit-def: $vgpr25
; %bb.484:
	s_andn2_saveexec_b64 s[16:17], s[16:17]
	s_cbranch_execz .LBB355_486
; %bb.485:
	v_mov_b32_e32 v2, 0
	s_waitcnt lgkmcnt(4)
	global_store_short v2, v25, s[58:59]
.LBB355_486:
	s_or_b64 exec, exec, s[16:17]
	s_and_b64 s[14:15], s[14:15], exec
                                        ; implicit-def: $vgpr27
.LBB355_487:
	s_andn2_saveexec_b64 s[8:9], s[8:9]
	s_cbranch_execz .LBB355_489
; %bb.488:
	v_mov_b32_e32 v2, 0
	s_waitcnt lgkmcnt(5)
	global_store_short v2, v27, s[58:59]
.LBB355_489:
	s_or_b64 exec, exec, s[8:9]
	s_and_b64 s[8:9], s[14:15], exec
.LBB355_490:
	s_or_b64 exec, exec, s[12:13]
	s_and_b64 s[4:5], s[4:5], exec
	s_and_b64 s[6:7], s[6:7], exec
	;; [unrolled: 1-line block ×3, first 2 shown]
                                        ; implicit-def: $vgpr17
                                        ; implicit-def: $vgpr15
                                        ; implicit-def: $vgpr16
                                        ; implicit-def: $vgpr21
                                        ; implicit-def: $vgpr24
                                        ; implicit-def: $vgpr26
.LBB355_491:
	s_andn2_saveexec_b64 s[10:11], s[10:11]
	s_cbranch_execz .LBB355_513
; %bb.492:
	v_cmp_lt_i64_e32 vcc, 14, v[0:1]
	s_mov_b64 s[12:13], s[4:5]
	s_and_saveexec_b64 s[14:15], vcc
	s_xor_b64 s[14:15], exec, s[14:15]
	s_cbranch_execz .LBB355_502
; %bb.493:
	v_cmp_lt_i64_e32 vcc, 15, v[0:1]
	s_and_saveexec_b64 s[12:13], vcc
	s_xor_b64 s[12:13], exec, s[12:13]
	s_cbranch_execz .LBB355_499
; %bb.494:
	v_cmp_lt_i64_e32 vcc, 16, v[0:1]
	s_and_saveexec_b64 s[16:17], vcc
	s_xor_b64 s[16:17], exec, s[16:17]
	s_cbranch_execz .LBB355_496
; %bb.495:
	v_mov_b32_e32 v2, 0
	s_waitcnt lgkmcnt(6)
	global_store_short v2, v26, s[58:59]
                                        ; implicit-def: $vgpr24
.LBB355_496:
	s_andn2_saveexec_b64 s[16:17], s[16:17]
	s_cbranch_execz .LBB355_498
; %bb.497:
	v_mov_b32_e32 v2, 0
	s_waitcnt lgkmcnt(7)
	global_store_short v2, v24, s[58:59]
.LBB355_498:
	s_or_b64 exec, exec, s[16:17]
.LBB355_499:
	s_or_saveexec_b64 s[12:13], s[12:13]
	s_mov_b64 s[16:17], s[4:5]
	s_xor_b64 exec, exec, s[12:13]
; %bb.500:
	s_or_b64 s[16:17], s[4:5], exec
; %bb.501:
	s_or_b64 exec, exec, s[12:13]
	s_andn2_b64 s[12:13], s[4:5], exec
	s_and_b64 s[16:17], s[16:17], exec
	s_or_b64 s[12:13], s[12:13], s[16:17]
                                        ; implicit-def: $vgpr16
                                        ; implicit-def: $vgpr21
                                        ; implicit-def: $vgpr15
.LBB355_502:
	s_or_saveexec_b64 s[14:15], s[14:15]
	s_mov_b64 s[16:17], s[6:7]
                                        ; implicit-def: $vgpr11
	s_xor_b64 exec, exec, s[14:15]
	s_cbranch_execz .LBB355_512
; %bb.503:
	v_cmp_lt_i64_e32 vcc, 12, v[0:1]
	s_mov_b64 s[18:19], s[6:7]
	s_mov_b64 s[20:21], s[12:13]
	s_and_saveexec_b64 s[16:17], vcc
	s_xor_b64 s[16:17], exec, s[16:17]
	s_cbranch_execz .LBB355_509
; %bb.504:
	v_cmp_lt_i64_e32 vcc, 13, v[0:1]
	s_mov_b64 s[18:19], s[12:13]
	s_and_saveexec_b64 s[20:21], vcc
	s_xor_b64 s[20:21], exec, s[20:21]
; %bb.505:
	s_or_b64 s[18:19], s[12:13], exec
; %bb.506:
	s_or_saveexec_b64 s[20:21], s[20:21]
	s_mov_b64 s[22:23], s[6:7]
	s_xor_b64 exec, exec, s[20:21]
; %bb.507:
	s_or_b64 s[22:23], s[6:7], exec
; %bb.508:
	s_or_b64 exec, exec, s[20:21]
	s_andn2_b64 s[20:21], s[12:13], exec
	s_and_b64 s[18:19], s[18:19], exec
	s_or_b64 s[20:21], s[20:21], s[18:19]
	s_andn2_b64 s[18:19], s[6:7], exec
	s_and_b64 s[22:23], s[22:23], exec
	s_or_b64 s[18:19], s[18:19], s[22:23]
                                        ; implicit-def: $vgpr21
.LBB355_509:
	s_andn2_saveexec_b64 s[16:17], s[16:17]
	s_cbranch_execz .LBB355_511
; %bb.510:
	s_or_b64 s[18:19], s[18:19], exec
	s_waitcnt lgkmcnt(10)
	v_mov_b32_e32 v16, v21
.LBB355_511:
	s_or_b64 exec, exec, s[16:17]
	s_andn2_b64 s[12:13], s[12:13], exec
	s_and_b64 s[16:17], s[20:21], exec
	s_or_b64 s[12:13], s[12:13], s[16:17]
	s_andn2_b64 s[16:17], s[6:7], exec
	s_and_b64 s[18:19], s[18:19], exec
	s_or_b64 s[16:17], s[16:17], s[18:19]
	s_waitcnt lgkmcnt(8)
	v_mov_b32_e32 v17, v15
	s_waitcnt lgkmcnt(2)
	v_mov_b32_e32 v11, v16
.LBB355_512:
	s_or_b64 exec, exec, s[14:15]
	s_andn2_b64 s[4:5], s[4:5], exec
	s_and_b64 s[12:13], s[12:13], exec
	s_or_b64 s[4:5], s[4:5], s[12:13]
	s_andn2_b64 s[6:7], s[6:7], exec
	s_and_b64 s[12:13], s[16:17], exec
	s_or_b64 s[6:7], s[6:7], s[12:13]
	s_waitcnt lgkmcnt(1)
	v_mov_b32_e32 v12, v17
.LBB355_513:
	s_or_b64 exec, exec, s[10:11]
	s_and_b64 s[4:5], s[4:5], exec
	s_and_b64 s[6:7], s[6:7], exec
	;; [unrolled: 1-line block ×3, first 2 shown]
                                        ; implicit-def: $vgpr18
                                        ; implicit-def: $vgpr23
                                        ; implicit-def: $vgpr20
                                        ; implicit-def: $vgpr22
                                        ; implicit-def: $vgpr13
                                        ; implicit-def: $vgpr14
	s_andn2_saveexec_b64 s[2:3], s[2:3]
	s_cbranch_execz .LBB355_464
.LBB355_514:
	v_cmp_lt_i64_e32 vcc, 5, v[0:1]
	s_mov_b64 s[12:13], -1
	s_mov_b64 s[10:11], s[8:9]
	s_mov_b64 s[14:15], s[6:7]
	;; [unrolled: 1-line block ×3, first 2 shown]
                                        ; implicit-def: $vgpr10
	s_and_saveexec_b64 s[0:1], vcc
	s_cbranch_execz .LBB355_530
; %bb.515:
	v_cmp_lt_i64_e32 vcc, 8, v[0:1]
	s_mov_b64 s[10:11], s[8:9]
                                        ; implicit-def: $vgpr10
	s_and_saveexec_b64 s[12:13], vcc
	s_xor_b64 s[12:13], exec, s[12:13]
	s_cbranch_execz .LBB355_525
; %bb.516:
	v_cmp_lt_i64_e32 vcc, 9, v[0:1]
	s_and_saveexec_b64 s[10:11], vcc
	s_xor_b64 s[10:11], exec, s[10:11]
	s_cbranch_execz .LBB355_522
; %bb.517:
	v_cmp_lt_i64_e32 vcc, 10, v[0:1]
	s_and_saveexec_b64 s[14:15], vcc
	s_xor_b64 s[14:15], exec, s[14:15]
; %bb.518:
                                        ; implicit-def: $vgpr22
; %bb.519:
	s_andn2_saveexec_b64 s[14:15], s[14:15]
	s_cbranch_execz .LBB355_521
; %bb.520:
	s_waitcnt lgkmcnt(12)
	v_mov_b32_e32 v20, v22
.LBB355_521:
	s_or_b64 exec, exec, s[14:15]
                                        ; implicit-def: $vgpr23
.LBB355_522:
	s_andn2_saveexec_b64 s[10:11], s[10:11]
	s_cbranch_execz .LBB355_524
; %bb.523:
	s_waitcnt lgkmcnt(12)
	v_mov_b32_e32 v20, v23
.LBB355_524:
	s_or_b64 exec, exec, s[10:11]
	s_or_b64 s[10:11], s[8:9], exec
	s_waitcnt lgkmcnt(3)
	v_mov_b32_e32 v10, v20
                                        ; implicit-def: $vgpr18
.LBB355_525:
	s_or_saveexec_b64 s[12:13], s[12:13]
	s_mov_b64 s[14:15], s[6:7]
	s_mov_b64 s[18:19], s[4:5]
	s_xor_b64 exec, exec, s[12:13]
	s_cbranch_execz .LBB355_529
; %bb.526:
	v_cmp_lt_i64_e32 vcc, 6, v[0:1]
	s_mov_b64 s[18:19], -1
	s_mov_b64 s[16:17], s[10:11]
	s_mov_b64 s[14:15], s[6:7]
	s_and_saveexec_b64 s[20:21], vcc
; %bb.527:
	v_cmp_lt_i64_e32 vcc, 7, v[0:1]
	s_andn2_b64 s[16:17], s[10:11], exec
	s_and_b64 s[22:23], vcc, exec
	s_xor_b64 s[18:19], exec, -1
	s_or_b64 s[14:15], s[6:7], exec
	s_or_b64 s[16:17], s[16:17], s[22:23]
; %bb.528:
	s_or_b64 exec, exec, s[20:21]
	s_andn2_b64 s[20:21], s[4:5], exec
	s_and_b64 s[18:19], s[18:19], exec
	s_or_b64 s[18:19], s[20:21], s[18:19]
	s_andn2_b64 s[20:21], s[6:7], exec
	s_and_b64 s[14:15], s[14:15], exec
	s_andn2_b64 s[10:11], s[10:11], exec
	s_and_b64 s[16:17], s[16:17], exec
	s_or_b64 s[14:15], s[20:21], s[14:15]
	s_or_b64 s[10:11], s[10:11], s[16:17]
	s_waitcnt lgkmcnt(3)
	v_mov_b32_e32 v10, v18
.LBB355_529:
	s_or_b64 exec, exec, s[12:13]
	s_andn2_b64 s[16:17], s[4:5], exec
	s_and_b64 s[18:19], s[18:19], exec
	s_or_b64 s[16:17], s[16:17], s[18:19]
	s_andn2_b64 s[18:19], s[6:7], exec
	s_and_b64 s[14:15], s[14:15], exec
	s_or_b64 s[14:15], s[18:19], s[14:15]
	s_andn2_b64 s[18:19], s[8:9], exec
	s_and_b64 s[10:11], s[10:11], exec
	s_xor_b64 s[12:13], exec, -1
	s_or_b64 s[10:11], s[18:19], s[10:11]
.LBB355_530:
	s_or_b64 exec, exec, s[0:1]
	s_and_b64 s[0:1], s[12:13], exec
	s_andn2_b64 s[4:5], s[4:5], exec
	s_and_b64 s[12:13], s[16:17], exec
	s_or_b64 s[4:5], s[4:5], s[12:13]
	s_andn2_b64 s[6:7], s[6:7], exec
	s_and_b64 s[12:13], s[14:15], exec
	s_andn2_b64 s[8:9], s[8:9], exec
	s_and_b64 s[10:11], s[10:11], exec
	s_or_b64 s[6:7], s[6:7], s[12:13]
	s_or_b64 s[8:9], s[8:9], s[10:11]
	s_waitcnt lgkmcnt(1)
	v_mov_b32_e32 v12, v13
	v_mov_b32_e32 v11, v14
	s_or_b64 exec, exec, s[2:3]
	s_and_saveexec_b64 s[2:3], s[8:9]
	s_cbranch_execz .LBB355_465
.LBB355_531:
	v_mov_b32_e32 v2, 0
	s_andn2_b64 s[6:7], s[6:7], exec
	s_waitcnt lgkmcnt(3)
	global_store_short v2, v10, s[58:59]
	s_or_b64 exec, exec, s[2:3]
	s_and_saveexec_b64 s[2:3], s[6:7]
	s_cbranch_execz .LBB355_466
.LBB355_532:
	v_mov_b32_e32 v2, 0
	s_waitcnt lgkmcnt(2)
	global_store_short v2, v11, s[58:59]
	s_or_b64 exec, exec, s[2:3]
	s_and_saveexec_b64 s[2:3], s[4:5]
	s_xor_b64 s[2:3], exec, s[2:3]
	s_cbranch_execz .LBB355_467
.LBB355_533:
	v_mov_b32_e32 v2, 0
	s_waitcnt lgkmcnt(1)
	global_store_short v2, v12, s[58:59]
	s_or_b64 exec, exec, s[2:3]
	s_and_b64 exec, exec, s[0:1]
	s_cbranch_execz .LBB355_468
.LBB355_534:
	v_cmp_lt_i64_e32 vcc, 2, v[0:1]
	s_and_saveexec_b64 s[0:1], vcc
	s_xor_b64 s[0:1], exec, s[0:1]
	s_cbranch_execz .LBB355_544
; %bb.535:
	v_cmp_lt_i64_e32 vcc, 3, v[0:1]
	s_and_saveexec_b64 s[2:3], vcc
	s_xor_b64 s[2:3], exec, s[2:3]
	s_cbranch_execz .LBB355_541
; %bb.536:
	;; [unrolled: 5-line block ×3, first 2 shown]
	v_mov_b32_e32 v0, 0
	s_waitcnt lgkmcnt(14)
	global_store_short v0, v9, s[58:59]
                                        ; implicit-def: $vgpr6
.LBB355_538:
	s_andn2_saveexec_b64 s[4:5], s[4:5]
	s_cbranch_execz .LBB355_540
; %bb.539:
	v_mov_b32_e32 v0, 0
	s_waitcnt lgkmcnt(14)
	global_store_short v0, v6, s[58:59]
.LBB355_540:
	s_or_b64 exec, exec, s[4:5]
                                        ; implicit-def: $vgpr8
.LBB355_541:
	s_andn2_saveexec_b64 s[2:3], s[2:3]
	s_cbranch_execz .LBB355_543
; %bb.542:
	v_mov_b32_e32 v0, 0
	s_waitcnt lgkmcnt(14)
	global_store_short v0, v8, s[58:59]
.LBB355_543:
	s_or_b64 exec, exec, s[2:3]
                                        ; implicit-def: $vgpr0_vgpr1
                                        ; implicit-def: $vgpr7
                                        ; implicit-def: $vgpr4
                                        ; implicit-def: $vgpr5
.LBB355_544:
	s_andn2_saveexec_b64 s[0:1], s[0:1]
	s_cbranch_execz .LBB355_468
; %bb.545:
	v_cmp_lt_i64_e32 vcc, 1, v[0:1]
	s_and_saveexec_b64 s[0:1], vcc
	s_xor_b64 s[0:1], exec, s[0:1]
	s_cbranch_execz .LBB355_547
; %bb.546:
	v_mov_b32_e32 v0, 0
	s_waitcnt lgkmcnt(14)
	global_store_short v0, v7, s[58:59]
                                        ; implicit-def: $vgpr4
                                        ; implicit-def: $vgpr0_vgpr1
                                        ; implicit-def: $vgpr5
.LBB355_547:
	s_andn2_saveexec_b64 s[0:1], s[0:1]
	s_cbranch_execz .LBB355_468
; %bb.548:
	v_cmp_ne_u64_e32 vcc, 1, v[0:1]
	s_and_saveexec_b64 s[0:1], vcc
	s_xor_b64 s[0:1], exec, s[0:1]
	s_cbranch_execz .LBB355_550
; %bb.549:
	v_mov_b32_e32 v0, 0
	s_waitcnt lgkmcnt(14)
	global_store_short v0, v5, s[58:59]
                                        ; implicit-def: $vgpr4
.LBB355_550:
	s_andn2_saveexec_b64 s[0:1], s[0:1]
	s_cbranch_execz .LBB355_468
; %bb.551:
	v_mov_b32_e32 v0, 0
	s_waitcnt lgkmcnt(14)
	global_store_short v0, v4, s[58:59]
	s_endpgm
	.section	.rodata,"a",@progbits
	.p2align	6, 0x0
	.amdhsa_kernel _ZN7rocprim17ROCPRIM_400000_NS6detail17trampoline_kernelINS0_14default_configENS1_20scan_config_selectorIN3c104HalfEEEZZNS1_9scan_implILNS1_25lookback_scan_determinismE0ELb0ELb0ES3_PKS6_PS6_S6_ZZZN2at6native31launch_logcumsumexp_cuda_kernelERKNSD_10TensorBaseESH_lENKUlvE_clEvENKUlvE3_clEvEUlS6_S6_E_S6_EEDaPvRmT3_T4_T5_mT6_P12ihipStream_tbENKUlT_T0_E_clISt17integral_constantIbLb0EESY_EEDaST_SU_EUlST_E_NS1_11comp_targetILNS1_3genE2ELNS1_11target_archE906ELNS1_3gpuE6ELNS1_3repE0EEENS1_30default_config_static_selectorELNS0_4arch9wavefront6targetE1EEEvT1_
		.amdhsa_group_segment_fixed_size 12288
		.amdhsa_private_segment_fixed_size 0
		.amdhsa_kernarg_size 96
		.amdhsa_user_sgpr_count 6
		.amdhsa_user_sgpr_private_segment_buffer 1
		.amdhsa_user_sgpr_dispatch_ptr 0
		.amdhsa_user_sgpr_queue_ptr 0
		.amdhsa_user_sgpr_kernarg_segment_ptr 1
		.amdhsa_user_sgpr_dispatch_id 0
		.amdhsa_user_sgpr_flat_scratch_init 0
		.amdhsa_user_sgpr_private_segment_size 0
		.amdhsa_uses_dynamic_stack 0
		.amdhsa_system_sgpr_private_segment_wavefront_offset 0
		.amdhsa_system_sgpr_workgroup_id_x 1
		.amdhsa_system_sgpr_workgroup_id_y 0
		.amdhsa_system_sgpr_workgroup_id_z 0
		.amdhsa_system_sgpr_workgroup_info 0
		.amdhsa_system_vgpr_workitem_id 0
		.amdhsa_next_free_vgpr 76
		.amdhsa_next_free_sgpr 98
		.amdhsa_reserve_vcc 1
		.amdhsa_reserve_flat_scratch 0
		.amdhsa_float_round_mode_32 0
		.amdhsa_float_round_mode_16_64 0
		.amdhsa_float_denorm_mode_32 3
		.amdhsa_float_denorm_mode_16_64 3
		.amdhsa_dx10_clamp 1
		.amdhsa_ieee_mode 1
		.amdhsa_fp16_overflow 0
		.amdhsa_exception_fp_ieee_invalid_op 0
		.amdhsa_exception_fp_denorm_src 0
		.amdhsa_exception_fp_ieee_div_zero 0
		.amdhsa_exception_fp_ieee_overflow 0
		.amdhsa_exception_fp_ieee_underflow 0
		.amdhsa_exception_fp_ieee_inexact 0
		.amdhsa_exception_int_div_zero 0
	.end_amdhsa_kernel
	.section	.text._ZN7rocprim17ROCPRIM_400000_NS6detail17trampoline_kernelINS0_14default_configENS1_20scan_config_selectorIN3c104HalfEEEZZNS1_9scan_implILNS1_25lookback_scan_determinismE0ELb0ELb0ES3_PKS6_PS6_S6_ZZZN2at6native31launch_logcumsumexp_cuda_kernelERKNSD_10TensorBaseESH_lENKUlvE_clEvENKUlvE3_clEvEUlS6_S6_E_S6_EEDaPvRmT3_T4_T5_mT6_P12ihipStream_tbENKUlT_T0_E_clISt17integral_constantIbLb0EESY_EEDaST_SU_EUlST_E_NS1_11comp_targetILNS1_3genE2ELNS1_11target_archE906ELNS1_3gpuE6ELNS1_3repE0EEENS1_30default_config_static_selectorELNS0_4arch9wavefront6targetE1EEEvT1_,"axG",@progbits,_ZN7rocprim17ROCPRIM_400000_NS6detail17trampoline_kernelINS0_14default_configENS1_20scan_config_selectorIN3c104HalfEEEZZNS1_9scan_implILNS1_25lookback_scan_determinismE0ELb0ELb0ES3_PKS6_PS6_S6_ZZZN2at6native31launch_logcumsumexp_cuda_kernelERKNSD_10TensorBaseESH_lENKUlvE_clEvENKUlvE3_clEvEUlS6_S6_E_S6_EEDaPvRmT3_T4_T5_mT6_P12ihipStream_tbENKUlT_T0_E_clISt17integral_constantIbLb0EESY_EEDaST_SU_EUlST_E_NS1_11comp_targetILNS1_3genE2ELNS1_11target_archE906ELNS1_3gpuE6ELNS1_3repE0EEENS1_30default_config_static_selectorELNS0_4arch9wavefront6targetE1EEEvT1_,comdat
.Lfunc_end355:
	.size	_ZN7rocprim17ROCPRIM_400000_NS6detail17trampoline_kernelINS0_14default_configENS1_20scan_config_selectorIN3c104HalfEEEZZNS1_9scan_implILNS1_25lookback_scan_determinismE0ELb0ELb0ES3_PKS6_PS6_S6_ZZZN2at6native31launch_logcumsumexp_cuda_kernelERKNSD_10TensorBaseESH_lENKUlvE_clEvENKUlvE3_clEvEUlS6_S6_E_S6_EEDaPvRmT3_T4_T5_mT6_P12ihipStream_tbENKUlT_T0_E_clISt17integral_constantIbLb0EESY_EEDaST_SU_EUlST_E_NS1_11comp_targetILNS1_3genE2ELNS1_11target_archE906ELNS1_3gpuE6ELNS1_3repE0EEENS1_30default_config_static_selectorELNS0_4arch9wavefront6targetE1EEEvT1_, .Lfunc_end355-_ZN7rocprim17ROCPRIM_400000_NS6detail17trampoline_kernelINS0_14default_configENS1_20scan_config_selectorIN3c104HalfEEEZZNS1_9scan_implILNS1_25lookback_scan_determinismE0ELb0ELb0ES3_PKS6_PS6_S6_ZZZN2at6native31launch_logcumsumexp_cuda_kernelERKNSD_10TensorBaseESH_lENKUlvE_clEvENKUlvE3_clEvEUlS6_S6_E_S6_EEDaPvRmT3_T4_T5_mT6_P12ihipStream_tbENKUlT_T0_E_clISt17integral_constantIbLb0EESY_EEDaST_SU_EUlST_E_NS1_11comp_targetILNS1_3genE2ELNS1_11target_archE906ELNS1_3gpuE6ELNS1_3repE0EEENS1_30default_config_static_selectorELNS0_4arch9wavefront6targetE1EEEvT1_
                                        ; -- End function
	.set _ZN7rocprim17ROCPRIM_400000_NS6detail17trampoline_kernelINS0_14default_configENS1_20scan_config_selectorIN3c104HalfEEEZZNS1_9scan_implILNS1_25lookback_scan_determinismE0ELb0ELb0ES3_PKS6_PS6_S6_ZZZN2at6native31launch_logcumsumexp_cuda_kernelERKNSD_10TensorBaseESH_lENKUlvE_clEvENKUlvE3_clEvEUlS6_S6_E_S6_EEDaPvRmT3_T4_T5_mT6_P12ihipStream_tbENKUlT_T0_E_clISt17integral_constantIbLb0EESY_EEDaST_SU_EUlST_E_NS1_11comp_targetILNS1_3genE2ELNS1_11target_archE906ELNS1_3gpuE6ELNS1_3repE0EEENS1_30default_config_static_selectorELNS0_4arch9wavefront6targetE1EEEvT1_.num_vgpr, 76
	.set _ZN7rocprim17ROCPRIM_400000_NS6detail17trampoline_kernelINS0_14default_configENS1_20scan_config_selectorIN3c104HalfEEEZZNS1_9scan_implILNS1_25lookback_scan_determinismE0ELb0ELb0ES3_PKS6_PS6_S6_ZZZN2at6native31launch_logcumsumexp_cuda_kernelERKNSD_10TensorBaseESH_lENKUlvE_clEvENKUlvE3_clEvEUlS6_S6_E_S6_EEDaPvRmT3_T4_T5_mT6_P12ihipStream_tbENKUlT_T0_E_clISt17integral_constantIbLb0EESY_EEDaST_SU_EUlST_E_NS1_11comp_targetILNS1_3genE2ELNS1_11target_archE906ELNS1_3gpuE6ELNS1_3repE0EEENS1_30default_config_static_selectorELNS0_4arch9wavefront6targetE1EEEvT1_.num_agpr, 0
	.set _ZN7rocprim17ROCPRIM_400000_NS6detail17trampoline_kernelINS0_14default_configENS1_20scan_config_selectorIN3c104HalfEEEZZNS1_9scan_implILNS1_25lookback_scan_determinismE0ELb0ELb0ES3_PKS6_PS6_S6_ZZZN2at6native31launch_logcumsumexp_cuda_kernelERKNSD_10TensorBaseESH_lENKUlvE_clEvENKUlvE3_clEvEUlS6_S6_E_S6_EEDaPvRmT3_T4_T5_mT6_P12ihipStream_tbENKUlT_T0_E_clISt17integral_constantIbLb0EESY_EEDaST_SU_EUlST_E_NS1_11comp_targetILNS1_3genE2ELNS1_11target_archE906ELNS1_3gpuE6ELNS1_3repE0EEENS1_30default_config_static_selectorELNS0_4arch9wavefront6targetE1EEEvT1_.numbered_sgpr, 86
	.set _ZN7rocprim17ROCPRIM_400000_NS6detail17trampoline_kernelINS0_14default_configENS1_20scan_config_selectorIN3c104HalfEEEZZNS1_9scan_implILNS1_25lookback_scan_determinismE0ELb0ELb0ES3_PKS6_PS6_S6_ZZZN2at6native31launch_logcumsumexp_cuda_kernelERKNSD_10TensorBaseESH_lENKUlvE_clEvENKUlvE3_clEvEUlS6_S6_E_S6_EEDaPvRmT3_T4_T5_mT6_P12ihipStream_tbENKUlT_T0_E_clISt17integral_constantIbLb0EESY_EEDaST_SU_EUlST_E_NS1_11comp_targetILNS1_3genE2ELNS1_11target_archE906ELNS1_3gpuE6ELNS1_3repE0EEENS1_30default_config_static_selectorELNS0_4arch9wavefront6targetE1EEEvT1_.num_named_barrier, 0
	.set _ZN7rocprim17ROCPRIM_400000_NS6detail17trampoline_kernelINS0_14default_configENS1_20scan_config_selectorIN3c104HalfEEEZZNS1_9scan_implILNS1_25lookback_scan_determinismE0ELb0ELb0ES3_PKS6_PS6_S6_ZZZN2at6native31launch_logcumsumexp_cuda_kernelERKNSD_10TensorBaseESH_lENKUlvE_clEvENKUlvE3_clEvEUlS6_S6_E_S6_EEDaPvRmT3_T4_T5_mT6_P12ihipStream_tbENKUlT_T0_E_clISt17integral_constantIbLb0EESY_EEDaST_SU_EUlST_E_NS1_11comp_targetILNS1_3genE2ELNS1_11target_archE906ELNS1_3gpuE6ELNS1_3repE0EEENS1_30default_config_static_selectorELNS0_4arch9wavefront6targetE1EEEvT1_.private_seg_size, 0
	.set _ZN7rocprim17ROCPRIM_400000_NS6detail17trampoline_kernelINS0_14default_configENS1_20scan_config_selectorIN3c104HalfEEEZZNS1_9scan_implILNS1_25lookback_scan_determinismE0ELb0ELb0ES3_PKS6_PS6_S6_ZZZN2at6native31launch_logcumsumexp_cuda_kernelERKNSD_10TensorBaseESH_lENKUlvE_clEvENKUlvE3_clEvEUlS6_S6_E_S6_EEDaPvRmT3_T4_T5_mT6_P12ihipStream_tbENKUlT_T0_E_clISt17integral_constantIbLb0EESY_EEDaST_SU_EUlST_E_NS1_11comp_targetILNS1_3genE2ELNS1_11target_archE906ELNS1_3gpuE6ELNS1_3repE0EEENS1_30default_config_static_selectorELNS0_4arch9wavefront6targetE1EEEvT1_.uses_vcc, 1
	.set _ZN7rocprim17ROCPRIM_400000_NS6detail17trampoline_kernelINS0_14default_configENS1_20scan_config_selectorIN3c104HalfEEEZZNS1_9scan_implILNS1_25lookback_scan_determinismE0ELb0ELb0ES3_PKS6_PS6_S6_ZZZN2at6native31launch_logcumsumexp_cuda_kernelERKNSD_10TensorBaseESH_lENKUlvE_clEvENKUlvE3_clEvEUlS6_S6_E_S6_EEDaPvRmT3_T4_T5_mT6_P12ihipStream_tbENKUlT_T0_E_clISt17integral_constantIbLb0EESY_EEDaST_SU_EUlST_E_NS1_11comp_targetILNS1_3genE2ELNS1_11target_archE906ELNS1_3gpuE6ELNS1_3repE0EEENS1_30default_config_static_selectorELNS0_4arch9wavefront6targetE1EEEvT1_.uses_flat_scratch, 0
	.set _ZN7rocprim17ROCPRIM_400000_NS6detail17trampoline_kernelINS0_14default_configENS1_20scan_config_selectorIN3c104HalfEEEZZNS1_9scan_implILNS1_25lookback_scan_determinismE0ELb0ELb0ES3_PKS6_PS6_S6_ZZZN2at6native31launch_logcumsumexp_cuda_kernelERKNSD_10TensorBaseESH_lENKUlvE_clEvENKUlvE3_clEvEUlS6_S6_E_S6_EEDaPvRmT3_T4_T5_mT6_P12ihipStream_tbENKUlT_T0_E_clISt17integral_constantIbLb0EESY_EEDaST_SU_EUlST_E_NS1_11comp_targetILNS1_3genE2ELNS1_11target_archE906ELNS1_3gpuE6ELNS1_3repE0EEENS1_30default_config_static_selectorELNS0_4arch9wavefront6targetE1EEEvT1_.has_dyn_sized_stack, 0
	.set _ZN7rocprim17ROCPRIM_400000_NS6detail17trampoline_kernelINS0_14default_configENS1_20scan_config_selectorIN3c104HalfEEEZZNS1_9scan_implILNS1_25lookback_scan_determinismE0ELb0ELb0ES3_PKS6_PS6_S6_ZZZN2at6native31launch_logcumsumexp_cuda_kernelERKNSD_10TensorBaseESH_lENKUlvE_clEvENKUlvE3_clEvEUlS6_S6_E_S6_EEDaPvRmT3_T4_T5_mT6_P12ihipStream_tbENKUlT_T0_E_clISt17integral_constantIbLb0EESY_EEDaST_SU_EUlST_E_NS1_11comp_targetILNS1_3genE2ELNS1_11target_archE906ELNS1_3gpuE6ELNS1_3repE0EEENS1_30default_config_static_selectorELNS0_4arch9wavefront6targetE1EEEvT1_.has_recursion, 0
	.set _ZN7rocprim17ROCPRIM_400000_NS6detail17trampoline_kernelINS0_14default_configENS1_20scan_config_selectorIN3c104HalfEEEZZNS1_9scan_implILNS1_25lookback_scan_determinismE0ELb0ELb0ES3_PKS6_PS6_S6_ZZZN2at6native31launch_logcumsumexp_cuda_kernelERKNSD_10TensorBaseESH_lENKUlvE_clEvENKUlvE3_clEvEUlS6_S6_E_S6_EEDaPvRmT3_T4_T5_mT6_P12ihipStream_tbENKUlT_T0_E_clISt17integral_constantIbLb0EESY_EEDaST_SU_EUlST_E_NS1_11comp_targetILNS1_3genE2ELNS1_11target_archE906ELNS1_3gpuE6ELNS1_3repE0EEENS1_30default_config_static_selectorELNS0_4arch9wavefront6targetE1EEEvT1_.has_indirect_call, 0
	.section	.AMDGPU.csdata,"",@progbits
; Kernel info:
; codeLenInByte = 108428
; TotalNumSgprs: 90
; NumVgprs: 76
; ScratchSize: 0
; MemoryBound: 0
; FloatMode: 240
; IeeeMode: 1
; LDSByteSize: 12288 bytes/workgroup (compile time only)
; SGPRBlocks: 12
; VGPRBlocks: 18
; NumSGPRsForWavesPerEU: 102
; NumVGPRsForWavesPerEU: 76
; Occupancy: 3
; WaveLimiterHint : 1
; COMPUTE_PGM_RSRC2:SCRATCH_EN: 0
; COMPUTE_PGM_RSRC2:USER_SGPR: 6
; COMPUTE_PGM_RSRC2:TRAP_HANDLER: 0
; COMPUTE_PGM_RSRC2:TGID_X_EN: 1
; COMPUTE_PGM_RSRC2:TGID_Y_EN: 0
; COMPUTE_PGM_RSRC2:TGID_Z_EN: 0
; COMPUTE_PGM_RSRC2:TIDIG_COMP_CNT: 0
	.section	.text._ZN7rocprim17ROCPRIM_400000_NS6detail17trampoline_kernelINS0_14default_configENS1_20scan_config_selectorIN3c104HalfEEEZZNS1_9scan_implILNS1_25lookback_scan_determinismE0ELb0ELb0ES3_PKS6_PS6_S6_ZZZN2at6native31launch_logcumsumexp_cuda_kernelERKNSD_10TensorBaseESH_lENKUlvE_clEvENKUlvE3_clEvEUlS6_S6_E_S6_EEDaPvRmT3_T4_T5_mT6_P12ihipStream_tbENKUlT_T0_E_clISt17integral_constantIbLb0EESY_EEDaST_SU_EUlST_E_NS1_11comp_targetILNS1_3genE10ELNS1_11target_archE1201ELNS1_3gpuE5ELNS1_3repE0EEENS1_30default_config_static_selectorELNS0_4arch9wavefront6targetE1EEEvT1_,"axG",@progbits,_ZN7rocprim17ROCPRIM_400000_NS6detail17trampoline_kernelINS0_14default_configENS1_20scan_config_selectorIN3c104HalfEEEZZNS1_9scan_implILNS1_25lookback_scan_determinismE0ELb0ELb0ES3_PKS6_PS6_S6_ZZZN2at6native31launch_logcumsumexp_cuda_kernelERKNSD_10TensorBaseESH_lENKUlvE_clEvENKUlvE3_clEvEUlS6_S6_E_S6_EEDaPvRmT3_T4_T5_mT6_P12ihipStream_tbENKUlT_T0_E_clISt17integral_constantIbLb0EESY_EEDaST_SU_EUlST_E_NS1_11comp_targetILNS1_3genE10ELNS1_11target_archE1201ELNS1_3gpuE5ELNS1_3repE0EEENS1_30default_config_static_selectorELNS0_4arch9wavefront6targetE1EEEvT1_,comdat
	.globl	_ZN7rocprim17ROCPRIM_400000_NS6detail17trampoline_kernelINS0_14default_configENS1_20scan_config_selectorIN3c104HalfEEEZZNS1_9scan_implILNS1_25lookback_scan_determinismE0ELb0ELb0ES3_PKS6_PS6_S6_ZZZN2at6native31launch_logcumsumexp_cuda_kernelERKNSD_10TensorBaseESH_lENKUlvE_clEvENKUlvE3_clEvEUlS6_S6_E_S6_EEDaPvRmT3_T4_T5_mT6_P12ihipStream_tbENKUlT_T0_E_clISt17integral_constantIbLb0EESY_EEDaST_SU_EUlST_E_NS1_11comp_targetILNS1_3genE10ELNS1_11target_archE1201ELNS1_3gpuE5ELNS1_3repE0EEENS1_30default_config_static_selectorELNS0_4arch9wavefront6targetE1EEEvT1_ ; -- Begin function _ZN7rocprim17ROCPRIM_400000_NS6detail17trampoline_kernelINS0_14default_configENS1_20scan_config_selectorIN3c104HalfEEEZZNS1_9scan_implILNS1_25lookback_scan_determinismE0ELb0ELb0ES3_PKS6_PS6_S6_ZZZN2at6native31launch_logcumsumexp_cuda_kernelERKNSD_10TensorBaseESH_lENKUlvE_clEvENKUlvE3_clEvEUlS6_S6_E_S6_EEDaPvRmT3_T4_T5_mT6_P12ihipStream_tbENKUlT_T0_E_clISt17integral_constantIbLb0EESY_EEDaST_SU_EUlST_E_NS1_11comp_targetILNS1_3genE10ELNS1_11target_archE1201ELNS1_3gpuE5ELNS1_3repE0EEENS1_30default_config_static_selectorELNS0_4arch9wavefront6targetE1EEEvT1_
	.p2align	8
	.type	_ZN7rocprim17ROCPRIM_400000_NS6detail17trampoline_kernelINS0_14default_configENS1_20scan_config_selectorIN3c104HalfEEEZZNS1_9scan_implILNS1_25lookback_scan_determinismE0ELb0ELb0ES3_PKS6_PS6_S6_ZZZN2at6native31launch_logcumsumexp_cuda_kernelERKNSD_10TensorBaseESH_lENKUlvE_clEvENKUlvE3_clEvEUlS6_S6_E_S6_EEDaPvRmT3_T4_T5_mT6_P12ihipStream_tbENKUlT_T0_E_clISt17integral_constantIbLb0EESY_EEDaST_SU_EUlST_E_NS1_11comp_targetILNS1_3genE10ELNS1_11target_archE1201ELNS1_3gpuE5ELNS1_3repE0EEENS1_30default_config_static_selectorELNS0_4arch9wavefront6targetE1EEEvT1_,@function
_ZN7rocprim17ROCPRIM_400000_NS6detail17trampoline_kernelINS0_14default_configENS1_20scan_config_selectorIN3c104HalfEEEZZNS1_9scan_implILNS1_25lookback_scan_determinismE0ELb0ELb0ES3_PKS6_PS6_S6_ZZZN2at6native31launch_logcumsumexp_cuda_kernelERKNSD_10TensorBaseESH_lENKUlvE_clEvENKUlvE3_clEvEUlS6_S6_E_S6_EEDaPvRmT3_T4_T5_mT6_P12ihipStream_tbENKUlT_T0_E_clISt17integral_constantIbLb0EESY_EEDaST_SU_EUlST_E_NS1_11comp_targetILNS1_3genE10ELNS1_11target_archE1201ELNS1_3gpuE5ELNS1_3repE0EEENS1_30default_config_static_selectorELNS0_4arch9wavefront6targetE1EEEvT1_: ; @_ZN7rocprim17ROCPRIM_400000_NS6detail17trampoline_kernelINS0_14default_configENS1_20scan_config_selectorIN3c104HalfEEEZZNS1_9scan_implILNS1_25lookback_scan_determinismE0ELb0ELb0ES3_PKS6_PS6_S6_ZZZN2at6native31launch_logcumsumexp_cuda_kernelERKNSD_10TensorBaseESH_lENKUlvE_clEvENKUlvE3_clEvEUlS6_S6_E_S6_EEDaPvRmT3_T4_T5_mT6_P12ihipStream_tbENKUlT_T0_E_clISt17integral_constantIbLb0EESY_EEDaST_SU_EUlST_E_NS1_11comp_targetILNS1_3genE10ELNS1_11target_archE1201ELNS1_3gpuE5ELNS1_3repE0EEENS1_30default_config_static_selectorELNS0_4arch9wavefront6targetE1EEEvT1_
; %bb.0:
	.section	.rodata,"a",@progbits
	.p2align	6, 0x0
	.amdhsa_kernel _ZN7rocprim17ROCPRIM_400000_NS6detail17trampoline_kernelINS0_14default_configENS1_20scan_config_selectorIN3c104HalfEEEZZNS1_9scan_implILNS1_25lookback_scan_determinismE0ELb0ELb0ES3_PKS6_PS6_S6_ZZZN2at6native31launch_logcumsumexp_cuda_kernelERKNSD_10TensorBaseESH_lENKUlvE_clEvENKUlvE3_clEvEUlS6_S6_E_S6_EEDaPvRmT3_T4_T5_mT6_P12ihipStream_tbENKUlT_T0_E_clISt17integral_constantIbLb0EESY_EEDaST_SU_EUlST_E_NS1_11comp_targetILNS1_3genE10ELNS1_11target_archE1201ELNS1_3gpuE5ELNS1_3repE0EEENS1_30default_config_static_selectorELNS0_4arch9wavefront6targetE1EEEvT1_
		.amdhsa_group_segment_fixed_size 0
		.amdhsa_private_segment_fixed_size 0
		.amdhsa_kernarg_size 96
		.amdhsa_user_sgpr_count 6
		.amdhsa_user_sgpr_private_segment_buffer 1
		.amdhsa_user_sgpr_dispatch_ptr 0
		.amdhsa_user_sgpr_queue_ptr 0
		.amdhsa_user_sgpr_kernarg_segment_ptr 1
		.amdhsa_user_sgpr_dispatch_id 0
		.amdhsa_user_sgpr_flat_scratch_init 0
		.amdhsa_user_sgpr_private_segment_size 0
		.amdhsa_uses_dynamic_stack 0
		.amdhsa_system_sgpr_private_segment_wavefront_offset 0
		.amdhsa_system_sgpr_workgroup_id_x 1
		.amdhsa_system_sgpr_workgroup_id_y 0
		.amdhsa_system_sgpr_workgroup_id_z 0
		.amdhsa_system_sgpr_workgroup_info 0
		.amdhsa_system_vgpr_workitem_id 0
		.amdhsa_next_free_vgpr 1
		.amdhsa_next_free_sgpr 0
		.amdhsa_reserve_vcc 0
		.amdhsa_reserve_flat_scratch 0
		.amdhsa_float_round_mode_32 0
		.amdhsa_float_round_mode_16_64 0
		.amdhsa_float_denorm_mode_32 3
		.amdhsa_float_denorm_mode_16_64 3
		.amdhsa_dx10_clamp 1
		.amdhsa_ieee_mode 1
		.amdhsa_fp16_overflow 0
		.amdhsa_exception_fp_ieee_invalid_op 0
		.amdhsa_exception_fp_denorm_src 0
		.amdhsa_exception_fp_ieee_div_zero 0
		.amdhsa_exception_fp_ieee_overflow 0
		.amdhsa_exception_fp_ieee_underflow 0
		.amdhsa_exception_fp_ieee_inexact 0
		.amdhsa_exception_int_div_zero 0
	.end_amdhsa_kernel
	.section	.text._ZN7rocprim17ROCPRIM_400000_NS6detail17trampoline_kernelINS0_14default_configENS1_20scan_config_selectorIN3c104HalfEEEZZNS1_9scan_implILNS1_25lookback_scan_determinismE0ELb0ELb0ES3_PKS6_PS6_S6_ZZZN2at6native31launch_logcumsumexp_cuda_kernelERKNSD_10TensorBaseESH_lENKUlvE_clEvENKUlvE3_clEvEUlS6_S6_E_S6_EEDaPvRmT3_T4_T5_mT6_P12ihipStream_tbENKUlT_T0_E_clISt17integral_constantIbLb0EESY_EEDaST_SU_EUlST_E_NS1_11comp_targetILNS1_3genE10ELNS1_11target_archE1201ELNS1_3gpuE5ELNS1_3repE0EEENS1_30default_config_static_selectorELNS0_4arch9wavefront6targetE1EEEvT1_,"axG",@progbits,_ZN7rocprim17ROCPRIM_400000_NS6detail17trampoline_kernelINS0_14default_configENS1_20scan_config_selectorIN3c104HalfEEEZZNS1_9scan_implILNS1_25lookback_scan_determinismE0ELb0ELb0ES3_PKS6_PS6_S6_ZZZN2at6native31launch_logcumsumexp_cuda_kernelERKNSD_10TensorBaseESH_lENKUlvE_clEvENKUlvE3_clEvEUlS6_S6_E_S6_EEDaPvRmT3_T4_T5_mT6_P12ihipStream_tbENKUlT_T0_E_clISt17integral_constantIbLb0EESY_EEDaST_SU_EUlST_E_NS1_11comp_targetILNS1_3genE10ELNS1_11target_archE1201ELNS1_3gpuE5ELNS1_3repE0EEENS1_30default_config_static_selectorELNS0_4arch9wavefront6targetE1EEEvT1_,comdat
.Lfunc_end356:
	.size	_ZN7rocprim17ROCPRIM_400000_NS6detail17trampoline_kernelINS0_14default_configENS1_20scan_config_selectorIN3c104HalfEEEZZNS1_9scan_implILNS1_25lookback_scan_determinismE0ELb0ELb0ES3_PKS6_PS6_S6_ZZZN2at6native31launch_logcumsumexp_cuda_kernelERKNSD_10TensorBaseESH_lENKUlvE_clEvENKUlvE3_clEvEUlS6_S6_E_S6_EEDaPvRmT3_T4_T5_mT6_P12ihipStream_tbENKUlT_T0_E_clISt17integral_constantIbLb0EESY_EEDaST_SU_EUlST_E_NS1_11comp_targetILNS1_3genE10ELNS1_11target_archE1201ELNS1_3gpuE5ELNS1_3repE0EEENS1_30default_config_static_selectorELNS0_4arch9wavefront6targetE1EEEvT1_, .Lfunc_end356-_ZN7rocprim17ROCPRIM_400000_NS6detail17trampoline_kernelINS0_14default_configENS1_20scan_config_selectorIN3c104HalfEEEZZNS1_9scan_implILNS1_25lookback_scan_determinismE0ELb0ELb0ES3_PKS6_PS6_S6_ZZZN2at6native31launch_logcumsumexp_cuda_kernelERKNSD_10TensorBaseESH_lENKUlvE_clEvENKUlvE3_clEvEUlS6_S6_E_S6_EEDaPvRmT3_T4_T5_mT6_P12ihipStream_tbENKUlT_T0_E_clISt17integral_constantIbLb0EESY_EEDaST_SU_EUlST_E_NS1_11comp_targetILNS1_3genE10ELNS1_11target_archE1201ELNS1_3gpuE5ELNS1_3repE0EEENS1_30default_config_static_selectorELNS0_4arch9wavefront6targetE1EEEvT1_
                                        ; -- End function
	.set _ZN7rocprim17ROCPRIM_400000_NS6detail17trampoline_kernelINS0_14default_configENS1_20scan_config_selectorIN3c104HalfEEEZZNS1_9scan_implILNS1_25lookback_scan_determinismE0ELb0ELb0ES3_PKS6_PS6_S6_ZZZN2at6native31launch_logcumsumexp_cuda_kernelERKNSD_10TensorBaseESH_lENKUlvE_clEvENKUlvE3_clEvEUlS6_S6_E_S6_EEDaPvRmT3_T4_T5_mT6_P12ihipStream_tbENKUlT_T0_E_clISt17integral_constantIbLb0EESY_EEDaST_SU_EUlST_E_NS1_11comp_targetILNS1_3genE10ELNS1_11target_archE1201ELNS1_3gpuE5ELNS1_3repE0EEENS1_30default_config_static_selectorELNS0_4arch9wavefront6targetE1EEEvT1_.num_vgpr, 0
	.set _ZN7rocprim17ROCPRIM_400000_NS6detail17trampoline_kernelINS0_14default_configENS1_20scan_config_selectorIN3c104HalfEEEZZNS1_9scan_implILNS1_25lookback_scan_determinismE0ELb0ELb0ES3_PKS6_PS6_S6_ZZZN2at6native31launch_logcumsumexp_cuda_kernelERKNSD_10TensorBaseESH_lENKUlvE_clEvENKUlvE3_clEvEUlS6_S6_E_S6_EEDaPvRmT3_T4_T5_mT6_P12ihipStream_tbENKUlT_T0_E_clISt17integral_constantIbLb0EESY_EEDaST_SU_EUlST_E_NS1_11comp_targetILNS1_3genE10ELNS1_11target_archE1201ELNS1_3gpuE5ELNS1_3repE0EEENS1_30default_config_static_selectorELNS0_4arch9wavefront6targetE1EEEvT1_.num_agpr, 0
	.set _ZN7rocprim17ROCPRIM_400000_NS6detail17trampoline_kernelINS0_14default_configENS1_20scan_config_selectorIN3c104HalfEEEZZNS1_9scan_implILNS1_25lookback_scan_determinismE0ELb0ELb0ES3_PKS6_PS6_S6_ZZZN2at6native31launch_logcumsumexp_cuda_kernelERKNSD_10TensorBaseESH_lENKUlvE_clEvENKUlvE3_clEvEUlS6_S6_E_S6_EEDaPvRmT3_T4_T5_mT6_P12ihipStream_tbENKUlT_T0_E_clISt17integral_constantIbLb0EESY_EEDaST_SU_EUlST_E_NS1_11comp_targetILNS1_3genE10ELNS1_11target_archE1201ELNS1_3gpuE5ELNS1_3repE0EEENS1_30default_config_static_selectorELNS0_4arch9wavefront6targetE1EEEvT1_.numbered_sgpr, 0
	.set _ZN7rocprim17ROCPRIM_400000_NS6detail17trampoline_kernelINS0_14default_configENS1_20scan_config_selectorIN3c104HalfEEEZZNS1_9scan_implILNS1_25lookback_scan_determinismE0ELb0ELb0ES3_PKS6_PS6_S6_ZZZN2at6native31launch_logcumsumexp_cuda_kernelERKNSD_10TensorBaseESH_lENKUlvE_clEvENKUlvE3_clEvEUlS6_S6_E_S6_EEDaPvRmT3_T4_T5_mT6_P12ihipStream_tbENKUlT_T0_E_clISt17integral_constantIbLb0EESY_EEDaST_SU_EUlST_E_NS1_11comp_targetILNS1_3genE10ELNS1_11target_archE1201ELNS1_3gpuE5ELNS1_3repE0EEENS1_30default_config_static_selectorELNS0_4arch9wavefront6targetE1EEEvT1_.num_named_barrier, 0
	.set _ZN7rocprim17ROCPRIM_400000_NS6detail17trampoline_kernelINS0_14default_configENS1_20scan_config_selectorIN3c104HalfEEEZZNS1_9scan_implILNS1_25lookback_scan_determinismE0ELb0ELb0ES3_PKS6_PS6_S6_ZZZN2at6native31launch_logcumsumexp_cuda_kernelERKNSD_10TensorBaseESH_lENKUlvE_clEvENKUlvE3_clEvEUlS6_S6_E_S6_EEDaPvRmT3_T4_T5_mT6_P12ihipStream_tbENKUlT_T0_E_clISt17integral_constantIbLb0EESY_EEDaST_SU_EUlST_E_NS1_11comp_targetILNS1_3genE10ELNS1_11target_archE1201ELNS1_3gpuE5ELNS1_3repE0EEENS1_30default_config_static_selectorELNS0_4arch9wavefront6targetE1EEEvT1_.private_seg_size, 0
	.set _ZN7rocprim17ROCPRIM_400000_NS6detail17trampoline_kernelINS0_14default_configENS1_20scan_config_selectorIN3c104HalfEEEZZNS1_9scan_implILNS1_25lookback_scan_determinismE0ELb0ELb0ES3_PKS6_PS6_S6_ZZZN2at6native31launch_logcumsumexp_cuda_kernelERKNSD_10TensorBaseESH_lENKUlvE_clEvENKUlvE3_clEvEUlS6_S6_E_S6_EEDaPvRmT3_T4_T5_mT6_P12ihipStream_tbENKUlT_T0_E_clISt17integral_constantIbLb0EESY_EEDaST_SU_EUlST_E_NS1_11comp_targetILNS1_3genE10ELNS1_11target_archE1201ELNS1_3gpuE5ELNS1_3repE0EEENS1_30default_config_static_selectorELNS0_4arch9wavefront6targetE1EEEvT1_.uses_vcc, 0
	.set _ZN7rocprim17ROCPRIM_400000_NS6detail17trampoline_kernelINS0_14default_configENS1_20scan_config_selectorIN3c104HalfEEEZZNS1_9scan_implILNS1_25lookback_scan_determinismE0ELb0ELb0ES3_PKS6_PS6_S6_ZZZN2at6native31launch_logcumsumexp_cuda_kernelERKNSD_10TensorBaseESH_lENKUlvE_clEvENKUlvE3_clEvEUlS6_S6_E_S6_EEDaPvRmT3_T4_T5_mT6_P12ihipStream_tbENKUlT_T0_E_clISt17integral_constantIbLb0EESY_EEDaST_SU_EUlST_E_NS1_11comp_targetILNS1_3genE10ELNS1_11target_archE1201ELNS1_3gpuE5ELNS1_3repE0EEENS1_30default_config_static_selectorELNS0_4arch9wavefront6targetE1EEEvT1_.uses_flat_scratch, 0
	.set _ZN7rocprim17ROCPRIM_400000_NS6detail17trampoline_kernelINS0_14default_configENS1_20scan_config_selectorIN3c104HalfEEEZZNS1_9scan_implILNS1_25lookback_scan_determinismE0ELb0ELb0ES3_PKS6_PS6_S6_ZZZN2at6native31launch_logcumsumexp_cuda_kernelERKNSD_10TensorBaseESH_lENKUlvE_clEvENKUlvE3_clEvEUlS6_S6_E_S6_EEDaPvRmT3_T4_T5_mT6_P12ihipStream_tbENKUlT_T0_E_clISt17integral_constantIbLb0EESY_EEDaST_SU_EUlST_E_NS1_11comp_targetILNS1_3genE10ELNS1_11target_archE1201ELNS1_3gpuE5ELNS1_3repE0EEENS1_30default_config_static_selectorELNS0_4arch9wavefront6targetE1EEEvT1_.has_dyn_sized_stack, 0
	.set _ZN7rocprim17ROCPRIM_400000_NS6detail17trampoline_kernelINS0_14default_configENS1_20scan_config_selectorIN3c104HalfEEEZZNS1_9scan_implILNS1_25lookback_scan_determinismE0ELb0ELb0ES3_PKS6_PS6_S6_ZZZN2at6native31launch_logcumsumexp_cuda_kernelERKNSD_10TensorBaseESH_lENKUlvE_clEvENKUlvE3_clEvEUlS6_S6_E_S6_EEDaPvRmT3_T4_T5_mT6_P12ihipStream_tbENKUlT_T0_E_clISt17integral_constantIbLb0EESY_EEDaST_SU_EUlST_E_NS1_11comp_targetILNS1_3genE10ELNS1_11target_archE1201ELNS1_3gpuE5ELNS1_3repE0EEENS1_30default_config_static_selectorELNS0_4arch9wavefront6targetE1EEEvT1_.has_recursion, 0
	.set _ZN7rocprim17ROCPRIM_400000_NS6detail17trampoline_kernelINS0_14default_configENS1_20scan_config_selectorIN3c104HalfEEEZZNS1_9scan_implILNS1_25lookback_scan_determinismE0ELb0ELb0ES3_PKS6_PS6_S6_ZZZN2at6native31launch_logcumsumexp_cuda_kernelERKNSD_10TensorBaseESH_lENKUlvE_clEvENKUlvE3_clEvEUlS6_S6_E_S6_EEDaPvRmT3_T4_T5_mT6_P12ihipStream_tbENKUlT_T0_E_clISt17integral_constantIbLb0EESY_EEDaST_SU_EUlST_E_NS1_11comp_targetILNS1_3genE10ELNS1_11target_archE1201ELNS1_3gpuE5ELNS1_3repE0EEENS1_30default_config_static_selectorELNS0_4arch9wavefront6targetE1EEEvT1_.has_indirect_call, 0
	.section	.AMDGPU.csdata,"",@progbits
; Kernel info:
; codeLenInByte = 0
; TotalNumSgprs: 4
; NumVgprs: 0
; ScratchSize: 0
; MemoryBound: 0
; FloatMode: 240
; IeeeMode: 1
; LDSByteSize: 0 bytes/workgroup (compile time only)
; SGPRBlocks: 0
; VGPRBlocks: 0
; NumSGPRsForWavesPerEU: 4
; NumVGPRsForWavesPerEU: 1
; Occupancy: 10
; WaveLimiterHint : 0
; COMPUTE_PGM_RSRC2:SCRATCH_EN: 0
; COMPUTE_PGM_RSRC2:USER_SGPR: 6
; COMPUTE_PGM_RSRC2:TRAP_HANDLER: 0
; COMPUTE_PGM_RSRC2:TGID_X_EN: 1
; COMPUTE_PGM_RSRC2:TGID_Y_EN: 0
; COMPUTE_PGM_RSRC2:TGID_Z_EN: 0
; COMPUTE_PGM_RSRC2:TIDIG_COMP_CNT: 0
	.section	.text._ZN7rocprim17ROCPRIM_400000_NS6detail17trampoline_kernelINS0_14default_configENS1_20scan_config_selectorIN3c104HalfEEEZZNS1_9scan_implILNS1_25lookback_scan_determinismE0ELb0ELb0ES3_PKS6_PS6_S6_ZZZN2at6native31launch_logcumsumexp_cuda_kernelERKNSD_10TensorBaseESH_lENKUlvE_clEvENKUlvE3_clEvEUlS6_S6_E_S6_EEDaPvRmT3_T4_T5_mT6_P12ihipStream_tbENKUlT_T0_E_clISt17integral_constantIbLb0EESY_EEDaST_SU_EUlST_E_NS1_11comp_targetILNS1_3genE10ELNS1_11target_archE1200ELNS1_3gpuE4ELNS1_3repE0EEENS1_30default_config_static_selectorELNS0_4arch9wavefront6targetE1EEEvT1_,"axG",@progbits,_ZN7rocprim17ROCPRIM_400000_NS6detail17trampoline_kernelINS0_14default_configENS1_20scan_config_selectorIN3c104HalfEEEZZNS1_9scan_implILNS1_25lookback_scan_determinismE0ELb0ELb0ES3_PKS6_PS6_S6_ZZZN2at6native31launch_logcumsumexp_cuda_kernelERKNSD_10TensorBaseESH_lENKUlvE_clEvENKUlvE3_clEvEUlS6_S6_E_S6_EEDaPvRmT3_T4_T5_mT6_P12ihipStream_tbENKUlT_T0_E_clISt17integral_constantIbLb0EESY_EEDaST_SU_EUlST_E_NS1_11comp_targetILNS1_3genE10ELNS1_11target_archE1200ELNS1_3gpuE4ELNS1_3repE0EEENS1_30default_config_static_selectorELNS0_4arch9wavefront6targetE1EEEvT1_,comdat
	.globl	_ZN7rocprim17ROCPRIM_400000_NS6detail17trampoline_kernelINS0_14default_configENS1_20scan_config_selectorIN3c104HalfEEEZZNS1_9scan_implILNS1_25lookback_scan_determinismE0ELb0ELb0ES3_PKS6_PS6_S6_ZZZN2at6native31launch_logcumsumexp_cuda_kernelERKNSD_10TensorBaseESH_lENKUlvE_clEvENKUlvE3_clEvEUlS6_S6_E_S6_EEDaPvRmT3_T4_T5_mT6_P12ihipStream_tbENKUlT_T0_E_clISt17integral_constantIbLb0EESY_EEDaST_SU_EUlST_E_NS1_11comp_targetILNS1_3genE10ELNS1_11target_archE1200ELNS1_3gpuE4ELNS1_3repE0EEENS1_30default_config_static_selectorELNS0_4arch9wavefront6targetE1EEEvT1_ ; -- Begin function _ZN7rocprim17ROCPRIM_400000_NS6detail17trampoline_kernelINS0_14default_configENS1_20scan_config_selectorIN3c104HalfEEEZZNS1_9scan_implILNS1_25lookback_scan_determinismE0ELb0ELb0ES3_PKS6_PS6_S6_ZZZN2at6native31launch_logcumsumexp_cuda_kernelERKNSD_10TensorBaseESH_lENKUlvE_clEvENKUlvE3_clEvEUlS6_S6_E_S6_EEDaPvRmT3_T4_T5_mT6_P12ihipStream_tbENKUlT_T0_E_clISt17integral_constantIbLb0EESY_EEDaST_SU_EUlST_E_NS1_11comp_targetILNS1_3genE10ELNS1_11target_archE1200ELNS1_3gpuE4ELNS1_3repE0EEENS1_30default_config_static_selectorELNS0_4arch9wavefront6targetE1EEEvT1_
	.p2align	8
	.type	_ZN7rocprim17ROCPRIM_400000_NS6detail17trampoline_kernelINS0_14default_configENS1_20scan_config_selectorIN3c104HalfEEEZZNS1_9scan_implILNS1_25lookback_scan_determinismE0ELb0ELb0ES3_PKS6_PS6_S6_ZZZN2at6native31launch_logcumsumexp_cuda_kernelERKNSD_10TensorBaseESH_lENKUlvE_clEvENKUlvE3_clEvEUlS6_S6_E_S6_EEDaPvRmT3_T4_T5_mT6_P12ihipStream_tbENKUlT_T0_E_clISt17integral_constantIbLb0EESY_EEDaST_SU_EUlST_E_NS1_11comp_targetILNS1_3genE10ELNS1_11target_archE1200ELNS1_3gpuE4ELNS1_3repE0EEENS1_30default_config_static_selectorELNS0_4arch9wavefront6targetE1EEEvT1_,@function
_ZN7rocprim17ROCPRIM_400000_NS6detail17trampoline_kernelINS0_14default_configENS1_20scan_config_selectorIN3c104HalfEEEZZNS1_9scan_implILNS1_25lookback_scan_determinismE0ELb0ELb0ES3_PKS6_PS6_S6_ZZZN2at6native31launch_logcumsumexp_cuda_kernelERKNSD_10TensorBaseESH_lENKUlvE_clEvENKUlvE3_clEvEUlS6_S6_E_S6_EEDaPvRmT3_T4_T5_mT6_P12ihipStream_tbENKUlT_T0_E_clISt17integral_constantIbLb0EESY_EEDaST_SU_EUlST_E_NS1_11comp_targetILNS1_3genE10ELNS1_11target_archE1200ELNS1_3gpuE4ELNS1_3repE0EEENS1_30default_config_static_selectorELNS0_4arch9wavefront6targetE1EEEvT1_: ; @_ZN7rocprim17ROCPRIM_400000_NS6detail17trampoline_kernelINS0_14default_configENS1_20scan_config_selectorIN3c104HalfEEEZZNS1_9scan_implILNS1_25lookback_scan_determinismE0ELb0ELb0ES3_PKS6_PS6_S6_ZZZN2at6native31launch_logcumsumexp_cuda_kernelERKNSD_10TensorBaseESH_lENKUlvE_clEvENKUlvE3_clEvEUlS6_S6_E_S6_EEDaPvRmT3_T4_T5_mT6_P12ihipStream_tbENKUlT_T0_E_clISt17integral_constantIbLb0EESY_EEDaST_SU_EUlST_E_NS1_11comp_targetILNS1_3genE10ELNS1_11target_archE1200ELNS1_3gpuE4ELNS1_3repE0EEENS1_30default_config_static_selectorELNS0_4arch9wavefront6targetE1EEEvT1_
; %bb.0:
	.section	.rodata,"a",@progbits
	.p2align	6, 0x0
	.amdhsa_kernel _ZN7rocprim17ROCPRIM_400000_NS6detail17trampoline_kernelINS0_14default_configENS1_20scan_config_selectorIN3c104HalfEEEZZNS1_9scan_implILNS1_25lookback_scan_determinismE0ELb0ELb0ES3_PKS6_PS6_S6_ZZZN2at6native31launch_logcumsumexp_cuda_kernelERKNSD_10TensorBaseESH_lENKUlvE_clEvENKUlvE3_clEvEUlS6_S6_E_S6_EEDaPvRmT3_T4_T5_mT6_P12ihipStream_tbENKUlT_T0_E_clISt17integral_constantIbLb0EESY_EEDaST_SU_EUlST_E_NS1_11comp_targetILNS1_3genE10ELNS1_11target_archE1200ELNS1_3gpuE4ELNS1_3repE0EEENS1_30default_config_static_selectorELNS0_4arch9wavefront6targetE1EEEvT1_
		.amdhsa_group_segment_fixed_size 0
		.amdhsa_private_segment_fixed_size 0
		.amdhsa_kernarg_size 96
		.amdhsa_user_sgpr_count 6
		.amdhsa_user_sgpr_private_segment_buffer 1
		.amdhsa_user_sgpr_dispatch_ptr 0
		.amdhsa_user_sgpr_queue_ptr 0
		.amdhsa_user_sgpr_kernarg_segment_ptr 1
		.amdhsa_user_sgpr_dispatch_id 0
		.amdhsa_user_sgpr_flat_scratch_init 0
		.amdhsa_user_sgpr_private_segment_size 0
		.amdhsa_uses_dynamic_stack 0
		.amdhsa_system_sgpr_private_segment_wavefront_offset 0
		.amdhsa_system_sgpr_workgroup_id_x 1
		.amdhsa_system_sgpr_workgroup_id_y 0
		.amdhsa_system_sgpr_workgroup_id_z 0
		.amdhsa_system_sgpr_workgroup_info 0
		.amdhsa_system_vgpr_workitem_id 0
		.amdhsa_next_free_vgpr 1
		.amdhsa_next_free_sgpr 0
		.amdhsa_reserve_vcc 0
		.amdhsa_reserve_flat_scratch 0
		.amdhsa_float_round_mode_32 0
		.amdhsa_float_round_mode_16_64 0
		.amdhsa_float_denorm_mode_32 3
		.amdhsa_float_denorm_mode_16_64 3
		.amdhsa_dx10_clamp 1
		.amdhsa_ieee_mode 1
		.amdhsa_fp16_overflow 0
		.amdhsa_exception_fp_ieee_invalid_op 0
		.amdhsa_exception_fp_denorm_src 0
		.amdhsa_exception_fp_ieee_div_zero 0
		.amdhsa_exception_fp_ieee_overflow 0
		.amdhsa_exception_fp_ieee_underflow 0
		.amdhsa_exception_fp_ieee_inexact 0
		.amdhsa_exception_int_div_zero 0
	.end_amdhsa_kernel
	.section	.text._ZN7rocprim17ROCPRIM_400000_NS6detail17trampoline_kernelINS0_14default_configENS1_20scan_config_selectorIN3c104HalfEEEZZNS1_9scan_implILNS1_25lookback_scan_determinismE0ELb0ELb0ES3_PKS6_PS6_S6_ZZZN2at6native31launch_logcumsumexp_cuda_kernelERKNSD_10TensorBaseESH_lENKUlvE_clEvENKUlvE3_clEvEUlS6_S6_E_S6_EEDaPvRmT3_T4_T5_mT6_P12ihipStream_tbENKUlT_T0_E_clISt17integral_constantIbLb0EESY_EEDaST_SU_EUlST_E_NS1_11comp_targetILNS1_3genE10ELNS1_11target_archE1200ELNS1_3gpuE4ELNS1_3repE0EEENS1_30default_config_static_selectorELNS0_4arch9wavefront6targetE1EEEvT1_,"axG",@progbits,_ZN7rocprim17ROCPRIM_400000_NS6detail17trampoline_kernelINS0_14default_configENS1_20scan_config_selectorIN3c104HalfEEEZZNS1_9scan_implILNS1_25lookback_scan_determinismE0ELb0ELb0ES3_PKS6_PS6_S6_ZZZN2at6native31launch_logcumsumexp_cuda_kernelERKNSD_10TensorBaseESH_lENKUlvE_clEvENKUlvE3_clEvEUlS6_S6_E_S6_EEDaPvRmT3_T4_T5_mT6_P12ihipStream_tbENKUlT_T0_E_clISt17integral_constantIbLb0EESY_EEDaST_SU_EUlST_E_NS1_11comp_targetILNS1_3genE10ELNS1_11target_archE1200ELNS1_3gpuE4ELNS1_3repE0EEENS1_30default_config_static_selectorELNS0_4arch9wavefront6targetE1EEEvT1_,comdat
.Lfunc_end357:
	.size	_ZN7rocprim17ROCPRIM_400000_NS6detail17trampoline_kernelINS0_14default_configENS1_20scan_config_selectorIN3c104HalfEEEZZNS1_9scan_implILNS1_25lookback_scan_determinismE0ELb0ELb0ES3_PKS6_PS6_S6_ZZZN2at6native31launch_logcumsumexp_cuda_kernelERKNSD_10TensorBaseESH_lENKUlvE_clEvENKUlvE3_clEvEUlS6_S6_E_S6_EEDaPvRmT3_T4_T5_mT6_P12ihipStream_tbENKUlT_T0_E_clISt17integral_constantIbLb0EESY_EEDaST_SU_EUlST_E_NS1_11comp_targetILNS1_3genE10ELNS1_11target_archE1200ELNS1_3gpuE4ELNS1_3repE0EEENS1_30default_config_static_selectorELNS0_4arch9wavefront6targetE1EEEvT1_, .Lfunc_end357-_ZN7rocprim17ROCPRIM_400000_NS6detail17trampoline_kernelINS0_14default_configENS1_20scan_config_selectorIN3c104HalfEEEZZNS1_9scan_implILNS1_25lookback_scan_determinismE0ELb0ELb0ES3_PKS6_PS6_S6_ZZZN2at6native31launch_logcumsumexp_cuda_kernelERKNSD_10TensorBaseESH_lENKUlvE_clEvENKUlvE3_clEvEUlS6_S6_E_S6_EEDaPvRmT3_T4_T5_mT6_P12ihipStream_tbENKUlT_T0_E_clISt17integral_constantIbLb0EESY_EEDaST_SU_EUlST_E_NS1_11comp_targetILNS1_3genE10ELNS1_11target_archE1200ELNS1_3gpuE4ELNS1_3repE0EEENS1_30default_config_static_selectorELNS0_4arch9wavefront6targetE1EEEvT1_
                                        ; -- End function
	.set _ZN7rocprim17ROCPRIM_400000_NS6detail17trampoline_kernelINS0_14default_configENS1_20scan_config_selectorIN3c104HalfEEEZZNS1_9scan_implILNS1_25lookback_scan_determinismE0ELb0ELb0ES3_PKS6_PS6_S6_ZZZN2at6native31launch_logcumsumexp_cuda_kernelERKNSD_10TensorBaseESH_lENKUlvE_clEvENKUlvE3_clEvEUlS6_S6_E_S6_EEDaPvRmT3_T4_T5_mT6_P12ihipStream_tbENKUlT_T0_E_clISt17integral_constantIbLb0EESY_EEDaST_SU_EUlST_E_NS1_11comp_targetILNS1_3genE10ELNS1_11target_archE1200ELNS1_3gpuE4ELNS1_3repE0EEENS1_30default_config_static_selectorELNS0_4arch9wavefront6targetE1EEEvT1_.num_vgpr, 0
	.set _ZN7rocprim17ROCPRIM_400000_NS6detail17trampoline_kernelINS0_14default_configENS1_20scan_config_selectorIN3c104HalfEEEZZNS1_9scan_implILNS1_25lookback_scan_determinismE0ELb0ELb0ES3_PKS6_PS6_S6_ZZZN2at6native31launch_logcumsumexp_cuda_kernelERKNSD_10TensorBaseESH_lENKUlvE_clEvENKUlvE3_clEvEUlS6_S6_E_S6_EEDaPvRmT3_T4_T5_mT6_P12ihipStream_tbENKUlT_T0_E_clISt17integral_constantIbLb0EESY_EEDaST_SU_EUlST_E_NS1_11comp_targetILNS1_3genE10ELNS1_11target_archE1200ELNS1_3gpuE4ELNS1_3repE0EEENS1_30default_config_static_selectorELNS0_4arch9wavefront6targetE1EEEvT1_.num_agpr, 0
	.set _ZN7rocprim17ROCPRIM_400000_NS6detail17trampoline_kernelINS0_14default_configENS1_20scan_config_selectorIN3c104HalfEEEZZNS1_9scan_implILNS1_25lookback_scan_determinismE0ELb0ELb0ES3_PKS6_PS6_S6_ZZZN2at6native31launch_logcumsumexp_cuda_kernelERKNSD_10TensorBaseESH_lENKUlvE_clEvENKUlvE3_clEvEUlS6_S6_E_S6_EEDaPvRmT3_T4_T5_mT6_P12ihipStream_tbENKUlT_T0_E_clISt17integral_constantIbLb0EESY_EEDaST_SU_EUlST_E_NS1_11comp_targetILNS1_3genE10ELNS1_11target_archE1200ELNS1_3gpuE4ELNS1_3repE0EEENS1_30default_config_static_selectorELNS0_4arch9wavefront6targetE1EEEvT1_.numbered_sgpr, 0
	.set _ZN7rocprim17ROCPRIM_400000_NS6detail17trampoline_kernelINS0_14default_configENS1_20scan_config_selectorIN3c104HalfEEEZZNS1_9scan_implILNS1_25lookback_scan_determinismE0ELb0ELb0ES3_PKS6_PS6_S6_ZZZN2at6native31launch_logcumsumexp_cuda_kernelERKNSD_10TensorBaseESH_lENKUlvE_clEvENKUlvE3_clEvEUlS6_S6_E_S6_EEDaPvRmT3_T4_T5_mT6_P12ihipStream_tbENKUlT_T0_E_clISt17integral_constantIbLb0EESY_EEDaST_SU_EUlST_E_NS1_11comp_targetILNS1_3genE10ELNS1_11target_archE1200ELNS1_3gpuE4ELNS1_3repE0EEENS1_30default_config_static_selectorELNS0_4arch9wavefront6targetE1EEEvT1_.num_named_barrier, 0
	.set _ZN7rocprim17ROCPRIM_400000_NS6detail17trampoline_kernelINS0_14default_configENS1_20scan_config_selectorIN3c104HalfEEEZZNS1_9scan_implILNS1_25lookback_scan_determinismE0ELb0ELb0ES3_PKS6_PS6_S6_ZZZN2at6native31launch_logcumsumexp_cuda_kernelERKNSD_10TensorBaseESH_lENKUlvE_clEvENKUlvE3_clEvEUlS6_S6_E_S6_EEDaPvRmT3_T4_T5_mT6_P12ihipStream_tbENKUlT_T0_E_clISt17integral_constantIbLb0EESY_EEDaST_SU_EUlST_E_NS1_11comp_targetILNS1_3genE10ELNS1_11target_archE1200ELNS1_3gpuE4ELNS1_3repE0EEENS1_30default_config_static_selectorELNS0_4arch9wavefront6targetE1EEEvT1_.private_seg_size, 0
	.set _ZN7rocprim17ROCPRIM_400000_NS6detail17trampoline_kernelINS0_14default_configENS1_20scan_config_selectorIN3c104HalfEEEZZNS1_9scan_implILNS1_25lookback_scan_determinismE0ELb0ELb0ES3_PKS6_PS6_S6_ZZZN2at6native31launch_logcumsumexp_cuda_kernelERKNSD_10TensorBaseESH_lENKUlvE_clEvENKUlvE3_clEvEUlS6_S6_E_S6_EEDaPvRmT3_T4_T5_mT6_P12ihipStream_tbENKUlT_T0_E_clISt17integral_constantIbLb0EESY_EEDaST_SU_EUlST_E_NS1_11comp_targetILNS1_3genE10ELNS1_11target_archE1200ELNS1_3gpuE4ELNS1_3repE0EEENS1_30default_config_static_selectorELNS0_4arch9wavefront6targetE1EEEvT1_.uses_vcc, 0
	.set _ZN7rocprim17ROCPRIM_400000_NS6detail17trampoline_kernelINS0_14default_configENS1_20scan_config_selectorIN3c104HalfEEEZZNS1_9scan_implILNS1_25lookback_scan_determinismE0ELb0ELb0ES3_PKS6_PS6_S6_ZZZN2at6native31launch_logcumsumexp_cuda_kernelERKNSD_10TensorBaseESH_lENKUlvE_clEvENKUlvE3_clEvEUlS6_S6_E_S6_EEDaPvRmT3_T4_T5_mT6_P12ihipStream_tbENKUlT_T0_E_clISt17integral_constantIbLb0EESY_EEDaST_SU_EUlST_E_NS1_11comp_targetILNS1_3genE10ELNS1_11target_archE1200ELNS1_3gpuE4ELNS1_3repE0EEENS1_30default_config_static_selectorELNS0_4arch9wavefront6targetE1EEEvT1_.uses_flat_scratch, 0
	.set _ZN7rocprim17ROCPRIM_400000_NS6detail17trampoline_kernelINS0_14default_configENS1_20scan_config_selectorIN3c104HalfEEEZZNS1_9scan_implILNS1_25lookback_scan_determinismE0ELb0ELb0ES3_PKS6_PS6_S6_ZZZN2at6native31launch_logcumsumexp_cuda_kernelERKNSD_10TensorBaseESH_lENKUlvE_clEvENKUlvE3_clEvEUlS6_S6_E_S6_EEDaPvRmT3_T4_T5_mT6_P12ihipStream_tbENKUlT_T0_E_clISt17integral_constantIbLb0EESY_EEDaST_SU_EUlST_E_NS1_11comp_targetILNS1_3genE10ELNS1_11target_archE1200ELNS1_3gpuE4ELNS1_3repE0EEENS1_30default_config_static_selectorELNS0_4arch9wavefront6targetE1EEEvT1_.has_dyn_sized_stack, 0
	.set _ZN7rocprim17ROCPRIM_400000_NS6detail17trampoline_kernelINS0_14default_configENS1_20scan_config_selectorIN3c104HalfEEEZZNS1_9scan_implILNS1_25lookback_scan_determinismE0ELb0ELb0ES3_PKS6_PS6_S6_ZZZN2at6native31launch_logcumsumexp_cuda_kernelERKNSD_10TensorBaseESH_lENKUlvE_clEvENKUlvE3_clEvEUlS6_S6_E_S6_EEDaPvRmT3_T4_T5_mT6_P12ihipStream_tbENKUlT_T0_E_clISt17integral_constantIbLb0EESY_EEDaST_SU_EUlST_E_NS1_11comp_targetILNS1_3genE10ELNS1_11target_archE1200ELNS1_3gpuE4ELNS1_3repE0EEENS1_30default_config_static_selectorELNS0_4arch9wavefront6targetE1EEEvT1_.has_recursion, 0
	.set _ZN7rocprim17ROCPRIM_400000_NS6detail17trampoline_kernelINS0_14default_configENS1_20scan_config_selectorIN3c104HalfEEEZZNS1_9scan_implILNS1_25lookback_scan_determinismE0ELb0ELb0ES3_PKS6_PS6_S6_ZZZN2at6native31launch_logcumsumexp_cuda_kernelERKNSD_10TensorBaseESH_lENKUlvE_clEvENKUlvE3_clEvEUlS6_S6_E_S6_EEDaPvRmT3_T4_T5_mT6_P12ihipStream_tbENKUlT_T0_E_clISt17integral_constantIbLb0EESY_EEDaST_SU_EUlST_E_NS1_11comp_targetILNS1_3genE10ELNS1_11target_archE1200ELNS1_3gpuE4ELNS1_3repE0EEENS1_30default_config_static_selectorELNS0_4arch9wavefront6targetE1EEEvT1_.has_indirect_call, 0
	.section	.AMDGPU.csdata,"",@progbits
; Kernel info:
; codeLenInByte = 0
; TotalNumSgprs: 4
; NumVgprs: 0
; ScratchSize: 0
; MemoryBound: 0
; FloatMode: 240
; IeeeMode: 1
; LDSByteSize: 0 bytes/workgroup (compile time only)
; SGPRBlocks: 0
; VGPRBlocks: 0
; NumSGPRsForWavesPerEU: 4
; NumVGPRsForWavesPerEU: 1
; Occupancy: 10
; WaveLimiterHint : 0
; COMPUTE_PGM_RSRC2:SCRATCH_EN: 0
; COMPUTE_PGM_RSRC2:USER_SGPR: 6
; COMPUTE_PGM_RSRC2:TRAP_HANDLER: 0
; COMPUTE_PGM_RSRC2:TGID_X_EN: 1
; COMPUTE_PGM_RSRC2:TGID_Y_EN: 0
; COMPUTE_PGM_RSRC2:TGID_Z_EN: 0
; COMPUTE_PGM_RSRC2:TIDIG_COMP_CNT: 0
	.section	.text._ZN7rocprim17ROCPRIM_400000_NS6detail17trampoline_kernelINS0_14default_configENS1_20scan_config_selectorIN3c104HalfEEEZZNS1_9scan_implILNS1_25lookback_scan_determinismE0ELb0ELb0ES3_PKS6_PS6_S6_ZZZN2at6native31launch_logcumsumexp_cuda_kernelERKNSD_10TensorBaseESH_lENKUlvE_clEvENKUlvE3_clEvEUlS6_S6_E_S6_EEDaPvRmT3_T4_T5_mT6_P12ihipStream_tbENKUlT_T0_E_clISt17integral_constantIbLb0EESY_EEDaST_SU_EUlST_E_NS1_11comp_targetILNS1_3genE9ELNS1_11target_archE1100ELNS1_3gpuE3ELNS1_3repE0EEENS1_30default_config_static_selectorELNS0_4arch9wavefront6targetE1EEEvT1_,"axG",@progbits,_ZN7rocprim17ROCPRIM_400000_NS6detail17trampoline_kernelINS0_14default_configENS1_20scan_config_selectorIN3c104HalfEEEZZNS1_9scan_implILNS1_25lookback_scan_determinismE0ELb0ELb0ES3_PKS6_PS6_S6_ZZZN2at6native31launch_logcumsumexp_cuda_kernelERKNSD_10TensorBaseESH_lENKUlvE_clEvENKUlvE3_clEvEUlS6_S6_E_S6_EEDaPvRmT3_T4_T5_mT6_P12ihipStream_tbENKUlT_T0_E_clISt17integral_constantIbLb0EESY_EEDaST_SU_EUlST_E_NS1_11comp_targetILNS1_3genE9ELNS1_11target_archE1100ELNS1_3gpuE3ELNS1_3repE0EEENS1_30default_config_static_selectorELNS0_4arch9wavefront6targetE1EEEvT1_,comdat
	.globl	_ZN7rocprim17ROCPRIM_400000_NS6detail17trampoline_kernelINS0_14default_configENS1_20scan_config_selectorIN3c104HalfEEEZZNS1_9scan_implILNS1_25lookback_scan_determinismE0ELb0ELb0ES3_PKS6_PS6_S6_ZZZN2at6native31launch_logcumsumexp_cuda_kernelERKNSD_10TensorBaseESH_lENKUlvE_clEvENKUlvE3_clEvEUlS6_S6_E_S6_EEDaPvRmT3_T4_T5_mT6_P12ihipStream_tbENKUlT_T0_E_clISt17integral_constantIbLb0EESY_EEDaST_SU_EUlST_E_NS1_11comp_targetILNS1_3genE9ELNS1_11target_archE1100ELNS1_3gpuE3ELNS1_3repE0EEENS1_30default_config_static_selectorELNS0_4arch9wavefront6targetE1EEEvT1_ ; -- Begin function _ZN7rocprim17ROCPRIM_400000_NS6detail17trampoline_kernelINS0_14default_configENS1_20scan_config_selectorIN3c104HalfEEEZZNS1_9scan_implILNS1_25lookback_scan_determinismE0ELb0ELb0ES3_PKS6_PS6_S6_ZZZN2at6native31launch_logcumsumexp_cuda_kernelERKNSD_10TensorBaseESH_lENKUlvE_clEvENKUlvE3_clEvEUlS6_S6_E_S6_EEDaPvRmT3_T4_T5_mT6_P12ihipStream_tbENKUlT_T0_E_clISt17integral_constantIbLb0EESY_EEDaST_SU_EUlST_E_NS1_11comp_targetILNS1_3genE9ELNS1_11target_archE1100ELNS1_3gpuE3ELNS1_3repE0EEENS1_30default_config_static_selectorELNS0_4arch9wavefront6targetE1EEEvT1_
	.p2align	8
	.type	_ZN7rocprim17ROCPRIM_400000_NS6detail17trampoline_kernelINS0_14default_configENS1_20scan_config_selectorIN3c104HalfEEEZZNS1_9scan_implILNS1_25lookback_scan_determinismE0ELb0ELb0ES3_PKS6_PS6_S6_ZZZN2at6native31launch_logcumsumexp_cuda_kernelERKNSD_10TensorBaseESH_lENKUlvE_clEvENKUlvE3_clEvEUlS6_S6_E_S6_EEDaPvRmT3_T4_T5_mT6_P12ihipStream_tbENKUlT_T0_E_clISt17integral_constantIbLb0EESY_EEDaST_SU_EUlST_E_NS1_11comp_targetILNS1_3genE9ELNS1_11target_archE1100ELNS1_3gpuE3ELNS1_3repE0EEENS1_30default_config_static_selectorELNS0_4arch9wavefront6targetE1EEEvT1_,@function
_ZN7rocprim17ROCPRIM_400000_NS6detail17trampoline_kernelINS0_14default_configENS1_20scan_config_selectorIN3c104HalfEEEZZNS1_9scan_implILNS1_25lookback_scan_determinismE0ELb0ELb0ES3_PKS6_PS6_S6_ZZZN2at6native31launch_logcumsumexp_cuda_kernelERKNSD_10TensorBaseESH_lENKUlvE_clEvENKUlvE3_clEvEUlS6_S6_E_S6_EEDaPvRmT3_T4_T5_mT6_P12ihipStream_tbENKUlT_T0_E_clISt17integral_constantIbLb0EESY_EEDaST_SU_EUlST_E_NS1_11comp_targetILNS1_3genE9ELNS1_11target_archE1100ELNS1_3gpuE3ELNS1_3repE0EEENS1_30default_config_static_selectorELNS0_4arch9wavefront6targetE1EEEvT1_: ; @_ZN7rocprim17ROCPRIM_400000_NS6detail17trampoline_kernelINS0_14default_configENS1_20scan_config_selectorIN3c104HalfEEEZZNS1_9scan_implILNS1_25lookback_scan_determinismE0ELb0ELb0ES3_PKS6_PS6_S6_ZZZN2at6native31launch_logcumsumexp_cuda_kernelERKNSD_10TensorBaseESH_lENKUlvE_clEvENKUlvE3_clEvEUlS6_S6_E_S6_EEDaPvRmT3_T4_T5_mT6_P12ihipStream_tbENKUlT_T0_E_clISt17integral_constantIbLb0EESY_EEDaST_SU_EUlST_E_NS1_11comp_targetILNS1_3genE9ELNS1_11target_archE1100ELNS1_3gpuE3ELNS1_3repE0EEENS1_30default_config_static_selectorELNS0_4arch9wavefront6targetE1EEEvT1_
; %bb.0:
	.section	.rodata,"a",@progbits
	.p2align	6, 0x0
	.amdhsa_kernel _ZN7rocprim17ROCPRIM_400000_NS6detail17trampoline_kernelINS0_14default_configENS1_20scan_config_selectorIN3c104HalfEEEZZNS1_9scan_implILNS1_25lookback_scan_determinismE0ELb0ELb0ES3_PKS6_PS6_S6_ZZZN2at6native31launch_logcumsumexp_cuda_kernelERKNSD_10TensorBaseESH_lENKUlvE_clEvENKUlvE3_clEvEUlS6_S6_E_S6_EEDaPvRmT3_T4_T5_mT6_P12ihipStream_tbENKUlT_T0_E_clISt17integral_constantIbLb0EESY_EEDaST_SU_EUlST_E_NS1_11comp_targetILNS1_3genE9ELNS1_11target_archE1100ELNS1_3gpuE3ELNS1_3repE0EEENS1_30default_config_static_selectorELNS0_4arch9wavefront6targetE1EEEvT1_
		.amdhsa_group_segment_fixed_size 0
		.amdhsa_private_segment_fixed_size 0
		.amdhsa_kernarg_size 96
		.amdhsa_user_sgpr_count 6
		.amdhsa_user_sgpr_private_segment_buffer 1
		.amdhsa_user_sgpr_dispatch_ptr 0
		.amdhsa_user_sgpr_queue_ptr 0
		.amdhsa_user_sgpr_kernarg_segment_ptr 1
		.amdhsa_user_sgpr_dispatch_id 0
		.amdhsa_user_sgpr_flat_scratch_init 0
		.amdhsa_user_sgpr_private_segment_size 0
		.amdhsa_uses_dynamic_stack 0
		.amdhsa_system_sgpr_private_segment_wavefront_offset 0
		.amdhsa_system_sgpr_workgroup_id_x 1
		.amdhsa_system_sgpr_workgroup_id_y 0
		.amdhsa_system_sgpr_workgroup_id_z 0
		.amdhsa_system_sgpr_workgroup_info 0
		.amdhsa_system_vgpr_workitem_id 0
		.amdhsa_next_free_vgpr 1
		.amdhsa_next_free_sgpr 0
		.amdhsa_reserve_vcc 0
		.amdhsa_reserve_flat_scratch 0
		.amdhsa_float_round_mode_32 0
		.amdhsa_float_round_mode_16_64 0
		.amdhsa_float_denorm_mode_32 3
		.amdhsa_float_denorm_mode_16_64 3
		.amdhsa_dx10_clamp 1
		.amdhsa_ieee_mode 1
		.amdhsa_fp16_overflow 0
		.amdhsa_exception_fp_ieee_invalid_op 0
		.amdhsa_exception_fp_denorm_src 0
		.amdhsa_exception_fp_ieee_div_zero 0
		.amdhsa_exception_fp_ieee_overflow 0
		.amdhsa_exception_fp_ieee_underflow 0
		.amdhsa_exception_fp_ieee_inexact 0
		.amdhsa_exception_int_div_zero 0
	.end_amdhsa_kernel
	.section	.text._ZN7rocprim17ROCPRIM_400000_NS6detail17trampoline_kernelINS0_14default_configENS1_20scan_config_selectorIN3c104HalfEEEZZNS1_9scan_implILNS1_25lookback_scan_determinismE0ELb0ELb0ES3_PKS6_PS6_S6_ZZZN2at6native31launch_logcumsumexp_cuda_kernelERKNSD_10TensorBaseESH_lENKUlvE_clEvENKUlvE3_clEvEUlS6_S6_E_S6_EEDaPvRmT3_T4_T5_mT6_P12ihipStream_tbENKUlT_T0_E_clISt17integral_constantIbLb0EESY_EEDaST_SU_EUlST_E_NS1_11comp_targetILNS1_3genE9ELNS1_11target_archE1100ELNS1_3gpuE3ELNS1_3repE0EEENS1_30default_config_static_selectorELNS0_4arch9wavefront6targetE1EEEvT1_,"axG",@progbits,_ZN7rocprim17ROCPRIM_400000_NS6detail17trampoline_kernelINS0_14default_configENS1_20scan_config_selectorIN3c104HalfEEEZZNS1_9scan_implILNS1_25lookback_scan_determinismE0ELb0ELb0ES3_PKS6_PS6_S6_ZZZN2at6native31launch_logcumsumexp_cuda_kernelERKNSD_10TensorBaseESH_lENKUlvE_clEvENKUlvE3_clEvEUlS6_S6_E_S6_EEDaPvRmT3_T4_T5_mT6_P12ihipStream_tbENKUlT_T0_E_clISt17integral_constantIbLb0EESY_EEDaST_SU_EUlST_E_NS1_11comp_targetILNS1_3genE9ELNS1_11target_archE1100ELNS1_3gpuE3ELNS1_3repE0EEENS1_30default_config_static_selectorELNS0_4arch9wavefront6targetE1EEEvT1_,comdat
.Lfunc_end358:
	.size	_ZN7rocprim17ROCPRIM_400000_NS6detail17trampoline_kernelINS0_14default_configENS1_20scan_config_selectorIN3c104HalfEEEZZNS1_9scan_implILNS1_25lookback_scan_determinismE0ELb0ELb0ES3_PKS6_PS6_S6_ZZZN2at6native31launch_logcumsumexp_cuda_kernelERKNSD_10TensorBaseESH_lENKUlvE_clEvENKUlvE3_clEvEUlS6_S6_E_S6_EEDaPvRmT3_T4_T5_mT6_P12ihipStream_tbENKUlT_T0_E_clISt17integral_constantIbLb0EESY_EEDaST_SU_EUlST_E_NS1_11comp_targetILNS1_3genE9ELNS1_11target_archE1100ELNS1_3gpuE3ELNS1_3repE0EEENS1_30default_config_static_selectorELNS0_4arch9wavefront6targetE1EEEvT1_, .Lfunc_end358-_ZN7rocprim17ROCPRIM_400000_NS6detail17trampoline_kernelINS0_14default_configENS1_20scan_config_selectorIN3c104HalfEEEZZNS1_9scan_implILNS1_25lookback_scan_determinismE0ELb0ELb0ES3_PKS6_PS6_S6_ZZZN2at6native31launch_logcumsumexp_cuda_kernelERKNSD_10TensorBaseESH_lENKUlvE_clEvENKUlvE3_clEvEUlS6_S6_E_S6_EEDaPvRmT3_T4_T5_mT6_P12ihipStream_tbENKUlT_T0_E_clISt17integral_constantIbLb0EESY_EEDaST_SU_EUlST_E_NS1_11comp_targetILNS1_3genE9ELNS1_11target_archE1100ELNS1_3gpuE3ELNS1_3repE0EEENS1_30default_config_static_selectorELNS0_4arch9wavefront6targetE1EEEvT1_
                                        ; -- End function
	.set _ZN7rocprim17ROCPRIM_400000_NS6detail17trampoline_kernelINS0_14default_configENS1_20scan_config_selectorIN3c104HalfEEEZZNS1_9scan_implILNS1_25lookback_scan_determinismE0ELb0ELb0ES3_PKS6_PS6_S6_ZZZN2at6native31launch_logcumsumexp_cuda_kernelERKNSD_10TensorBaseESH_lENKUlvE_clEvENKUlvE3_clEvEUlS6_S6_E_S6_EEDaPvRmT3_T4_T5_mT6_P12ihipStream_tbENKUlT_T0_E_clISt17integral_constantIbLb0EESY_EEDaST_SU_EUlST_E_NS1_11comp_targetILNS1_3genE9ELNS1_11target_archE1100ELNS1_3gpuE3ELNS1_3repE0EEENS1_30default_config_static_selectorELNS0_4arch9wavefront6targetE1EEEvT1_.num_vgpr, 0
	.set _ZN7rocprim17ROCPRIM_400000_NS6detail17trampoline_kernelINS0_14default_configENS1_20scan_config_selectorIN3c104HalfEEEZZNS1_9scan_implILNS1_25lookback_scan_determinismE0ELb0ELb0ES3_PKS6_PS6_S6_ZZZN2at6native31launch_logcumsumexp_cuda_kernelERKNSD_10TensorBaseESH_lENKUlvE_clEvENKUlvE3_clEvEUlS6_S6_E_S6_EEDaPvRmT3_T4_T5_mT6_P12ihipStream_tbENKUlT_T0_E_clISt17integral_constantIbLb0EESY_EEDaST_SU_EUlST_E_NS1_11comp_targetILNS1_3genE9ELNS1_11target_archE1100ELNS1_3gpuE3ELNS1_3repE0EEENS1_30default_config_static_selectorELNS0_4arch9wavefront6targetE1EEEvT1_.num_agpr, 0
	.set _ZN7rocprim17ROCPRIM_400000_NS6detail17trampoline_kernelINS0_14default_configENS1_20scan_config_selectorIN3c104HalfEEEZZNS1_9scan_implILNS1_25lookback_scan_determinismE0ELb0ELb0ES3_PKS6_PS6_S6_ZZZN2at6native31launch_logcumsumexp_cuda_kernelERKNSD_10TensorBaseESH_lENKUlvE_clEvENKUlvE3_clEvEUlS6_S6_E_S6_EEDaPvRmT3_T4_T5_mT6_P12ihipStream_tbENKUlT_T0_E_clISt17integral_constantIbLb0EESY_EEDaST_SU_EUlST_E_NS1_11comp_targetILNS1_3genE9ELNS1_11target_archE1100ELNS1_3gpuE3ELNS1_3repE0EEENS1_30default_config_static_selectorELNS0_4arch9wavefront6targetE1EEEvT1_.numbered_sgpr, 0
	.set _ZN7rocprim17ROCPRIM_400000_NS6detail17trampoline_kernelINS0_14default_configENS1_20scan_config_selectorIN3c104HalfEEEZZNS1_9scan_implILNS1_25lookback_scan_determinismE0ELb0ELb0ES3_PKS6_PS6_S6_ZZZN2at6native31launch_logcumsumexp_cuda_kernelERKNSD_10TensorBaseESH_lENKUlvE_clEvENKUlvE3_clEvEUlS6_S6_E_S6_EEDaPvRmT3_T4_T5_mT6_P12ihipStream_tbENKUlT_T0_E_clISt17integral_constantIbLb0EESY_EEDaST_SU_EUlST_E_NS1_11comp_targetILNS1_3genE9ELNS1_11target_archE1100ELNS1_3gpuE3ELNS1_3repE0EEENS1_30default_config_static_selectorELNS0_4arch9wavefront6targetE1EEEvT1_.num_named_barrier, 0
	.set _ZN7rocprim17ROCPRIM_400000_NS6detail17trampoline_kernelINS0_14default_configENS1_20scan_config_selectorIN3c104HalfEEEZZNS1_9scan_implILNS1_25lookback_scan_determinismE0ELb0ELb0ES3_PKS6_PS6_S6_ZZZN2at6native31launch_logcumsumexp_cuda_kernelERKNSD_10TensorBaseESH_lENKUlvE_clEvENKUlvE3_clEvEUlS6_S6_E_S6_EEDaPvRmT3_T4_T5_mT6_P12ihipStream_tbENKUlT_T0_E_clISt17integral_constantIbLb0EESY_EEDaST_SU_EUlST_E_NS1_11comp_targetILNS1_3genE9ELNS1_11target_archE1100ELNS1_3gpuE3ELNS1_3repE0EEENS1_30default_config_static_selectorELNS0_4arch9wavefront6targetE1EEEvT1_.private_seg_size, 0
	.set _ZN7rocprim17ROCPRIM_400000_NS6detail17trampoline_kernelINS0_14default_configENS1_20scan_config_selectorIN3c104HalfEEEZZNS1_9scan_implILNS1_25lookback_scan_determinismE0ELb0ELb0ES3_PKS6_PS6_S6_ZZZN2at6native31launch_logcumsumexp_cuda_kernelERKNSD_10TensorBaseESH_lENKUlvE_clEvENKUlvE3_clEvEUlS6_S6_E_S6_EEDaPvRmT3_T4_T5_mT6_P12ihipStream_tbENKUlT_T0_E_clISt17integral_constantIbLb0EESY_EEDaST_SU_EUlST_E_NS1_11comp_targetILNS1_3genE9ELNS1_11target_archE1100ELNS1_3gpuE3ELNS1_3repE0EEENS1_30default_config_static_selectorELNS0_4arch9wavefront6targetE1EEEvT1_.uses_vcc, 0
	.set _ZN7rocprim17ROCPRIM_400000_NS6detail17trampoline_kernelINS0_14default_configENS1_20scan_config_selectorIN3c104HalfEEEZZNS1_9scan_implILNS1_25lookback_scan_determinismE0ELb0ELb0ES3_PKS6_PS6_S6_ZZZN2at6native31launch_logcumsumexp_cuda_kernelERKNSD_10TensorBaseESH_lENKUlvE_clEvENKUlvE3_clEvEUlS6_S6_E_S6_EEDaPvRmT3_T4_T5_mT6_P12ihipStream_tbENKUlT_T0_E_clISt17integral_constantIbLb0EESY_EEDaST_SU_EUlST_E_NS1_11comp_targetILNS1_3genE9ELNS1_11target_archE1100ELNS1_3gpuE3ELNS1_3repE0EEENS1_30default_config_static_selectorELNS0_4arch9wavefront6targetE1EEEvT1_.uses_flat_scratch, 0
	.set _ZN7rocprim17ROCPRIM_400000_NS6detail17trampoline_kernelINS0_14default_configENS1_20scan_config_selectorIN3c104HalfEEEZZNS1_9scan_implILNS1_25lookback_scan_determinismE0ELb0ELb0ES3_PKS6_PS6_S6_ZZZN2at6native31launch_logcumsumexp_cuda_kernelERKNSD_10TensorBaseESH_lENKUlvE_clEvENKUlvE3_clEvEUlS6_S6_E_S6_EEDaPvRmT3_T4_T5_mT6_P12ihipStream_tbENKUlT_T0_E_clISt17integral_constantIbLb0EESY_EEDaST_SU_EUlST_E_NS1_11comp_targetILNS1_3genE9ELNS1_11target_archE1100ELNS1_3gpuE3ELNS1_3repE0EEENS1_30default_config_static_selectorELNS0_4arch9wavefront6targetE1EEEvT1_.has_dyn_sized_stack, 0
	.set _ZN7rocprim17ROCPRIM_400000_NS6detail17trampoline_kernelINS0_14default_configENS1_20scan_config_selectorIN3c104HalfEEEZZNS1_9scan_implILNS1_25lookback_scan_determinismE0ELb0ELb0ES3_PKS6_PS6_S6_ZZZN2at6native31launch_logcumsumexp_cuda_kernelERKNSD_10TensorBaseESH_lENKUlvE_clEvENKUlvE3_clEvEUlS6_S6_E_S6_EEDaPvRmT3_T4_T5_mT6_P12ihipStream_tbENKUlT_T0_E_clISt17integral_constantIbLb0EESY_EEDaST_SU_EUlST_E_NS1_11comp_targetILNS1_3genE9ELNS1_11target_archE1100ELNS1_3gpuE3ELNS1_3repE0EEENS1_30default_config_static_selectorELNS0_4arch9wavefront6targetE1EEEvT1_.has_recursion, 0
	.set _ZN7rocprim17ROCPRIM_400000_NS6detail17trampoline_kernelINS0_14default_configENS1_20scan_config_selectorIN3c104HalfEEEZZNS1_9scan_implILNS1_25lookback_scan_determinismE0ELb0ELb0ES3_PKS6_PS6_S6_ZZZN2at6native31launch_logcumsumexp_cuda_kernelERKNSD_10TensorBaseESH_lENKUlvE_clEvENKUlvE3_clEvEUlS6_S6_E_S6_EEDaPvRmT3_T4_T5_mT6_P12ihipStream_tbENKUlT_T0_E_clISt17integral_constantIbLb0EESY_EEDaST_SU_EUlST_E_NS1_11comp_targetILNS1_3genE9ELNS1_11target_archE1100ELNS1_3gpuE3ELNS1_3repE0EEENS1_30default_config_static_selectorELNS0_4arch9wavefront6targetE1EEEvT1_.has_indirect_call, 0
	.section	.AMDGPU.csdata,"",@progbits
; Kernel info:
; codeLenInByte = 0
; TotalNumSgprs: 4
; NumVgprs: 0
; ScratchSize: 0
; MemoryBound: 0
; FloatMode: 240
; IeeeMode: 1
; LDSByteSize: 0 bytes/workgroup (compile time only)
; SGPRBlocks: 0
; VGPRBlocks: 0
; NumSGPRsForWavesPerEU: 4
; NumVGPRsForWavesPerEU: 1
; Occupancy: 10
; WaveLimiterHint : 0
; COMPUTE_PGM_RSRC2:SCRATCH_EN: 0
; COMPUTE_PGM_RSRC2:USER_SGPR: 6
; COMPUTE_PGM_RSRC2:TRAP_HANDLER: 0
; COMPUTE_PGM_RSRC2:TGID_X_EN: 1
; COMPUTE_PGM_RSRC2:TGID_Y_EN: 0
; COMPUTE_PGM_RSRC2:TGID_Z_EN: 0
; COMPUTE_PGM_RSRC2:TIDIG_COMP_CNT: 0
	.section	.text._ZN7rocprim17ROCPRIM_400000_NS6detail17trampoline_kernelINS0_14default_configENS1_20scan_config_selectorIN3c104HalfEEEZZNS1_9scan_implILNS1_25lookback_scan_determinismE0ELb0ELb0ES3_PKS6_PS6_S6_ZZZN2at6native31launch_logcumsumexp_cuda_kernelERKNSD_10TensorBaseESH_lENKUlvE_clEvENKUlvE3_clEvEUlS6_S6_E_S6_EEDaPvRmT3_T4_T5_mT6_P12ihipStream_tbENKUlT_T0_E_clISt17integral_constantIbLb0EESY_EEDaST_SU_EUlST_E_NS1_11comp_targetILNS1_3genE8ELNS1_11target_archE1030ELNS1_3gpuE2ELNS1_3repE0EEENS1_30default_config_static_selectorELNS0_4arch9wavefront6targetE1EEEvT1_,"axG",@progbits,_ZN7rocprim17ROCPRIM_400000_NS6detail17trampoline_kernelINS0_14default_configENS1_20scan_config_selectorIN3c104HalfEEEZZNS1_9scan_implILNS1_25lookback_scan_determinismE0ELb0ELb0ES3_PKS6_PS6_S6_ZZZN2at6native31launch_logcumsumexp_cuda_kernelERKNSD_10TensorBaseESH_lENKUlvE_clEvENKUlvE3_clEvEUlS6_S6_E_S6_EEDaPvRmT3_T4_T5_mT6_P12ihipStream_tbENKUlT_T0_E_clISt17integral_constantIbLb0EESY_EEDaST_SU_EUlST_E_NS1_11comp_targetILNS1_3genE8ELNS1_11target_archE1030ELNS1_3gpuE2ELNS1_3repE0EEENS1_30default_config_static_selectorELNS0_4arch9wavefront6targetE1EEEvT1_,comdat
	.globl	_ZN7rocprim17ROCPRIM_400000_NS6detail17trampoline_kernelINS0_14default_configENS1_20scan_config_selectorIN3c104HalfEEEZZNS1_9scan_implILNS1_25lookback_scan_determinismE0ELb0ELb0ES3_PKS6_PS6_S6_ZZZN2at6native31launch_logcumsumexp_cuda_kernelERKNSD_10TensorBaseESH_lENKUlvE_clEvENKUlvE3_clEvEUlS6_S6_E_S6_EEDaPvRmT3_T4_T5_mT6_P12ihipStream_tbENKUlT_T0_E_clISt17integral_constantIbLb0EESY_EEDaST_SU_EUlST_E_NS1_11comp_targetILNS1_3genE8ELNS1_11target_archE1030ELNS1_3gpuE2ELNS1_3repE0EEENS1_30default_config_static_selectorELNS0_4arch9wavefront6targetE1EEEvT1_ ; -- Begin function _ZN7rocprim17ROCPRIM_400000_NS6detail17trampoline_kernelINS0_14default_configENS1_20scan_config_selectorIN3c104HalfEEEZZNS1_9scan_implILNS1_25lookback_scan_determinismE0ELb0ELb0ES3_PKS6_PS6_S6_ZZZN2at6native31launch_logcumsumexp_cuda_kernelERKNSD_10TensorBaseESH_lENKUlvE_clEvENKUlvE3_clEvEUlS6_S6_E_S6_EEDaPvRmT3_T4_T5_mT6_P12ihipStream_tbENKUlT_T0_E_clISt17integral_constantIbLb0EESY_EEDaST_SU_EUlST_E_NS1_11comp_targetILNS1_3genE8ELNS1_11target_archE1030ELNS1_3gpuE2ELNS1_3repE0EEENS1_30default_config_static_selectorELNS0_4arch9wavefront6targetE1EEEvT1_
	.p2align	8
	.type	_ZN7rocprim17ROCPRIM_400000_NS6detail17trampoline_kernelINS0_14default_configENS1_20scan_config_selectorIN3c104HalfEEEZZNS1_9scan_implILNS1_25lookback_scan_determinismE0ELb0ELb0ES3_PKS6_PS6_S6_ZZZN2at6native31launch_logcumsumexp_cuda_kernelERKNSD_10TensorBaseESH_lENKUlvE_clEvENKUlvE3_clEvEUlS6_S6_E_S6_EEDaPvRmT3_T4_T5_mT6_P12ihipStream_tbENKUlT_T0_E_clISt17integral_constantIbLb0EESY_EEDaST_SU_EUlST_E_NS1_11comp_targetILNS1_3genE8ELNS1_11target_archE1030ELNS1_3gpuE2ELNS1_3repE0EEENS1_30default_config_static_selectorELNS0_4arch9wavefront6targetE1EEEvT1_,@function
_ZN7rocprim17ROCPRIM_400000_NS6detail17trampoline_kernelINS0_14default_configENS1_20scan_config_selectorIN3c104HalfEEEZZNS1_9scan_implILNS1_25lookback_scan_determinismE0ELb0ELb0ES3_PKS6_PS6_S6_ZZZN2at6native31launch_logcumsumexp_cuda_kernelERKNSD_10TensorBaseESH_lENKUlvE_clEvENKUlvE3_clEvEUlS6_S6_E_S6_EEDaPvRmT3_T4_T5_mT6_P12ihipStream_tbENKUlT_T0_E_clISt17integral_constantIbLb0EESY_EEDaST_SU_EUlST_E_NS1_11comp_targetILNS1_3genE8ELNS1_11target_archE1030ELNS1_3gpuE2ELNS1_3repE0EEENS1_30default_config_static_selectorELNS0_4arch9wavefront6targetE1EEEvT1_: ; @_ZN7rocprim17ROCPRIM_400000_NS6detail17trampoline_kernelINS0_14default_configENS1_20scan_config_selectorIN3c104HalfEEEZZNS1_9scan_implILNS1_25lookback_scan_determinismE0ELb0ELb0ES3_PKS6_PS6_S6_ZZZN2at6native31launch_logcumsumexp_cuda_kernelERKNSD_10TensorBaseESH_lENKUlvE_clEvENKUlvE3_clEvEUlS6_S6_E_S6_EEDaPvRmT3_T4_T5_mT6_P12ihipStream_tbENKUlT_T0_E_clISt17integral_constantIbLb0EESY_EEDaST_SU_EUlST_E_NS1_11comp_targetILNS1_3genE8ELNS1_11target_archE1030ELNS1_3gpuE2ELNS1_3repE0EEENS1_30default_config_static_selectorELNS0_4arch9wavefront6targetE1EEEvT1_
; %bb.0:
	.section	.rodata,"a",@progbits
	.p2align	6, 0x0
	.amdhsa_kernel _ZN7rocprim17ROCPRIM_400000_NS6detail17trampoline_kernelINS0_14default_configENS1_20scan_config_selectorIN3c104HalfEEEZZNS1_9scan_implILNS1_25lookback_scan_determinismE0ELb0ELb0ES3_PKS6_PS6_S6_ZZZN2at6native31launch_logcumsumexp_cuda_kernelERKNSD_10TensorBaseESH_lENKUlvE_clEvENKUlvE3_clEvEUlS6_S6_E_S6_EEDaPvRmT3_T4_T5_mT6_P12ihipStream_tbENKUlT_T0_E_clISt17integral_constantIbLb0EESY_EEDaST_SU_EUlST_E_NS1_11comp_targetILNS1_3genE8ELNS1_11target_archE1030ELNS1_3gpuE2ELNS1_3repE0EEENS1_30default_config_static_selectorELNS0_4arch9wavefront6targetE1EEEvT1_
		.amdhsa_group_segment_fixed_size 0
		.amdhsa_private_segment_fixed_size 0
		.amdhsa_kernarg_size 96
		.amdhsa_user_sgpr_count 6
		.amdhsa_user_sgpr_private_segment_buffer 1
		.amdhsa_user_sgpr_dispatch_ptr 0
		.amdhsa_user_sgpr_queue_ptr 0
		.amdhsa_user_sgpr_kernarg_segment_ptr 1
		.amdhsa_user_sgpr_dispatch_id 0
		.amdhsa_user_sgpr_flat_scratch_init 0
		.amdhsa_user_sgpr_private_segment_size 0
		.amdhsa_uses_dynamic_stack 0
		.amdhsa_system_sgpr_private_segment_wavefront_offset 0
		.amdhsa_system_sgpr_workgroup_id_x 1
		.amdhsa_system_sgpr_workgroup_id_y 0
		.amdhsa_system_sgpr_workgroup_id_z 0
		.amdhsa_system_sgpr_workgroup_info 0
		.amdhsa_system_vgpr_workitem_id 0
		.amdhsa_next_free_vgpr 1
		.amdhsa_next_free_sgpr 0
		.amdhsa_reserve_vcc 0
		.amdhsa_reserve_flat_scratch 0
		.amdhsa_float_round_mode_32 0
		.amdhsa_float_round_mode_16_64 0
		.amdhsa_float_denorm_mode_32 3
		.amdhsa_float_denorm_mode_16_64 3
		.amdhsa_dx10_clamp 1
		.amdhsa_ieee_mode 1
		.amdhsa_fp16_overflow 0
		.amdhsa_exception_fp_ieee_invalid_op 0
		.amdhsa_exception_fp_denorm_src 0
		.amdhsa_exception_fp_ieee_div_zero 0
		.amdhsa_exception_fp_ieee_overflow 0
		.amdhsa_exception_fp_ieee_underflow 0
		.amdhsa_exception_fp_ieee_inexact 0
		.amdhsa_exception_int_div_zero 0
	.end_amdhsa_kernel
	.section	.text._ZN7rocprim17ROCPRIM_400000_NS6detail17trampoline_kernelINS0_14default_configENS1_20scan_config_selectorIN3c104HalfEEEZZNS1_9scan_implILNS1_25lookback_scan_determinismE0ELb0ELb0ES3_PKS6_PS6_S6_ZZZN2at6native31launch_logcumsumexp_cuda_kernelERKNSD_10TensorBaseESH_lENKUlvE_clEvENKUlvE3_clEvEUlS6_S6_E_S6_EEDaPvRmT3_T4_T5_mT6_P12ihipStream_tbENKUlT_T0_E_clISt17integral_constantIbLb0EESY_EEDaST_SU_EUlST_E_NS1_11comp_targetILNS1_3genE8ELNS1_11target_archE1030ELNS1_3gpuE2ELNS1_3repE0EEENS1_30default_config_static_selectorELNS0_4arch9wavefront6targetE1EEEvT1_,"axG",@progbits,_ZN7rocprim17ROCPRIM_400000_NS6detail17trampoline_kernelINS0_14default_configENS1_20scan_config_selectorIN3c104HalfEEEZZNS1_9scan_implILNS1_25lookback_scan_determinismE0ELb0ELb0ES3_PKS6_PS6_S6_ZZZN2at6native31launch_logcumsumexp_cuda_kernelERKNSD_10TensorBaseESH_lENKUlvE_clEvENKUlvE3_clEvEUlS6_S6_E_S6_EEDaPvRmT3_T4_T5_mT6_P12ihipStream_tbENKUlT_T0_E_clISt17integral_constantIbLb0EESY_EEDaST_SU_EUlST_E_NS1_11comp_targetILNS1_3genE8ELNS1_11target_archE1030ELNS1_3gpuE2ELNS1_3repE0EEENS1_30default_config_static_selectorELNS0_4arch9wavefront6targetE1EEEvT1_,comdat
.Lfunc_end359:
	.size	_ZN7rocprim17ROCPRIM_400000_NS6detail17trampoline_kernelINS0_14default_configENS1_20scan_config_selectorIN3c104HalfEEEZZNS1_9scan_implILNS1_25lookback_scan_determinismE0ELb0ELb0ES3_PKS6_PS6_S6_ZZZN2at6native31launch_logcumsumexp_cuda_kernelERKNSD_10TensorBaseESH_lENKUlvE_clEvENKUlvE3_clEvEUlS6_S6_E_S6_EEDaPvRmT3_T4_T5_mT6_P12ihipStream_tbENKUlT_T0_E_clISt17integral_constantIbLb0EESY_EEDaST_SU_EUlST_E_NS1_11comp_targetILNS1_3genE8ELNS1_11target_archE1030ELNS1_3gpuE2ELNS1_3repE0EEENS1_30default_config_static_selectorELNS0_4arch9wavefront6targetE1EEEvT1_, .Lfunc_end359-_ZN7rocprim17ROCPRIM_400000_NS6detail17trampoline_kernelINS0_14default_configENS1_20scan_config_selectorIN3c104HalfEEEZZNS1_9scan_implILNS1_25lookback_scan_determinismE0ELb0ELb0ES3_PKS6_PS6_S6_ZZZN2at6native31launch_logcumsumexp_cuda_kernelERKNSD_10TensorBaseESH_lENKUlvE_clEvENKUlvE3_clEvEUlS6_S6_E_S6_EEDaPvRmT3_T4_T5_mT6_P12ihipStream_tbENKUlT_T0_E_clISt17integral_constantIbLb0EESY_EEDaST_SU_EUlST_E_NS1_11comp_targetILNS1_3genE8ELNS1_11target_archE1030ELNS1_3gpuE2ELNS1_3repE0EEENS1_30default_config_static_selectorELNS0_4arch9wavefront6targetE1EEEvT1_
                                        ; -- End function
	.set _ZN7rocprim17ROCPRIM_400000_NS6detail17trampoline_kernelINS0_14default_configENS1_20scan_config_selectorIN3c104HalfEEEZZNS1_9scan_implILNS1_25lookback_scan_determinismE0ELb0ELb0ES3_PKS6_PS6_S6_ZZZN2at6native31launch_logcumsumexp_cuda_kernelERKNSD_10TensorBaseESH_lENKUlvE_clEvENKUlvE3_clEvEUlS6_S6_E_S6_EEDaPvRmT3_T4_T5_mT6_P12ihipStream_tbENKUlT_T0_E_clISt17integral_constantIbLb0EESY_EEDaST_SU_EUlST_E_NS1_11comp_targetILNS1_3genE8ELNS1_11target_archE1030ELNS1_3gpuE2ELNS1_3repE0EEENS1_30default_config_static_selectorELNS0_4arch9wavefront6targetE1EEEvT1_.num_vgpr, 0
	.set _ZN7rocprim17ROCPRIM_400000_NS6detail17trampoline_kernelINS0_14default_configENS1_20scan_config_selectorIN3c104HalfEEEZZNS1_9scan_implILNS1_25lookback_scan_determinismE0ELb0ELb0ES3_PKS6_PS6_S6_ZZZN2at6native31launch_logcumsumexp_cuda_kernelERKNSD_10TensorBaseESH_lENKUlvE_clEvENKUlvE3_clEvEUlS6_S6_E_S6_EEDaPvRmT3_T4_T5_mT6_P12ihipStream_tbENKUlT_T0_E_clISt17integral_constantIbLb0EESY_EEDaST_SU_EUlST_E_NS1_11comp_targetILNS1_3genE8ELNS1_11target_archE1030ELNS1_3gpuE2ELNS1_3repE0EEENS1_30default_config_static_selectorELNS0_4arch9wavefront6targetE1EEEvT1_.num_agpr, 0
	.set _ZN7rocprim17ROCPRIM_400000_NS6detail17trampoline_kernelINS0_14default_configENS1_20scan_config_selectorIN3c104HalfEEEZZNS1_9scan_implILNS1_25lookback_scan_determinismE0ELb0ELb0ES3_PKS6_PS6_S6_ZZZN2at6native31launch_logcumsumexp_cuda_kernelERKNSD_10TensorBaseESH_lENKUlvE_clEvENKUlvE3_clEvEUlS6_S6_E_S6_EEDaPvRmT3_T4_T5_mT6_P12ihipStream_tbENKUlT_T0_E_clISt17integral_constantIbLb0EESY_EEDaST_SU_EUlST_E_NS1_11comp_targetILNS1_3genE8ELNS1_11target_archE1030ELNS1_3gpuE2ELNS1_3repE0EEENS1_30default_config_static_selectorELNS0_4arch9wavefront6targetE1EEEvT1_.numbered_sgpr, 0
	.set _ZN7rocprim17ROCPRIM_400000_NS6detail17trampoline_kernelINS0_14default_configENS1_20scan_config_selectorIN3c104HalfEEEZZNS1_9scan_implILNS1_25lookback_scan_determinismE0ELb0ELb0ES3_PKS6_PS6_S6_ZZZN2at6native31launch_logcumsumexp_cuda_kernelERKNSD_10TensorBaseESH_lENKUlvE_clEvENKUlvE3_clEvEUlS6_S6_E_S6_EEDaPvRmT3_T4_T5_mT6_P12ihipStream_tbENKUlT_T0_E_clISt17integral_constantIbLb0EESY_EEDaST_SU_EUlST_E_NS1_11comp_targetILNS1_3genE8ELNS1_11target_archE1030ELNS1_3gpuE2ELNS1_3repE0EEENS1_30default_config_static_selectorELNS0_4arch9wavefront6targetE1EEEvT1_.num_named_barrier, 0
	.set _ZN7rocprim17ROCPRIM_400000_NS6detail17trampoline_kernelINS0_14default_configENS1_20scan_config_selectorIN3c104HalfEEEZZNS1_9scan_implILNS1_25lookback_scan_determinismE0ELb0ELb0ES3_PKS6_PS6_S6_ZZZN2at6native31launch_logcumsumexp_cuda_kernelERKNSD_10TensorBaseESH_lENKUlvE_clEvENKUlvE3_clEvEUlS6_S6_E_S6_EEDaPvRmT3_T4_T5_mT6_P12ihipStream_tbENKUlT_T0_E_clISt17integral_constantIbLb0EESY_EEDaST_SU_EUlST_E_NS1_11comp_targetILNS1_3genE8ELNS1_11target_archE1030ELNS1_3gpuE2ELNS1_3repE0EEENS1_30default_config_static_selectorELNS0_4arch9wavefront6targetE1EEEvT1_.private_seg_size, 0
	.set _ZN7rocprim17ROCPRIM_400000_NS6detail17trampoline_kernelINS0_14default_configENS1_20scan_config_selectorIN3c104HalfEEEZZNS1_9scan_implILNS1_25lookback_scan_determinismE0ELb0ELb0ES3_PKS6_PS6_S6_ZZZN2at6native31launch_logcumsumexp_cuda_kernelERKNSD_10TensorBaseESH_lENKUlvE_clEvENKUlvE3_clEvEUlS6_S6_E_S6_EEDaPvRmT3_T4_T5_mT6_P12ihipStream_tbENKUlT_T0_E_clISt17integral_constantIbLb0EESY_EEDaST_SU_EUlST_E_NS1_11comp_targetILNS1_3genE8ELNS1_11target_archE1030ELNS1_3gpuE2ELNS1_3repE0EEENS1_30default_config_static_selectorELNS0_4arch9wavefront6targetE1EEEvT1_.uses_vcc, 0
	.set _ZN7rocprim17ROCPRIM_400000_NS6detail17trampoline_kernelINS0_14default_configENS1_20scan_config_selectorIN3c104HalfEEEZZNS1_9scan_implILNS1_25lookback_scan_determinismE0ELb0ELb0ES3_PKS6_PS6_S6_ZZZN2at6native31launch_logcumsumexp_cuda_kernelERKNSD_10TensorBaseESH_lENKUlvE_clEvENKUlvE3_clEvEUlS6_S6_E_S6_EEDaPvRmT3_T4_T5_mT6_P12ihipStream_tbENKUlT_T0_E_clISt17integral_constantIbLb0EESY_EEDaST_SU_EUlST_E_NS1_11comp_targetILNS1_3genE8ELNS1_11target_archE1030ELNS1_3gpuE2ELNS1_3repE0EEENS1_30default_config_static_selectorELNS0_4arch9wavefront6targetE1EEEvT1_.uses_flat_scratch, 0
	.set _ZN7rocprim17ROCPRIM_400000_NS6detail17trampoline_kernelINS0_14default_configENS1_20scan_config_selectorIN3c104HalfEEEZZNS1_9scan_implILNS1_25lookback_scan_determinismE0ELb0ELb0ES3_PKS6_PS6_S6_ZZZN2at6native31launch_logcumsumexp_cuda_kernelERKNSD_10TensorBaseESH_lENKUlvE_clEvENKUlvE3_clEvEUlS6_S6_E_S6_EEDaPvRmT3_T4_T5_mT6_P12ihipStream_tbENKUlT_T0_E_clISt17integral_constantIbLb0EESY_EEDaST_SU_EUlST_E_NS1_11comp_targetILNS1_3genE8ELNS1_11target_archE1030ELNS1_3gpuE2ELNS1_3repE0EEENS1_30default_config_static_selectorELNS0_4arch9wavefront6targetE1EEEvT1_.has_dyn_sized_stack, 0
	.set _ZN7rocprim17ROCPRIM_400000_NS6detail17trampoline_kernelINS0_14default_configENS1_20scan_config_selectorIN3c104HalfEEEZZNS1_9scan_implILNS1_25lookback_scan_determinismE0ELb0ELb0ES3_PKS6_PS6_S6_ZZZN2at6native31launch_logcumsumexp_cuda_kernelERKNSD_10TensorBaseESH_lENKUlvE_clEvENKUlvE3_clEvEUlS6_S6_E_S6_EEDaPvRmT3_T4_T5_mT6_P12ihipStream_tbENKUlT_T0_E_clISt17integral_constantIbLb0EESY_EEDaST_SU_EUlST_E_NS1_11comp_targetILNS1_3genE8ELNS1_11target_archE1030ELNS1_3gpuE2ELNS1_3repE0EEENS1_30default_config_static_selectorELNS0_4arch9wavefront6targetE1EEEvT1_.has_recursion, 0
	.set _ZN7rocprim17ROCPRIM_400000_NS6detail17trampoline_kernelINS0_14default_configENS1_20scan_config_selectorIN3c104HalfEEEZZNS1_9scan_implILNS1_25lookback_scan_determinismE0ELb0ELb0ES3_PKS6_PS6_S6_ZZZN2at6native31launch_logcumsumexp_cuda_kernelERKNSD_10TensorBaseESH_lENKUlvE_clEvENKUlvE3_clEvEUlS6_S6_E_S6_EEDaPvRmT3_T4_T5_mT6_P12ihipStream_tbENKUlT_T0_E_clISt17integral_constantIbLb0EESY_EEDaST_SU_EUlST_E_NS1_11comp_targetILNS1_3genE8ELNS1_11target_archE1030ELNS1_3gpuE2ELNS1_3repE0EEENS1_30default_config_static_selectorELNS0_4arch9wavefront6targetE1EEEvT1_.has_indirect_call, 0
	.section	.AMDGPU.csdata,"",@progbits
; Kernel info:
; codeLenInByte = 0
; TotalNumSgprs: 4
; NumVgprs: 0
; ScratchSize: 0
; MemoryBound: 0
; FloatMode: 240
; IeeeMode: 1
; LDSByteSize: 0 bytes/workgroup (compile time only)
; SGPRBlocks: 0
; VGPRBlocks: 0
; NumSGPRsForWavesPerEU: 4
; NumVGPRsForWavesPerEU: 1
; Occupancy: 10
; WaveLimiterHint : 0
; COMPUTE_PGM_RSRC2:SCRATCH_EN: 0
; COMPUTE_PGM_RSRC2:USER_SGPR: 6
; COMPUTE_PGM_RSRC2:TRAP_HANDLER: 0
; COMPUTE_PGM_RSRC2:TGID_X_EN: 1
; COMPUTE_PGM_RSRC2:TGID_Y_EN: 0
; COMPUTE_PGM_RSRC2:TGID_Z_EN: 0
; COMPUTE_PGM_RSRC2:TIDIG_COMP_CNT: 0
	.section	.text._ZN7rocprim17ROCPRIM_400000_NS6detail17trampoline_kernelINS0_14default_configENS1_25transform_config_selectorIN3c104HalfELb1EEEZNS1_14transform_implILb1ES3_S7_PS6_S9_NS0_8identityIS6_EEEE10hipError_tT2_T3_mT4_P12ihipStream_tbEUlT_E_NS1_11comp_targetILNS1_3genE0ELNS1_11target_archE4294967295ELNS1_3gpuE0ELNS1_3repE0EEENS1_30default_config_static_selectorELNS0_4arch9wavefront6targetE1EEEvT1_,"axG",@progbits,_ZN7rocprim17ROCPRIM_400000_NS6detail17trampoline_kernelINS0_14default_configENS1_25transform_config_selectorIN3c104HalfELb1EEEZNS1_14transform_implILb1ES3_S7_PS6_S9_NS0_8identityIS6_EEEE10hipError_tT2_T3_mT4_P12ihipStream_tbEUlT_E_NS1_11comp_targetILNS1_3genE0ELNS1_11target_archE4294967295ELNS1_3gpuE0ELNS1_3repE0EEENS1_30default_config_static_selectorELNS0_4arch9wavefront6targetE1EEEvT1_,comdat
	.protected	_ZN7rocprim17ROCPRIM_400000_NS6detail17trampoline_kernelINS0_14default_configENS1_25transform_config_selectorIN3c104HalfELb1EEEZNS1_14transform_implILb1ES3_S7_PS6_S9_NS0_8identityIS6_EEEE10hipError_tT2_T3_mT4_P12ihipStream_tbEUlT_E_NS1_11comp_targetILNS1_3genE0ELNS1_11target_archE4294967295ELNS1_3gpuE0ELNS1_3repE0EEENS1_30default_config_static_selectorELNS0_4arch9wavefront6targetE1EEEvT1_ ; -- Begin function _ZN7rocprim17ROCPRIM_400000_NS6detail17trampoline_kernelINS0_14default_configENS1_25transform_config_selectorIN3c104HalfELb1EEEZNS1_14transform_implILb1ES3_S7_PS6_S9_NS0_8identityIS6_EEEE10hipError_tT2_T3_mT4_P12ihipStream_tbEUlT_E_NS1_11comp_targetILNS1_3genE0ELNS1_11target_archE4294967295ELNS1_3gpuE0ELNS1_3repE0EEENS1_30default_config_static_selectorELNS0_4arch9wavefront6targetE1EEEvT1_
	.globl	_ZN7rocprim17ROCPRIM_400000_NS6detail17trampoline_kernelINS0_14default_configENS1_25transform_config_selectorIN3c104HalfELb1EEEZNS1_14transform_implILb1ES3_S7_PS6_S9_NS0_8identityIS6_EEEE10hipError_tT2_T3_mT4_P12ihipStream_tbEUlT_E_NS1_11comp_targetILNS1_3genE0ELNS1_11target_archE4294967295ELNS1_3gpuE0ELNS1_3repE0EEENS1_30default_config_static_selectorELNS0_4arch9wavefront6targetE1EEEvT1_
	.p2align	8
	.type	_ZN7rocprim17ROCPRIM_400000_NS6detail17trampoline_kernelINS0_14default_configENS1_25transform_config_selectorIN3c104HalfELb1EEEZNS1_14transform_implILb1ES3_S7_PS6_S9_NS0_8identityIS6_EEEE10hipError_tT2_T3_mT4_P12ihipStream_tbEUlT_E_NS1_11comp_targetILNS1_3genE0ELNS1_11target_archE4294967295ELNS1_3gpuE0ELNS1_3repE0EEENS1_30default_config_static_selectorELNS0_4arch9wavefront6targetE1EEEvT1_,@function
_ZN7rocprim17ROCPRIM_400000_NS6detail17trampoline_kernelINS0_14default_configENS1_25transform_config_selectorIN3c104HalfELb1EEEZNS1_14transform_implILb1ES3_S7_PS6_S9_NS0_8identityIS6_EEEE10hipError_tT2_T3_mT4_P12ihipStream_tbEUlT_E_NS1_11comp_targetILNS1_3genE0ELNS1_11target_archE4294967295ELNS1_3gpuE0ELNS1_3repE0EEENS1_30default_config_static_selectorELNS0_4arch9wavefront6targetE1EEEvT1_: ; @_ZN7rocprim17ROCPRIM_400000_NS6detail17trampoline_kernelINS0_14default_configENS1_25transform_config_selectorIN3c104HalfELb1EEEZNS1_14transform_implILb1ES3_S7_PS6_S9_NS0_8identityIS6_EEEE10hipError_tT2_T3_mT4_P12ihipStream_tbEUlT_E_NS1_11comp_targetILNS1_3genE0ELNS1_11target_archE4294967295ELNS1_3gpuE0ELNS1_3repE0EEENS1_30default_config_static_selectorELNS0_4arch9wavefront6targetE1EEEvT1_
; %bb.0:
	.section	.rodata,"a",@progbits
	.p2align	6, 0x0
	.amdhsa_kernel _ZN7rocprim17ROCPRIM_400000_NS6detail17trampoline_kernelINS0_14default_configENS1_25transform_config_selectorIN3c104HalfELb1EEEZNS1_14transform_implILb1ES3_S7_PS6_S9_NS0_8identityIS6_EEEE10hipError_tT2_T3_mT4_P12ihipStream_tbEUlT_E_NS1_11comp_targetILNS1_3genE0ELNS1_11target_archE4294967295ELNS1_3gpuE0ELNS1_3repE0EEENS1_30default_config_static_selectorELNS0_4arch9wavefront6targetE1EEEvT1_
		.amdhsa_group_segment_fixed_size 0
		.amdhsa_private_segment_fixed_size 0
		.amdhsa_kernarg_size 40
		.amdhsa_user_sgpr_count 6
		.amdhsa_user_sgpr_private_segment_buffer 1
		.amdhsa_user_sgpr_dispatch_ptr 0
		.amdhsa_user_sgpr_queue_ptr 0
		.amdhsa_user_sgpr_kernarg_segment_ptr 1
		.amdhsa_user_sgpr_dispatch_id 0
		.amdhsa_user_sgpr_flat_scratch_init 0
		.amdhsa_user_sgpr_private_segment_size 0
		.amdhsa_uses_dynamic_stack 0
		.amdhsa_system_sgpr_private_segment_wavefront_offset 0
		.amdhsa_system_sgpr_workgroup_id_x 1
		.amdhsa_system_sgpr_workgroup_id_y 0
		.amdhsa_system_sgpr_workgroup_id_z 0
		.amdhsa_system_sgpr_workgroup_info 0
		.amdhsa_system_vgpr_workitem_id 0
		.amdhsa_next_free_vgpr 1
		.amdhsa_next_free_sgpr 0
		.amdhsa_reserve_vcc 0
		.amdhsa_reserve_flat_scratch 0
		.amdhsa_float_round_mode_32 0
		.amdhsa_float_round_mode_16_64 0
		.amdhsa_float_denorm_mode_32 3
		.amdhsa_float_denorm_mode_16_64 3
		.amdhsa_dx10_clamp 1
		.amdhsa_ieee_mode 1
		.amdhsa_fp16_overflow 0
		.amdhsa_exception_fp_ieee_invalid_op 0
		.amdhsa_exception_fp_denorm_src 0
		.amdhsa_exception_fp_ieee_div_zero 0
		.amdhsa_exception_fp_ieee_overflow 0
		.amdhsa_exception_fp_ieee_underflow 0
		.amdhsa_exception_fp_ieee_inexact 0
		.amdhsa_exception_int_div_zero 0
	.end_amdhsa_kernel
	.section	.text._ZN7rocprim17ROCPRIM_400000_NS6detail17trampoline_kernelINS0_14default_configENS1_25transform_config_selectorIN3c104HalfELb1EEEZNS1_14transform_implILb1ES3_S7_PS6_S9_NS0_8identityIS6_EEEE10hipError_tT2_T3_mT4_P12ihipStream_tbEUlT_E_NS1_11comp_targetILNS1_3genE0ELNS1_11target_archE4294967295ELNS1_3gpuE0ELNS1_3repE0EEENS1_30default_config_static_selectorELNS0_4arch9wavefront6targetE1EEEvT1_,"axG",@progbits,_ZN7rocprim17ROCPRIM_400000_NS6detail17trampoline_kernelINS0_14default_configENS1_25transform_config_selectorIN3c104HalfELb1EEEZNS1_14transform_implILb1ES3_S7_PS6_S9_NS0_8identityIS6_EEEE10hipError_tT2_T3_mT4_P12ihipStream_tbEUlT_E_NS1_11comp_targetILNS1_3genE0ELNS1_11target_archE4294967295ELNS1_3gpuE0ELNS1_3repE0EEENS1_30default_config_static_selectorELNS0_4arch9wavefront6targetE1EEEvT1_,comdat
.Lfunc_end360:
	.size	_ZN7rocprim17ROCPRIM_400000_NS6detail17trampoline_kernelINS0_14default_configENS1_25transform_config_selectorIN3c104HalfELb1EEEZNS1_14transform_implILb1ES3_S7_PS6_S9_NS0_8identityIS6_EEEE10hipError_tT2_T3_mT4_P12ihipStream_tbEUlT_E_NS1_11comp_targetILNS1_3genE0ELNS1_11target_archE4294967295ELNS1_3gpuE0ELNS1_3repE0EEENS1_30default_config_static_selectorELNS0_4arch9wavefront6targetE1EEEvT1_, .Lfunc_end360-_ZN7rocprim17ROCPRIM_400000_NS6detail17trampoline_kernelINS0_14default_configENS1_25transform_config_selectorIN3c104HalfELb1EEEZNS1_14transform_implILb1ES3_S7_PS6_S9_NS0_8identityIS6_EEEE10hipError_tT2_T3_mT4_P12ihipStream_tbEUlT_E_NS1_11comp_targetILNS1_3genE0ELNS1_11target_archE4294967295ELNS1_3gpuE0ELNS1_3repE0EEENS1_30default_config_static_selectorELNS0_4arch9wavefront6targetE1EEEvT1_
                                        ; -- End function
	.set _ZN7rocprim17ROCPRIM_400000_NS6detail17trampoline_kernelINS0_14default_configENS1_25transform_config_selectorIN3c104HalfELb1EEEZNS1_14transform_implILb1ES3_S7_PS6_S9_NS0_8identityIS6_EEEE10hipError_tT2_T3_mT4_P12ihipStream_tbEUlT_E_NS1_11comp_targetILNS1_3genE0ELNS1_11target_archE4294967295ELNS1_3gpuE0ELNS1_3repE0EEENS1_30default_config_static_selectorELNS0_4arch9wavefront6targetE1EEEvT1_.num_vgpr, 0
	.set _ZN7rocprim17ROCPRIM_400000_NS6detail17trampoline_kernelINS0_14default_configENS1_25transform_config_selectorIN3c104HalfELb1EEEZNS1_14transform_implILb1ES3_S7_PS6_S9_NS0_8identityIS6_EEEE10hipError_tT2_T3_mT4_P12ihipStream_tbEUlT_E_NS1_11comp_targetILNS1_3genE0ELNS1_11target_archE4294967295ELNS1_3gpuE0ELNS1_3repE0EEENS1_30default_config_static_selectorELNS0_4arch9wavefront6targetE1EEEvT1_.num_agpr, 0
	.set _ZN7rocprim17ROCPRIM_400000_NS6detail17trampoline_kernelINS0_14default_configENS1_25transform_config_selectorIN3c104HalfELb1EEEZNS1_14transform_implILb1ES3_S7_PS6_S9_NS0_8identityIS6_EEEE10hipError_tT2_T3_mT4_P12ihipStream_tbEUlT_E_NS1_11comp_targetILNS1_3genE0ELNS1_11target_archE4294967295ELNS1_3gpuE0ELNS1_3repE0EEENS1_30default_config_static_selectorELNS0_4arch9wavefront6targetE1EEEvT1_.numbered_sgpr, 0
	.set _ZN7rocprim17ROCPRIM_400000_NS6detail17trampoline_kernelINS0_14default_configENS1_25transform_config_selectorIN3c104HalfELb1EEEZNS1_14transform_implILb1ES3_S7_PS6_S9_NS0_8identityIS6_EEEE10hipError_tT2_T3_mT4_P12ihipStream_tbEUlT_E_NS1_11comp_targetILNS1_3genE0ELNS1_11target_archE4294967295ELNS1_3gpuE0ELNS1_3repE0EEENS1_30default_config_static_selectorELNS0_4arch9wavefront6targetE1EEEvT1_.num_named_barrier, 0
	.set _ZN7rocprim17ROCPRIM_400000_NS6detail17trampoline_kernelINS0_14default_configENS1_25transform_config_selectorIN3c104HalfELb1EEEZNS1_14transform_implILb1ES3_S7_PS6_S9_NS0_8identityIS6_EEEE10hipError_tT2_T3_mT4_P12ihipStream_tbEUlT_E_NS1_11comp_targetILNS1_3genE0ELNS1_11target_archE4294967295ELNS1_3gpuE0ELNS1_3repE0EEENS1_30default_config_static_selectorELNS0_4arch9wavefront6targetE1EEEvT1_.private_seg_size, 0
	.set _ZN7rocprim17ROCPRIM_400000_NS6detail17trampoline_kernelINS0_14default_configENS1_25transform_config_selectorIN3c104HalfELb1EEEZNS1_14transform_implILb1ES3_S7_PS6_S9_NS0_8identityIS6_EEEE10hipError_tT2_T3_mT4_P12ihipStream_tbEUlT_E_NS1_11comp_targetILNS1_3genE0ELNS1_11target_archE4294967295ELNS1_3gpuE0ELNS1_3repE0EEENS1_30default_config_static_selectorELNS0_4arch9wavefront6targetE1EEEvT1_.uses_vcc, 0
	.set _ZN7rocprim17ROCPRIM_400000_NS6detail17trampoline_kernelINS0_14default_configENS1_25transform_config_selectorIN3c104HalfELb1EEEZNS1_14transform_implILb1ES3_S7_PS6_S9_NS0_8identityIS6_EEEE10hipError_tT2_T3_mT4_P12ihipStream_tbEUlT_E_NS1_11comp_targetILNS1_3genE0ELNS1_11target_archE4294967295ELNS1_3gpuE0ELNS1_3repE0EEENS1_30default_config_static_selectorELNS0_4arch9wavefront6targetE1EEEvT1_.uses_flat_scratch, 0
	.set _ZN7rocprim17ROCPRIM_400000_NS6detail17trampoline_kernelINS0_14default_configENS1_25transform_config_selectorIN3c104HalfELb1EEEZNS1_14transform_implILb1ES3_S7_PS6_S9_NS0_8identityIS6_EEEE10hipError_tT2_T3_mT4_P12ihipStream_tbEUlT_E_NS1_11comp_targetILNS1_3genE0ELNS1_11target_archE4294967295ELNS1_3gpuE0ELNS1_3repE0EEENS1_30default_config_static_selectorELNS0_4arch9wavefront6targetE1EEEvT1_.has_dyn_sized_stack, 0
	.set _ZN7rocprim17ROCPRIM_400000_NS6detail17trampoline_kernelINS0_14default_configENS1_25transform_config_selectorIN3c104HalfELb1EEEZNS1_14transform_implILb1ES3_S7_PS6_S9_NS0_8identityIS6_EEEE10hipError_tT2_T3_mT4_P12ihipStream_tbEUlT_E_NS1_11comp_targetILNS1_3genE0ELNS1_11target_archE4294967295ELNS1_3gpuE0ELNS1_3repE0EEENS1_30default_config_static_selectorELNS0_4arch9wavefront6targetE1EEEvT1_.has_recursion, 0
	.set _ZN7rocprim17ROCPRIM_400000_NS6detail17trampoline_kernelINS0_14default_configENS1_25transform_config_selectorIN3c104HalfELb1EEEZNS1_14transform_implILb1ES3_S7_PS6_S9_NS0_8identityIS6_EEEE10hipError_tT2_T3_mT4_P12ihipStream_tbEUlT_E_NS1_11comp_targetILNS1_3genE0ELNS1_11target_archE4294967295ELNS1_3gpuE0ELNS1_3repE0EEENS1_30default_config_static_selectorELNS0_4arch9wavefront6targetE1EEEvT1_.has_indirect_call, 0
	.section	.AMDGPU.csdata,"",@progbits
; Kernel info:
; codeLenInByte = 0
; TotalNumSgprs: 4
; NumVgprs: 0
; ScratchSize: 0
; MemoryBound: 0
; FloatMode: 240
; IeeeMode: 1
; LDSByteSize: 0 bytes/workgroup (compile time only)
; SGPRBlocks: 0
; VGPRBlocks: 0
; NumSGPRsForWavesPerEU: 4
; NumVGPRsForWavesPerEU: 1
; Occupancy: 10
; WaveLimiterHint : 0
; COMPUTE_PGM_RSRC2:SCRATCH_EN: 0
; COMPUTE_PGM_RSRC2:USER_SGPR: 6
; COMPUTE_PGM_RSRC2:TRAP_HANDLER: 0
; COMPUTE_PGM_RSRC2:TGID_X_EN: 1
; COMPUTE_PGM_RSRC2:TGID_Y_EN: 0
; COMPUTE_PGM_RSRC2:TGID_Z_EN: 0
; COMPUTE_PGM_RSRC2:TIDIG_COMP_CNT: 0
	.section	.text._ZN7rocprim17ROCPRIM_400000_NS6detail17trampoline_kernelINS0_14default_configENS1_25transform_config_selectorIN3c104HalfELb1EEEZNS1_14transform_implILb1ES3_S7_PS6_S9_NS0_8identityIS6_EEEE10hipError_tT2_T3_mT4_P12ihipStream_tbEUlT_E_NS1_11comp_targetILNS1_3genE10ELNS1_11target_archE1201ELNS1_3gpuE5ELNS1_3repE0EEENS1_30default_config_static_selectorELNS0_4arch9wavefront6targetE1EEEvT1_,"axG",@progbits,_ZN7rocprim17ROCPRIM_400000_NS6detail17trampoline_kernelINS0_14default_configENS1_25transform_config_selectorIN3c104HalfELb1EEEZNS1_14transform_implILb1ES3_S7_PS6_S9_NS0_8identityIS6_EEEE10hipError_tT2_T3_mT4_P12ihipStream_tbEUlT_E_NS1_11comp_targetILNS1_3genE10ELNS1_11target_archE1201ELNS1_3gpuE5ELNS1_3repE0EEENS1_30default_config_static_selectorELNS0_4arch9wavefront6targetE1EEEvT1_,comdat
	.protected	_ZN7rocprim17ROCPRIM_400000_NS6detail17trampoline_kernelINS0_14default_configENS1_25transform_config_selectorIN3c104HalfELb1EEEZNS1_14transform_implILb1ES3_S7_PS6_S9_NS0_8identityIS6_EEEE10hipError_tT2_T3_mT4_P12ihipStream_tbEUlT_E_NS1_11comp_targetILNS1_3genE10ELNS1_11target_archE1201ELNS1_3gpuE5ELNS1_3repE0EEENS1_30default_config_static_selectorELNS0_4arch9wavefront6targetE1EEEvT1_ ; -- Begin function _ZN7rocprim17ROCPRIM_400000_NS6detail17trampoline_kernelINS0_14default_configENS1_25transform_config_selectorIN3c104HalfELb1EEEZNS1_14transform_implILb1ES3_S7_PS6_S9_NS0_8identityIS6_EEEE10hipError_tT2_T3_mT4_P12ihipStream_tbEUlT_E_NS1_11comp_targetILNS1_3genE10ELNS1_11target_archE1201ELNS1_3gpuE5ELNS1_3repE0EEENS1_30default_config_static_selectorELNS0_4arch9wavefront6targetE1EEEvT1_
	.globl	_ZN7rocprim17ROCPRIM_400000_NS6detail17trampoline_kernelINS0_14default_configENS1_25transform_config_selectorIN3c104HalfELb1EEEZNS1_14transform_implILb1ES3_S7_PS6_S9_NS0_8identityIS6_EEEE10hipError_tT2_T3_mT4_P12ihipStream_tbEUlT_E_NS1_11comp_targetILNS1_3genE10ELNS1_11target_archE1201ELNS1_3gpuE5ELNS1_3repE0EEENS1_30default_config_static_selectorELNS0_4arch9wavefront6targetE1EEEvT1_
	.p2align	8
	.type	_ZN7rocprim17ROCPRIM_400000_NS6detail17trampoline_kernelINS0_14default_configENS1_25transform_config_selectorIN3c104HalfELb1EEEZNS1_14transform_implILb1ES3_S7_PS6_S9_NS0_8identityIS6_EEEE10hipError_tT2_T3_mT4_P12ihipStream_tbEUlT_E_NS1_11comp_targetILNS1_3genE10ELNS1_11target_archE1201ELNS1_3gpuE5ELNS1_3repE0EEENS1_30default_config_static_selectorELNS0_4arch9wavefront6targetE1EEEvT1_,@function
_ZN7rocprim17ROCPRIM_400000_NS6detail17trampoline_kernelINS0_14default_configENS1_25transform_config_selectorIN3c104HalfELb1EEEZNS1_14transform_implILb1ES3_S7_PS6_S9_NS0_8identityIS6_EEEE10hipError_tT2_T3_mT4_P12ihipStream_tbEUlT_E_NS1_11comp_targetILNS1_3genE10ELNS1_11target_archE1201ELNS1_3gpuE5ELNS1_3repE0EEENS1_30default_config_static_selectorELNS0_4arch9wavefront6targetE1EEEvT1_: ; @_ZN7rocprim17ROCPRIM_400000_NS6detail17trampoline_kernelINS0_14default_configENS1_25transform_config_selectorIN3c104HalfELb1EEEZNS1_14transform_implILb1ES3_S7_PS6_S9_NS0_8identityIS6_EEEE10hipError_tT2_T3_mT4_P12ihipStream_tbEUlT_E_NS1_11comp_targetILNS1_3genE10ELNS1_11target_archE1201ELNS1_3gpuE5ELNS1_3repE0EEENS1_30default_config_static_selectorELNS0_4arch9wavefront6targetE1EEEvT1_
; %bb.0:
	.section	.rodata,"a",@progbits
	.p2align	6, 0x0
	.amdhsa_kernel _ZN7rocprim17ROCPRIM_400000_NS6detail17trampoline_kernelINS0_14default_configENS1_25transform_config_selectorIN3c104HalfELb1EEEZNS1_14transform_implILb1ES3_S7_PS6_S9_NS0_8identityIS6_EEEE10hipError_tT2_T3_mT4_P12ihipStream_tbEUlT_E_NS1_11comp_targetILNS1_3genE10ELNS1_11target_archE1201ELNS1_3gpuE5ELNS1_3repE0EEENS1_30default_config_static_selectorELNS0_4arch9wavefront6targetE1EEEvT1_
		.amdhsa_group_segment_fixed_size 0
		.amdhsa_private_segment_fixed_size 0
		.amdhsa_kernarg_size 40
		.amdhsa_user_sgpr_count 6
		.amdhsa_user_sgpr_private_segment_buffer 1
		.amdhsa_user_sgpr_dispatch_ptr 0
		.amdhsa_user_sgpr_queue_ptr 0
		.amdhsa_user_sgpr_kernarg_segment_ptr 1
		.amdhsa_user_sgpr_dispatch_id 0
		.amdhsa_user_sgpr_flat_scratch_init 0
		.amdhsa_user_sgpr_private_segment_size 0
		.amdhsa_uses_dynamic_stack 0
		.amdhsa_system_sgpr_private_segment_wavefront_offset 0
		.amdhsa_system_sgpr_workgroup_id_x 1
		.amdhsa_system_sgpr_workgroup_id_y 0
		.amdhsa_system_sgpr_workgroup_id_z 0
		.amdhsa_system_sgpr_workgroup_info 0
		.amdhsa_system_vgpr_workitem_id 0
		.amdhsa_next_free_vgpr 1
		.amdhsa_next_free_sgpr 0
		.amdhsa_reserve_vcc 0
		.amdhsa_reserve_flat_scratch 0
		.amdhsa_float_round_mode_32 0
		.amdhsa_float_round_mode_16_64 0
		.amdhsa_float_denorm_mode_32 3
		.amdhsa_float_denorm_mode_16_64 3
		.amdhsa_dx10_clamp 1
		.amdhsa_ieee_mode 1
		.amdhsa_fp16_overflow 0
		.amdhsa_exception_fp_ieee_invalid_op 0
		.amdhsa_exception_fp_denorm_src 0
		.amdhsa_exception_fp_ieee_div_zero 0
		.amdhsa_exception_fp_ieee_overflow 0
		.amdhsa_exception_fp_ieee_underflow 0
		.amdhsa_exception_fp_ieee_inexact 0
		.amdhsa_exception_int_div_zero 0
	.end_amdhsa_kernel
	.section	.text._ZN7rocprim17ROCPRIM_400000_NS6detail17trampoline_kernelINS0_14default_configENS1_25transform_config_selectorIN3c104HalfELb1EEEZNS1_14transform_implILb1ES3_S7_PS6_S9_NS0_8identityIS6_EEEE10hipError_tT2_T3_mT4_P12ihipStream_tbEUlT_E_NS1_11comp_targetILNS1_3genE10ELNS1_11target_archE1201ELNS1_3gpuE5ELNS1_3repE0EEENS1_30default_config_static_selectorELNS0_4arch9wavefront6targetE1EEEvT1_,"axG",@progbits,_ZN7rocprim17ROCPRIM_400000_NS6detail17trampoline_kernelINS0_14default_configENS1_25transform_config_selectorIN3c104HalfELb1EEEZNS1_14transform_implILb1ES3_S7_PS6_S9_NS0_8identityIS6_EEEE10hipError_tT2_T3_mT4_P12ihipStream_tbEUlT_E_NS1_11comp_targetILNS1_3genE10ELNS1_11target_archE1201ELNS1_3gpuE5ELNS1_3repE0EEENS1_30default_config_static_selectorELNS0_4arch9wavefront6targetE1EEEvT1_,comdat
.Lfunc_end361:
	.size	_ZN7rocprim17ROCPRIM_400000_NS6detail17trampoline_kernelINS0_14default_configENS1_25transform_config_selectorIN3c104HalfELb1EEEZNS1_14transform_implILb1ES3_S7_PS6_S9_NS0_8identityIS6_EEEE10hipError_tT2_T3_mT4_P12ihipStream_tbEUlT_E_NS1_11comp_targetILNS1_3genE10ELNS1_11target_archE1201ELNS1_3gpuE5ELNS1_3repE0EEENS1_30default_config_static_selectorELNS0_4arch9wavefront6targetE1EEEvT1_, .Lfunc_end361-_ZN7rocprim17ROCPRIM_400000_NS6detail17trampoline_kernelINS0_14default_configENS1_25transform_config_selectorIN3c104HalfELb1EEEZNS1_14transform_implILb1ES3_S7_PS6_S9_NS0_8identityIS6_EEEE10hipError_tT2_T3_mT4_P12ihipStream_tbEUlT_E_NS1_11comp_targetILNS1_3genE10ELNS1_11target_archE1201ELNS1_3gpuE5ELNS1_3repE0EEENS1_30default_config_static_selectorELNS0_4arch9wavefront6targetE1EEEvT1_
                                        ; -- End function
	.set _ZN7rocprim17ROCPRIM_400000_NS6detail17trampoline_kernelINS0_14default_configENS1_25transform_config_selectorIN3c104HalfELb1EEEZNS1_14transform_implILb1ES3_S7_PS6_S9_NS0_8identityIS6_EEEE10hipError_tT2_T3_mT4_P12ihipStream_tbEUlT_E_NS1_11comp_targetILNS1_3genE10ELNS1_11target_archE1201ELNS1_3gpuE5ELNS1_3repE0EEENS1_30default_config_static_selectorELNS0_4arch9wavefront6targetE1EEEvT1_.num_vgpr, 0
	.set _ZN7rocprim17ROCPRIM_400000_NS6detail17trampoline_kernelINS0_14default_configENS1_25transform_config_selectorIN3c104HalfELb1EEEZNS1_14transform_implILb1ES3_S7_PS6_S9_NS0_8identityIS6_EEEE10hipError_tT2_T3_mT4_P12ihipStream_tbEUlT_E_NS1_11comp_targetILNS1_3genE10ELNS1_11target_archE1201ELNS1_3gpuE5ELNS1_3repE0EEENS1_30default_config_static_selectorELNS0_4arch9wavefront6targetE1EEEvT1_.num_agpr, 0
	.set _ZN7rocprim17ROCPRIM_400000_NS6detail17trampoline_kernelINS0_14default_configENS1_25transform_config_selectorIN3c104HalfELb1EEEZNS1_14transform_implILb1ES3_S7_PS6_S9_NS0_8identityIS6_EEEE10hipError_tT2_T3_mT4_P12ihipStream_tbEUlT_E_NS1_11comp_targetILNS1_3genE10ELNS1_11target_archE1201ELNS1_3gpuE5ELNS1_3repE0EEENS1_30default_config_static_selectorELNS0_4arch9wavefront6targetE1EEEvT1_.numbered_sgpr, 0
	.set _ZN7rocprim17ROCPRIM_400000_NS6detail17trampoline_kernelINS0_14default_configENS1_25transform_config_selectorIN3c104HalfELb1EEEZNS1_14transform_implILb1ES3_S7_PS6_S9_NS0_8identityIS6_EEEE10hipError_tT2_T3_mT4_P12ihipStream_tbEUlT_E_NS1_11comp_targetILNS1_3genE10ELNS1_11target_archE1201ELNS1_3gpuE5ELNS1_3repE0EEENS1_30default_config_static_selectorELNS0_4arch9wavefront6targetE1EEEvT1_.num_named_barrier, 0
	.set _ZN7rocprim17ROCPRIM_400000_NS6detail17trampoline_kernelINS0_14default_configENS1_25transform_config_selectorIN3c104HalfELb1EEEZNS1_14transform_implILb1ES3_S7_PS6_S9_NS0_8identityIS6_EEEE10hipError_tT2_T3_mT4_P12ihipStream_tbEUlT_E_NS1_11comp_targetILNS1_3genE10ELNS1_11target_archE1201ELNS1_3gpuE5ELNS1_3repE0EEENS1_30default_config_static_selectorELNS0_4arch9wavefront6targetE1EEEvT1_.private_seg_size, 0
	.set _ZN7rocprim17ROCPRIM_400000_NS6detail17trampoline_kernelINS0_14default_configENS1_25transform_config_selectorIN3c104HalfELb1EEEZNS1_14transform_implILb1ES3_S7_PS6_S9_NS0_8identityIS6_EEEE10hipError_tT2_T3_mT4_P12ihipStream_tbEUlT_E_NS1_11comp_targetILNS1_3genE10ELNS1_11target_archE1201ELNS1_3gpuE5ELNS1_3repE0EEENS1_30default_config_static_selectorELNS0_4arch9wavefront6targetE1EEEvT1_.uses_vcc, 0
	.set _ZN7rocprim17ROCPRIM_400000_NS6detail17trampoline_kernelINS0_14default_configENS1_25transform_config_selectorIN3c104HalfELb1EEEZNS1_14transform_implILb1ES3_S7_PS6_S9_NS0_8identityIS6_EEEE10hipError_tT2_T3_mT4_P12ihipStream_tbEUlT_E_NS1_11comp_targetILNS1_3genE10ELNS1_11target_archE1201ELNS1_3gpuE5ELNS1_3repE0EEENS1_30default_config_static_selectorELNS0_4arch9wavefront6targetE1EEEvT1_.uses_flat_scratch, 0
	.set _ZN7rocprim17ROCPRIM_400000_NS6detail17trampoline_kernelINS0_14default_configENS1_25transform_config_selectorIN3c104HalfELb1EEEZNS1_14transform_implILb1ES3_S7_PS6_S9_NS0_8identityIS6_EEEE10hipError_tT2_T3_mT4_P12ihipStream_tbEUlT_E_NS1_11comp_targetILNS1_3genE10ELNS1_11target_archE1201ELNS1_3gpuE5ELNS1_3repE0EEENS1_30default_config_static_selectorELNS0_4arch9wavefront6targetE1EEEvT1_.has_dyn_sized_stack, 0
	.set _ZN7rocprim17ROCPRIM_400000_NS6detail17trampoline_kernelINS0_14default_configENS1_25transform_config_selectorIN3c104HalfELb1EEEZNS1_14transform_implILb1ES3_S7_PS6_S9_NS0_8identityIS6_EEEE10hipError_tT2_T3_mT4_P12ihipStream_tbEUlT_E_NS1_11comp_targetILNS1_3genE10ELNS1_11target_archE1201ELNS1_3gpuE5ELNS1_3repE0EEENS1_30default_config_static_selectorELNS0_4arch9wavefront6targetE1EEEvT1_.has_recursion, 0
	.set _ZN7rocprim17ROCPRIM_400000_NS6detail17trampoline_kernelINS0_14default_configENS1_25transform_config_selectorIN3c104HalfELb1EEEZNS1_14transform_implILb1ES3_S7_PS6_S9_NS0_8identityIS6_EEEE10hipError_tT2_T3_mT4_P12ihipStream_tbEUlT_E_NS1_11comp_targetILNS1_3genE10ELNS1_11target_archE1201ELNS1_3gpuE5ELNS1_3repE0EEENS1_30default_config_static_selectorELNS0_4arch9wavefront6targetE1EEEvT1_.has_indirect_call, 0
	.section	.AMDGPU.csdata,"",@progbits
; Kernel info:
; codeLenInByte = 0
; TotalNumSgprs: 4
; NumVgprs: 0
; ScratchSize: 0
; MemoryBound: 0
; FloatMode: 240
; IeeeMode: 1
; LDSByteSize: 0 bytes/workgroup (compile time only)
; SGPRBlocks: 0
; VGPRBlocks: 0
; NumSGPRsForWavesPerEU: 4
; NumVGPRsForWavesPerEU: 1
; Occupancy: 10
; WaveLimiterHint : 0
; COMPUTE_PGM_RSRC2:SCRATCH_EN: 0
; COMPUTE_PGM_RSRC2:USER_SGPR: 6
; COMPUTE_PGM_RSRC2:TRAP_HANDLER: 0
; COMPUTE_PGM_RSRC2:TGID_X_EN: 1
; COMPUTE_PGM_RSRC2:TGID_Y_EN: 0
; COMPUTE_PGM_RSRC2:TGID_Z_EN: 0
; COMPUTE_PGM_RSRC2:TIDIG_COMP_CNT: 0
	.section	.text._ZN7rocprim17ROCPRIM_400000_NS6detail17trampoline_kernelINS0_14default_configENS1_25transform_config_selectorIN3c104HalfELb1EEEZNS1_14transform_implILb1ES3_S7_PS6_S9_NS0_8identityIS6_EEEE10hipError_tT2_T3_mT4_P12ihipStream_tbEUlT_E_NS1_11comp_targetILNS1_3genE5ELNS1_11target_archE942ELNS1_3gpuE9ELNS1_3repE0EEENS1_30default_config_static_selectorELNS0_4arch9wavefront6targetE1EEEvT1_,"axG",@progbits,_ZN7rocprim17ROCPRIM_400000_NS6detail17trampoline_kernelINS0_14default_configENS1_25transform_config_selectorIN3c104HalfELb1EEEZNS1_14transform_implILb1ES3_S7_PS6_S9_NS0_8identityIS6_EEEE10hipError_tT2_T3_mT4_P12ihipStream_tbEUlT_E_NS1_11comp_targetILNS1_3genE5ELNS1_11target_archE942ELNS1_3gpuE9ELNS1_3repE0EEENS1_30default_config_static_selectorELNS0_4arch9wavefront6targetE1EEEvT1_,comdat
	.protected	_ZN7rocprim17ROCPRIM_400000_NS6detail17trampoline_kernelINS0_14default_configENS1_25transform_config_selectorIN3c104HalfELb1EEEZNS1_14transform_implILb1ES3_S7_PS6_S9_NS0_8identityIS6_EEEE10hipError_tT2_T3_mT4_P12ihipStream_tbEUlT_E_NS1_11comp_targetILNS1_3genE5ELNS1_11target_archE942ELNS1_3gpuE9ELNS1_3repE0EEENS1_30default_config_static_selectorELNS0_4arch9wavefront6targetE1EEEvT1_ ; -- Begin function _ZN7rocprim17ROCPRIM_400000_NS6detail17trampoline_kernelINS0_14default_configENS1_25transform_config_selectorIN3c104HalfELb1EEEZNS1_14transform_implILb1ES3_S7_PS6_S9_NS0_8identityIS6_EEEE10hipError_tT2_T3_mT4_P12ihipStream_tbEUlT_E_NS1_11comp_targetILNS1_3genE5ELNS1_11target_archE942ELNS1_3gpuE9ELNS1_3repE0EEENS1_30default_config_static_selectorELNS0_4arch9wavefront6targetE1EEEvT1_
	.globl	_ZN7rocprim17ROCPRIM_400000_NS6detail17trampoline_kernelINS0_14default_configENS1_25transform_config_selectorIN3c104HalfELb1EEEZNS1_14transform_implILb1ES3_S7_PS6_S9_NS0_8identityIS6_EEEE10hipError_tT2_T3_mT4_P12ihipStream_tbEUlT_E_NS1_11comp_targetILNS1_3genE5ELNS1_11target_archE942ELNS1_3gpuE9ELNS1_3repE0EEENS1_30default_config_static_selectorELNS0_4arch9wavefront6targetE1EEEvT1_
	.p2align	8
	.type	_ZN7rocprim17ROCPRIM_400000_NS6detail17trampoline_kernelINS0_14default_configENS1_25transform_config_selectorIN3c104HalfELb1EEEZNS1_14transform_implILb1ES3_S7_PS6_S9_NS0_8identityIS6_EEEE10hipError_tT2_T3_mT4_P12ihipStream_tbEUlT_E_NS1_11comp_targetILNS1_3genE5ELNS1_11target_archE942ELNS1_3gpuE9ELNS1_3repE0EEENS1_30default_config_static_selectorELNS0_4arch9wavefront6targetE1EEEvT1_,@function
_ZN7rocprim17ROCPRIM_400000_NS6detail17trampoline_kernelINS0_14default_configENS1_25transform_config_selectorIN3c104HalfELb1EEEZNS1_14transform_implILb1ES3_S7_PS6_S9_NS0_8identityIS6_EEEE10hipError_tT2_T3_mT4_P12ihipStream_tbEUlT_E_NS1_11comp_targetILNS1_3genE5ELNS1_11target_archE942ELNS1_3gpuE9ELNS1_3repE0EEENS1_30default_config_static_selectorELNS0_4arch9wavefront6targetE1EEEvT1_: ; @_ZN7rocprim17ROCPRIM_400000_NS6detail17trampoline_kernelINS0_14default_configENS1_25transform_config_selectorIN3c104HalfELb1EEEZNS1_14transform_implILb1ES3_S7_PS6_S9_NS0_8identityIS6_EEEE10hipError_tT2_T3_mT4_P12ihipStream_tbEUlT_E_NS1_11comp_targetILNS1_3genE5ELNS1_11target_archE942ELNS1_3gpuE9ELNS1_3repE0EEENS1_30default_config_static_selectorELNS0_4arch9wavefront6targetE1EEEvT1_
; %bb.0:
	.section	.rodata,"a",@progbits
	.p2align	6, 0x0
	.amdhsa_kernel _ZN7rocprim17ROCPRIM_400000_NS6detail17trampoline_kernelINS0_14default_configENS1_25transform_config_selectorIN3c104HalfELb1EEEZNS1_14transform_implILb1ES3_S7_PS6_S9_NS0_8identityIS6_EEEE10hipError_tT2_T3_mT4_P12ihipStream_tbEUlT_E_NS1_11comp_targetILNS1_3genE5ELNS1_11target_archE942ELNS1_3gpuE9ELNS1_3repE0EEENS1_30default_config_static_selectorELNS0_4arch9wavefront6targetE1EEEvT1_
		.amdhsa_group_segment_fixed_size 0
		.amdhsa_private_segment_fixed_size 0
		.amdhsa_kernarg_size 40
		.amdhsa_user_sgpr_count 6
		.amdhsa_user_sgpr_private_segment_buffer 1
		.amdhsa_user_sgpr_dispatch_ptr 0
		.amdhsa_user_sgpr_queue_ptr 0
		.amdhsa_user_sgpr_kernarg_segment_ptr 1
		.amdhsa_user_sgpr_dispatch_id 0
		.amdhsa_user_sgpr_flat_scratch_init 0
		.amdhsa_user_sgpr_private_segment_size 0
		.amdhsa_uses_dynamic_stack 0
		.amdhsa_system_sgpr_private_segment_wavefront_offset 0
		.amdhsa_system_sgpr_workgroup_id_x 1
		.amdhsa_system_sgpr_workgroup_id_y 0
		.amdhsa_system_sgpr_workgroup_id_z 0
		.amdhsa_system_sgpr_workgroup_info 0
		.amdhsa_system_vgpr_workitem_id 0
		.amdhsa_next_free_vgpr 1
		.amdhsa_next_free_sgpr 0
		.amdhsa_reserve_vcc 0
		.amdhsa_reserve_flat_scratch 0
		.amdhsa_float_round_mode_32 0
		.amdhsa_float_round_mode_16_64 0
		.amdhsa_float_denorm_mode_32 3
		.amdhsa_float_denorm_mode_16_64 3
		.amdhsa_dx10_clamp 1
		.amdhsa_ieee_mode 1
		.amdhsa_fp16_overflow 0
		.amdhsa_exception_fp_ieee_invalid_op 0
		.amdhsa_exception_fp_denorm_src 0
		.amdhsa_exception_fp_ieee_div_zero 0
		.amdhsa_exception_fp_ieee_overflow 0
		.amdhsa_exception_fp_ieee_underflow 0
		.amdhsa_exception_fp_ieee_inexact 0
		.amdhsa_exception_int_div_zero 0
	.end_amdhsa_kernel
	.section	.text._ZN7rocprim17ROCPRIM_400000_NS6detail17trampoline_kernelINS0_14default_configENS1_25transform_config_selectorIN3c104HalfELb1EEEZNS1_14transform_implILb1ES3_S7_PS6_S9_NS0_8identityIS6_EEEE10hipError_tT2_T3_mT4_P12ihipStream_tbEUlT_E_NS1_11comp_targetILNS1_3genE5ELNS1_11target_archE942ELNS1_3gpuE9ELNS1_3repE0EEENS1_30default_config_static_selectorELNS0_4arch9wavefront6targetE1EEEvT1_,"axG",@progbits,_ZN7rocprim17ROCPRIM_400000_NS6detail17trampoline_kernelINS0_14default_configENS1_25transform_config_selectorIN3c104HalfELb1EEEZNS1_14transform_implILb1ES3_S7_PS6_S9_NS0_8identityIS6_EEEE10hipError_tT2_T3_mT4_P12ihipStream_tbEUlT_E_NS1_11comp_targetILNS1_3genE5ELNS1_11target_archE942ELNS1_3gpuE9ELNS1_3repE0EEENS1_30default_config_static_selectorELNS0_4arch9wavefront6targetE1EEEvT1_,comdat
.Lfunc_end362:
	.size	_ZN7rocprim17ROCPRIM_400000_NS6detail17trampoline_kernelINS0_14default_configENS1_25transform_config_selectorIN3c104HalfELb1EEEZNS1_14transform_implILb1ES3_S7_PS6_S9_NS0_8identityIS6_EEEE10hipError_tT2_T3_mT4_P12ihipStream_tbEUlT_E_NS1_11comp_targetILNS1_3genE5ELNS1_11target_archE942ELNS1_3gpuE9ELNS1_3repE0EEENS1_30default_config_static_selectorELNS0_4arch9wavefront6targetE1EEEvT1_, .Lfunc_end362-_ZN7rocprim17ROCPRIM_400000_NS6detail17trampoline_kernelINS0_14default_configENS1_25transform_config_selectorIN3c104HalfELb1EEEZNS1_14transform_implILb1ES3_S7_PS6_S9_NS0_8identityIS6_EEEE10hipError_tT2_T3_mT4_P12ihipStream_tbEUlT_E_NS1_11comp_targetILNS1_3genE5ELNS1_11target_archE942ELNS1_3gpuE9ELNS1_3repE0EEENS1_30default_config_static_selectorELNS0_4arch9wavefront6targetE1EEEvT1_
                                        ; -- End function
	.set _ZN7rocprim17ROCPRIM_400000_NS6detail17trampoline_kernelINS0_14default_configENS1_25transform_config_selectorIN3c104HalfELb1EEEZNS1_14transform_implILb1ES3_S7_PS6_S9_NS0_8identityIS6_EEEE10hipError_tT2_T3_mT4_P12ihipStream_tbEUlT_E_NS1_11comp_targetILNS1_3genE5ELNS1_11target_archE942ELNS1_3gpuE9ELNS1_3repE0EEENS1_30default_config_static_selectorELNS0_4arch9wavefront6targetE1EEEvT1_.num_vgpr, 0
	.set _ZN7rocprim17ROCPRIM_400000_NS6detail17trampoline_kernelINS0_14default_configENS1_25transform_config_selectorIN3c104HalfELb1EEEZNS1_14transform_implILb1ES3_S7_PS6_S9_NS0_8identityIS6_EEEE10hipError_tT2_T3_mT4_P12ihipStream_tbEUlT_E_NS1_11comp_targetILNS1_3genE5ELNS1_11target_archE942ELNS1_3gpuE9ELNS1_3repE0EEENS1_30default_config_static_selectorELNS0_4arch9wavefront6targetE1EEEvT1_.num_agpr, 0
	.set _ZN7rocprim17ROCPRIM_400000_NS6detail17trampoline_kernelINS0_14default_configENS1_25transform_config_selectorIN3c104HalfELb1EEEZNS1_14transform_implILb1ES3_S7_PS6_S9_NS0_8identityIS6_EEEE10hipError_tT2_T3_mT4_P12ihipStream_tbEUlT_E_NS1_11comp_targetILNS1_3genE5ELNS1_11target_archE942ELNS1_3gpuE9ELNS1_3repE0EEENS1_30default_config_static_selectorELNS0_4arch9wavefront6targetE1EEEvT1_.numbered_sgpr, 0
	.set _ZN7rocprim17ROCPRIM_400000_NS6detail17trampoline_kernelINS0_14default_configENS1_25transform_config_selectorIN3c104HalfELb1EEEZNS1_14transform_implILb1ES3_S7_PS6_S9_NS0_8identityIS6_EEEE10hipError_tT2_T3_mT4_P12ihipStream_tbEUlT_E_NS1_11comp_targetILNS1_3genE5ELNS1_11target_archE942ELNS1_3gpuE9ELNS1_3repE0EEENS1_30default_config_static_selectorELNS0_4arch9wavefront6targetE1EEEvT1_.num_named_barrier, 0
	.set _ZN7rocprim17ROCPRIM_400000_NS6detail17trampoline_kernelINS0_14default_configENS1_25transform_config_selectorIN3c104HalfELb1EEEZNS1_14transform_implILb1ES3_S7_PS6_S9_NS0_8identityIS6_EEEE10hipError_tT2_T3_mT4_P12ihipStream_tbEUlT_E_NS1_11comp_targetILNS1_3genE5ELNS1_11target_archE942ELNS1_3gpuE9ELNS1_3repE0EEENS1_30default_config_static_selectorELNS0_4arch9wavefront6targetE1EEEvT1_.private_seg_size, 0
	.set _ZN7rocprim17ROCPRIM_400000_NS6detail17trampoline_kernelINS0_14default_configENS1_25transform_config_selectorIN3c104HalfELb1EEEZNS1_14transform_implILb1ES3_S7_PS6_S9_NS0_8identityIS6_EEEE10hipError_tT2_T3_mT4_P12ihipStream_tbEUlT_E_NS1_11comp_targetILNS1_3genE5ELNS1_11target_archE942ELNS1_3gpuE9ELNS1_3repE0EEENS1_30default_config_static_selectorELNS0_4arch9wavefront6targetE1EEEvT1_.uses_vcc, 0
	.set _ZN7rocprim17ROCPRIM_400000_NS6detail17trampoline_kernelINS0_14default_configENS1_25transform_config_selectorIN3c104HalfELb1EEEZNS1_14transform_implILb1ES3_S7_PS6_S9_NS0_8identityIS6_EEEE10hipError_tT2_T3_mT4_P12ihipStream_tbEUlT_E_NS1_11comp_targetILNS1_3genE5ELNS1_11target_archE942ELNS1_3gpuE9ELNS1_3repE0EEENS1_30default_config_static_selectorELNS0_4arch9wavefront6targetE1EEEvT1_.uses_flat_scratch, 0
	.set _ZN7rocprim17ROCPRIM_400000_NS6detail17trampoline_kernelINS0_14default_configENS1_25transform_config_selectorIN3c104HalfELb1EEEZNS1_14transform_implILb1ES3_S7_PS6_S9_NS0_8identityIS6_EEEE10hipError_tT2_T3_mT4_P12ihipStream_tbEUlT_E_NS1_11comp_targetILNS1_3genE5ELNS1_11target_archE942ELNS1_3gpuE9ELNS1_3repE0EEENS1_30default_config_static_selectorELNS0_4arch9wavefront6targetE1EEEvT1_.has_dyn_sized_stack, 0
	.set _ZN7rocprim17ROCPRIM_400000_NS6detail17trampoline_kernelINS0_14default_configENS1_25transform_config_selectorIN3c104HalfELb1EEEZNS1_14transform_implILb1ES3_S7_PS6_S9_NS0_8identityIS6_EEEE10hipError_tT2_T3_mT4_P12ihipStream_tbEUlT_E_NS1_11comp_targetILNS1_3genE5ELNS1_11target_archE942ELNS1_3gpuE9ELNS1_3repE0EEENS1_30default_config_static_selectorELNS0_4arch9wavefront6targetE1EEEvT1_.has_recursion, 0
	.set _ZN7rocprim17ROCPRIM_400000_NS6detail17trampoline_kernelINS0_14default_configENS1_25transform_config_selectorIN3c104HalfELb1EEEZNS1_14transform_implILb1ES3_S7_PS6_S9_NS0_8identityIS6_EEEE10hipError_tT2_T3_mT4_P12ihipStream_tbEUlT_E_NS1_11comp_targetILNS1_3genE5ELNS1_11target_archE942ELNS1_3gpuE9ELNS1_3repE0EEENS1_30default_config_static_selectorELNS0_4arch9wavefront6targetE1EEEvT1_.has_indirect_call, 0
	.section	.AMDGPU.csdata,"",@progbits
; Kernel info:
; codeLenInByte = 0
; TotalNumSgprs: 4
; NumVgprs: 0
; ScratchSize: 0
; MemoryBound: 0
; FloatMode: 240
; IeeeMode: 1
; LDSByteSize: 0 bytes/workgroup (compile time only)
; SGPRBlocks: 0
; VGPRBlocks: 0
; NumSGPRsForWavesPerEU: 4
; NumVGPRsForWavesPerEU: 1
; Occupancy: 10
; WaveLimiterHint : 0
; COMPUTE_PGM_RSRC2:SCRATCH_EN: 0
; COMPUTE_PGM_RSRC2:USER_SGPR: 6
; COMPUTE_PGM_RSRC2:TRAP_HANDLER: 0
; COMPUTE_PGM_RSRC2:TGID_X_EN: 1
; COMPUTE_PGM_RSRC2:TGID_Y_EN: 0
; COMPUTE_PGM_RSRC2:TGID_Z_EN: 0
; COMPUTE_PGM_RSRC2:TIDIG_COMP_CNT: 0
	.section	.text._ZN7rocprim17ROCPRIM_400000_NS6detail17trampoline_kernelINS0_14default_configENS1_25transform_config_selectorIN3c104HalfELb1EEEZNS1_14transform_implILb1ES3_S7_PS6_S9_NS0_8identityIS6_EEEE10hipError_tT2_T3_mT4_P12ihipStream_tbEUlT_E_NS1_11comp_targetILNS1_3genE4ELNS1_11target_archE910ELNS1_3gpuE8ELNS1_3repE0EEENS1_30default_config_static_selectorELNS0_4arch9wavefront6targetE1EEEvT1_,"axG",@progbits,_ZN7rocprim17ROCPRIM_400000_NS6detail17trampoline_kernelINS0_14default_configENS1_25transform_config_selectorIN3c104HalfELb1EEEZNS1_14transform_implILb1ES3_S7_PS6_S9_NS0_8identityIS6_EEEE10hipError_tT2_T3_mT4_P12ihipStream_tbEUlT_E_NS1_11comp_targetILNS1_3genE4ELNS1_11target_archE910ELNS1_3gpuE8ELNS1_3repE0EEENS1_30default_config_static_selectorELNS0_4arch9wavefront6targetE1EEEvT1_,comdat
	.protected	_ZN7rocprim17ROCPRIM_400000_NS6detail17trampoline_kernelINS0_14default_configENS1_25transform_config_selectorIN3c104HalfELb1EEEZNS1_14transform_implILb1ES3_S7_PS6_S9_NS0_8identityIS6_EEEE10hipError_tT2_T3_mT4_P12ihipStream_tbEUlT_E_NS1_11comp_targetILNS1_3genE4ELNS1_11target_archE910ELNS1_3gpuE8ELNS1_3repE0EEENS1_30default_config_static_selectorELNS0_4arch9wavefront6targetE1EEEvT1_ ; -- Begin function _ZN7rocprim17ROCPRIM_400000_NS6detail17trampoline_kernelINS0_14default_configENS1_25transform_config_selectorIN3c104HalfELb1EEEZNS1_14transform_implILb1ES3_S7_PS6_S9_NS0_8identityIS6_EEEE10hipError_tT2_T3_mT4_P12ihipStream_tbEUlT_E_NS1_11comp_targetILNS1_3genE4ELNS1_11target_archE910ELNS1_3gpuE8ELNS1_3repE0EEENS1_30default_config_static_selectorELNS0_4arch9wavefront6targetE1EEEvT1_
	.globl	_ZN7rocprim17ROCPRIM_400000_NS6detail17trampoline_kernelINS0_14default_configENS1_25transform_config_selectorIN3c104HalfELb1EEEZNS1_14transform_implILb1ES3_S7_PS6_S9_NS0_8identityIS6_EEEE10hipError_tT2_T3_mT4_P12ihipStream_tbEUlT_E_NS1_11comp_targetILNS1_3genE4ELNS1_11target_archE910ELNS1_3gpuE8ELNS1_3repE0EEENS1_30default_config_static_selectorELNS0_4arch9wavefront6targetE1EEEvT1_
	.p2align	8
	.type	_ZN7rocprim17ROCPRIM_400000_NS6detail17trampoline_kernelINS0_14default_configENS1_25transform_config_selectorIN3c104HalfELb1EEEZNS1_14transform_implILb1ES3_S7_PS6_S9_NS0_8identityIS6_EEEE10hipError_tT2_T3_mT4_P12ihipStream_tbEUlT_E_NS1_11comp_targetILNS1_3genE4ELNS1_11target_archE910ELNS1_3gpuE8ELNS1_3repE0EEENS1_30default_config_static_selectorELNS0_4arch9wavefront6targetE1EEEvT1_,@function
_ZN7rocprim17ROCPRIM_400000_NS6detail17trampoline_kernelINS0_14default_configENS1_25transform_config_selectorIN3c104HalfELb1EEEZNS1_14transform_implILb1ES3_S7_PS6_S9_NS0_8identityIS6_EEEE10hipError_tT2_T3_mT4_P12ihipStream_tbEUlT_E_NS1_11comp_targetILNS1_3genE4ELNS1_11target_archE910ELNS1_3gpuE8ELNS1_3repE0EEENS1_30default_config_static_selectorELNS0_4arch9wavefront6targetE1EEEvT1_: ; @_ZN7rocprim17ROCPRIM_400000_NS6detail17trampoline_kernelINS0_14default_configENS1_25transform_config_selectorIN3c104HalfELb1EEEZNS1_14transform_implILb1ES3_S7_PS6_S9_NS0_8identityIS6_EEEE10hipError_tT2_T3_mT4_P12ihipStream_tbEUlT_E_NS1_11comp_targetILNS1_3genE4ELNS1_11target_archE910ELNS1_3gpuE8ELNS1_3repE0EEENS1_30default_config_static_selectorELNS0_4arch9wavefront6targetE1EEEvT1_
; %bb.0:
	.section	.rodata,"a",@progbits
	.p2align	6, 0x0
	.amdhsa_kernel _ZN7rocprim17ROCPRIM_400000_NS6detail17trampoline_kernelINS0_14default_configENS1_25transform_config_selectorIN3c104HalfELb1EEEZNS1_14transform_implILb1ES3_S7_PS6_S9_NS0_8identityIS6_EEEE10hipError_tT2_T3_mT4_P12ihipStream_tbEUlT_E_NS1_11comp_targetILNS1_3genE4ELNS1_11target_archE910ELNS1_3gpuE8ELNS1_3repE0EEENS1_30default_config_static_selectorELNS0_4arch9wavefront6targetE1EEEvT1_
		.amdhsa_group_segment_fixed_size 0
		.amdhsa_private_segment_fixed_size 0
		.amdhsa_kernarg_size 40
		.amdhsa_user_sgpr_count 6
		.amdhsa_user_sgpr_private_segment_buffer 1
		.amdhsa_user_sgpr_dispatch_ptr 0
		.amdhsa_user_sgpr_queue_ptr 0
		.amdhsa_user_sgpr_kernarg_segment_ptr 1
		.amdhsa_user_sgpr_dispatch_id 0
		.amdhsa_user_sgpr_flat_scratch_init 0
		.amdhsa_user_sgpr_private_segment_size 0
		.amdhsa_uses_dynamic_stack 0
		.amdhsa_system_sgpr_private_segment_wavefront_offset 0
		.amdhsa_system_sgpr_workgroup_id_x 1
		.amdhsa_system_sgpr_workgroup_id_y 0
		.amdhsa_system_sgpr_workgroup_id_z 0
		.amdhsa_system_sgpr_workgroup_info 0
		.amdhsa_system_vgpr_workitem_id 0
		.amdhsa_next_free_vgpr 1
		.amdhsa_next_free_sgpr 0
		.amdhsa_reserve_vcc 0
		.amdhsa_reserve_flat_scratch 0
		.amdhsa_float_round_mode_32 0
		.amdhsa_float_round_mode_16_64 0
		.amdhsa_float_denorm_mode_32 3
		.amdhsa_float_denorm_mode_16_64 3
		.amdhsa_dx10_clamp 1
		.amdhsa_ieee_mode 1
		.amdhsa_fp16_overflow 0
		.amdhsa_exception_fp_ieee_invalid_op 0
		.amdhsa_exception_fp_denorm_src 0
		.amdhsa_exception_fp_ieee_div_zero 0
		.amdhsa_exception_fp_ieee_overflow 0
		.amdhsa_exception_fp_ieee_underflow 0
		.amdhsa_exception_fp_ieee_inexact 0
		.amdhsa_exception_int_div_zero 0
	.end_amdhsa_kernel
	.section	.text._ZN7rocprim17ROCPRIM_400000_NS6detail17trampoline_kernelINS0_14default_configENS1_25transform_config_selectorIN3c104HalfELb1EEEZNS1_14transform_implILb1ES3_S7_PS6_S9_NS0_8identityIS6_EEEE10hipError_tT2_T3_mT4_P12ihipStream_tbEUlT_E_NS1_11comp_targetILNS1_3genE4ELNS1_11target_archE910ELNS1_3gpuE8ELNS1_3repE0EEENS1_30default_config_static_selectorELNS0_4arch9wavefront6targetE1EEEvT1_,"axG",@progbits,_ZN7rocprim17ROCPRIM_400000_NS6detail17trampoline_kernelINS0_14default_configENS1_25transform_config_selectorIN3c104HalfELb1EEEZNS1_14transform_implILb1ES3_S7_PS6_S9_NS0_8identityIS6_EEEE10hipError_tT2_T3_mT4_P12ihipStream_tbEUlT_E_NS1_11comp_targetILNS1_3genE4ELNS1_11target_archE910ELNS1_3gpuE8ELNS1_3repE0EEENS1_30default_config_static_selectorELNS0_4arch9wavefront6targetE1EEEvT1_,comdat
.Lfunc_end363:
	.size	_ZN7rocprim17ROCPRIM_400000_NS6detail17trampoline_kernelINS0_14default_configENS1_25transform_config_selectorIN3c104HalfELb1EEEZNS1_14transform_implILb1ES3_S7_PS6_S9_NS0_8identityIS6_EEEE10hipError_tT2_T3_mT4_P12ihipStream_tbEUlT_E_NS1_11comp_targetILNS1_3genE4ELNS1_11target_archE910ELNS1_3gpuE8ELNS1_3repE0EEENS1_30default_config_static_selectorELNS0_4arch9wavefront6targetE1EEEvT1_, .Lfunc_end363-_ZN7rocprim17ROCPRIM_400000_NS6detail17trampoline_kernelINS0_14default_configENS1_25transform_config_selectorIN3c104HalfELb1EEEZNS1_14transform_implILb1ES3_S7_PS6_S9_NS0_8identityIS6_EEEE10hipError_tT2_T3_mT4_P12ihipStream_tbEUlT_E_NS1_11comp_targetILNS1_3genE4ELNS1_11target_archE910ELNS1_3gpuE8ELNS1_3repE0EEENS1_30default_config_static_selectorELNS0_4arch9wavefront6targetE1EEEvT1_
                                        ; -- End function
	.set _ZN7rocprim17ROCPRIM_400000_NS6detail17trampoline_kernelINS0_14default_configENS1_25transform_config_selectorIN3c104HalfELb1EEEZNS1_14transform_implILb1ES3_S7_PS6_S9_NS0_8identityIS6_EEEE10hipError_tT2_T3_mT4_P12ihipStream_tbEUlT_E_NS1_11comp_targetILNS1_3genE4ELNS1_11target_archE910ELNS1_3gpuE8ELNS1_3repE0EEENS1_30default_config_static_selectorELNS0_4arch9wavefront6targetE1EEEvT1_.num_vgpr, 0
	.set _ZN7rocprim17ROCPRIM_400000_NS6detail17trampoline_kernelINS0_14default_configENS1_25transform_config_selectorIN3c104HalfELb1EEEZNS1_14transform_implILb1ES3_S7_PS6_S9_NS0_8identityIS6_EEEE10hipError_tT2_T3_mT4_P12ihipStream_tbEUlT_E_NS1_11comp_targetILNS1_3genE4ELNS1_11target_archE910ELNS1_3gpuE8ELNS1_3repE0EEENS1_30default_config_static_selectorELNS0_4arch9wavefront6targetE1EEEvT1_.num_agpr, 0
	.set _ZN7rocprim17ROCPRIM_400000_NS6detail17trampoline_kernelINS0_14default_configENS1_25transform_config_selectorIN3c104HalfELb1EEEZNS1_14transform_implILb1ES3_S7_PS6_S9_NS0_8identityIS6_EEEE10hipError_tT2_T3_mT4_P12ihipStream_tbEUlT_E_NS1_11comp_targetILNS1_3genE4ELNS1_11target_archE910ELNS1_3gpuE8ELNS1_3repE0EEENS1_30default_config_static_selectorELNS0_4arch9wavefront6targetE1EEEvT1_.numbered_sgpr, 0
	.set _ZN7rocprim17ROCPRIM_400000_NS6detail17trampoline_kernelINS0_14default_configENS1_25transform_config_selectorIN3c104HalfELb1EEEZNS1_14transform_implILb1ES3_S7_PS6_S9_NS0_8identityIS6_EEEE10hipError_tT2_T3_mT4_P12ihipStream_tbEUlT_E_NS1_11comp_targetILNS1_3genE4ELNS1_11target_archE910ELNS1_3gpuE8ELNS1_3repE0EEENS1_30default_config_static_selectorELNS0_4arch9wavefront6targetE1EEEvT1_.num_named_barrier, 0
	.set _ZN7rocprim17ROCPRIM_400000_NS6detail17trampoline_kernelINS0_14default_configENS1_25transform_config_selectorIN3c104HalfELb1EEEZNS1_14transform_implILb1ES3_S7_PS6_S9_NS0_8identityIS6_EEEE10hipError_tT2_T3_mT4_P12ihipStream_tbEUlT_E_NS1_11comp_targetILNS1_3genE4ELNS1_11target_archE910ELNS1_3gpuE8ELNS1_3repE0EEENS1_30default_config_static_selectorELNS0_4arch9wavefront6targetE1EEEvT1_.private_seg_size, 0
	.set _ZN7rocprim17ROCPRIM_400000_NS6detail17trampoline_kernelINS0_14default_configENS1_25transform_config_selectorIN3c104HalfELb1EEEZNS1_14transform_implILb1ES3_S7_PS6_S9_NS0_8identityIS6_EEEE10hipError_tT2_T3_mT4_P12ihipStream_tbEUlT_E_NS1_11comp_targetILNS1_3genE4ELNS1_11target_archE910ELNS1_3gpuE8ELNS1_3repE0EEENS1_30default_config_static_selectorELNS0_4arch9wavefront6targetE1EEEvT1_.uses_vcc, 0
	.set _ZN7rocprim17ROCPRIM_400000_NS6detail17trampoline_kernelINS0_14default_configENS1_25transform_config_selectorIN3c104HalfELb1EEEZNS1_14transform_implILb1ES3_S7_PS6_S9_NS0_8identityIS6_EEEE10hipError_tT2_T3_mT4_P12ihipStream_tbEUlT_E_NS1_11comp_targetILNS1_3genE4ELNS1_11target_archE910ELNS1_3gpuE8ELNS1_3repE0EEENS1_30default_config_static_selectorELNS0_4arch9wavefront6targetE1EEEvT1_.uses_flat_scratch, 0
	.set _ZN7rocprim17ROCPRIM_400000_NS6detail17trampoline_kernelINS0_14default_configENS1_25transform_config_selectorIN3c104HalfELb1EEEZNS1_14transform_implILb1ES3_S7_PS6_S9_NS0_8identityIS6_EEEE10hipError_tT2_T3_mT4_P12ihipStream_tbEUlT_E_NS1_11comp_targetILNS1_3genE4ELNS1_11target_archE910ELNS1_3gpuE8ELNS1_3repE0EEENS1_30default_config_static_selectorELNS0_4arch9wavefront6targetE1EEEvT1_.has_dyn_sized_stack, 0
	.set _ZN7rocprim17ROCPRIM_400000_NS6detail17trampoline_kernelINS0_14default_configENS1_25transform_config_selectorIN3c104HalfELb1EEEZNS1_14transform_implILb1ES3_S7_PS6_S9_NS0_8identityIS6_EEEE10hipError_tT2_T3_mT4_P12ihipStream_tbEUlT_E_NS1_11comp_targetILNS1_3genE4ELNS1_11target_archE910ELNS1_3gpuE8ELNS1_3repE0EEENS1_30default_config_static_selectorELNS0_4arch9wavefront6targetE1EEEvT1_.has_recursion, 0
	.set _ZN7rocprim17ROCPRIM_400000_NS6detail17trampoline_kernelINS0_14default_configENS1_25transform_config_selectorIN3c104HalfELb1EEEZNS1_14transform_implILb1ES3_S7_PS6_S9_NS0_8identityIS6_EEEE10hipError_tT2_T3_mT4_P12ihipStream_tbEUlT_E_NS1_11comp_targetILNS1_3genE4ELNS1_11target_archE910ELNS1_3gpuE8ELNS1_3repE0EEENS1_30default_config_static_selectorELNS0_4arch9wavefront6targetE1EEEvT1_.has_indirect_call, 0
	.section	.AMDGPU.csdata,"",@progbits
; Kernel info:
; codeLenInByte = 0
; TotalNumSgprs: 4
; NumVgprs: 0
; ScratchSize: 0
; MemoryBound: 0
; FloatMode: 240
; IeeeMode: 1
; LDSByteSize: 0 bytes/workgroup (compile time only)
; SGPRBlocks: 0
; VGPRBlocks: 0
; NumSGPRsForWavesPerEU: 4
; NumVGPRsForWavesPerEU: 1
; Occupancy: 10
; WaveLimiterHint : 0
; COMPUTE_PGM_RSRC2:SCRATCH_EN: 0
; COMPUTE_PGM_RSRC2:USER_SGPR: 6
; COMPUTE_PGM_RSRC2:TRAP_HANDLER: 0
; COMPUTE_PGM_RSRC2:TGID_X_EN: 1
; COMPUTE_PGM_RSRC2:TGID_Y_EN: 0
; COMPUTE_PGM_RSRC2:TGID_Z_EN: 0
; COMPUTE_PGM_RSRC2:TIDIG_COMP_CNT: 0
	.section	.text._ZN7rocprim17ROCPRIM_400000_NS6detail17trampoline_kernelINS0_14default_configENS1_25transform_config_selectorIN3c104HalfELb1EEEZNS1_14transform_implILb1ES3_S7_PS6_S9_NS0_8identityIS6_EEEE10hipError_tT2_T3_mT4_P12ihipStream_tbEUlT_E_NS1_11comp_targetILNS1_3genE3ELNS1_11target_archE908ELNS1_3gpuE7ELNS1_3repE0EEENS1_30default_config_static_selectorELNS0_4arch9wavefront6targetE1EEEvT1_,"axG",@progbits,_ZN7rocprim17ROCPRIM_400000_NS6detail17trampoline_kernelINS0_14default_configENS1_25transform_config_selectorIN3c104HalfELb1EEEZNS1_14transform_implILb1ES3_S7_PS6_S9_NS0_8identityIS6_EEEE10hipError_tT2_T3_mT4_P12ihipStream_tbEUlT_E_NS1_11comp_targetILNS1_3genE3ELNS1_11target_archE908ELNS1_3gpuE7ELNS1_3repE0EEENS1_30default_config_static_selectorELNS0_4arch9wavefront6targetE1EEEvT1_,comdat
	.protected	_ZN7rocprim17ROCPRIM_400000_NS6detail17trampoline_kernelINS0_14default_configENS1_25transform_config_selectorIN3c104HalfELb1EEEZNS1_14transform_implILb1ES3_S7_PS6_S9_NS0_8identityIS6_EEEE10hipError_tT2_T3_mT4_P12ihipStream_tbEUlT_E_NS1_11comp_targetILNS1_3genE3ELNS1_11target_archE908ELNS1_3gpuE7ELNS1_3repE0EEENS1_30default_config_static_selectorELNS0_4arch9wavefront6targetE1EEEvT1_ ; -- Begin function _ZN7rocprim17ROCPRIM_400000_NS6detail17trampoline_kernelINS0_14default_configENS1_25transform_config_selectorIN3c104HalfELb1EEEZNS1_14transform_implILb1ES3_S7_PS6_S9_NS0_8identityIS6_EEEE10hipError_tT2_T3_mT4_P12ihipStream_tbEUlT_E_NS1_11comp_targetILNS1_3genE3ELNS1_11target_archE908ELNS1_3gpuE7ELNS1_3repE0EEENS1_30default_config_static_selectorELNS0_4arch9wavefront6targetE1EEEvT1_
	.globl	_ZN7rocprim17ROCPRIM_400000_NS6detail17trampoline_kernelINS0_14default_configENS1_25transform_config_selectorIN3c104HalfELb1EEEZNS1_14transform_implILb1ES3_S7_PS6_S9_NS0_8identityIS6_EEEE10hipError_tT2_T3_mT4_P12ihipStream_tbEUlT_E_NS1_11comp_targetILNS1_3genE3ELNS1_11target_archE908ELNS1_3gpuE7ELNS1_3repE0EEENS1_30default_config_static_selectorELNS0_4arch9wavefront6targetE1EEEvT1_
	.p2align	8
	.type	_ZN7rocprim17ROCPRIM_400000_NS6detail17trampoline_kernelINS0_14default_configENS1_25transform_config_selectorIN3c104HalfELb1EEEZNS1_14transform_implILb1ES3_S7_PS6_S9_NS0_8identityIS6_EEEE10hipError_tT2_T3_mT4_P12ihipStream_tbEUlT_E_NS1_11comp_targetILNS1_3genE3ELNS1_11target_archE908ELNS1_3gpuE7ELNS1_3repE0EEENS1_30default_config_static_selectorELNS0_4arch9wavefront6targetE1EEEvT1_,@function
_ZN7rocprim17ROCPRIM_400000_NS6detail17trampoline_kernelINS0_14default_configENS1_25transform_config_selectorIN3c104HalfELb1EEEZNS1_14transform_implILb1ES3_S7_PS6_S9_NS0_8identityIS6_EEEE10hipError_tT2_T3_mT4_P12ihipStream_tbEUlT_E_NS1_11comp_targetILNS1_3genE3ELNS1_11target_archE908ELNS1_3gpuE7ELNS1_3repE0EEENS1_30default_config_static_selectorELNS0_4arch9wavefront6targetE1EEEvT1_: ; @_ZN7rocprim17ROCPRIM_400000_NS6detail17trampoline_kernelINS0_14default_configENS1_25transform_config_selectorIN3c104HalfELb1EEEZNS1_14transform_implILb1ES3_S7_PS6_S9_NS0_8identityIS6_EEEE10hipError_tT2_T3_mT4_P12ihipStream_tbEUlT_E_NS1_11comp_targetILNS1_3genE3ELNS1_11target_archE908ELNS1_3gpuE7ELNS1_3repE0EEENS1_30default_config_static_selectorELNS0_4arch9wavefront6targetE1EEEvT1_
; %bb.0:
	.section	.rodata,"a",@progbits
	.p2align	6, 0x0
	.amdhsa_kernel _ZN7rocprim17ROCPRIM_400000_NS6detail17trampoline_kernelINS0_14default_configENS1_25transform_config_selectorIN3c104HalfELb1EEEZNS1_14transform_implILb1ES3_S7_PS6_S9_NS0_8identityIS6_EEEE10hipError_tT2_T3_mT4_P12ihipStream_tbEUlT_E_NS1_11comp_targetILNS1_3genE3ELNS1_11target_archE908ELNS1_3gpuE7ELNS1_3repE0EEENS1_30default_config_static_selectorELNS0_4arch9wavefront6targetE1EEEvT1_
		.amdhsa_group_segment_fixed_size 0
		.amdhsa_private_segment_fixed_size 0
		.amdhsa_kernarg_size 40
		.amdhsa_user_sgpr_count 6
		.amdhsa_user_sgpr_private_segment_buffer 1
		.amdhsa_user_sgpr_dispatch_ptr 0
		.amdhsa_user_sgpr_queue_ptr 0
		.amdhsa_user_sgpr_kernarg_segment_ptr 1
		.amdhsa_user_sgpr_dispatch_id 0
		.amdhsa_user_sgpr_flat_scratch_init 0
		.amdhsa_user_sgpr_private_segment_size 0
		.amdhsa_uses_dynamic_stack 0
		.amdhsa_system_sgpr_private_segment_wavefront_offset 0
		.amdhsa_system_sgpr_workgroup_id_x 1
		.amdhsa_system_sgpr_workgroup_id_y 0
		.amdhsa_system_sgpr_workgroup_id_z 0
		.amdhsa_system_sgpr_workgroup_info 0
		.amdhsa_system_vgpr_workitem_id 0
		.amdhsa_next_free_vgpr 1
		.amdhsa_next_free_sgpr 0
		.amdhsa_reserve_vcc 0
		.amdhsa_reserve_flat_scratch 0
		.amdhsa_float_round_mode_32 0
		.amdhsa_float_round_mode_16_64 0
		.amdhsa_float_denorm_mode_32 3
		.amdhsa_float_denorm_mode_16_64 3
		.amdhsa_dx10_clamp 1
		.amdhsa_ieee_mode 1
		.amdhsa_fp16_overflow 0
		.amdhsa_exception_fp_ieee_invalid_op 0
		.amdhsa_exception_fp_denorm_src 0
		.amdhsa_exception_fp_ieee_div_zero 0
		.amdhsa_exception_fp_ieee_overflow 0
		.amdhsa_exception_fp_ieee_underflow 0
		.amdhsa_exception_fp_ieee_inexact 0
		.amdhsa_exception_int_div_zero 0
	.end_amdhsa_kernel
	.section	.text._ZN7rocprim17ROCPRIM_400000_NS6detail17trampoline_kernelINS0_14default_configENS1_25transform_config_selectorIN3c104HalfELb1EEEZNS1_14transform_implILb1ES3_S7_PS6_S9_NS0_8identityIS6_EEEE10hipError_tT2_T3_mT4_P12ihipStream_tbEUlT_E_NS1_11comp_targetILNS1_3genE3ELNS1_11target_archE908ELNS1_3gpuE7ELNS1_3repE0EEENS1_30default_config_static_selectorELNS0_4arch9wavefront6targetE1EEEvT1_,"axG",@progbits,_ZN7rocprim17ROCPRIM_400000_NS6detail17trampoline_kernelINS0_14default_configENS1_25transform_config_selectorIN3c104HalfELb1EEEZNS1_14transform_implILb1ES3_S7_PS6_S9_NS0_8identityIS6_EEEE10hipError_tT2_T3_mT4_P12ihipStream_tbEUlT_E_NS1_11comp_targetILNS1_3genE3ELNS1_11target_archE908ELNS1_3gpuE7ELNS1_3repE0EEENS1_30default_config_static_selectorELNS0_4arch9wavefront6targetE1EEEvT1_,comdat
.Lfunc_end364:
	.size	_ZN7rocprim17ROCPRIM_400000_NS6detail17trampoline_kernelINS0_14default_configENS1_25transform_config_selectorIN3c104HalfELb1EEEZNS1_14transform_implILb1ES3_S7_PS6_S9_NS0_8identityIS6_EEEE10hipError_tT2_T3_mT4_P12ihipStream_tbEUlT_E_NS1_11comp_targetILNS1_3genE3ELNS1_11target_archE908ELNS1_3gpuE7ELNS1_3repE0EEENS1_30default_config_static_selectorELNS0_4arch9wavefront6targetE1EEEvT1_, .Lfunc_end364-_ZN7rocprim17ROCPRIM_400000_NS6detail17trampoline_kernelINS0_14default_configENS1_25transform_config_selectorIN3c104HalfELb1EEEZNS1_14transform_implILb1ES3_S7_PS6_S9_NS0_8identityIS6_EEEE10hipError_tT2_T3_mT4_P12ihipStream_tbEUlT_E_NS1_11comp_targetILNS1_3genE3ELNS1_11target_archE908ELNS1_3gpuE7ELNS1_3repE0EEENS1_30default_config_static_selectorELNS0_4arch9wavefront6targetE1EEEvT1_
                                        ; -- End function
	.set _ZN7rocprim17ROCPRIM_400000_NS6detail17trampoline_kernelINS0_14default_configENS1_25transform_config_selectorIN3c104HalfELb1EEEZNS1_14transform_implILb1ES3_S7_PS6_S9_NS0_8identityIS6_EEEE10hipError_tT2_T3_mT4_P12ihipStream_tbEUlT_E_NS1_11comp_targetILNS1_3genE3ELNS1_11target_archE908ELNS1_3gpuE7ELNS1_3repE0EEENS1_30default_config_static_selectorELNS0_4arch9wavefront6targetE1EEEvT1_.num_vgpr, 0
	.set _ZN7rocprim17ROCPRIM_400000_NS6detail17trampoline_kernelINS0_14default_configENS1_25transform_config_selectorIN3c104HalfELb1EEEZNS1_14transform_implILb1ES3_S7_PS6_S9_NS0_8identityIS6_EEEE10hipError_tT2_T3_mT4_P12ihipStream_tbEUlT_E_NS1_11comp_targetILNS1_3genE3ELNS1_11target_archE908ELNS1_3gpuE7ELNS1_3repE0EEENS1_30default_config_static_selectorELNS0_4arch9wavefront6targetE1EEEvT1_.num_agpr, 0
	.set _ZN7rocprim17ROCPRIM_400000_NS6detail17trampoline_kernelINS0_14default_configENS1_25transform_config_selectorIN3c104HalfELb1EEEZNS1_14transform_implILb1ES3_S7_PS6_S9_NS0_8identityIS6_EEEE10hipError_tT2_T3_mT4_P12ihipStream_tbEUlT_E_NS1_11comp_targetILNS1_3genE3ELNS1_11target_archE908ELNS1_3gpuE7ELNS1_3repE0EEENS1_30default_config_static_selectorELNS0_4arch9wavefront6targetE1EEEvT1_.numbered_sgpr, 0
	.set _ZN7rocprim17ROCPRIM_400000_NS6detail17trampoline_kernelINS0_14default_configENS1_25transform_config_selectorIN3c104HalfELb1EEEZNS1_14transform_implILb1ES3_S7_PS6_S9_NS0_8identityIS6_EEEE10hipError_tT2_T3_mT4_P12ihipStream_tbEUlT_E_NS1_11comp_targetILNS1_3genE3ELNS1_11target_archE908ELNS1_3gpuE7ELNS1_3repE0EEENS1_30default_config_static_selectorELNS0_4arch9wavefront6targetE1EEEvT1_.num_named_barrier, 0
	.set _ZN7rocprim17ROCPRIM_400000_NS6detail17trampoline_kernelINS0_14default_configENS1_25transform_config_selectorIN3c104HalfELb1EEEZNS1_14transform_implILb1ES3_S7_PS6_S9_NS0_8identityIS6_EEEE10hipError_tT2_T3_mT4_P12ihipStream_tbEUlT_E_NS1_11comp_targetILNS1_3genE3ELNS1_11target_archE908ELNS1_3gpuE7ELNS1_3repE0EEENS1_30default_config_static_selectorELNS0_4arch9wavefront6targetE1EEEvT1_.private_seg_size, 0
	.set _ZN7rocprim17ROCPRIM_400000_NS6detail17trampoline_kernelINS0_14default_configENS1_25transform_config_selectorIN3c104HalfELb1EEEZNS1_14transform_implILb1ES3_S7_PS6_S9_NS0_8identityIS6_EEEE10hipError_tT2_T3_mT4_P12ihipStream_tbEUlT_E_NS1_11comp_targetILNS1_3genE3ELNS1_11target_archE908ELNS1_3gpuE7ELNS1_3repE0EEENS1_30default_config_static_selectorELNS0_4arch9wavefront6targetE1EEEvT1_.uses_vcc, 0
	.set _ZN7rocprim17ROCPRIM_400000_NS6detail17trampoline_kernelINS0_14default_configENS1_25transform_config_selectorIN3c104HalfELb1EEEZNS1_14transform_implILb1ES3_S7_PS6_S9_NS0_8identityIS6_EEEE10hipError_tT2_T3_mT4_P12ihipStream_tbEUlT_E_NS1_11comp_targetILNS1_3genE3ELNS1_11target_archE908ELNS1_3gpuE7ELNS1_3repE0EEENS1_30default_config_static_selectorELNS0_4arch9wavefront6targetE1EEEvT1_.uses_flat_scratch, 0
	.set _ZN7rocprim17ROCPRIM_400000_NS6detail17trampoline_kernelINS0_14default_configENS1_25transform_config_selectorIN3c104HalfELb1EEEZNS1_14transform_implILb1ES3_S7_PS6_S9_NS0_8identityIS6_EEEE10hipError_tT2_T3_mT4_P12ihipStream_tbEUlT_E_NS1_11comp_targetILNS1_3genE3ELNS1_11target_archE908ELNS1_3gpuE7ELNS1_3repE0EEENS1_30default_config_static_selectorELNS0_4arch9wavefront6targetE1EEEvT1_.has_dyn_sized_stack, 0
	.set _ZN7rocprim17ROCPRIM_400000_NS6detail17trampoline_kernelINS0_14default_configENS1_25transform_config_selectorIN3c104HalfELb1EEEZNS1_14transform_implILb1ES3_S7_PS6_S9_NS0_8identityIS6_EEEE10hipError_tT2_T3_mT4_P12ihipStream_tbEUlT_E_NS1_11comp_targetILNS1_3genE3ELNS1_11target_archE908ELNS1_3gpuE7ELNS1_3repE0EEENS1_30default_config_static_selectorELNS0_4arch9wavefront6targetE1EEEvT1_.has_recursion, 0
	.set _ZN7rocprim17ROCPRIM_400000_NS6detail17trampoline_kernelINS0_14default_configENS1_25transform_config_selectorIN3c104HalfELb1EEEZNS1_14transform_implILb1ES3_S7_PS6_S9_NS0_8identityIS6_EEEE10hipError_tT2_T3_mT4_P12ihipStream_tbEUlT_E_NS1_11comp_targetILNS1_3genE3ELNS1_11target_archE908ELNS1_3gpuE7ELNS1_3repE0EEENS1_30default_config_static_selectorELNS0_4arch9wavefront6targetE1EEEvT1_.has_indirect_call, 0
	.section	.AMDGPU.csdata,"",@progbits
; Kernel info:
; codeLenInByte = 0
; TotalNumSgprs: 4
; NumVgprs: 0
; ScratchSize: 0
; MemoryBound: 0
; FloatMode: 240
; IeeeMode: 1
; LDSByteSize: 0 bytes/workgroup (compile time only)
; SGPRBlocks: 0
; VGPRBlocks: 0
; NumSGPRsForWavesPerEU: 4
; NumVGPRsForWavesPerEU: 1
; Occupancy: 10
; WaveLimiterHint : 0
; COMPUTE_PGM_RSRC2:SCRATCH_EN: 0
; COMPUTE_PGM_RSRC2:USER_SGPR: 6
; COMPUTE_PGM_RSRC2:TRAP_HANDLER: 0
; COMPUTE_PGM_RSRC2:TGID_X_EN: 1
; COMPUTE_PGM_RSRC2:TGID_Y_EN: 0
; COMPUTE_PGM_RSRC2:TGID_Z_EN: 0
; COMPUTE_PGM_RSRC2:TIDIG_COMP_CNT: 0
	.section	.text._ZN7rocprim17ROCPRIM_400000_NS6detail17trampoline_kernelINS0_14default_configENS1_25transform_config_selectorIN3c104HalfELb1EEEZNS1_14transform_implILb1ES3_S7_PS6_S9_NS0_8identityIS6_EEEE10hipError_tT2_T3_mT4_P12ihipStream_tbEUlT_E_NS1_11comp_targetILNS1_3genE2ELNS1_11target_archE906ELNS1_3gpuE6ELNS1_3repE0EEENS1_30default_config_static_selectorELNS0_4arch9wavefront6targetE1EEEvT1_,"axG",@progbits,_ZN7rocprim17ROCPRIM_400000_NS6detail17trampoline_kernelINS0_14default_configENS1_25transform_config_selectorIN3c104HalfELb1EEEZNS1_14transform_implILb1ES3_S7_PS6_S9_NS0_8identityIS6_EEEE10hipError_tT2_T3_mT4_P12ihipStream_tbEUlT_E_NS1_11comp_targetILNS1_3genE2ELNS1_11target_archE906ELNS1_3gpuE6ELNS1_3repE0EEENS1_30default_config_static_selectorELNS0_4arch9wavefront6targetE1EEEvT1_,comdat
	.protected	_ZN7rocprim17ROCPRIM_400000_NS6detail17trampoline_kernelINS0_14default_configENS1_25transform_config_selectorIN3c104HalfELb1EEEZNS1_14transform_implILb1ES3_S7_PS6_S9_NS0_8identityIS6_EEEE10hipError_tT2_T3_mT4_P12ihipStream_tbEUlT_E_NS1_11comp_targetILNS1_3genE2ELNS1_11target_archE906ELNS1_3gpuE6ELNS1_3repE0EEENS1_30default_config_static_selectorELNS0_4arch9wavefront6targetE1EEEvT1_ ; -- Begin function _ZN7rocprim17ROCPRIM_400000_NS6detail17trampoline_kernelINS0_14default_configENS1_25transform_config_selectorIN3c104HalfELb1EEEZNS1_14transform_implILb1ES3_S7_PS6_S9_NS0_8identityIS6_EEEE10hipError_tT2_T3_mT4_P12ihipStream_tbEUlT_E_NS1_11comp_targetILNS1_3genE2ELNS1_11target_archE906ELNS1_3gpuE6ELNS1_3repE0EEENS1_30default_config_static_selectorELNS0_4arch9wavefront6targetE1EEEvT1_
	.globl	_ZN7rocprim17ROCPRIM_400000_NS6detail17trampoline_kernelINS0_14default_configENS1_25transform_config_selectorIN3c104HalfELb1EEEZNS1_14transform_implILb1ES3_S7_PS6_S9_NS0_8identityIS6_EEEE10hipError_tT2_T3_mT4_P12ihipStream_tbEUlT_E_NS1_11comp_targetILNS1_3genE2ELNS1_11target_archE906ELNS1_3gpuE6ELNS1_3repE0EEENS1_30default_config_static_selectorELNS0_4arch9wavefront6targetE1EEEvT1_
	.p2align	8
	.type	_ZN7rocprim17ROCPRIM_400000_NS6detail17trampoline_kernelINS0_14default_configENS1_25transform_config_selectorIN3c104HalfELb1EEEZNS1_14transform_implILb1ES3_S7_PS6_S9_NS0_8identityIS6_EEEE10hipError_tT2_T3_mT4_P12ihipStream_tbEUlT_E_NS1_11comp_targetILNS1_3genE2ELNS1_11target_archE906ELNS1_3gpuE6ELNS1_3repE0EEENS1_30default_config_static_selectorELNS0_4arch9wavefront6targetE1EEEvT1_,@function
_ZN7rocprim17ROCPRIM_400000_NS6detail17trampoline_kernelINS0_14default_configENS1_25transform_config_selectorIN3c104HalfELb1EEEZNS1_14transform_implILb1ES3_S7_PS6_S9_NS0_8identityIS6_EEEE10hipError_tT2_T3_mT4_P12ihipStream_tbEUlT_E_NS1_11comp_targetILNS1_3genE2ELNS1_11target_archE906ELNS1_3gpuE6ELNS1_3repE0EEENS1_30default_config_static_selectorELNS0_4arch9wavefront6targetE1EEEvT1_: ; @_ZN7rocprim17ROCPRIM_400000_NS6detail17trampoline_kernelINS0_14default_configENS1_25transform_config_selectorIN3c104HalfELb1EEEZNS1_14transform_implILb1ES3_S7_PS6_S9_NS0_8identityIS6_EEEE10hipError_tT2_T3_mT4_P12ihipStream_tbEUlT_E_NS1_11comp_targetILNS1_3genE2ELNS1_11target_archE906ELNS1_3gpuE6ELNS1_3repE0EEENS1_30default_config_static_selectorELNS0_4arch9wavefront6targetE1EEEvT1_
; %bb.0:
	s_load_dwordx8 s[8:15], s[4:5], 0x0
	s_load_dword s2, s[4:5], 0x28
	s_waitcnt lgkmcnt(0)
	s_lshl_b64 s[0:1], s[10:11], 1
	s_add_u32 s3, s8, s0
	s_addc_u32 s4, s9, s1
	s_add_u32 s20, s14, s0
	s_addc_u32 s21, s15, s1
	s_lshl_b32 s0, s6, 13
	s_mov_b32 s1, 0
	s_add_i32 s2, s2, -1
	s_lshl_b64 s[14:15], s[0:1], 1
	s_add_u32 s16, s3, s14
	s_addc_u32 s17, s4, s15
	s_cmp_lg_u32 s6, s2
	s_mov_b64 s[2:3], -1
	s_cbranch_scc0 .LBB365_2
; %bb.1:
	v_lshlrev_b32_e32 v5, 4, v0
	global_load_dwordx4 v[1:4], v5, s[16:17]
	s_add_u32 s2, s20, s14
	s_addc_u32 s3, s21, s15
	s_waitcnt vmcnt(0)
	global_store_dwordx4 v5, v[1:4], s[2:3]
	s_mov_b64 s[2:3], 0
.LBB365_2:
	s_andn2_b64 vcc, exec, s[2:3]
	s_cbranch_vccnz .LBB365_28
; %bb.3:
	s_sub_i32 s18, s12, s0
	v_cmp_gt_u32_e32 vcc, s18, v0
	v_lshlrev_b32_e32 v1, 1, v0
                                        ; implicit-def: $vgpr2
	s_and_saveexec_b64 s[0:1], vcc
	s_cbranch_execz .LBB365_5
; %bb.4:
	global_load_ushort v2, v1, s[16:17]
.LBB365_5:
	s_or_b64 exec, exec, s[0:1]
	v_or_b32_e32 v3, 0x400, v0
	v_cmp_gt_u32_e64 s[0:1], s18, v3
                                        ; implicit-def: $vgpr3
	s_and_saveexec_b64 s[2:3], s[0:1]
	s_cbranch_execz .LBB365_7
; %bb.6:
	global_load_ushort v3, v1, s[16:17] offset:2048
.LBB365_7:
	s_or_b64 exec, exec, s[2:3]
	v_or_b32_e32 v5, 0x800, v0
	v_cmp_gt_u32_e64 s[2:3], s18, v5
                                        ; implicit-def: $vgpr4
	s_and_saveexec_b64 s[4:5], s[2:3]
	s_cbranch_execz .LBB365_9
; %bb.8:
	v_lshlrev_b32_e32 v4, 1, v5
	global_load_ushort v4, v4, s[16:17]
.LBB365_9:
	s_or_b64 exec, exec, s[4:5]
	v_or_b32_e32 v6, 0xc00, v0
	v_cmp_gt_u32_e64 s[4:5], s18, v6
                                        ; implicit-def: $vgpr5
	s_and_saveexec_b64 s[6:7], s[4:5]
	s_cbranch_execz .LBB365_11
; %bb.10:
	v_lshlrev_b32_e32 v5, 1, v6
	global_load_ushort v5, v5, s[16:17]
.LBB365_11:
	s_or_b64 exec, exec, s[6:7]
	v_or_b32_e32 v7, 0x1000, v0
	v_cmp_gt_u32_e64 s[6:7], s18, v7
                                        ; implicit-def: $vgpr6
	s_and_saveexec_b64 s[8:9], s[6:7]
	s_cbranch_execz .LBB365_13
; %bb.12:
	v_lshlrev_b32_e32 v6, 1, v7
	global_load_ushort v6, v6, s[16:17]
.LBB365_13:
	s_or_b64 exec, exec, s[8:9]
	v_or_b32_e32 v8, 0x1400, v0
	v_cmp_gt_u32_e64 s[8:9], s18, v8
                                        ; implicit-def: $vgpr7
	s_and_saveexec_b64 s[10:11], s[8:9]
	s_cbranch_execz .LBB365_15
; %bb.14:
	v_lshlrev_b32_e32 v7, 1, v8
	global_load_ushort v7, v7, s[16:17]
.LBB365_15:
	s_or_b64 exec, exec, s[10:11]
	v_or_b32_e32 v9, 0x1800, v0
	v_cmp_gt_u32_e64 s[10:11], s18, v9
                                        ; implicit-def: $vgpr8
	s_and_saveexec_b64 s[12:13], s[10:11]
	s_cbranch_execz .LBB365_17
; %bb.16:
	v_lshlrev_b32_e32 v8, 1, v9
	global_load_ushort v8, v8, s[16:17]
.LBB365_17:
	s_or_b64 exec, exec, s[12:13]
	v_or_b32_e32 v0, 0x1c00, v0
	v_cmp_gt_u32_e64 s[12:13], s18, v0
                                        ; implicit-def: $vgpr9
	s_and_saveexec_b64 s[18:19], s[12:13]
	s_cbranch_execz .LBB365_19
; %bb.18:
	v_lshlrev_b32_e32 v0, 1, v0
	global_load_ushort v9, v0, s[16:17]
.LBB365_19:
	s_or_b64 exec, exec, s[18:19]
	s_add_u32 s14, s20, s14
	s_addc_u32 s15, s21, s15
	v_mov_b32_e32 v10, s15
	v_add_co_u32_e64 v0, s[14:15], s14, v1
	v_addc_co_u32_e64 v1, s[14:15], 0, v10, s[14:15]
	s_and_saveexec_b64 s[14:15], vcc
	s_cbranch_execnz .LBB365_29
; %bb.20:
	s_or_b64 exec, exec, s[14:15]
	s_and_saveexec_b64 s[14:15], s[0:1]
	s_cbranch_execnz .LBB365_30
.LBB365_21:
	s_or_b64 exec, exec, s[14:15]
	s_and_saveexec_b64 s[0:1], s[2:3]
	s_cbranch_execnz .LBB365_31
.LBB365_22:
	s_or_b64 exec, exec, s[0:1]
	s_and_saveexec_b64 s[0:1], s[4:5]
	s_cbranch_execnz .LBB365_32
.LBB365_23:
	s_or_b64 exec, exec, s[0:1]
	s_and_saveexec_b64 s[0:1], s[6:7]
	s_cbranch_execnz .LBB365_33
.LBB365_24:
	s_or_b64 exec, exec, s[0:1]
	s_and_saveexec_b64 s[0:1], s[8:9]
	s_cbranch_execnz .LBB365_34
.LBB365_25:
	s_or_b64 exec, exec, s[0:1]
	s_and_saveexec_b64 s[0:1], s[10:11]
	s_cbranch_execnz .LBB365_35
.LBB365_26:
	s_or_b64 exec, exec, s[0:1]
	s_and_saveexec_b64 s[0:1], s[12:13]
	s_cbranch_execz .LBB365_28
.LBB365_27:
	v_add_co_u32_e32 v0, vcc, 0x3000, v0
	v_addc_co_u32_e32 v1, vcc, 0, v1, vcc
	s_waitcnt vmcnt(0)
	global_store_short v[0:1], v9, off offset:2048
.LBB365_28:
	s_endpgm
.LBB365_29:
	s_waitcnt vmcnt(0)
	global_store_short v[0:1], v2, off
	s_or_b64 exec, exec, s[14:15]
	s_and_saveexec_b64 s[14:15], s[0:1]
	s_cbranch_execz .LBB365_21
.LBB365_30:
	s_waitcnt vmcnt(0)
	global_store_short v[0:1], v3, off offset:2048
	s_or_b64 exec, exec, s[14:15]
	s_and_saveexec_b64 s[0:1], s[2:3]
	s_cbranch_execz .LBB365_22
.LBB365_31:
	s_waitcnt vmcnt(0)
	v_add_co_u32_e32 v2, vcc, 0x1000, v0
	v_addc_co_u32_e32 v3, vcc, 0, v1, vcc
	global_store_short v[2:3], v4, off
	s_or_b64 exec, exec, s[0:1]
	s_and_saveexec_b64 s[0:1], s[4:5]
	s_cbranch_execz .LBB365_23
.LBB365_32:
	s_waitcnt vmcnt(0)
	v_add_co_u32_e32 v2, vcc, 0x1000, v0
	v_addc_co_u32_e32 v3, vcc, 0, v1, vcc
	global_store_short v[2:3], v5, off offset:2048
	s_or_b64 exec, exec, s[0:1]
	s_and_saveexec_b64 s[0:1], s[6:7]
	s_cbranch_execz .LBB365_24
.LBB365_33:
	s_waitcnt vmcnt(0)
	v_add_co_u32_e32 v2, vcc, 0x2000, v0
	v_addc_co_u32_e32 v3, vcc, 0, v1, vcc
	global_store_short v[2:3], v6, off
	s_or_b64 exec, exec, s[0:1]
	s_and_saveexec_b64 s[0:1], s[8:9]
	s_cbranch_execz .LBB365_25
.LBB365_34:
	s_waitcnt vmcnt(0)
	v_add_co_u32_e32 v2, vcc, 0x2000, v0
	v_addc_co_u32_e32 v3, vcc, 0, v1, vcc
	global_store_short v[2:3], v7, off offset:2048
	s_or_b64 exec, exec, s[0:1]
	s_and_saveexec_b64 s[0:1], s[10:11]
	s_cbranch_execz .LBB365_26
.LBB365_35:
	s_waitcnt vmcnt(0)
	v_add_co_u32_e32 v2, vcc, 0x3000, v0
	v_addc_co_u32_e32 v3, vcc, 0, v1, vcc
	global_store_short v[2:3], v8, off
	s_or_b64 exec, exec, s[0:1]
	s_and_saveexec_b64 s[0:1], s[12:13]
	s_cbranch_execnz .LBB365_27
	s_branch .LBB365_28
	.section	.rodata,"a",@progbits
	.p2align	6, 0x0
	.amdhsa_kernel _ZN7rocprim17ROCPRIM_400000_NS6detail17trampoline_kernelINS0_14default_configENS1_25transform_config_selectorIN3c104HalfELb1EEEZNS1_14transform_implILb1ES3_S7_PS6_S9_NS0_8identityIS6_EEEE10hipError_tT2_T3_mT4_P12ihipStream_tbEUlT_E_NS1_11comp_targetILNS1_3genE2ELNS1_11target_archE906ELNS1_3gpuE6ELNS1_3repE0EEENS1_30default_config_static_selectorELNS0_4arch9wavefront6targetE1EEEvT1_
		.amdhsa_group_segment_fixed_size 0
		.amdhsa_private_segment_fixed_size 0
		.amdhsa_kernarg_size 296
		.amdhsa_user_sgpr_count 6
		.amdhsa_user_sgpr_private_segment_buffer 1
		.amdhsa_user_sgpr_dispatch_ptr 0
		.amdhsa_user_sgpr_queue_ptr 0
		.amdhsa_user_sgpr_kernarg_segment_ptr 1
		.amdhsa_user_sgpr_dispatch_id 0
		.amdhsa_user_sgpr_flat_scratch_init 0
		.amdhsa_user_sgpr_private_segment_size 0
		.amdhsa_uses_dynamic_stack 0
		.amdhsa_system_sgpr_private_segment_wavefront_offset 0
		.amdhsa_system_sgpr_workgroup_id_x 1
		.amdhsa_system_sgpr_workgroup_id_y 0
		.amdhsa_system_sgpr_workgroup_id_z 0
		.amdhsa_system_sgpr_workgroup_info 0
		.amdhsa_system_vgpr_workitem_id 0
		.amdhsa_next_free_vgpr 11
		.amdhsa_next_free_sgpr 22
		.amdhsa_reserve_vcc 1
		.amdhsa_reserve_flat_scratch 0
		.amdhsa_float_round_mode_32 0
		.amdhsa_float_round_mode_16_64 0
		.amdhsa_float_denorm_mode_32 3
		.amdhsa_float_denorm_mode_16_64 3
		.amdhsa_dx10_clamp 1
		.amdhsa_ieee_mode 1
		.amdhsa_fp16_overflow 0
		.amdhsa_exception_fp_ieee_invalid_op 0
		.amdhsa_exception_fp_denorm_src 0
		.amdhsa_exception_fp_ieee_div_zero 0
		.amdhsa_exception_fp_ieee_overflow 0
		.amdhsa_exception_fp_ieee_underflow 0
		.amdhsa_exception_fp_ieee_inexact 0
		.amdhsa_exception_int_div_zero 0
	.end_amdhsa_kernel
	.section	.text._ZN7rocprim17ROCPRIM_400000_NS6detail17trampoline_kernelINS0_14default_configENS1_25transform_config_selectorIN3c104HalfELb1EEEZNS1_14transform_implILb1ES3_S7_PS6_S9_NS0_8identityIS6_EEEE10hipError_tT2_T3_mT4_P12ihipStream_tbEUlT_E_NS1_11comp_targetILNS1_3genE2ELNS1_11target_archE906ELNS1_3gpuE6ELNS1_3repE0EEENS1_30default_config_static_selectorELNS0_4arch9wavefront6targetE1EEEvT1_,"axG",@progbits,_ZN7rocprim17ROCPRIM_400000_NS6detail17trampoline_kernelINS0_14default_configENS1_25transform_config_selectorIN3c104HalfELb1EEEZNS1_14transform_implILb1ES3_S7_PS6_S9_NS0_8identityIS6_EEEE10hipError_tT2_T3_mT4_P12ihipStream_tbEUlT_E_NS1_11comp_targetILNS1_3genE2ELNS1_11target_archE906ELNS1_3gpuE6ELNS1_3repE0EEENS1_30default_config_static_selectorELNS0_4arch9wavefront6targetE1EEEvT1_,comdat
.Lfunc_end365:
	.size	_ZN7rocprim17ROCPRIM_400000_NS6detail17trampoline_kernelINS0_14default_configENS1_25transform_config_selectorIN3c104HalfELb1EEEZNS1_14transform_implILb1ES3_S7_PS6_S9_NS0_8identityIS6_EEEE10hipError_tT2_T3_mT4_P12ihipStream_tbEUlT_E_NS1_11comp_targetILNS1_3genE2ELNS1_11target_archE906ELNS1_3gpuE6ELNS1_3repE0EEENS1_30default_config_static_selectorELNS0_4arch9wavefront6targetE1EEEvT1_, .Lfunc_end365-_ZN7rocprim17ROCPRIM_400000_NS6detail17trampoline_kernelINS0_14default_configENS1_25transform_config_selectorIN3c104HalfELb1EEEZNS1_14transform_implILb1ES3_S7_PS6_S9_NS0_8identityIS6_EEEE10hipError_tT2_T3_mT4_P12ihipStream_tbEUlT_E_NS1_11comp_targetILNS1_3genE2ELNS1_11target_archE906ELNS1_3gpuE6ELNS1_3repE0EEENS1_30default_config_static_selectorELNS0_4arch9wavefront6targetE1EEEvT1_
                                        ; -- End function
	.set _ZN7rocprim17ROCPRIM_400000_NS6detail17trampoline_kernelINS0_14default_configENS1_25transform_config_selectorIN3c104HalfELb1EEEZNS1_14transform_implILb1ES3_S7_PS6_S9_NS0_8identityIS6_EEEE10hipError_tT2_T3_mT4_P12ihipStream_tbEUlT_E_NS1_11comp_targetILNS1_3genE2ELNS1_11target_archE906ELNS1_3gpuE6ELNS1_3repE0EEENS1_30default_config_static_selectorELNS0_4arch9wavefront6targetE1EEEvT1_.num_vgpr, 11
	.set _ZN7rocprim17ROCPRIM_400000_NS6detail17trampoline_kernelINS0_14default_configENS1_25transform_config_selectorIN3c104HalfELb1EEEZNS1_14transform_implILb1ES3_S7_PS6_S9_NS0_8identityIS6_EEEE10hipError_tT2_T3_mT4_P12ihipStream_tbEUlT_E_NS1_11comp_targetILNS1_3genE2ELNS1_11target_archE906ELNS1_3gpuE6ELNS1_3repE0EEENS1_30default_config_static_selectorELNS0_4arch9wavefront6targetE1EEEvT1_.num_agpr, 0
	.set _ZN7rocprim17ROCPRIM_400000_NS6detail17trampoline_kernelINS0_14default_configENS1_25transform_config_selectorIN3c104HalfELb1EEEZNS1_14transform_implILb1ES3_S7_PS6_S9_NS0_8identityIS6_EEEE10hipError_tT2_T3_mT4_P12ihipStream_tbEUlT_E_NS1_11comp_targetILNS1_3genE2ELNS1_11target_archE906ELNS1_3gpuE6ELNS1_3repE0EEENS1_30default_config_static_selectorELNS0_4arch9wavefront6targetE1EEEvT1_.numbered_sgpr, 22
	.set _ZN7rocprim17ROCPRIM_400000_NS6detail17trampoline_kernelINS0_14default_configENS1_25transform_config_selectorIN3c104HalfELb1EEEZNS1_14transform_implILb1ES3_S7_PS6_S9_NS0_8identityIS6_EEEE10hipError_tT2_T3_mT4_P12ihipStream_tbEUlT_E_NS1_11comp_targetILNS1_3genE2ELNS1_11target_archE906ELNS1_3gpuE6ELNS1_3repE0EEENS1_30default_config_static_selectorELNS0_4arch9wavefront6targetE1EEEvT1_.num_named_barrier, 0
	.set _ZN7rocprim17ROCPRIM_400000_NS6detail17trampoline_kernelINS0_14default_configENS1_25transform_config_selectorIN3c104HalfELb1EEEZNS1_14transform_implILb1ES3_S7_PS6_S9_NS0_8identityIS6_EEEE10hipError_tT2_T3_mT4_P12ihipStream_tbEUlT_E_NS1_11comp_targetILNS1_3genE2ELNS1_11target_archE906ELNS1_3gpuE6ELNS1_3repE0EEENS1_30default_config_static_selectorELNS0_4arch9wavefront6targetE1EEEvT1_.private_seg_size, 0
	.set _ZN7rocprim17ROCPRIM_400000_NS6detail17trampoline_kernelINS0_14default_configENS1_25transform_config_selectorIN3c104HalfELb1EEEZNS1_14transform_implILb1ES3_S7_PS6_S9_NS0_8identityIS6_EEEE10hipError_tT2_T3_mT4_P12ihipStream_tbEUlT_E_NS1_11comp_targetILNS1_3genE2ELNS1_11target_archE906ELNS1_3gpuE6ELNS1_3repE0EEENS1_30default_config_static_selectorELNS0_4arch9wavefront6targetE1EEEvT1_.uses_vcc, 1
	.set _ZN7rocprim17ROCPRIM_400000_NS6detail17trampoline_kernelINS0_14default_configENS1_25transform_config_selectorIN3c104HalfELb1EEEZNS1_14transform_implILb1ES3_S7_PS6_S9_NS0_8identityIS6_EEEE10hipError_tT2_T3_mT4_P12ihipStream_tbEUlT_E_NS1_11comp_targetILNS1_3genE2ELNS1_11target_archE906ELNS1_3gpuE6ELNS1_3repE0EEENS1_30default_config_static_selectorELNS0_4arch9wavefront6targetE1EEEvT1_.uses_flat_scratch, 0
	.set _ZN7rocprim17ROCPRIM_400000_NS6detail17trampoline_kernelINS0_14default_configENS1_25transform_config_selectorIN3c104HalfELb1EEEZNS1_14transform_implILb1ES3_S7_PS6_S9_NS0_8identityIS6_EEEE10hipError_tT2_T3_mT4_P12ihipStream_tbEUlT_E_NS1_11comp_targetILNS1_3genE2ELNS1_11target_archE906ELNS1_3gpuE6ELNS1_3repE0EEENS1_30default_config_static_selectorELNS0_4arch9wavefront6targetE1EEEvT1_.has_dyn_sized_stack, 0
	.set _ZN7rocprim17ROCPRIM_400000_NS6detail17trampoline_kernelINS0_14default_configENS1_25transform_config_selectorIN3c104HalfELb1EEEZNS1_14transform_implILb1ES3_S7_PS6_S9_NS0_8identityIS6_EEEE10hipError_tT2_T3_mT4_P12ihipStream_tbEUlT_E_NS1_11comp_targetILNS1_3genE2ELNS1_11target_archE906ELNS1_3gpuE6ELNS1_3repE0EEENS1_30default_config_static_selectorELNS0_4arch9wavefront6targetE1EEEvT1_.has_recursion, 0
	.set _ZN7rocprim17ROCPRIM_400000_NS6detail17trampoline_kernelINS0_14default_configENS1_25transform_config_selectorIN3c104HalfELb1EEEZNS1_14transform_implILb1ES3_S7_PS6_S9_NS0_8identityIS6_EEEE10hipError_tT2_T3_mT4_P12ihipStream_tbEUlT_E_NS1_11comp_targetILNS1_3genE2ELNS1_11target_archE906ELNS1_3gpuE6ELNS1_3repE0EEENS1_30default_config_static_selectorELNS0_4arch9wavefront6targetE1EEEvT1_.has_indirect_call, 0
	.section	.AMDGPU.csdata,"",@progbits
; Kernel info:
; codeLenInByte = 808
; TotalNumSgprs: 26
; NumVgprs: 11
; ScratchSize: 0
; MemoryBound: 1
; FloatMode: 240
; IeeeMode: 1
; LDSByteSize: 0 bytes/workgroup (compile time only)
; SGPRBlocks: 3
; VGPRBlocks: 2
; NumSGPRsForWavesPerEU: 26
; NumVGPRsForWavesPerEU: 11
; Occupancy: 10
; WaveLimiterHint : 0
; COMPUTE_PGM_RSRC2:SCRATCH_EN: 0
; COMPUTE_PGM_RSRC2:USER_SGPR: 6
; COMPUTE_PGM_RSRC2:TRAP_HANDLER: 0
; COMPUTE_PGM_RSRC2:TGID_X_EN: 1
; COMPUTE_PGM_RSRC2:TGID_Y_EN: 0
; COMPUTE_PGM_RSRC2:TGID_Z_EN: 0
; COMPUTE_PGM_RSRC2:TIDIG_COMP_CNT: 0
	.section	.text._ZN7rocprim17ROCPRIM_400000_NS6detail17trampoline_kernelINS0_14default_configENS1_25transform_config_selectorIN3c104HalfELb1EEEZNS1_14transform_implILb1ES3_S7_PS6_S9_NS0_8identityIS6_EEEE10hipError_tT2_T3_mT4_P12ihipStream_tbEUlT_E_NS1_11comp_targetILNS1_3genE9ELNS1_11target_archE1100ELNS1_3gpuE3ELNS1_3repE0EEENS1_30default_config_static_selectorELNS0_4arch9wavefront6targetE1EEEvT1_,"axG",@progbits,_ZN7rocprim17ROCPRIM_400000_NS6detail17trampoline_kernelINS0_14default_configENS1_25transform_config_selectorIN3c104HalfELb1EEEZNS1_14transform_implILb1ES3_S7_PS6_S9_NS0_8identityIS6_EEEE10hipError_tT2_T3_mT4_P12ihipStream_tbEUlT_E_NS1_11comp_targetILNS1_3genE9ELNS1_11target_archE1100ELNS1_3gpuE3ELNS1_3repE0EEENS1_30default_config_static_selectorELNS0_4arch9wavefront6targetE1EEEvT1_,comdat
	.protected	_ZN7rocprim17ROCPRIM_400000_NS6detail17trampoline_kernelINS0_14default_configENS1_25transform_config_selectorIN3c104HalfELb1EEEZNS1_14transform_implILb1ES3_S7_PS6_S9_NS0_8identityIS6_EEEE10hipError_tT2_T3_mT4_P12ihipStream_tbEUlT_E_NS1_11comp_targetILNS1_3genE9ELNS1_11target_archE1100ELNS1_3gpuE3ELNS1_3repE0EEENS1_30default_config_static_selectorELNS0_4arch9wavefront6targetE1EEEvT1_ ; -- Begin function _ZN7rocprim17ROCPRIM_400000_NS6detail17trampoline_kernelINS0_14default_configENS1_25transform_config_selectorIN3c104HalfELb1EEEZNS1_14transform_implILb1ES3_S7_PS6_S9_NS0_8identityIS6_EEEE10hipError_tT2_T3_mT4_P12ihipStream_tbEUlT_E_NS1_11comp_targetILNS1_3genE9ELNS1_11target_archE1100ELNS1_3gpuE3ELNS1_3repE0EEENS1_30default_config_static_selectorELNS0_4arch9wavefront6targetE1EEEvT1_
	.globl	_ZN7rocprim17ROCPRIM_400000_NS6detail17trampoline_kernelINS0_14default_configENS1_25transform_config_selectorIN3c104HalfELb1EEEZNS1_14transform_implILb1ES3_S7_PS6_S9_NS0_8identityIS6_EEEE10hipError_tT2_T3_mT4_P12ihipStream_tbEUlT_E_NS1_11comp_targetILNS1_3genE9ELNS1_11target_archE1100ELNS1_3gpuE3ELNS1_3repE0EEENS1_30default_config_static_selectorELNS0_4arch9wavefront6targetE1EEEvT1_
	.p2align	8
	.type	_ZN7rocprim17ROCPRIM_400000_NS6detail17trampoline_kernelINS0_14default_configENS1_25transform_config_selectorIN3c104HalfELb1EEEZNS1_14transform_implILb1ES3_S7_PS6_S9_NS0_8identityIS6_EEEE10hipError_tT2_T3_mT4_P12ihipStream_tbEUlT_E_NS1_11comp_targetILNS1_3genE9ELNS1_11target_archE1100ELNS1_3gpuE3ELNS1_3repE0EEENS1_30default_config_static_selectorELNS0_4arch9wavefront6targetE1EEEvT1_,@function
_ZN7rocprim17ROCPRIM_400000_NS6detail17trampoline_kernelINS0_14default_configENS1_25transform_config_selectorIN3c104HalfELb1EEEZNS1_14transform_implILb1ES3_S7_PS6_S9_NS0_8identityIS6_EEEE10hipError_tT2_T3_mT4_P12ihipStream_tbEUlT_E_NS1_11comp_targetILNS1_3genE9ELNS1_11target_archE1100ELNS1_3gpuE3ELNS1_3repE0EEENS1_30default_config_static_selectorELNS0_4arch9wavefront6targetE1EEEvT1_: ; @_ZN7rocprim17ROCPRIM_400000_NS6detail17trampoline_kernelINS0_14default_configENS1_25transform_config_selectorIN3c104HalfELb1EEEZNS1_14transform_implILb1ES3_S7_PS6_S9_NS0_8identityIS6_EEEE10hipError_tT2_T3_mT4_P12ihipStream_tbEUlT_E_NS1_11comp_targetILNS1_3genE9ELNS1_11target_archE1100ELNS1_3gpuE3ELNS1_3repE0EEENS1_30default_config_static_selectorELNS0_4arch9wavefront6targetE1EEEvT1_
; %bb.0:
	.section	.rodata,"a",@progbits
	.p2align	6, 0x0
	.amdhsa_kernel _ZN7rocprim17ROCPRIM_400000_NS6detail17trampoline_kernelINS0_14default_configENS1_25transform_config_selectorIN3c104HalfELb1EEEZNS1_14transform_implILb1ES3_S7_PS6_S9_NS0_8identityIS6_EEEE10hipError_tT2_T3_mT4_P12ihipStream_tbEUlT_E_NS1_11comp_targetILNS1_3genE9ELNS1_11target_archE1100ELNS1_3gpuE3ELNS1_3repE0EEENS1_30default_config_static_selectorELNS0_4arch9wavefront6targetE1EEEvT1_
		.amdhsa_group_segment_fixed_size 0
		.amdhsa_private_segment_fixed_size 0
		.amdhsa_kernarg_size 40
		.amdhsa_user_sgpr_count 6
		.amdhsa_user_sgpr_private_segment_buffer 1
		.amdhsa_user_sgpr_dispatch_ptr 0
		.amdhsa_user_sgpr_queue_ptr 0
		.amdhsa_user_sgpr_kernarg_segment_ptr 1
		.amdhsa_user_sgpr_dispatch_id 0
		.amdhsa_user_sgpr_flat_scratch_init 0
		.amdhsa_user_sgpr_private_segment_size 0
		.amdhsa_uses_dynamic_stack 0
		.amdhsa_system_sgpr_private_segment_wavefront_offset 0
		.amdhsa_system_sgpr_workgroup_id_x 1
		.amdhsa_system_sgpr_workgroup_id_y 0
		.amdhsa_system_sgpr_workgroup_id_z 0
		.amdhsa_system_sgpr_workgroup_info 0
		.amdhsa_system_vgpr_workitem_id 0
		.amdhsa_next_free_vgpr 1
		.amdhsa_next_free_sgpr 0
		.amdhsa_reserve_vcc 0
		.amdhsa_reserve_flat_scratch 0
		.amdhsa_float_round_mode_32 0
		.amdhsa_float_round_mode_16_64 0
		.amdhsa_float_denorm_mode_32 3
		.amdhsa_float_denorm_mode_16_64 3
		.amdhsa_dx10_clamp 1
		.amdhsa_ieee_mode 1
		.amdhsa_fp16_overflow 0
		.amdhsa_exception_fp_ieee_invalid_op 0
		.amdhsa_exception_fp_denorm_src 0
		.amdhsa_exception_fp_ieee_div_zero 0
		.amdhsa_exception_fp_ieee_overflow 0
		.amdhsa_exception_fp_ieee_underflow 0
		.amdhsa_exception_fp_ieee_inexact 0
		.amdhsa_exception_int_div_zero 0
	.end_amdhsa_kernel
	.section	.text._ZN7rocprim17ROCPRIM_400000_NS6detail17trampoline_kernelINS0_14default_configENS1_25transform_config_selectorIN3c104HalfELb1EEEZNS1_14transform_implILb1ES3_S7_PS6_S9_NS0_8identityIS6_EEEE10hipError_tT2_T3_mT4_P12ihipStream_tbEUlT_E_NS1_11comp_targetILNS1_3genE9ELNS1_11target_archE1100ELNS1_3gpuE3ELNS1_3repE0EEENS1_30default_config_static_selectorELNS0_4arch9wavefront6targetE1EEEvT1_,"axG",@progbits,_ZN7rocprim17ROCPRIM_400000_NS6detail17trampoline_kernelINS0_14default_configENS1_25transform_config_selectorIN3c104HalfELb1EEEZNS1_14transform_implILb1ES3_S7_PS6_S9_NS0_8identityIS6_EEEE10hipError_tT2_T3_mT4_P12ihipStream_tbEUlT_E_NS1_11comp_targetILNS1_3genE9ELNS1_11target_archE1100ELNS1_3gpuE3ELNS1_3repE0EEENS1_30default_config_static_selectorELNS0_4arch9wavefront6targetE1EEEvT1_,comdat
.Lfunc_end366:
	.size	_ZN7rocprim17ROCPRIM_400000_NS6detail17trampoline_kernelINS0_14default_configENS1_25transform_config_selectorIN3c104HalfELb1EEEZNS1_14transform_implILb1ES3_S7_PS6_S9_NS0_8identityIS6_EEEE10hipError_tT2_T3_mT4_P12ihipStream_tbEUlT_E_NS1_11comp_targetILNS1_3genE9ELNS1_11target_archE1100ELNS1_3gpuE3ELNS1_3repE0EEENS1_30default_config_static_selectorELNS0_4arch9wavefront6targetE1EEEvT1_, .Lfunc_end366-_ZN7rocprim17ROCPRIM_400000_NS6detail17trampoline_kernelINS0_14default_configENS1_25transform_config_selectorIN3c104HalfELb1EEEZNS1_14transform_implILb1ES3_S7_PS6_S9_NS0_8identityIS6_EEEE10hipError_tT2_T3_mT4_P12ihipStream_tbEUlT_E_NS1_11comp_targetILNS1_3genE9ELNS1_11target_archE1100ELNS1_3gpuE3ELNS1_3repE0EEENS1_30default_config_static_selectorELNS0_4arch9wavefront6targetE1EEEvT1_
                                        ; -- End function
	.set _ZN7rocprim17ROCPRIM_400000_NS6detail17trampoline_kernelINS0_14default_configENS1_25transform_config_selectorIN3c104HalfELb1EEEZNS1_14transform_implILb1ES3_S7_PS6_S9_NS0_8identityIS6_EEEE10hipError_tT2_T3_mT4_P12ihipStream_tbEUlT_E_NS1_11comp_targetILNS1_3genE9ELNS1_11target_archE1100ELNS1_3gpuE3ELNS1_3repE0EEENS1_30default_config_static_selectorELNS0_4arch9wavefront6targetE1EEEvT1_.num_vgpr, 0
	.set _ZN7rocprim17ROCPRIM_400000_NS6detail17trampoline_kernelINS0_14default_configENS1_25transform_config_selectorIN3c104HalfELb1EEEZNS1_14transform_implILb1ES3_S7_PS6_S9_NS0_8identityIS6_EEEE10hipError_tT2_T3_mT4_P12ihipStream_tbEUlT_E_NS1_11comp_targetILNS1_3genE9ELNS1_11target_archE1100ELNS1_3gpuE3ELNS1_3repE0EEENS1_30default_config_static_selectorELNS0_4arch9wavefront6targetE1EEEvT1_.num_agpr, 0
	.set _ZN7rocprim17ROCPRIM_400000_NS6detail17trampoline_kernelINS0_14default_configENS1_25transform_config_selectorIN3c104HalfELb1EEEZNS1_14transform_implILb1ES3_S7_PS6_S9_NS0_8identityIS6_EEEE10hipError_tT2_T3_mT4_P12ihipStream_tbEUlT_E_NS1_11comp_targetILNS1_3genE9ELNS1_11target_archE1100ELNS1_3gpuE3ELNS1_3repE0EEENS1_30default_config_static_selectorELNS0_4arch9wavefront6targetE1EEEvT1_.numbered_sgpr, 0
	.set _ZN7rocprim17ROCPRIM_400000_NS6detail17trampoline_kernelINS0_14default_configENS1_25transform_config_selectorIN3c104HalfELb1EEEZNS1_14transform_implILb1ES3_S7_PS6_S9_NS0_8identityIS6_EEEE10hipError_tT2_T3_mT4_P12ihipStream_tbEUlT_E_NS1_11comp_targetILNS1_3genE9ELNS1_11target_archE1100ELNS1_3gpuE3ELNS1_3repE0EEENS1_30default_config_static_selectorELNS0_4arch9wavefront6targetE1EEEvT1_.num_named_barrier, 0
	.set _ZN7rocprim17ROCPRIM_400000_NS6detail17trampoline_kernelINS0_14default_configENS1_25transform_config_selectorIN3c104HalfELb1EEEZNS1_14transform_implILb1ES3_S7_PS6_S9_NS0_8identityIS6_EEEE10hipError_tT2_T3_mT4_P12ihipStream_tbEUlT_E_NS1_11comp_targetILNS1_3genE9ELNS1_11target_archE1100ELNS1_3gpuE3ELNS1_3repE0EEENS1_30default_config_static_selectorELNS0_4arch9wavefront6targetE1EEEvT1_.private_seg_size, 0
	.set _ZN7rocprim17ROCPRIM_400000_NS6detail17trampoline_kernelINS0_14default_configENS1_25transform_config_selectorIN3c104HalfELb1EEEZNS1_14transform_implILb1ES3_S7_PS6_S9_NS0_8identityIS6_EEEE10hipError_tT2_T3_mT4_P12ihipStream_tbEUlT_E_NS1_11comp_targetILNS1_3genE9ELNS1_11target_archE1100ELNS1_3gpuE3ELNS1_3repE0EEENS1_30default_config_static_selectorELNS0_4arch9wavefront6targetE1EEEvT1_.uses_vcc, 0
	.set _ZN7rocprim17ROCPRIM_400000_NS6detail17trampoline_kernelINS0_14default_configENS1_25transform_config_selectorIN3c104HalfELb1EEEZNS1_14transform_implILb1ES3_S7_PS6_S9_NS0_8identityIS6_EEEE10hipError_tT2_T3_mT4_P12ihipStream_tbEUlT_E_NS1_11comp_targetILNS1_3genE9ELNS1_11target_archE1100ELNS1_3gpuE3ELNS1_3repE0EEENS1_30default_config_static_selectorELNS0_4arch9wavefront6targetE1EEEvT1_.uses_flat_scratch, 0
	.set _ZN7rocprim17ROCPRIM_400000_NS6detail17trampoline_kernelINS0_14default_configENS1_25transform_config_selectorIN3c104HalfELb1EEEZNS1_14transform_implILb1ES3_S7_PS6_S9_NS0_8identityIS6_EEEE10hipError_tT2_T3_mT4_P12ihipStream_tbEUlT_E_NS1_11comp_targetILNS1_3genE9ELNS1_11target_archE1100ELNS1_3gpuE3ELNS1_3repE0EEENS1_30default_config_static_selectorELNS0_4arch9wavefront6targetE1EEEvT1_.has_dyn_sized_stack, 0
	.set _ZN7rocprim17ROCPRIM_400000_NS6detail17trampoline_kernelINS0_14default_configENS1_25transform_config_selectorIN3c104HalfELb1EEEZNS1_14transform_implILb1ES3_S7_PS6_S9_NS0_8identityIS6_EEEE10hipError_tT2_T3_mT4_P12ihipStream_tbEUlT_E_NS1_11comp_targetILNS1_3genE9ELNS1_11target_archE1100ELNS1_3gpuE3ELNS1_3repE0EEENS1_30default_config_static_selectorELNS0_4arch9wavefront6targetE1EEEvT1_.has_recursion, 0
	.set _ZN7rocprim17ROCPRIM_400000_NS6detail17trampoline_kernelINS0_14default_configENS1_25transform_config_selectorIN3c104HalfELb1EEEZNS1_14transform_implILb1ES3_S7_PS6_S9_NS0_8identityIS6_EEEE10hipError_tT2_T3_mT4_P12ihipStream_tbEUlT_E_NS1_11comp_targetILNS1_3genE9ELNS1_11target_archE1100ELNS1_3gpuE3ELNS1_3repE0EEENS1_30default_config_static_selectorELNS0_4arch9wavefront6targetE1EEEvT1_.has_indirect_call, 0
	.section	.AMDGPU.csdata,"",@progbits
; Kernel info:
; codeLenInByte = 0
; TotalNumSgprs: 4
; NumVgprs: 0
; ScratchSize: 0
; MemoryBound: 0
; FloatMode: 240
; IeeeMode: 1
; LDSByteSize: 0 bytes/workgroup (compile time only)
; SGPRBlocks: 0
; VGPRBlocks: 0
; NumSGPRsForWavesPerEU: 4
; NumVGPRsForWavesPerEU: 1
; Occupancy: 10
; WaveLimiterHint : 0
; COMPUTE_PGM_RSRC2:SCRATCH_EN: 0
; COMPUTE_PGM_RSRC2:USER_SGPR: 6
; COMPUTE_PGM_RSRC2:TRAP_HANDLER: 0
; COMPUTE_PGM_RSRC2:TGID_X_EN: 1
; COMPUTE_PGM_RSRC2:TGID_Y_EN: 0
; COMPUTE_PGM_RSRC2:TGID_Z_EN: 0
; COMPUTE_PGM_RSRC2:TIDIG_COMP_CNT: 0
	.section	.text._ZN7rocprim17ROCPRIM_400000_NS6detail17trampoline_kernelINS0_14default_configENS1_25transform_config_selectorIN3c104HalfELb1EEEZNS1_14transform_implILb1ES3_S7_PS6_S9_NS0_8identityIS6_EEEE10hipError_tT2_T3_mT4_P12ihipStream_tbEUlT_E_NS1_11comp_targetILNS1_3genE8ELNS1_11target_archE1030ELNS1_3gpuE2ELNS1_3repE0EEENS1_30default_config_static_selectorELNS0_4arch9wavefront6targetE1EEEvT1_,"axG",@progbits,_ZN7rocprim17ROCPRIM_400000_NS6detail17trampoline_kernelINS0_14default_configENS1_25transform_config_selectorIN3c104HalfELb1EEEZNS1_14transform_implILb1ES3_S7_PS6_S9_NS0_8identityIS6_EEEE10hipError_tT2_T3_mT4_P12ihipStream_tbEUlT_E_NS1_11comp_targetILNS1_3genE8ELNS1_11target_archE1030ELNS1_3gpuE2ELNS1_3repE0EEENS1_30default_config_static_selectorELNS0_4arch9wavefront6targetE1EEEvT1_,comdat
	.protected	_ZN7rocprim17ROCPRIM_400000_NS6detail17trampoline_kernelINS0_14default_configENS1_25transform_config_selectorIN3c104HalfELb1EEEZNS1_14transform_implILb1ES3_S7_PS6_S9_NS0_8identityIS6_EEEE10hipError_tT2_T3_mT4_P12ihipStream_tbEUlT_E_NS1_11comp_targetILNS1_3genE8ELNS1_11target_archE1030ELNS1_3gpuE2ELNS1_3repE0EEENS1_30default_config_static_selectorELNS0_4arch9wavefront6targetE1EEEvT1_ ; -- Begin function _ZN7rocprim17ROCPRIM_400000_NS6detail17trampoline_kernelINS0_14default_configENS1_25transform_config_selectorIN3c104HalfELb1EEEZNS1_14transform_implILb1ES3_S7_PS6_S9_NS0_8identityIS6_EEEE10hipError_tT2_T3_mT4_P12ihipStream_tbEUlT_E_NS1_11comp_targetILNS1_3genE8ELNS1_11target_archE1030ELNS1_3gpuE2ELNS1_3repE0EEENS1_30default_config_static_selectorELNS0_4arch9wavefront6targetE1EEEvT1_
	.globl	_ZN7rocprim17ROCPRIM_400000_NS6detail17trampoline_kernelINS0_14default_configENS1_25transform_config_selectorIN3c104HalfELb1EEEZNS1_14transform_implILb1ES3_S7_PS6_S9_NS0_8identityIS6_EEEE10hipError_tT2_T3_mT4_P12ihipStream_tbEUlT_E_NS1_11comp_targetILNS1_3genE8ELNS1_11target_archE1030ELNS1_3gpuE2ELNS1_3repE0EEENS1_30default_config_static_selectorELNS0_4arch9wavefront6targetE1EEEvT1_
	.p2align	8
	.type	_ZN7rocprim17ROCPRIM_400000_NS6detail17trampoline_kernelINS0_14default_configENS1_25transform_config_selectorIN3c104HalfELb1EEEZNS1_14transform_implILb1ES3_S7_PS6_S9_NS0_8identityIS6_EEEE10hipError_tT2_T3_mT4_P12ihipStream_tbEUlT_E_NS1_11comp_targetILNS1_3genE8ELNS1_11target_archE1030ELNS1_3gpuE2ELNS1_3repE0EEENS1_30default_config_static_selectorELNS0_4arch9wavefront6targetE1EEEvT1_,@function
_ZN7rocprim17ROCPRIM_400000_NS6detail17trampoline_kernelINS0_14default_configENS1_25transform_config_selectorIN3c104HalfELb1EEEZNS1_14transform_implILb1ES3_S7_PS6_S9_NS0_8identityIS6_EEEE10hipError_tT2_T3_mT4_P12ihipStream_tbEUlT_E_NS1_11comp_targetILNS1_3genE8ELNS1_11target_archE1030ELNS1_3gpuE2ELNS1_3repE0EEENS1_30default_config_static_selectorELNS0_4arch9wavefront6targetE1EEEvT1_: ; @_ZN7rocprim17ROCPRIM_400000_NS6detail17trampoline_kernelINS0_14default_configENS1_25transform_config_selectorIN3c104HalfELb1EEEZNS1_14transform_implILb1ES3_S7_PS6_S9_NS0_8identityIS6_EEEE10hipError_tT2_T3_mT4_P12ihipStream_tbEUlT_E_NS1_11comp_targetILNS1_3genE8ELNS1_11target_archE1030ELNS1_3gpuE2ELNS1_3repE0EEENS1_30default_config_static_selectorELNS0_4arch9wavefront6targetE1EEEvT1_
; %bb.0:
	.section	.rodata,"a",@progbits
	.p2align	6, 0x0
	.amdhsa_kernel _ZN7rocprim17ROCPRIM_400000_NS6detail17trampoline_kernelINS0_14default_configENS1_25transform_config_selectorIN3c104HalfELb1EEEZNS1_14transform_implILb1ES3_S7_PS6_S9_NS0_8identityIS6_EEEE10hipError_tT2_T3_mT4_P12ihipStream_tbEUlT_E_NS1_11comp_targetILNS1_3genE8ELNS1_11target_archE1030ELNS1_3gpuE2ELNS1_3repE0EEENS1_30default_config_static_selectorELNS0_4arch9wavefront6targetE1EEEvT1_
		.amdhsa_group_segment_fixed_size 0
		.amdhsa_private_segment_fixed_size 0
		.amdhsa_kernarg_size 40
		.amdhsa_user_sgpr_count 6
		.amdhsa_user_sgpr_private_segment_buffer 1
		.amdhsa_user_sgpr_dispatch_ptr 0
		.amdhsa_user_sgpr_queue_ptr 0
		.amdhsa_user_sgpr_kernarg_segment_ptr 1
		.amdhsa_user_sgpr_dispatch_id 0
		.amdhsa_user_sgpr_flat_scratch_init 0
		.amdhsa_user_sgpr_private_segment_size 0
		.amdhsa_uses_dynamic_stack 0
		.amdhsa_system_sgpr_private_segment_wavefront_offset 0
		.amdhsa_system_sgpr_workgroup_id_x 1
		.amdhsa_system_sgpr_workgroup_id_y 0
		.amdhsa_system_sgpr_workgroup_id_z 0
		.amdhsa_system_sgpr_workgroup_info 0
		.amdhsa_system_vgpr_workitem_id 0
		.amdhsa_next_free_vgpr 1
		.amdhsa_next_free_sgpr 0
		.amdhsa_reserve_vcc 0
		.amdhsa_reserve_flat_scratch 0
		.amdhsa_float_round_mode_32 0
		.amdhsa_float_round_mode_16_64 0
		.amdhsa_float_denorm_mode_32 3
		.amdhsa_float_denorm_mode_16_64 3
		.amdhsa_dx10_clamp 1
		.amdhsa_ieee_mode 1
		.amdhsa_fp16_overflow 0
		.amdhsa_exception_fp_ieee_invalid_op 0
		.amdhsa_exception_fp_denorm_src 0
		.amdhsa_exception_fp_ieee_div_zero 0
		.amdhsa_exception_fp_ieee_overflow 0
		.amdhsa_exception_fp_ieee_underflow 0
		.amdhsa_exception_fp_ieee_inexact 0
		.amdhsa_exception_int_div_zero 0
	.end_amdhsa_kernel
	.section	.text._ZN7rocprim17ROCPRIM_400000_NS6detail17trampoline_kernelINS0_14default_configENS1_25transform_config_selectorIN3c104HalfELb1EEEZNS1_14transform_implILb1ES3_S7_PS6_S9_NS0_8identityIS6_EEEE10hipError_tT2_T3_mT4_P12ihipStream_tbEUlT_E_NS1_11comp_targetILNS1_3genE8ELNS1_11target_archE1030ELNS1_3gpuE2ELNS1_3repE0EEENS1_30default_config_static_selectorELNS0_4arch9wavefront6targetE1EEEvT1_,"axG",@progbits,_ZN7rocprim17ROCPRIM_400000_NS6detail17trampoline_kernelINS0_14default_configENS1_25transform_config_selectorIN3c104HalfELb1EEEZNS1_14transform_implILb1ES3_S7_PS6_S9_NS0_8identityIS6_EEEE10hipError_tT2_T3_mT4_P12ihipStream_tbEUlT_E_NS1_11comp_targetILNS1_3genE8ELNS1_11target_archE1030ELNS1_3gpuE2ELNS1_3repE0EEENS1_30default_config_static_selectorELNS0_4arch9wavefront6targetE1EEEvT1_,comdat
.Lfunc_end367:
	.size	_ZN7rocprim17ROCPRIM_400000_NS6detail17trampoline_kernelINS0_14default_configENS1_25transform_config_selectorIN3c104HalfELb1EEEZNS1_14transform_implILb1ES3_S7_PS6_S9_NS0_8identityIS6_EEEE10hipError_tT2_T3_mT4_P12ihipStream_tbEUlT_E_NS1_11comp_targetILNS1_3genE8ELNS1_11target_archE1030ELNS1_3gpuE2ELNS1_3repE0EEENS1_30default_config_static_selectorELNS0_4arch9wavefront6targetE1EEEvT1_, .Lfunc_end367-_ZN7rocprim17ROCPRIM_400000_NS6detail17trampoline_kernelINS0_14default_configENS1_25transform_config_selectorIN3c104HalfELb1EEEZNS1_14transform_implILb1ES3_S7_PS6_S9_NS0_8identityIS6_EEEE10hipError_tT2_T3_mT4_P12ihipStream_tbEUlT_E_NS1_11comp_targetILNS1_3genE8ELNS1_11target_archE1030ELNS1_3gpuE2ELNS1_3repE0EEENS1_30default_config_static_selectorELNS0_4arch9wavefront6targetE1EEEvT1_
                                        ; -- End function
	.set _ZN7rocprim17ROCPRIM_400000_NS6detail17trampoline_kernelINS0_14default_configENS1_25transform_config_selectorIN3c104HalfELb1EEEZNS1_14transform_implILb1ES3_S7_PS6_S9_NS0_8identityIS6_EEEE10hipError_tT2_T3_mT4_P12ihipStream_tbEUlT_E_NS1_11comp_targetILNS1_3genE8ELNS1_11target_archE1030ELNS1_3gpuE2ELNS1_3repE0EEENS1_30default_config_static_selectorELNS0_4arch9wavefront6targetE1EEEvT1_.num_vgpr, 0
	.set _ZN7rocprim17ROCPRIM_400000_NS6detail17trampoline_kernelINS0_14default_configENS1_25transform_config_selectorIN3c104HalfELb1EEEZNS1_14transform_implILb1ES3_S7_PS6_S9_NS0_8identityIS6_EEEE10hipError_tT2_T3_mT4_P12ihipStream_tbEUlT_E_NS1_11comp_targetILNS1_3genE8ELNS1_11target_archE1030ELNS1_3gpuE2ELNS1_3repE0EEENS1_30default_config_static_selectorELNS0_4arch9wavefront6targetE1EEEvT1_.num_agpr, 0
	.set _ZN7rocprim17ROCPRIM_400000_NS6detail17trampoline_kernelINS0_14default_configENS1_25transform_config_selectorIN3c104HalfELb1EEEZNS1_14transform_implILb1ES3_S7_PS6_S9_NS0_8identityIS6_EEEE10hipError_tT2_T3_mT4_P12ihipStream_tbEUlT_E_NS1_11comp_targetILNS1_3genE8ELNS1_11target_archE1030ELNS1_3gpuE2ELNS1_3repE0EEENS1_30default_config_static_selectorELNS0_4arch9wavefront6targetE1EEEvT1_.numbered_sgpr, 0
	.set _ZN7rocprim17ROCPRIM_400000_NS6detail17trampoline_kernelINS0_14default_configENS1_25transform_config_selectorIN3c104HalfELb1EEEZNS1_14transform_implILb1ES3_S7_PS6_S9_NS0_8identityIS6_EEEE10hipError_tT2_T3_mT4_P12ihipStream_tbEUlT_E_NS1_11comp_targetILNS1_3genE8ELNS1_11target_archE1030ELNS1_3gpuE2ELNS1_3repE0EEENS1_30default_config_static_selectorELNS0_4arch9wavefront6targetE1EEEvT1_.num_named_barrier, 0
	.set _ZN7rocprim17ROCPRIM_400000_NS6detail17trampoline_kernelINS0_14default_configENS1_25transform_config_selectorIN3c104HalfELb1EEEZNS1_14transform_implILb1ES3_S7_PS6_S9_NS0_8identityIS6_EEEE10hipError_tT2_T3_mT4_P12ihipStream_tbEUlT_E_NS1_11comp_targetILNS1_3genE8ELNS1_11target_archE1030ELNS1_3gpuE2ELNS1_3repE0EEENS1_30default_config_static_selectorELNS0_4arch9wavefront6targetE1EEEvT1_.private_seg_size, 0
	.set _ZN7rocprim17ROCPRIM_400000_NS6detail17trampoline_kernelINS0_14default_configENS1_25transform_config_selectorIN3c104HalfELb1EEEZNS1_14transform_implILb1ES3_S7_PS6_S9_NS0_8identityIS6_EEEE10hipError_tT2_T3_mT4_P12ihipStream_tbEUlT_E_NS1_11comp_targetILNS1_3genE8ELNS1_11target_archE1030ELNS1_3gpuE2ELNS1_3repE0EEENS1_30default_config_static_selectorELNS0_4arch9wavefront6targetE1EEEvT1_.uses_vcc, 0
	.set _ZN7rocprim17ROCPRIM_400000_NS6detail17trampoline_kernelINS0_14default_configENS1_25transform_config_selectorIN3c104HalfELb1EEEZNS1_14transform_implILb1ES3_S7_PS6_S9_NS0_8identityIS6_EEEE10hipError_tT2_T3_mT4_P12ihipStream_tbEUlT_E_NS1_11comp_targetILNS1_3genE8ELNS1_11target_archE1030ELNS1_3gpuE2ELNS1_3repE0EEENS1_30default_config_static_selectorELNS0_4arch9wavefront6targetE1EEEvT1_.uses_flat_scratch, 0
	.set _ZN7rocprim17ROCPRIM_400000_NS6detail17trampoline_kernelINS0_14default_configENS1_25transform_config_selectorIN3c104HalfELb1EEEZNS1_14transform_implILb1ES3_S7_PS6_S9_NS0_8identityIS6_EEEE10hipError_tT2_T3_mT4_P12ihipStream_tbEUlT_E_NS1_11comp_targetILNS1_3genE8ELNS1_11target_archE1030ELNS1_3gpuE2ELNS1_3repE0EEENS1_30default_config_static_selectorELNS0_4arch9wavefront6targetE1EEEvT1_.has_dyn_sized_stack, 0
	.set _ZN7rocprim17ROCPRIM_400000_NS6detail17trampoline_kernelINS0_14default_configENS1_25transform_config_selectorIN3c104HalfELb1EEEZNS1_14transform_implILb1ES3_S7_PS6_S9_NS0_8identityIS6_EEEE10hipError_tT2_T3_mT4_P12ihipStream_tbEUlT_E_NS1_11comp_targetILNS1_3genE8ELNS1_11target_archE1030ELNS1_3gpuE2ELNS1_3repE0EEENS1_30default_config_static_selectorELNS0_4arch9wavefront6targetE1EEEvT1_.has_recursion, 0
	.set _ZN7rocprim17ROCPRIM_400000_NS6detail17trampoline_kernelINS0_14default_configENS1_25transform_config_selectorIN3c104HalfELb1EEEZNS1_14transform_implILb1ES3_S7_PS6_S9_NS0_8identityIS6_EEEE10hipError_tT2_T3_mT4_P12ihipStream_tbEUlT_E_NS1_11comp_targetILNS1_3genE8ELNS1_11target_archE1030ELNS1_3gpuE2ELNS1_3repE0EEENS1_30default_config_static_selectorELNS0_4arch9wavefront6targetE1EEEvT1_.has_indirect_call, 0
	.section	.AMDGPU.csdata,"",@progbits
; Kernel info:
; codeLenInByte = 0
; TotalNumSgprs: 4
; NumVgprs: 0
; ScratchSize: 0
; MemoryBound: 0
; FloatMode: 240
; IeeeMode: 1
; LDSByteSize: 0 bytes/workgroup (compile time only)
; SGPRBlocks: 0
; VGPRBlocks: 0
; NumSGPRsForWavesPerEU: 4
; NumVGPRsForWavesPerEU: 1
; Occupancy: 10
; WaveLimiterHint : 0
; COMPUTE_PGM_RSRC2:SCRATCH_EN: 0
; COMPUTE_PGM_RSRC2:USER_SGPR: 6
; COMPUTE_PGM_RSRC2:TRAP_HANDLER: 0
; COMPUTE_PGM_RSRC2:TGID_X_EN: 1
; COMPUTE_PGM_RSRC2:TGID_Y_EN: 0
; COMPUTE_PGM_RSRC2:TGID_Z_EN: 0
; COMPUTE_PGM_RSRC2:TIDIG_COMP_CNT: 0
	.section	.text._ZN7rocprim17ROCPRIM_400000_NS6detail17trampoline_kernelINS0_14default_configENS1_20scan_config_selectorIN3c104HalfEEEZZNS1_9scan_implILNS1_25lookback_scan_determinismE0ELb0ELb0ES3_PKS6_PS6_S6_ZZZN2at6native31launch_logcumsumexp_cuda_kernelERKNSD_10TensorBaseESH_lENKUlvE_clEvENKUlvE3_clEvEUlS6_S6_E_S6_EEDaPvRmT3_T4_T5_mT6_P12ihipStream_tbENKUlT_T0_E_clISt17integral_constantIbLb0EESY_EEDaST_SU_EUlST_E0_NS1_11comp_targetILNS1_3genE0ELNS1_11target_archE4294967295ELNS1_3gpuE0ELNS1_3repE0EEENS1_30default_config_static_selectorELNS0_4arch9wavefront6targetE1EEEvT1_,"axG",@progbits,_ZN7rocprim17ROCPRIM_400000_NS6detail17trampoline_kernelINS0_14default_configENS1_20scan_config_selectorIN3c104HalfEEEZZNS1_9scan_implILNS1_25lookback_scan_determinismE0ELb0ELb0ES3_PKS6_PS6_S6_ZZZN2at6native31launch_logcumsumexp_cuda_kernelERKNSD_10TensorBaseESH_lENKUlvE_clEvENKUlvE3_clEvEUlS6_S6_E_S6_EEDaPvRmT3_T4_T5_mT6_P12ihipStream_tbENKUlT_T0_E_clISt17integral_constantIbLb0EESY_EEDaST_SU_EUlST_E0_NS1_11comp_targetILNS1_3genE0ELNS1_11target_archE4294967295ELNS1_3gpuE0ELNS1_3repE0EEENS1_30default_config_static_selectorELNS0_4arch9wavefront6targetE1EEEvT1_,comdat
	.globl	_ZN7rocprim17ROCPRIM_400000_NS6detail17trampoline_kernelINS0_14default_configENS1_20scan_config_selectorIN3c104HalfEEEZZNS1_9scan_implILNS1_25lookback_scan_determinismE0ELb0ELb0ES3_PKS6_PS6_S6_ZZZN2at6native31launch_logcumsumexp_cuda_kernelERKNSD_10TensorBaseESH_lENKUlvE_clEvENKUlvE3_clEvEUlS6_S6_E_S6_EEDaPvRmT3_T4_T5_mT6_P12ihipStream_tbENKUlT_T0_E_clISt17integral_constantIbLb0EESY_EEDaST_SU_EUlST_E0_NS1_11comp_targetILNS1_3genE0ELNS1_11target_archE4294967295ELNS1_3gpuE0ELNS1_3repE0EEENS1_30default_config_static_selectorELNS0_4arch9wavefront6targetE1EEEvT1_ ; -- Begin function _ZN7rocprim17ROCPRIM_400000_NS6detail17trampoline_kernelINS0_14default_configENS1_20scan_config_selectorIN3c104HalfEEEZZNS1_9scan_implILNS1_25lookback_scan_determinismE0ELb0ELb0ES3_PKS6_PS6_S6_ZZZN2at6native31launch_logcumsumexp_cuda_kernelERKNSD_10TensorBaseESH_lENKUlvE_clEvENKUlvE3_clEvEUlS6_S6_E_S6_EEDaPvRmT3_T4_T5_mT6_P12ihipStream_tbENKUlT_T0_E_clISt17integral_constantIbLb0EESY_EEDaST_SU_EUlST_E0_NS1_11comp_targetILNS1_3genE0ELNS1_11target_archE4294967295ELNS1_3gpuE0ELNS1_3repE0EEENS1_30default_config_static_selectorELNS0_4arch9wavefront6targetE1EEEvT1_
	.p2align	8
	.type	_ZN7rocprim17ROCPRIM_400000_NS6detail17trampoline_kernelINS0_14default_configENS1_20scan_config_selectorIN3c104HalfEEEZZNS1_9scan_implILNS1_25lookback_scan_determinismE0ELb0ELb0ES3_PKS6_PS6_S6_ZZZN2at6native31launch_logcumsumexp_cuda_kernelERKNSD_10TensorBaseESH_lENKUlvE_clEvENKUlvE3_clEvEUlS6_S6_E_S6_EEDaPvRmT3_T4_T5_mT6_P12ihipStream_tbENKUlT_T0_E_clISt17integral_constantIbLb0EESY_EEDaST_SU_EUlST_E0_NS1_11comp_targetILNS1_3genE0ELNS1_11target_archE4294967295ELNS1_3gpuE0ELNS1_3repE0EEENS1_30default_config_static_selectorELNS0_4arch9wavefront6targetE1EEEvT1_,@function
_ZN7rocprim17ROCPRIM_400000_NS6detail17trampoline_kernelINS0_14default_configENS1_20scan_config_selectorIN3c104HalfEEEZZNS1_9scan_implILNS1_25lookback_scan_determinismE0ELb0ELb0ES3_PKS6_PS6_S6_ZZZN2at6native31launch_logcumsumexp_cuda_kernelERKNSD_10TensorBaseESH_lENKUlvE_clEvENKUlvE3_clEvEUlS6_S6_E_S6_EEDaPvRmT3_T4_T5_mT6_P12ihipStream_tbENKUlT_T0_E_clISt17integral_constantIbLb0EESY_EEDaST_SU_EUlST_E0_NS1_11comp_targetILNS1_3genE0ELNS1_11target_archE4294967295ELNS1_3gpuE0ELNS1_3repE0EEENS1_30default_config_static_selectorELNS0_4arch9wavefront6targetE1EEEvT1_: ; @_ZN7rocprim17ROCPRIM_400000_NS6detail17trampoline_kernelINS0_14default_configENS1_20scan_config_selectorIN3c104HalfEEEZZNS1_9scan_implILNS1_25lookback_scan_determinismE0ELb0ELb0ES3_PKS6_PS6_S6_ZZZN2at6native31launch_logcumsumexp_cuda_kernelERKNSD_10TensorBaseESH_lENKUlvE_clEvENKUlvE3_clEvEUlS6_S6_E_S6_EEDaPvRmT3_T4_T5_mT6_P12ihipStream_tbENKUlT_T0_E_clISt17integral_constantIbLb0EESY_EEDaST_SU_EUlST_E0_NS1_11comp_targetILNS1_3genE0ELNS1_11target_archE4294967295ELNS1_3gpuE0ELNS1_3repE0EEENS1_30default_config_static_selectorELNS0_4arch9wavefront6targetE1EEEvT1_
; %bb.0:
	.section	.rodata,"a",@progbits
	.p2align	6, 0x0
	.amdhsa_kernel _ZN7rocprim17ROCPRIM_400000_NS6detail17trampoline_kernelINS0_14default_configENS1_20scan_config_selectorIN3c104HalfEEEZZNS1_9scan_implILNS1_25lookback_scan_determinismE0ELb0ELb0ES3_PKS6_PS6_S6_ZZZN2at6native31launch_logcumsumexp_cuda_kernelERKNSD_10TensorBaseESH_lENKUlvE_clEvENKUlvE3_clEvEUlS6_S6_E_S6_EEDaPvRmT3_T4_T5_mT6_P12ihipStream_tbENKUlT_T0_E_clISt17integral_constantIbLb0EESY_EEDaST_SU_EUlST_E0_NS1_11comp_targetILNS1_3genE0ELNS1_11target_archE4294967295ELNS1_3gpuE0ELNS1_3repE0EEENS1_30default_config_static_selectorELNS0_4arch9wavefront6targetE1EEEvT1_
		.amdhsa_group_segment_fixed_size 0
		.amdhsa_private_segment_fixed_size 0
		.amdhsa_kernarg_size 32
		.amdhsa_user_sgpr_count 6
		.amdhsa_user_sgpr_private_segment_buffer 1
		.amdhsa_user_sgpr_dispatch_ptr 0
		.amdhsa_user_sgpr_queue_ptr 0
		.amdhsa_user_sgpr_kernarg_segment_ptr 1
		.amdhsa_user_sgpr_dispatch_id 0
		.amdhsa_user_sgpr_flat_scratch_init 0
		.amdhsa_user_sgpr_private_segment_size 0
		.amdhsa_uses_dynamic_stack 0
		.amdhsa_system_sgpr_private_segment_wavefront_offset 0
		.amdhsa_system_sgpr_workgroup_id_x 1
		.amdhsa_system_sgpr_workgroup_id_y 0
		.amdhsa_system_sgpr_workgroup_id_z 0
		.amdhsa_system_sgpr_workgroup_info 0
		.amdhsa_system_vgpr_workitem_id 0
		.amdhsa_next_free_vgpr 1
		.amdhsa_next_free_sgpr 0
		.amdhsa_reserve_vcc 0
		.amdhsa_reserve_flat_scratch 0
		.amdhsa_float_round_mode_32 0
		.amdhsa_float_round_mode_16_64 0
		.amdhsa_float_denorm_mode_32 3
		.amdhsa_float_denorm_mode_16_64 3
		.amdhsa_dx10_clamp 1
		.amdhsa_ieee_mode 1
		.amdhsa_fp16_overflow 0
		.amdhsa_exception_fp_ieee_invalid_op 0
		.amdhsa_exception_fp_denorm_src 0
		.amdhsa_exception_fp_ieee_div_zero 0
		.amdhsa_exception_fp_ieee_overflow 0
		.amdhsa_exception_fp_ieee_underflow 0
		.amdhsa_exception_fp_ieee_inexact 0
		.amdhsa_exception_int_div_zero 0
	.end_amdhsa_kernel
	.section	.text._ZN7rocprim17ROCPRIM_400000_NS6detail17trampoline_kernelINS0_14default_configENS1_20scan_config_selectorIN3c104HalfEEEZZNS1_9scan_implILNS1_25lookback_scan_determinismE0ELb0ELb0ES3_PKS6_PS6_S6_ZZZN2at6native31launch_logcumsumexp_cuda_kernelERKNSD_10TensorBaseESH_lENKUlvE_clEvENKUlvE3_clEvEUlS6_S6_E_S6_EEDaPvRmT3_T4_T5_mT6_P12ihipStream_tbENKUlT_T0_E_clISt17integral_constantIbLb0EESY_EEDaST_SU_EUlST_E0_NS1_11comp_targetILNS1_3genE0ELNS1_11target_archE4294967295ELNS1_3gpuE0ELNS1_3repE0EEENS1_30default_config_static_selectorELNS0_4arch9wavefront6targetE1EEEvT1_,"axG",@progbits,_ZN7rocprim17ROCPRIM_400000_NS6detail17trampoline_kernelINS0_14default_configENS1_20scan_config_selectorIN3c104HalfEEEZZNS1_9scan_implILNS1_25lookback_scan_determinismE0ELb0ELb0ES3_PKS6_PS6_S6_ZZZN2at6native31launch_logcumsumexp_cuda_kernelERKNSD_10TensorBaseESH_lENKUlvE_clEvENKUlvE3_clEvEUlS6_S6_E_S6_EEDaPvRmT3_T4_T5_mT6_P12ihipStream_tbENKUlT_T0_E_clISt17integral_constantIbLb0EESY_EEDaST_SU_EUlST_E0_NS1_11comp_targetILNS1_3genE0ELNS1_11target_archE4294967295ELNS1_3gpuE0ELNS1_3repE0EEENS1_30default_config_static_selectorELNS0_4arch9wavefront6targetE1EEEvT1_,comdat
.Lfunc_end368:
	.size	_ZN7rocprim17ROCPRIM_400000_NS6detail17trampoline_kernelINS0_14default_configENS1_20scan_config_selectorIN3c104HalfEEEZZNS1_9scan_implILNS1_25lookback_scan_determinismE0ELb0ELb0ES3_PKS6_PS6_S6_ZZZN2at6native31launch_logcumsumexp_cuda_kernelERKNSD_10TensorBaseESH_lENKUlvE_clEvENKUlvE3_clEvEUlS6_S6_E_S6_EEDaPvRmT3_T4_T5_mT6_P12ihipStream_tbENKUlT_T0_E_clISt17integral_constantIbLb0EESY_EEDaST_SU_EUlST_E0_NS1_11comp_targetILNS1_3genE0ELNS1_11target_archE4294967295ELNS1_3gpuE0ELNS1_3repE0EEENS1_30default_config_static_selectorELNS0_4arch9wavefront6targetE1EEEvT1_, .Lfunc_end368-_ZN7rocprim17ROCPRIM_400000_NS6detail17trampoline_kernelINS0_14default_configENS1_20scan_config_selectorIN3c104HalfEEEZZNS1_9scan_implILNS1_25lookback_scan_determinismE0ELb0ELb0ES3_PKS6_PS6_S6_ZZZN2at6native31launch_logcumsumexp_cuda_kernelERKNSD_10TensorBaseESH_lENKUlvE_clEvENKUlvE3_clEvEUlS6_S6_E_S6_EEDaPvRmT3_T4_T5_mT6_P12ihipStream_tbENKUlT_T0_E_clISt17integral_constantIbLb0EESY_EEDaST_SU_EUlST_E0_NS1_11comp_targetILNS1_3genE0ELNS1_11target_archE4294967295ELNS1_3gpuE0ELNS1_3repE0EEENS1_30default_config_static_selectorELNS0_4arch9wavefront6targetE1EEEvT1_
                                        ; -- End function
	.set _ZN7rocprim17ROCPRIM_400000_NS6detail17trampoline_kernelINS0_14default_configENS1_20scan_config_selectorIN3c104HalfEEEZZNS1_9scan_implILNS1_25lookback_scan_determinismE0ELb0ELb0ES3_PKS6_PS6_S6_ZZZN2at6native31launch_logcumsumexp_cuda_kernelERKNSD_10TensorBaseESH_lENKUlvE_clEvENKUlvE3_clEvEUlS6_S6_E_S6_EEDaPvRmT3_T4_T5_mT6_P12ihipStream_tbENKUlT_T0_E_clISt17integral_constantIbLb0EESY_EEDaST_SU_EUlST_E0_NS1_11comp_targetILNS1_3genE0ELNS1_11target_archE4294967295ELNS1_3gpuE0ELNS1_3repE0EEENS1_30default_config_static_selectorELNS0_4arch9wavefront6targetE1EEEvT1_.num_vgpr, 0
	.set _ZN7rocprim17ROCPRIM_400000_NS6detail17trampoline_kernelINS0_14default_configENS1_20scan_config_selectorIN3c104HalfEEEZZNS1_9scan_implILNS1_25lookback_scan_determinismE0ELb0ELb0ES3_PKS6_PS6_S6_ZZZN2at6native31launch_logcumsumexp_cuda_kernelERKNSD_10TensorBaseESH_lENKUlvE_clEvENKUlvE3_clEvEUlS6_S6_E_S6_EEDaPvRmT3_T4_T5_mT6_P12ihipStream_tbENKUlT_T0_E_clISt17integral_constantIbLb0EESY_EEDaST_SU_EUlST_E0_NS1_11comp_targetILNS1_3genE0ELNS1_11target_archE4294967295ELNS1_3gpuE0ELNS1_3repE0EEENS1_30default_config_static_selectorELNS0_4arch9wavefront6targetE1EEEvT1_.num_agpr, 0
	.set _ZN7rocprim17ROCPRIM_400000_NS6detail17trampoline_kernelINS0_14default_configENS1_20scan_config_selectorIN3c104HalfEEEZZNS1_9scan_implILNS1_25lookback_scan_determinismE0ELb0ELb0ES3_PKS6_PS6_S6_ZZZN2at6native31launch_logcumsumexp_cuda_kernelERKNSD_10TensorBaseESH_lENKUlvE_clEvENKUlvE3_clEvEUlS6_S6_E_S6_EEDaPvRmT3_T4_T5_mT6_P12ihipStream_tbENKUlT_T0_E_clISt17integral_constantIbLb0EESY_EEDaST_SU_EUlST_E0_NS1_11comp_targetILNS1_3genE0ELNS1_11target_archE4294967295ELNS1_3gpuE0ELNS1_3repE0EEENS1_30default_config_static_selectorELNS0_4arch9wavefront6targetE1EEEvT1_.numbered_sgpr, 0
	.set _ZN7rocprim17ROCPRIM_400000_NS6detail17trampoline_kernelINS0_14default_configENS1_20scan_config_selectorIN3c104HalfEEEZZNS1_9scan_implILNS1_25lookback_scan_determinismE0ELb0ELb0ES3_PKS6_PS6_S6_ZZZN2at6native31launch_logcumsumexp_cuda_kernelERKNSD_10TensorBaseESH_lENKUlvE_clEvENKUlvE3_clEvEUlS6_S6_E_S6_EEDaPvRmT3_T4_T5_mT6_P12ihipStream_tbENKUlT_T0_E_clISt17integral_constantIbLb0EESY_EEDaST_SU_EUlST_E0_NS1_11comp_targetILNS1_3genE0ELNS1_11target_archE4294967295ELNS1_3gpuE0ELNS1_3repE0EEENS1_30default_config_static_selectorELNS0_4arch9wavefront6targetE1EEEvT1_.num_named_barrier, 0
	.set _ZN7rocprim17ROCPRIM_400000_NS6detail17trampoline_kernelINS0_14default_configENS1_20scan_config_selectorIN3c104HalfEEEZZNS1_9scan_implILNS1_25lookback_scan_determinismE0ELb0ELb0ES3_PKS6_PS6_S6_ZZZN2at6native31launch_logcumsumexp_cuda_kernelERKNSD_10TensorBaseESH_lENKUlvE_clEvENKUlvE3_clEvEUlS6_S6_E_S6_EEDaPvRmT3_T4_T5_mT6_P12ihipStream_tbENKUlT_T0_E_clISt17integral_constantIbLb0EESY_EEDaST_SU_EUlST_E0_NS1_11comp_targetILNS1_3genE0ELNS1_11target_archE4294967295ELNS1_3gpuE0ELNS1_3repE0EEENS1_30default_config_static_selectorELNS0_4arch9wavefront6targetE1EEEvT1_.private_seg_size, 0
	.set _ZN7rocprim17ROCPRIM_400000_NS6detail17trampoline_kernelINS0_14default_configENS1_20scan_config_selectorIN3c104HalfEEEZZNS1_9scan_implILNS1_25lookback_scan_determinismE0ELb0ELb0ES3_PKS6_PS6_S6_ZZZN2at6native31launch_logcumsumexp_cuda_kernelERKNSD_10TensorBaseESH_lENKUlvE_clEvENKUlvE3_clEvEUlS6_S6_E_S6_EEDaPvRmT3_T4_T5_mT6_P12ihipStream_tbENKUlT_T0_E_clISt17integral_constantIbLb0EESY_EEDaST_SU_EUlST_E0_NS1_11comp_targetILNS1_3genE0ELNS1_11target_archE4294967295ELNS1_3gpuE0ELNS1_3repE0EEENS1_30default_config_static_selectorELNS0_4arch9wavefront6targetE1EEEvT1_.uses_vcc, 0
	.set _ZN7rocprim17ROCPRIM_400000_NS6detail17trampoline_kernelINS0_14default_configENS1_20scan_config_selectorIN3c104HalfEEEZZNS1_9scan_implILNS1_25lookback_scan_determinismE0ELb0ELb0ES3_PKS6_PS6_S6_ZZZN2at6native31launch_logcumsumexp_cuda_kernelERKNSD_10TensorBaseESH_lENKUlvE_clEvENKUlvE3_clEvEUlS6_S6_E_S6_EEDaPvRmT3_T4_T5_mT6_P12ihipStream_tbENKUlT_T0_E_clISt17integral_constantIbLb0EESY_EEDaST_SU_EUlST_E0_NS1_11comp_targetILNS1_3genE0ELNS1_11target_archE4294967295ELNS1_3gpuE0ELNS1_3repE0EEENS1_30default_config_static_selectorELNS0_4arch9wavefront6targetE1EEEvT1_.uses_flat_scratch, 0
	.set _ZN7rocprim17ROCPRIM_400000_NS6detail17trampoline_kernelINS0_14default_configENS1_20scan_config_selectorIN3c104HalfEEEZZNS1_9scan_implILNS1_25lookback_scan_determinismE0ELb0ELb0ES3_PKS6_PS6_S6_ZZZN2at6native31launch_logcumsumexp_cuda_kernelERKNSD_10TensorBaseESH_lENKUlvE_clEvENKUlvE3_clEvEUlS6_S6_E_S6_EEDaPvRmT3_T4_T5_mT6_P12ihipStream_tbENKUlT_T0_E_clISt17integral_constantIbLb0EESY_EEDaST_SU_EUlST_E0_NS1_11comp_targetILNS1_3genE0ELNS1_11target_archE4294967295ELNS1_3gpuE0ELNS1_3repE0EEENS1_30default_config_static_selectorELNS0_4arch9wavefront6targetE1EEEvT1_.has_dyn_sized_stack, 0
	.set _ZN7rocprim17ROCPRIM_400000_NS6detail17trampoline_kernelINS0_14default_configENS1_20scan_config_selectorIN3c104HalfEEEZZNS1_9scan_implILNS1_25lookback_scan_determinismE0ELb0ELb0ES3_PKS6_PS6_S6_ZZZN2at6native31launch_logcumsumexp_cuda_kernelERKNSD_10TensorBaseESH_lENKUlvE_clEvENKUlvE3_clEvEUlS6_S6_E_S6_EEDaPvRmT3_T4_T5_mT6_P12ihipStream_tbENKUlT_T0_E_clISt17integral_constantIbLb0EESY_EEDaST_SU_EUlST_E0_NS1_11comp_targetILNS1_3genE0ELNS1_11target_archE4294967295ELNS1_3gpuE0ELNS1_3repE0EEENS1_30default_config_static_selectorELNS0_4arch9wavefront6targetE1EEEvT1_.has_recursion, 0
	.set _ZN7rocprim17ROCPRIM_400000_NS6detail17trampoline_kernelINS0_14default_configENS1_20scan_config_selectorIN3c104HalfEEEZZNS1_9scan_implILNS1_25lookback_scan_determinismE0ELb0ELb0ES3_PKS6_PS6_S6_ZZZN2at6native31launch_logcumsumexp_cuda_kernelERKNSD_10TensorBaseESH_lENKUlvE_clEvENKUlvE3_clEvEUlS6_S6_E_S6_EEDaPvRmT3_T4_T5_mT6_P12ihipStream_tbENKUlT_T0_E_clISt17integral_constantIbLb0EESY_EEDaST_SU_EUlST_E0_NS1_11comp_targetILNS1_3genE0ELNS1_11target_archE4294967295ELNS1_3gpuE0ELNS1_3repE0EEENS1_30default_config_static_selectorELNS0_4arch9wavefront6targetE1EEEvT1_.has_indirect_call, 0
	.section	.AMDGPU.csdata,"",@progbits
; Kernel info:
; codeLenInByte = 0
; TotalNumSgprs: 4
; NumVgprs: 0
; ScratchSize: 0
; MemoryBound: 0
; FloatMode: 240
; IeeeMode: 1
; LDSByteSize: 0 bytes/workgroup (compile time only)
; SGPRBlocks: 0
; VGPRBlocks: 0
; NumSGPRsForWavesPerEU: 4
; NumVGPRsForWavesPerEU: 1
; Occupancy: 10
; WaveLimiterHint : 0
; COMPUTE_PGM_RSRC2:SCRATCH_EN: 0
; COMPUTE_PGM_RSRC2:USER_SGPR: 6
; COMPUTE_PGM_RSRC2:TRAP_HANDLER: 0
; COMPUTE_PGM_RSRC2:TGID_X_EN: 1
; COMPUTE_PGM_RSRC2:TGID_Y_EN: 0
; COMPUTE_PGM_RSRC2:TGID_Z_EN: 0
; COMPUTE_PGM_RSRC2:TIDIG_COMP_CNT: 0
	.section	.text._ZN7rocprim17ROCPRIM_400000_NS6detail17trampoline_kernelINS0_14default_configENS1_20scan_config_selectorIN3c104HalfEEEZZNS1_9scan_implILNS1_25lookback_scan_determinismE0ELb0ELb0ES3_PKS6_PS6_S6_ZZZN2at6native31launch_logcumsumexp_cuda_kernelERKNSD_10TensorBaseESH_lENKUlvE_clEvENKUlvE3_clEvEUlS6_S6_E_S6_EEDaPvRmT3_T4_T5_mT6_P12ihipStream_tbENKUlT_T0_E_clISt17integral_constantIbLb0EESY_EEDaST_SU_EUlST_E0_NS1_11comp_targetILNS1_3genE5ELNS1_11target_archE942ELNS1_3gpuE9ELNS1_3repE0EEENS1_30default_config_static_selectorELNS0_4arch9wavefront6targetE1EEEvT1_,"axG",@progbits,_ZN7rocprim17ROCPRIM_400000_NS6detail17trampoline_kernelINS0_14default_configENS1_20scan_config_selectorIN3c104HalfEEEZZNS1_9scan_implILNS1_25lookback_scan_determinismE0ELb0ELb0ES3_PKS6_PS6_S6_ZZZN2at6native31launch_logcumsumexp_cuda_kernelERKNSD_10TensorBaseESH_lENKUlvE_clEvENKUlvE3_clEvEUlS6_S6_E_S6_EEDaPvRmT3_T4_T5_mT6_P12ihipStream_tbENKUlT_T0_E_clISt17integral_constantIbLb0EESY_EEDaST_SU_EUlST_E0_NS1_11comp_targetILNS1_3genE5ELNS1_11target_archE942ELNS1_3gpuE9ELNS1_3repE0EEENS1_30default_config_static_selectorELNS0_4arch9wavefront6targetE1EEEvT1_,comdat
	.globl	_ZN7rocprim17ROCPRIM_400000_NS6detail17trampoline_kernelINS0_14default_configENS1_20scan_config_selectorIN3c104HalfEEEZZNS1_9scan_implILNS1_25lookback_scan_determinismE0ELb0ELb0ES3_PKS6_PS6_S6_ZZZN2at6native31launch_logcumsumexp_cuda_kernelERKNSD_10TensorBaseESH_lENKUlvE_clEvENKUlvE3_clEvEUlS6_S6_E_S6_EEDaPvRmT3_T4_T5_mT6_P12ihipStream_tbENKUlT_T0_E_clISt17integral_constantIbLb0EESY_EEDaST_SU_EUlST_E0_NS1_11comp_targetILNS1_3genE5ELNS1_11target_archE942ELNS1_3gpuE9ELNS1_3repE0EEENS1_30default_config_static_selectorELNS0_4arch9wavefront6targetE1EEEvT1_ ; -- Begin function _ZN7rocprim17ROCPRIM_400000_NS6detail17trampoline_kernelINS0_14default_configENS1_20scan_config_selectorIN3c104HalfEEEZZNS1_9scan_implILNS1_25lookback_scan_determinismE0ELb0ELb0ES3_PKS6_PS6_S6_ZZZN2at6native31launch_logcumsumexp_cuda_kernelERKNSD_10TensorBaseESH_lENKUlvE_clEvENKUlvE3_clEvEUlS6_S6_E_S6_EEDaPvRmT3_T4_T5_mT6_P12ihipStream_tbENKUlT_T0_E_clISt17integral_constantIbLb0EESY_EEDaST_SU_EUlST_E0_NS1_11comp_targetILNS1_3genE5ELNS1_11target_archE942ELNS1_3gpuE9ELNS1_3repE0EEENS1_30default_config_static_selectorELNS0_4arch9wavefront6targetE1EEEvT1_
	.p2align	8
	.type	_ZN7rocprim17ROCPRIM_400000_NS6detail17trampoline_kernelINS0_14default_configENS1_20scan_config_selectorIN3c104HalfEEEZZNS1_9scan_implILNS1_25lookback_scan_determinismE0ELb0ELb0ES3_PKS6_PS6_S6_ZZZN2at6native31launch_logcumsumexp_cuda_kernelERKNSD_10TensorBaseESH_lENKUlvE_clEvENKUlvE3_clEvEUlS6_S6_E_S6_EEDaPvRmT3_T4_T5_mT6_P12ihipStream_tbENKUlT_T0_E_clISt17integral_constantIbLb0EESY_EEDaST_SU_EUlST_E0_NS1_11comp_targetILNS1_3genE5ELNS1_11target_archE942ELNS1_3gpuE9ELNS1_3repE0EEENS1_30default_config_static_selectorELNS0_4arch9wavefront6targetE1EEEvT1_,@function
_ZN7rocprim17ROCPRIM_400000_NS6detail17trampoline_kernelINS0_14default_configENS1_20scan_config_selectorIN3c104HalfEEEZZNS1_9scan_implILNS1_25lookback_scan_determinismE0ELb0ELb0ES3_PKS6_PS6_S6_ZZZN2at6native31launch_logcumsumexp_cuda_kernelERKNSD_10TensorBaseESH_lENKUlvE_clEvENKUlvE3_clEvEUlS6_S6_E_S6_EEDaPvRmT3_T4_T5_mT6_P12ihipStream_tbENKUlT_T0_E_clISt17integral_constantIbLb0EESY_EEDaST_SU_EUlST_E0_NS1_11comp_targetILNS1_3genE5ELNS1_11target_archE942ELNS1_3gpuE9ELNS1_3repE0EEENS1_30default_config_static_selectorELNS0_4arch9wavefront6targetE1EEEvT1_: ; @_ZN7rocprim17ROCPRIM_400000_NS6detail17trampoline_kernelINS0_14default_configENS1_20scan_config_selectorIN3c104HalfEEEZZNS1_9scan_implILNS1_25lookback_scan_determinismE0ELb0ELb0ES3_PKS6_PS6_S6_ZZZN2at6native31launch_logcumsumexp_cuda_kernelERKNSD_10TensorBaseESH_lENKUlvE_clEvENKUlvE3_clEvEUlS6_S6_E_S6_EEDaPvRmT3_T4_T5_mT6_P12ihipStream_tbENKUlT_T0_E_clISt17integral_constantIbLb0EESY_EEDaST_SU_EUlST_E0_NS1_11comp_targetILNS1_3genE5ELNS1_11target_archE942ELNS1_3gpuE9ELNS1_3repE0EEENS1_30default_config_static_selectorELNS0_4arch9wavefront6targetE1EEEvT1_
; %bb.0:
	.section	.rodata,"a",@progbits
	.p2align	6, 0x0
	.amdhsa_kernel _ZN7rocprim17ROCPRIM_400000_NS6detail17trampoline_kernelINS0_14default_configENS1_20scan_config_selectorIN3c104HalfEEEZZNS1_9scan_implILNS1_25lookback_scan_determinismE0ELb0ELb0ES3_PKS6_PS6_S6_ZZZN2at6native31launch_logcumsumexp_cuda_kernelERKNSD_10TensorBaseESH_lENKUlvE_clEvENKUlvE3_clEvEUlS6_S6_E_S6_EEDaPvRmT3_T4_T5_mT6_P12ihipStream_tbENKUlT_T0_E_clISt17integral_constantIbLb0EESY_EEDaST_SU_EUlST_E0_NS1_11comp_targetILNS1_3genE5ELNS1_11target_archE942ELNS1_3gpuE9ELNS1_3repE0EEENS1_30default_config_static_selectorELNS0_4arch9wavefront6targetE1EEEvT1_
		.amdhsa_group_segment_fixed_size 0
		.amdhsa_private_segment_fixed_size 0
		.amdhsa_kernarg_size 32
		.amdhsa_user_sgpr_count 6
		.amdhsa_user_sgpr_private_segment_buffer 1
		.amdhsa_user_sgpr_dispatch_ptr 0
		.amdhsa_user_sgpr_queue_ptr 0
		.amdhsa_user_sgpr_kernarg_segment_ptr 1
		.amdhsa_user_sgpr_dispatch_id 0
		.amdhsa_user_sgpr_flat_scratch_init 0
		.amdhsa_user_sgpr_private_segment_size 0
		.amdhsa_uses_dynamic_stack 0
		.amdhsa_system_sgpr_private_segment_wavefront_offset 0
		.amdhsa_system_sgpr_workgroup_id_x 1
		.amdhsa_system_sgpr_workgroup_id_y 0
		.amdhsa_system_sgpr_workgroup_id_z 0
		.amdhsa_system_sgpr_workgroup_info 0
		.amdhsa_system_vgpr_workitem_id 0
		.amdhsa_next_free_vgpr 1
		.amdhsa_next_free_sgpr 0
		.amdhsa_reserve_vcc 0
		.amdhsa_reserve_flat_scratch 0
		.amdhsa_float_round_mode_32 0
		.amdhsa_float_round_mode_16_64 0
		.amdhsa_float_denorm_mode_32 3
		.amdhsa_float_denorm_mode_16_64 3
		.amdhsa_dx10_clamp 1
		.amdhsa_ieee_mode 1
		.amdhsa_fp16_overflow 0
		.amdhsa_exception_fp_ieee_invalid_op 0
		.amdhsa_exception_fp_denorm_src 0
		.amdhsa_exception_fp_ieee_div_zero 0
		.amdhsa_exception_fp_ieee_overflow 0
		.amdhsa_exception_fp_ieee_underflow 0
		.amdhsa_exception_fp_ieee_inexact 0
		.amdhsa_exception_int_div_zero 0
	.end_amdhsa_kernel
	.section	.text._ZN7rocprim17ROCPRIM_400000_NS6detail17trampoline_kernelINS0_14default_configENS1_20scan_config_selectorIN3c104HalfEEEZZNS1_9scan_implILNS1_25lookback_scan_determinismE0ELb0ELb0ES3_PKS6_PS6_S6_ZZZN2at6native31launch_logcumsumexp_cuda_kernelERKNSD_10TensorBaseESH_lENKUlvE_clEvENKUlvE3_clEvEUlS6_S6_E_S6_EEDaPvRmT3_T4_T5_mT6_P12ihipStream_tbENKUlT_T0_E_clISt17integral_constantIbLb0EESY_EEDaST_SU_EUlST_E0_NS1_11comp_targetILNS1_3genE5ELNS1_11target_archE942ELNS1_3gpuE9ELNS1_3repE0EEENS1_30default_config_static_selectorELNS0_4arch9wavefront6targetE1EEEvT1_,"axG",@progbits,_ZN7rocprim17ROCPRIM_400000_NS6detail17trampoline_kernelINS0_14default_configENS1_20scan_config_selectorIN3c104HalfEEEZZNS1_9scan_implILNS1_25lookback_scan_determinismE0ELb0ELb0ES3_PKS6_PS6_S6_ZZZN2at6native31launch_logcumsumexp_cuda_kernelERKNSD_10TensorBaseESH_lENKUlvE_clEvENKUlvE3_clEvEUlS6_S6_E_S6_EEDaPvRmT3_T4_T5_mT6_P12ihipStream_tbENKUlT_T0_E_clISt17integral_constantIbLb0EESY_EEDaST_SU_EUlST_E0_NS1_11comp_targetILNS1_3genE5ELNS1_11target_archE942ELNS1_3gpuE9ELNS1_3repE0EEENS1_30default_config_static_selectorELNS0_4arch9wavefront6targetE1EEEvT1_,comdat
.Lfunc_end369:
	.size	_ZN7rocprim17ROCPRIM_400000_NS6detail17trampoline_kernelINS0_14default_configENS1_20scan_config_selectorIN3c104HalfEEEZZNS1_9scan_implILNS1_25lookback_scan_determinismE0ELb0ELb0ES3_PKS6_PS6_S6_ZZZN2at6native31launch_logcumsumexp_cuda_kernelERKNSD_10TensorBaseESH_lENKUlvE_clEvENKUlvE3_clEvEUlS6_S6_E_S6_EEDaPvRmT3_T4_T5_mT6_P12ihipStream_tbENKUlT_T0_E_clISt17integral_constantIbLb0EESY_EEDaST_SU_EUlST_E0_NS1_11comp_targetILNS1_3genE5ELNS1_11target_archE942ELNS1_3gpuE9ELNS1_3repE0EEENS1_30default_config_static_selectorELNS0_4arch9wavefront6targetE1EEEvT1_, .Lfunc_end369-_ZN7rocprim17ROCPRIM_400000_NS6detail17trampoline_kernelINS0_14default_configENS1_20scan_config_selectorIN3c104HalfEEEZZNS1_9scan_implILNS1_25lookback_scan_determinismE0ELb0ELb0ES3_PKS6_PS6_S6_ZZZN2at6native31launch_logcumsumexp_cuda_kernelERKNSD_10TensorBaseESH_lENKUlvE_clEvENKUlvE3_clEvEUlS6_S6_E_S6_EEDaPvRmT3_T4_T5_mT6_P12ihipStream_tbENKUlT_T0_E_clISt17integral_constantIbLb0EESY_EEDaST_SU_EUlST_E0_NS1_11comp_targetILNS1_3genE5ELNS1_11target_archE942ELNS1_3gpuE9ELNS1_3repE0EEENS1_30default_config_static_selectorELNS0_4arch9wavefront6targetE1EEEvT1_
                                        ; -- End function
	.set _ZN7rocprim17ROCPRIM_400000_NS6detail17trampoline_kernelINS0_14default_configENS1_20scan_config_selectorIN3c104HalfEEEZZNS1_9scan_implILNS1_25lookback_scan_determinismE0ELb0ELb0ES3_PKS6_PS6_S6_ZZZN2at6native31launch_logcumsumexp_cuda_kernelERKNSD_10TensorBaseESH_lENKUlvE_clEvENKUlvE3_clEvEUlS6_S6_E_S6_EEDaPvRmT3_T4_T5_mT6_P12ihipStream_tbENKUlT_T0_E_clISt17integral_constantIbLb0EESY_EEDaST_SU_EUlST_E0_NS1_11comp_targetILNS1_3genE5ELNS1_11target_archE942ELNS1_3gpuE9ELNS1_3repE0EEENS1_30default_config_static_selectorELNS0_4arch9wavefront6targetE1EEEvT1_.num_vgpr, 0
	.set _ZN7rocprim17ROCPRIM_400000_NS6detail17trampoline_kernelINS0_14default_configENS1_20scan_config_selectorIN3c104HalfEEEZZNS1_9scan_implILNS1_25lookback_scan_determinismE0ELb0ELb0ES3_PKS6_PS6_S6_ZZZN2at6native31launch_logcumsumexp_cuda_kernelERKNSD_10TensorBaseESH_lENKUlvE_clEvENKUlvE3_clEvEUlS6_S6_E_S6_EEDaPvRmT3_T4_T5_mT6_P12ihipStream_tbENKUlT_T0_E_clISt17integral_constantIbLb0EESY_EEDaST_SU_EUlST_E0_NS1_11comp_targetILNS1_3genE5ELNS1_11target_archE942ELNS1_3gpuE9ELNS1_3repE0EEENS1_30default_config_static_selectorELNS0_4arch9wavefront6targetE1EEEvT1_.num_agpr, 0
	.set _ZN7rocprim17ROCPRIM_400000_NS6detail17trampoline_kernelINS0_14default_configENS1_20scan_config_selectorIN3c104HalfEEEZZNS1_9scan_implILNS1_25lookback_scan_determinismE0ELb0ELb0ES3_PKS6_PS6_S6_ZZZN2at6native31launch_logcumsumexp_cuda_kernelERKNSD_10TensorBaseESH_lENKUlvE_clEvENKUlvE3_clEvEUlS6_S6_E_S6_EEDaPvRmT3_T4_T5_mT6_P12ihipStream_tbENKUlT_T0_E_clISt17integral_constantIbLb0EESY_EEDaST_SU_EUlST_E0_NS1_11comp_targetILNS1_3genE5ELNS1_11target_archE942ELNS1_3gpuE9ELNS1_3repE0EEENS1_30default_config_static_selectorELNS0_4arch9wavefront6targetE1EEEvT1_.numbered_sgpr, 0
	.set _ZN7rocprim17ROCPRIM_400000_NS6detail17trampoline_kernelINS0_14default_configENS1_20scan_config_selectorIN3c104HalfEEEZZNS1_9scan_implILNS1_25lookback_scan_determinismE0ELb0ELb0ES3_PKS6_PS6_S6_ZZZN2at6native31launch_logcumsumexp_cuda_kernelERKNSD_10TensorBaseESH_lENKUlvE_clEvENKUlvE3_clEvEUlS6_S6_E_S6_EEDaPvRmT3_T4_T5_mT6_P12ihipStream_tbENKUlT_T0_E_clISt17integral_constantIbLb0EESY_EEDaST_SU_EUlST_E0_NS1_11comp_targetILNS1_3genE5ELNS1_11target_archE942ELNS1_3gpuE9ELNS1_3repE0EEENS1_30default_config_static_selectorELNS0_4arch9wavefront6targetE1EEEvT1_.num_named_barrier, 0
	.set _ZN7rocprim17ROCPRIM_400000_NS6detail17trampoline_kernelINS0_14default_configENS1_20scan_config_selectorIN3c104HalfEEEZZNS1_9scan_implILNS1_25lookback_scan_determinismE0ELb0ELb0ES3_PKS6_PS6_S6_ZZZN2at6native31launch_logcumsumexp_cuda_kernelERKNSD_10TensorBaseESH_lENKUlvE_clEvENKUlvE3_clEvEUlS6_S6_E_S6_EEDaPvRmT3_T4_T5_mT6_P12ihipStream_tbENKUlT_T0_E_clISt17integral_constantIbLb0EESY_EEDaST_SU_EUlST_E0_NS1_11comp_targetILNS1_3genE5ELNS1_11target_archE942ELNS1_3gpuE9ELNS1_3repE0EEENS1_30default_config_static_selectorELNS0_4arch9wavefront6targetE1EEEvT1_.private_seg_size, 0
	.set _ZN7rocprim17ROCPRIM_400000_NS6detail17trampoline_kernelINS0_14default_configENS1_20scan_config_selectorIN3c104HalfEEEZZNS1_9scan_implILNS1_25lookback_scan_determinismE0ELb0ELb0ES3_PKS6_PS6_S6_ZZZN2at6native31launch_logcumsumexp_cuda_kernelERKNSD_10TensorBaseESH_lENKUlvE_clEvENKUlvE3_clEvEUlS6_S6_E_S6_EEDaPvRmT3_T4_T5_mT6_P12ihipStream_tbENKUlT_T0_E_clISt17integral_constantIbLb0EESY_EEDaST_SU_EUlST_E0_NS1_11comp_targetILNS1_3genE5ELNS1_11target_archE942ELNS1_3gpuE9ELNS1_3repE0EEENS1_30default_config_static_selectorELNS0_4arch9wavefront6targetE1EEEvT1_.uses_vcc, 0
	.set _ZN7rocprim17ROCPRIM_400000_NS6detail17trampoline_kernelINS0_14default_configENS1_20scan_config_selectorIN3c104HalfEEEZZNS1_9scan_implILNS1_25lookback_scan_determinismE0ELb0ELb0ES3_PKS6_PS6_S6_ZZZN2at6native31launch_logcumsumexp_cuda_kernelERKNSD_10TensorBaseESH_lENKUlvE_clEvENKUlvE3_clEvEUlS6_S6_E_S6_EEDaPvRmT3_T4_T5_mT6_P12ihipStream_tbENKUlT_T0_E_clISt17integral_constantIbLb0EESY_EEDaST_SU_EUlST_E0_NS1_11comp_targetILNS1_3genE5ELNS1_11target_archE942ELNS1_3gpuE9ELNS1_3repE0EEENS1_30default_config_static_selectorELNS0_4arch9wavefront6targetE1EEEvT1_.uses_flat_scratch, 0
	.set _ZN7rocprim17ROCPRIM_400000_NS6detail17trampoline_kernelINS0_14default_configENS1_20scan_config_selectorIN3c104HalfEEEZZNS1_9scan_implILNS1_25lookback_scan_determinismE0ELb0ELb0ES3_PKS6_PS6_S6_ZZZN2at6native31launch_logcumsumexp_cuda_kernelERKNSD_10TensorBaseESH_lENKUlvE_clEvENKUlvE3_clEvEUlS6_S6_E_S6_EEDaPvRmT3_T4_T5_mT6_P12ihipStream_tbENKUlT_T0_E_clISt17integral_constantIbLb0EESY_EEDaST_SU_EUlST_E0_NS1_11comp_targetILNS1_3genE5ELNS1_11target_archE942ELNS1_3gpuE9ELNS1_3repE0EEENS1_30default_config_static_selectorELNS0_4arch9wavefront6targetE1EEEvT1_.has_dyn_sized_stack, 0
	.set _ZN7rocprim17ROCPRIM_400000_NS6detail17trampoline_kernelINS0_14default_configENS1_20scan_config_selectorIN3c104HalfEEEZZNS1_9scan_implILNS1_25lookback_scan_determinismE0ELb0ELb0ES3_PKS6_PS6_S6_ZZZN2at6native31launch_logcumsumexp_cuda_kernelERKNSD_10TensorBaseESH_lENKUlvE_clEvENKUlvE3_clEvEUlS6_S6_E_S6_EEDaPvRmT3_T4_T5_mT6_P12ihipStream_tbENKUlT_T0_E_clISt17integral_constantIbLb0EESY_EEDaST_SU_EUlST_E0_NS1_11comp_targetILNS1_3genE5ELNS1_11target_archE942ELNS1_3gpuE9ELNS1_3repE0EEENS1_30default_config_static_selectorELNS0_4arch9wavefront6targetE1EEEvT1_.has_recursion, 0
	.set _ZN7rocprim17ROCPRIM_400000_NS6detail17trampoline_kernelINS0_14default_configENS1_20scan_config_selectorIN3c104HalfEEEZZNS1_9scan_implILNS1_25lookback_scan_determinismE0ELb0ELb0ES3_PKS6_PS6_S6_ZZZN2at6native31launch_logcumsumexp_cuda_kernelERKNSD_10TensorBaseESH_lENKUlvE_clEvENKUlvE3_clEvEUlS6_S6_E_S6_EEDaPvRmT3_T4_T5_mT6_P12ihipStream_tbENKUlT_T0_E_clISt17integral_constantIbLb0EESY_EEDaST_SU_EUlST_E0_NS1_11comp_targetILNS1_3genE5ELNS1_11target_archE942ELNS1_3gpuE9ELNS1_3repE0EEENS1_30default_config_static_selectorELNS0_4arch9wavefront6targetE1EEEvT1_.has_indirect_call, 0
	.section	.AMDGPU.csdata,"",@progbits
; Kernel info:
; codeLenInByte = 0
; TotalNumSgprs: 4
; NumVgprs: 0
; ScratchSize: 0
; MemoryBound: 0
; FloatMode: 240
; IeeeMode: 1
; LDSByteSize: 0 bytes/workgroup (compile time only)
; SGPRBlocks: 0
; VGPRBlocks: 0
; NumSGPRsForWavesPerEU: 4
; NumVGPRsForWavesPerEU: 1
; Occupancy: 10
; WaveLimiterHint : 0
; COMPUTE_PGM_RSRC2:SCRATCH_EN: 0
; COMPUTE_PGM_RSRC2:USER_SGPR: 6
; COMPUTE_PGM_RSRC2:TRAP_HANDLER: 0
; COMPUTE_PGM_RSRC2:TGID_X_EN: 1
; COMPUTE_PGM_RSRC2:TGID_Y_EN: 0
; COMPUTE_PGM_RSRC2:TGID_Z_EN: 0
; COMPUTE_PGM_RSRC2:TIDIG_COMP_CNT: 0
	.section	.text._ZN7rocprim17ROCPRIM_400000_NS6detail17trampoline_kernelINS0_14default_configENS1_20scan_config_selectorIN3c104HalfEEEZZNS1_9scan_implILNS1_25lookback_scan_determinismE0ELb0ELb0ES3_PKS6_PS6_S6_ZZZN2at6native31launch_logcumsumexp_cuda_kernelERKNSD_10TensorBaseESH_lENKUlvE_clEvENKUlvE3_clEvEUlS6_S6_E_S6_EEDaPvRmT3_T4_T5_mT6_P12ihipStream_tbENKUlT_T0_E_clISt17integral_constantIbLb0EESY_EEDaST_SU_EUlST_E0_NS1_11comp_targetILNS1_3genE4ELNS1_11target_archE910ELNS1_3gpuE8ELNS1_3repE0EEENS1_30default_config_static_selectorELNS0_4arch9wavefront6targetE1EEEvT1_,"axG",@progbits,_ZN7rocprim17ROCPRIM_400000_NS6detail17trampoline_kernelINS0_14default_configENS1_20scan_config_selectorIN3c104HalfEEEZZNS1_9scan_implILNS1_25lookback_scan_determinismE0ELb0ELb0ES3_PKS6_PS6_S6_ZZZN2at6native31launch_logcumsumexp_cuda_kernelERKNSD_10TensorBaseESH_lENKUlvE_clEvENKUlvE3_clEvEUlS6_S6_E_S6_EEDaPvRmT3_T4_T5_mT6_P12ihipStream_tbENKUlT_T0_E_clISt17integral_constantIbLb0EESY_EEDaST_SU_EUlST_E0_NS1_11comp_targetILNS1_3genE4ELNS1_11target_archE910ELNS1_3gpuE8ELNS1_3repE0EEENS1_30default_config_static_selectorELNS0_4arch9wavefront6targetE1EEEvT1_,comdat
	.globl	_ZN7rocprim17ROCPRIM_400000_NS6detail17trampoline_kernelINS0_14default_configENS1_20scan_config_selectorIN3c104HalfEEEZZNS1_9scan_implILNS1_25lookback_scan_determinismE0ELb0ELb0ES3_PKS6_PS6_S6_ZZZN2at6native31launch_logcumsumexp_cuda_kernelERKNSD_10TensorBaseESH_lENKUlvE_clEvENKUlvE3_clEvEUlS6_S6_E_S6_EEDaPvRmT3_T4_T5_mT6_P12ihipStream_tbENKUlT_T0_E_clISt17integral_constantIbLb0EESY_EEDaST_SU_EUlST_E0_NS1_11comp_targetILNS1_3genE4ELNS1_11target_archE910ELNS1_3gpuE8ELNS1_3repE0EEENS1_30default_config_static_selectorELNS0_4arch9wavefront6targetE1EEEvT1_ ; -- Begin function _ZN7rocprim17ROCPRIM_400000_NS6detail17trampoline_kernelINS0_14default_configENS1_20scan_config_selectorIN3c104HalfEEEZZNS1_9scan_implILNS1_25lookback_scan_determinismE0ELb0ELb0ES3_PKS6_PS6_S6_ZZZN2at6native31launch_logcumsumexp_cuda_kernelERKNSD_10TensorBaseESH_lENKUlvE_clEvENKUlvE3_clEvEUlS6_S6_E_S6_EEDaPvRmT3_T4_T5_mT6_P12ihipStream_tbENKUlT_T0_E_clISt17integral_constantIbLb0EESY_EEDaST_SU_EUlST_E0_NS1_11comp_targetILNS1_3genE4ELNS1_11target_archE910ELNS1_3gpuE8ELNS1_3repE0EEENS1_30default_config_static_selectorELNS0_4arch9wavefront6targetE1EEEvT1_
	.p2align	8
	.type	_ZN7rocprim17ROCPRIM_400000_NS6detail17trampoline_kernelINS0_14default_configENS1_20scan_config_selectorIN3c104HalfEEEZZNS1_9scan_implILNS1_25lookback_scan_determinismE0ELb0ELb0ES3_PKS6_PS6_S6_ZZZN2at6native31launch_logcumsumexp_cuda_kernelERKNSD_10TensorBaseESH_lENKUlvE_clEvENKUlvE3_clEvEUlS6_S6_E_S6_EEDaPvRmT3_T4_T5_mT6_P12ihipStream_tbENKUlT_T0_E_clISt17integral_constantIbLb0EESY_EEDaST_SU_EUlST_E0_NS1_11comp_targetILNS1_3genE4ELNS1_11target_archE910ELNS1_3gpuE8ELNS1_3repE0EEENS1_30default_config_static_selectorELNS0_4arch9wavefront6targetE1EEEvT1_,@function
_ZN7rocprim17ROCPRIM_400000_NS6detail17trampoline_kernelINS0_14default_configENS1_20scan_config_selectorIN3c104HalfEEEZZNS1_9scan_implILNS1_25lookback_scan_determinismE0ELb0ELb0ES3_PKS6_PS6_S6_ZZZN2at6native31launch_logcumsumexp_cuda_kernelERKNSD_10TensorBaseESH_lENKUlvE_clEvENKUlvE3_clEvEUlS6_S6_E_S6_EEDaPvRmT3_T4_T5_mT6_P12ihipStream_tbENKUlT_T0_E_clISt17integral_constantIbLb0EESY_EEDaST_SU_EUlST_E0_NS1_11comp_targetILNS1_3genE4ELNS1_11target_archE910ELNS1_3gpuE8ELNS1_3repE0EEENS1_30default_config_static_selectorELNS0_4arch9wavefront6targetE1EEEvT1_: ; @_ZN7rocprim17ROCPRIM_400000_NS6detail17trampoline_kernelINS0_14default_configENS1_20scan_config_selectorIN3c104HalfEEEZZNS1_9scan_implILNS1_25lookback_scan_determinismE0ELb0ELb0ES3_PKS6_PS6_S6_ZZZN2at6native31launch_logcumsumexp_cuda_kernelERKNSD_10TensorBaseESH_lENKUlvE_clEvENKUlvE3_clEvEUlS6_S6_E_S6_EEDaPvRmT3_T4_T5_mT6_P12ihipStream_tbENKUlT_T0_E_clISt17integral_constantIbLb0EESY_EEDaST_SU_EUlST_E0_NS1_11comp_targetILNS1_3genE4ELNS1_11target_archE910ELNS1_3gpuE8ELNS1_3repE0EEENS1_30default_config_static_selectorELNS0_4arch9wavefront6targetE1EEEvT1_
; %bb.0:
	.section	.rodata,"a",@progbits
	.p2align	6, 0x0
	.amdhsa_kernel _ZN7rocprim17ROCPRIM_400000_NS6detail17trampoline_kernelINS0_14default_configENS1_20scan_config_selectorIN3c104HalfEEEZZNS1_9scan_implILNS1_25lookback_scan_determinismE0ELb0ELb0ES3_PKS6_PS6_S6_ZZZN2at6native31launch_logcumsumexp_cuda_kernelERKNSD_10TensorBaseESH_lENKUlvE_clEvENKUlvE3_clEvEUlS6_S6_E_S6_EEDaPvRmT3_T4_T5_mT6_P12ihipStream_tbENKUlT_T0_E_clISt17integral_constantIbLb0EESY_EEDaST_SU_EUlST_E0_NS1_11comp_targetILNS1_3genE4ELNS1_11target_archE910ELNS1_3gpuE8ELNS1_3repE0EEENS1_30default_config_static_selectorELNS0_4arch9wavefront6targetE1EEEvT1_
		.amdhsa_group_segment_fixed_size 0
		.amdhsa_private_segment_fixed_size 0
		.amdhsa_kernarg_size 32
		.amdhsa_user_sgpr_count 6
		.amdhsa_user_sgpr_private_segment_buffer 1
		.amdhsa_user_sgpr_dispatch_ptr 0
		.amdhsa_user_sgpr_queue_ptr 0
		.amdhsa_user_sgpr_kernarg_segment_ptr 1
		.amdhsa_user_sgpr_dispatch_id 0
		.amdhsa_user_sgpr_flat_scratch_init 0
		.amdhsa_user_sgpr_private_segment_size 0
		.amdhsa_uses_dynamic_stack 0
		.amdhsa_system_sgpr_private_segment_wavefront_offset 0
		.amdhsa_system_sgpr_workgroup_id_x 1
		.amdhsa_system_sgpr_workgroup_id_y 0
		.amdhsa_system_sgpr_workgroup_id_z 0
		.amdhsa_system_sgpr_workgroup_info 0
		.amdhsa_system_vgpr_workitem_id 0
		.amdhsa_next_free_vgpr 1
		.amdhsa_next_free_sgpr 0
		.amdhsa_reserve_vcc 0
		.amdhsa_reserve_flat_scratch 0
		.amdhsa_float_round_mode_32 0
		.amdhsa_float_round_mode_16_64 0
		.amdhsa_float_denorm_mode_32 3
		.amdhsa_float_denorm_mode_16_64 3
		.amdhsa_dx10_clamp 1
		.amdhsa_ieee_mode 1
		.amdhsa_fp16_overflow 0
		.amdhsa_exception_fp_ieee_invalid_op 0
		.amdhsa_exception_fp_denorm_src 0
		.amdhsa_exception_fp_ieee_div_zero 0
		.amdhsa_exception_fp_ieee_overflow 0
		.amdhsa_exception_fp_ieee_underflow 0
		.amdhsa_exception_fp_ieee_inexact 0
		.amdhsa_exception_int_div_zero 0
	.end_amdhsa_kernel
	.section	.text._ZN7rocprim17ROCPRIM_400000_NS6detail17trampoline_kernelINS0_14default_configENS1_20scan_config_selectorIN3c104HalfEEEZZNS1_9scan_implILNS1_25lookback_scan_determinismE0ELb0ELb0ES3_PKS6_PS6_S6_ZZZN2at6native31launch_logcumsumexp_cuda_kernelERKNSD_10TensorBaseESH_lENKUlvE_clEvENKUlvE3_clEvEUlS6_S6_E_S6_EEDaPvRmT3_T4_T5_mT6_P12ihipStream_tbENKUlT_T0_E_clISt17integral_constantIbLb0EESY_EEDaST_SU_EUlST_E0_NS1_11comp_targetILNS1_3genE4ELNS1_11target_archE910ELNS1_3gpuE8ELNS1_3repE0EEENS1_30default_config_static_selectorELNS0_4arch9wavefront6targetE1EEEvT1_,"axG",@progbits,_ZN7rocprim17ROCPRIM_400000_NS6detail17trampoline_kernelINS0_14default_configENS1_20scan_config_selectorIN3c104HalfEEEZZNS1_9scan_implILNS1_25lookback_scan_determinismE0ELb0ELb0ES3_PKS6_PS6_S6_ZZZN2at6native31launch_logcumsumexp_cuda_kernelERKNSD_10TensorBaseESH_lENKUlvE_clEvENKUlvE3_clEvEUlS6_S6_E_S6_EEDaPvRmT3_T4_T5_mT6_P12ihipStream_tbENKUlT_T0_E_clISt17integral_constantIbLb0EESY_EEDaST_SU_EUlST_E0_NS1_11comp_targetILNS1_3genE4ELNS1_11target_archE910ELNS1_3gpuE8ELNS1_3repE0EEENS1_30default_config_static_selectorELNS0_4arch9wavefront6targetE1EEEvT1_,comdat
.Lfunc_end370:
	.size	_ZN7rocprim17ROCPRIM_400000_NS6detail17trampoline_kernelINS0_14default_configENS1_20scan_config_selectorIN3c104HalfEEEZZNS1_9scan_implILNS1_25lookback_scan_determinismE0ELb0ELb0ES3_PKS6_PS6_S6_ZZZN2at6native31launch_logcumsumexp_cuda_kernelERKNSD_10TensorBaseESH_lENKUlvE_clEvENKUlvE3_clEvEUlS6_S6_E_S6_EEDaPvRmT3_T4_T5_mT6_P12ihipStream_tbENKUlT_T0_E_clISt17integral_constantIbLb0EESY_EEDaST_SU_EUlST_E0_NS1_11comp_targetILNS1_3genE4ELNS1_11target_archE910ELNS1_3gpuE8ELNS1_3repE0EEENS1_30default_config_static_selectorELNS0_4arch9wavefront6targetE1EEEvT1_, .Lfunc_end370-_ZN7rocprim17ROCPRIM_400000_NS6detail17trampoline_kernelINS0_14default_configENS1_20scan_config_selectorIN3c104HalfEEEZZNS1_9scan_implILNS1_25lookback_scan_determinismE0ELb0ELb0ES3_PKS6_PS6_S6_ZZZN2at6native31launch_logcumsumexp_cuda_kernelERKNSD_10TensorBaseESH_lENKUlvE_clEvENKUlvE3_clEvEUlS6_S6_E_S6_EEDaPvRmT3_T4_T5_mT6_P12ihipStream_tbENKUlT_T0_E_clISt17integral_constantIbLb0EESY_EEDaST_SU_EUlST_E0_NS1_11comp_targetILNS1_3genE4ELNS1_11target_archE910ELNS1_3gpuE8ELNS1_3repE0EEENS1_30default_config_static_selectorELNS0_4arch9wavefront6targetE1EEEvT1_
                                        ; -- End function
	.set _ZN7rocprim17ROCPRIM_400000_NS6detail17trampoline_kernelINS0_14default_configENS1_20scan_config_selectorIN3c104HalfEEEZZNS1_9scan_implILNS1_25lookback_scan_determinismE0ELb0ELb0ES3_PKS6_PS6_S6_ZZZN2at6native31launch_logcumsumexp_cuda_kernelERKNSD_10TensorBaseESH_lENKUlvE_clEvENKUlvE3_clEvEUlS6_S6_E_S6_EEDaPvRmT3_T4_T5_mT6_P12ihipStream_tbENKUlT_T0_E_clISt17integral_constantIbLb0EESY_EEDaST_SU_EUlST_E0_NS1_11comp_targetILNS1_3genE4ELNS1_11target_archE910ELNS1_3gpuE8ELNS1_3repE0EEENS1_30default_config_static_selectorELNS0_4arch9wavefront6targetE1EEEvT1_.num_vgpr, 0
	.set _ZN7rocprim17ROCPRIM_400000_NS6detail17trampoline_kernelINS0_14default_configENS1_20scan_config_selectorIN3c104HalfEEEZZNS1_9scan_implILNS1_25lookback_scan_determinismE0ELb0ELb0ES3_PKS6_PS6_S6_ZZZN2at6native31launch_logcumsumexp_cuda_kernelERKNSD_10TensorBaseESH_lENKUlvE_clEvENKUlvE3_clEvEUlS6_S6_E_S6_EEDaPvRmT3_T4_T5_mT6_P12ihipStream_tbENKUlT_T0_E_clISt17integral_constantIbLb0EESY_EEDaST_SU_EUlST_E0_NS1_11comp_targetILNS1_3genE4ELNS1_11target_archE910ELNS1_3gpuE8ELNS1_3repE0EEENS1_30default_config_static_selectorELNS0_4arch9wavefront6targetE1EEEvT1_.num_agpr, 0
	.set _ZN7rocprim17ROCPRIM_400000_NS6detail17trampoline_kernelINS0_14default_configENS1_20scan_config_selectorIN3c104HalfEEEZZNS1_9scan_implILNS1_25lookback_scan_determinismE0ELb0ELb0ES3_PKS6_PS6_S6_ZZZN2at6native31launch_logcumsumexp_cuda_kernelERKNSD_10TensorBaseESH_lENKUlvE_clEvENKUlvE3_clEvEUlS6_S6_E_S6_EEDaPvRmT3_T4_T5_mT6_P12ihipStream_tbENKUlT_T0_E_clISt17integral_constantIbLb0EESY_EEDaST_SU_EUlST_E0_NS1_11comp_targetILNS1_3genE4ELNS1_11target_archE910ELNS1_3gpuE8ELNS1_3repE0EEENS1_30default_config_static_selectorELNS0_4arch9wavefront6targetE1EEEvT1_.numbered_sgpr, 0
	.set _ZN7rocprim17ROCPRIM_400000_NS6detail17trampoline_kernelINS0_14default_configENS1_20scan_config_selectorIN3c104HalfEEEZZNS1_9scan_implILNS1_25lookback_scan_determinismE0ELb0ELb0ES3_PKS6_PS6_S6_ZZZN2at6native31launch_logcumsumexp_cuda_kernelERKNSD_10TensorBaseESH_lENKUlvE_clEvENKUlvE3_clEvEUlS6_S6_E_S6_EEDaPvRmT3_T4_T5_mT6_P12ihipStream_tbENKUlT_T0_E_clISt17integral_constantIbLb0EESY_EEDaST_SU_EUlST_E0_NS1_11comp_targetILNS1_3genE4ELNS1_11target_archE910ELNS1_3gpuE8ELNS1_3repE0EEENS1_30default_config_static_selectorELNS0_4arch9wavefront6targetE1EEEvT1_.num_named_barrier, 0
	.set _ZN7rocprim17ROCPRIM_400000_NS6detail17trampoline_kernelINS0_14default_configENS1_20scan_config_selectorIN3c104HalfEEEZZNS1_9scan_implILNS1_25lookback_scan_determinismE0ELb0ELb0ES3_PKS6_PS6_S6_ZZZN2at6native31launch_logcumsumexp_cuda_kernelERKNSD_10TensorBaseESH_lENKUlvE_clEvENKUlvE3_clEvEUlS6_S6_E_S6_EEDaPvRmT3_T4_T5_mT6_P12ihipStream_tbENKUlT_T0_E_clISt17integral_constantIbLb0EESY_EEDaST_SU_EUlST_E0_NS1_11comp_targetILNS1_3genE4ELNS1_11target_archE910ELNS1_3gpuE8ELNS1_3repE0EEENS1_30default_config_static_selectorELNS0_4arch9wavefront6targetE1EEEvT1_.private_seg_size, 0
	.set _ZN7rocprim17ROCPRIM_400000_NS6detail17trampoline_kernelINS0_14default_configENS1_20scan_config_selectorIN3c104HalfEEEZZNS1_9scan_implILNS1_25lookback_scan_determinismE0ELb0ELb0ES3_PKS6_PS6_S6_ZZZN2at6native31launch_logcumsumexp_cuda_kernelERKNSD_10TensorBaseESH_lENKUlvE_clEvENKUlvE3_clEvEUlS6_S6_E_S6_EEDaPvRmT3_T4_T5_mT6_P12ihipStream_tbENKUlT_T0_E_clISt17integral_constantIbLb0EESY_EEDaST_SU_EUlST_E0_NS1_11comp_targetILNS1_3genE4ELNS1_11target_archE910ELNS1_3gpuE8ELNS1_3repE0EEENS1_30default_config_static_selectorELNS0_4arch9wavefront6targetE1EEEvT1_.uses_vcc, 0
	.set _ZN7rocprim17ROCPRIM_400000_NS6detail17trampoline_kernelINS0_14default_configENS1_20scan_config_selectorIN3c104HalfEEEZZNS1_9scan_implILNS1_25lookback_scan_determinismE0ELb0ELb0ES3_PKS6_PS6_S6_ZZZN2at6native31launch_logcumsumexp_cuda_kernelERKNSD_10TensorBaseESH_lENKUlvE_clEvENKUlvE3_clEvEUlS6_S6_E_S6_EEDaPvRmT3_T4_T5_mT6_P12ihipStream_tbENKUlT_T0_E_clISt17integral_constantIbLb0EESY_EEDaST_SU_EUlST_E0_NS1_11comp_targetILNS1_3genE4ELNS1_11target_archE910ELNS1_3gpuE8ELNS1_3repE0EEENS1_30default_config_static_selectorELNS0_4arch9wavefront6targetE1EEEvT1_.uses_flat_scratch, 0
	.set _ZN7rocprim17ROCPRIM_400000_NS6detail17trampoline_kernelINS0_14default_configENS1_20scan_config_selectorIN3c104HalfEEEZZNS1_9scan_implILNS1_25lookback_scan_determinismE0ELb0ELb0ES3_PKS6_PS6_S6_ZZZN2at6native31launch_logcumsumexp_cuda_kernelERKNSD_10TensorBaseESH_lENKUlvE_clEvENKUlvE3_clEvEUlS6_S6_E_S6_EEDaPvRmT3_T4_T5_mT6_P12ihipStream_tbENKUlT_T0_E_clISt17integral_constantIbLb0EESY_EEDaST_SU_EUlST_E0_NS1_11comp_targetILNS1_3genE4ELNS1_11target_archE910ELNS1_3gpuE8ELNS1_3repE0EEENS1_30default_config_static_selectorELNS0_4arch9wavefront6targetE1EEEvT1_.has_dyn_sized_stack, 0
	.set _ZN7rocprim17ROCPRIM_400000_NS6detail17trampoline_kernelINS0_14default_configENS1_20scan_config_selectorIN3c104HalfEEEZZNS1_9scan_implILNS1_25lookback_scan_determinismE0ELb0ELb0ES3_PKS6_PS6_S6_ZZZN2at6native31launch_logcumsumexp_cuda_kernelERKNSD_10TensorBaseESH_lENKUlvE_clEvENKUlvE3_clEvEUlS6_S6_E_S6_EEDaPvRmT3_T4_T5_mT6_P12ihipStream_tbENKUlT_T0_E_clISt17integral_constantIbLb0EESY_EEDaST_SU_EUlST_E0_NS1_11comp_targetILNS1_3genE4ELNS1_11target_archE910ELNS1_3gpuE8ELNS1_3repE0EEENS1_30default_config_static_selectorELNS0_4arch9wavefront6targetE1EEEvT1_.has_recursion, 0
	.set _ZN7rocprim17ROCPRIM_400000_NS6detail17trampoline_kernelINS0_14default_configENS1_20scan_config_selectorIN3c104HalfEEEZZNS1_9scan_implILNS1_25lookback_scan_determinismE0ELb0ELb0ES3_PKS6_PS6_S6_ZZZN2at6native31launch_logcumsumexp_cuda_kernelERKNSD_10TensorBaseESH_lENKUlvE_clEvENKUlvE3_clEvEUlS6_S6_E_S6_EEDaPvRmT3_T4_T5_mT6_P12ihipStream_tbENKUlT_T0_E_clISt17integral_constantIbLb0EESY_EEDaST_SU_EUlST_E0_NS1_11comp_targetILNS1_3genE4ELNS1_11target_archE910ELNS1_3gpuE8ELNS1_3repE0EEENS1_30default_config_static_selectorELNS0_4arch9wavefront6targetE1EEEvT1_.has_indirect_call, 0
	.section	.AMDGPU.csdata,"",@progbits
; Kernel info:
; codeLenInByte = 0
; TotalNumSgprs: 4
; NumVgprs: 0
; ScratchSize: 0
; MemoryBound: 0
; FloatMode: 240
; IeeeMode: 1
; LDSByteSize: 0 bytes/workgroup (compile time only)
; SGPRBlocks: 0
; VGPRBlocks: 0
; NumSGPRsForWavesPerEU: 4
; NumVGPRsForWavesPerEU: 1
; Occupancy: 10
; WaveLimiterHint : 0
; COMPUTE_PGM_RSRC2:SCRATCH_EN: 0
; COMPUTE_PGM_RSRC2:USER_SGPR: 6
; COMPUTE_PGM_RSRC2:TRAP_HANDLER: 0
; COMPUTE_PGM_RSRC2:TGID_X_EN: 1
; COMPUTE_PGM_RSRC2:TGID_Y_EN: 0
; COMPUTE_PGM_RSRC2:TGID_Z_EN: 0
; COMPUTE_PGM_RSRC2:TIDIG_COMP_CNT: 0
	.section	.text._ZN7rocprim17ROCPRIM_400000_NS6detail17trampoline_kernelINS0_14default_configENS1_20scan_config_selectorIN3c104HalfEEEZZNS1_9scan_implILNS1_25lookback_scan_determinismE0ELb0ELb0ES3_PKS6_PS6_S6_ZZZN2at6native31launch_logcumsumexp_cuda_kernelERKNSD_10TensorBaseESH_lENKUlvE_clEvENKUlvE3_clEvEUlS6_S6_E_S6_EEDaPvRmT3_T4_T5_mT6_P12ihipStream_tbENKUlT_T0_E_clISt17integral_constantIbLb0EESY_EEDaST_SU_EUlST_E0_NS1_11comp_targetILNS1_3genE3ELNS1_11target_archE908ELNS1_3gpuE7ELNS1_3repE0EEENS1_30default_config_static_selectorELNS0_4arch9wavefront6targetE1EEEvT1_,"axG",@progbits,_ZN7rocprim17ROCPRIM_400000_NS6detail17trampoline_kernelINS0_14default_configENS1_20scan_config_selectorIN3c104HalfEEEZZNS1_9scan_implILNS1_25lookback_scan_determinismE0ELb0ELb0ES3_PKS6_PS6_S6_ZZZN2at6native31launch_logcumsumexp_cuda_kernelERKNSD_10TensorBaseESH_lENKUlvE_clEvENKUlvE3_clEvEUlS6_S6_E_S6_EEDaPvRmT3_T4_T5_mT6_P12ihipStream_tbENKUlT_T0_E_clISt17integral_constantIbLb0EESY_EEDaST_SU_EUlST_E0_NS1_11comp_targetILNS1_3genE3ELNS1_11target_archE908ELNS1_3gpuE7ELNS1_3repE0EEENS1_30default_config_static_selectorELNS0_4arch9wavefront6targetE1EEEvT1_,comdat
	.globl	_ZN7rocprim17ROCPRIM_400000_NS6detail17trampoline_kernelINS0_14default_configENS1_20scan_config_selectorIN3c104HalfEEEZZNS1_9scan_implILNS1_25lookback_scan_determinismE0ELb0ELb0ES3_PKS6_PS6_S6_ZZZN2at6native31launch_logcumsumexp_cuda_kernelERKNSD_10TensorBaseESH_lENKUlvE_clEvENKUlvE3_clEvEUlS6_S6_E_S6_EEDaPvRmT3_T4_T5_mT6_P12ihipStream_tbENKUlT_T0_E_clISt17integral_constantIbLb0EESY_EEDaST_SU_EUlST_E0_NS1_11comp_targetILNS1_3genE3ELNS1_11target_archE908ELNS1_3gpuE7ELNS1_3repE0EEENS1_30default_config_static_selectorELNS0_4arch9wavefront6targetE1EEEvT1_ ; -- Begin function _ZN7rocprim17ROCPRIM_400000_NS6detail17trampoline_kernelINS0_14default_configENS1_20scan_config_selectorIN3c104HalfEEEZZNS1_9scan_implILNS1_25lookback_scan_determinismE0ELb0ELb0ES3_PKS6_PS6_S6_ZZZN2at6native31launch_logcumsumexp_cuda_kernelERKNSD_10TensorBaseESH_lENKUlvE_clEvENKUlvE3_clEvEUlS6_S6_E_S6_EEDaPvRmT3_T4_T5_mT6_P12ihipStream_tbENKUlT_T0_E_clISt17integral_constantIbLb0EESY_EEDaST_SU_EUlST_E0_NS1_11comp_targetILNS1_3genE3ELNS1_11target_archE908ELNS1_3gpuE7ELNS1_3repE0EEENS1_30default_config_static_selectorELNS0_4arch9wavefront6targetE1EEEvT1_
	.p2align	8
	.type	_ZN7rocprim17ROCPRIM_400000_NS6detail17trampoline_kernelINS0_14default_configENS1_20scan_config_selectorIN3c104HalfEEEZZNS1_9scan_implILNS1_25lookback_scan_determinismE0ELb0ELb0ES3_PKS6_PS6_S6_ZZZN2at6native31launch_logcumsumexp_cuda_kernelERKNSD_10TensorBaseESH_lENKUlvE_clEvENKUlvE3_clEvEUlS6_S6_E_S6_EEDaPvRmT3_T4_T5_mT6_P12ihipStream_tbENKUlT_T0_E_clISt17integral_constantIbLb0EESY_EEDaST_SU_EUlST_E0_NS1_11comp_targetILNS1_3genE3ELNS1_11target_archE908ELNS1_3gpuE7ELNS1_3repE0EEENS1_30default_config_static_selectorELNS0_4arch9wavefront6targetE1EEEvT1_,@function
_ZN7rocprim17ROCPRIM_400000_NS6detail17trampoline_kernelINS0_14default_configENS1_20scan_config_selectorIN3c104HalfEEEZZNS1_9scan_implILNS1_25lookback_scan_determinismE0ELb0ELb0ES3_PKS6_PS6_S6_ZZZN2at6native31launch_logcumsumexp_cuda_kernelERKNSD_10TensorBaseESH_lENKUlvE_clEvENKUlvE3_clEvEUlS6_S6_E_S6_EEDaPvRmT3_T4_T5_mT6_P12ihipStream_tbENKUlT_T0_E_clISt17integral_constantIbLb0EESY_EEDaST_SU_EUlST_E0_NS1_11comp_targetILNS1_3genE3ELNS1_11target_archE908ELNS1_3gpuE7ELNS1_3repE0EEENS1_30default_config_static_selectorELNS0_4arch9wavefront6targetE1EEEvT1_: ; @_ZN7rocprim17ROCPRIM_400000_NS6detail17trampoline_kernelINS0_14default_configENS1_20scan_config_selectorIN3c104HalfEEEZZNS1_9scan_implILNS1_25lookback_scan_determinismE0ELb0ELb0ES3_PKS6_PS6_S6_ZZZN2at6native31launch_logcumsumexp_cuda_kernelERKNSD_10TensorBaseESH_lENKUlvE_clEvENKUlvE3_clEvEUlS6_S6_E_S6_EEDaPvRmT3_T4_T5_mT6_P12ihipStream_tbENKUlT_T0_E_clISt17integral_constantIbLb0EESY_EEDaST_SU_EUlST_E0_NS1_11comp_targetILNS1_3genE3ELNS1_11target_archE908ELNS1_3gpuE7ELNS1_3repE0EEENS1_30default_config_static_selectorELNS0_4arch9wavefront6targetE1EEEvT1_
; %bb.0:
	.section	.rodata,"a",@progbits
	.p2align	6, 0x0
	.amdhsa_kernel _ZN7rocprim17ROCPRIM_400000_NS6detail17trampoline_kernelINS0_14default_configENS1_20scan_config_selectorIN3c104HalfEEEZZNS1_9scan_implILNS1_25lookback_scan_determinismE0ELb0ELb0ES3_PKS6_PS6_S6_ZZZN2at6native31launch_logcumsumexp_cuda_kernelERKNSD_10TensorBaseESH_lENKUlvE_clEvENKUlvE3_clEvEUlS6_S6_E_S6_EEDaPvRmT3_T4_T5_mT6_P12ihipStream_tbENKUlT_T0_E_clISt17integral_constantIbLb0EESY_EEDaST_SU_EUlST_E0_NS1_11comp_targetILNS1_3genE3ELNS1_11target_archE908ELNS1_3gpuE7ELNS1_3repE0EEENS1_30default_config_static_selectorELNS0_4arch9wavefront6targetE1EEEvT1_
		.amdhsa_group_segment_fixed_size 0
		.amdhsa_private_segment_fixed_size 0
		.amdhsa_kernarg_size 32
		.amdhsa_user_sgpr_count 6
		.amdhsa_user_sgpr_private_segment_buffer 1
		.amdhsa_user_sgpr_dispatch_ptr 0
		.amdhsa_user_sgpr_queue_ptr 0
		.amdhsa_user_sgpr_kernarg_segment_ptr 1
		.amdhsa_user_sgpr_dispatch_id 0
		.amdhsa_user_sgpr_flat_scratch_init 0
		.amdhsa_user_sgpr_private_segment_size 0
		.amdhsa_uses_dynamic_stack 0
		.amdhsa_system_sgpr_private_segment_wavefront_offset 0
		.amdhsa_system_sgpr_workgroup_id_x 1
		.amdhsa_system_sgpr_workgroup_id_y 0
		.amdhsa_system_sgpr_workgroup_id_z 0
		.amdhsa_system_sgpr_workgroup_info 0
		.amdhsa_system_vgpr_workitem_id 0
		.amdhsa_next_free_vgpr 1
		.amdhsa_next_free_sgpr 0
		.amdhsa_reserve_vcc 0
		.amdhsa_reserve_flat_scratch 0
		.amdhsa_float_round_mode_32 0
		.amdhsa_float_round_mode_16_64 0
		.amdhsa_float_denorm_mode_32 3
		.amdhsa_float_denorm_mode_16_64 3
		.amdhsa_dx10_clamp 1
		.amdhsa_ieee_mode 1
		.amdhsa_fp16_overflow 0
		.amdhsa_exception_fp_ieee_invalid_op 0
		.amdhsa_exception_fp_denorm_src 0
		.amdhsa_exception_fp_ieee_div_zero 0
		.amdhsa_exception_fp_ieee_overflow 0
		.amdhsa_exception_fp_ieee_underflow 0
		.amdhsa_exception_fp_ieee_inexact 0
		.amdhsa_exception_int_div_zero 0
	.end_amdhsa_kernel
	.section	.text._ZN7rocprim17ROCPRIM_400000_NS6detail17trampoline_kernelINS0_14default_configENS1_20scan_config_selectorIN3c104HalfEEEZZNS1_9scan_implILNS1_25lookback_scan_determinismE0ELb0ELb0ES3_PKS6_PS6_S6_ZZZN2at6native31launch_logcumsumexp_cuda_kernelERKNSD_10TensorBaseESH_lENKUlvE_clEvENKUlvE3_clEvEUlS6_S6_E_S6_EEDaPvRmT3_T4_T5_mT6_P12ihipStream_tbENKUlT_T0_E_clISt17integral_constantIbLb0EESY_EEDaST_SU_EUlST_E0_NS1_11comp_targetILNS1_3genE3ELNS1_11target_archE908ELNS1_3gpuE7ELNS1_3repE0EEENS1_30default_config_static_selectorELNS0_4arch9wavefront6targetE1EEEvT1_,"axG",@progbits,_ZN7rocprim17ROCPRIM_400000_NS6detail17trampoline_kernelINS0_14default_configENS1_20scan_config_selectorIN3c104HalfEEEZZNS1_9scan_implILNS1_25lookback_scan_determinismE0ELb0ELb0ES3_PKS6_PS6_S6_ZZZN2at6native31launch_logcumsumexp_cuda_kernelERKNSD_10TensorBaseESH_lENKUlvE_clEvENKUlvE3_clEvEUlS6_S6_E_S6_EEDaPvRmT3_T4_T5_mT6_P12ihipStream_tbENKUlT_T0_E_clISt17integral_constantIbLb0EESY_EEDaST_SU_EUlST_E0_NS1_11comp_targetILNS1_3genE3ELNS1_11target_archE908ELNS1_3gpuE7ELNS1_3repE0EEENS1_30default_config_static_selectorELNS0_4arch9wavefront6targetE1EEEvT1_,comdat
.Lfunc_end371:
	.size	_ZN7rocprim17ROCPRIM_400000_NS6detail17trampoline_kernelINS0_14default_configENS1_20scan_config_selectorIN3c104HalfEEEZZNS1_9scan_implILNS1_25lookback_scan_determinismE0ELb0ELb0ES3_PKS6_PS6_S6_ZZZN2at6native31launch_logcumsumexp_cuda_kernelERKNSD_10TensorBaseESH_lENKUlvE_clEvENKUlvE3_clEvEUlS6_S6_E_S6_EEDaPvRmT3_T4_T5_mT6_P12ihipStream_tbENKUlT_T0_E_clISt17integral_constantIbLb0EESY_EEDaST_SU_EUlST_E0_NS1_11comp_targetILNS1_3genE3ELNS1_11target_archE908ELNS1_3gpuE7ELNS1_3repE0EEENS1_30default_config_static_selectorELNS0_4arch9wavefront6targetE1EEEvT1_, .Lfunc_end371-_ZN7rocprim17ROCPRIM_400000_NS6detail17trampoline_kernelINS0_14default_configENS1_20scan_config_selectorIN3c104HalfEEEZZNS1_9scan_implILNS1_25lookback_scan_determinismE0ELb0ELb0ES3_PKS6_PS6_S6_ZZZN2at6native31launch_logcumsumexp_cuda_kernelERKNSD_10TensorBaseESH_lENKUlvE_clEvENKUlvE3_clEvEUlS6_S6_E_S6_EEDaPvRmT3_T4_T5_mT6_P12ihipStream_tbENKUlT_T0_E_clISt17integral_constantIbLb0EESY_EEDaST_SU_EUlST_E0_NS1_11comp_targetILNS1_3genE3ELNS1_11target_archE908ELNS1_3gpuE7ELNS1_3repE0EEENS1_30default_config_static_selectorELNS0_4arch9wavefront6targetE1EEEvT1_
                                        ; -- End function
	.set _ZN7rocprim17ROCPRIM_400000_NS6detail17trampoline_kernelINS0_14default_configENS1_20scan_config_selectorIN3c104HalfEEEZZNS1_9scan_implILNS1_25lookback_scan_determinismE0ELb0ELb0ES3_PKS6_PS6_S6_ZZZN2at6native31launch_logcumsumexp_cuda_kernelERKNSD_10TensorBaseESH_lENKUlvE_clEvENKUlvE3_clEvEUlS6_S6_E_S6_EEDaPvRmT3_T4_T5_mT6_P12ihipStream_tbENKUlT_T0_E_clISt17integral_constantIbLb0EESY_EEDaST_SU_EUlST_E0_NS1_11comp_targetILNS1_3genE3ELNS1_11target_archE908ELNS1_3gpuE7ELNS1_3repE0EEENS1_30default_config_static_selectorELNS0_4arch9wavefront6targetE1EEEvT1_.num_vgpr, 0
	.set _ZN7rocprim17ROCPRIM_400000_NS6detail17trampoline_kernelINS0_14default_configENS1_20scan_config_selectorIN3c104HalfEEEZZNS1_9scan_implILNS1_25lookback_scan_determinismE0ELb0ELb0ES3_PKS6_PS6_S6_ZZZN2at6native31launch_logcumsumexp_cuda_kernelERKNSD_10TensorBaseESH_lENKUlvE_clEvENKUlvE3_clEvEUlS6_S6_E_S6_EEDaPvRmT3_T4_T5_mT6_P12ihipStream_tbENKUlT_T0_E_clISt17integral_constantIbLb0EESY_EEDaST_SU_EUlST_E0_NS1_11comp_targetILNS1_3genE3ELNS1_11target_archE908ELNS1_3gpuE7ELNS1_3repE0EEENS1_30default_config_static_selectorELNS0_4arch9wavefront6targetE1EEEvT1_.num_agpr, 0
	.set _ZN7rocprim17ROCPRIM_400000_NS6detail17trampoline_kernelINS0_14default_configENS1_20scan_config_selectorIN3c104HalfEEEZZNS1_9scan_implILNS1_25lookback_scan_determinismE0ELb0ELb0ES3_PKS6_PS6_S6_ZZZN2at6native31launch_logcumsumexp_cuda_kernelERKNSD_10TensorBaseESH_lENKUlvE_clEvENKUlvE3_clEvEUlS6_S6_E_S6_EEDaPvRmT3_T4_T5_mT6_P12ihipStream_tbENKUlT_T0_E_clISt17integral_constantIbLb0EESY_EEDaST_SU_EUlST_E0_NS1_11comp_targetILNS1_3genE3ELNS1_11target_archE908ELNS1_3gpuE7ELNS1_3repE0EEENS1_30default_config_static_selectorELNS0_4arch9wavefront6targetE1EEEvT1_.numbered_sgpr, 0
	.set _ZN7rocprim17ROCPRIM_400000_NS6detail17trampoline_kernelINS0_14default_configENS1_20scan_config_selectorIN3c104HalfEEEZZNS1_9scan_implILNS1_25lookback_scan_determinismE0ELb0ELb0ES3_PKS6_PS6_S6_ZZZN2at6native31launch_logcumsumexp_cuda_kernelERKNSD_10TensorBaseESH_lENKUlvE_clEvENKUlvE3_clEvEUlS6_S6_E_S6_EEDaPvRmT3_T4_T5_mT6_P12ihipStream_tbENKUlT_T0_E_clISt17integral_constantIbLb0EESY_EEDaST_SU_EUlST_E0_NS1_11comp_targetILNS1_3genE3ELNS1_11target_archE908ELNS1_3gpuE7ELNS1_3repE0EEENS1_30default_config_static_selectorELNS0_4arch9wavefront6targetE1EEEvT1_.num_named_barrier, 0
	.set _ZN7rocprim17ROCPRIM_400000_NS6detail17trampoline_kernelINS0_14default_configENS1_20scan_config_selectorIN3c104HalfEEEZZNS1_9scan_implILNS1_25lookback_scan_determinismE0ELb0ELb0ES3_PKS6_PS6_S6_ZZZN2at6native31launch_logcumsumexp_cuda_kernelERKNSD_10TensorBaseESH_lENKUlvE_clEvENKUlvE3_clEvEUlS6_S6_E_S6_EEDaPvRmT3_T4_T5_mT6_P12ihipStream_tbENKUlT_T0_E_clISt17integral_constantIbLb0EESY_EEDaST_SU_EUlST_E0_NS1_11comp_targetILNS1_3genE3ELNS1_11target_archE908ELNS1_3gpuE7ELNS1_3repE0EEENS1_30default_config_static_selectorELNS0_4arch9wavefront6targetE1EEEvT1_.private_seg_size, 0
	.set _ZN7rocprim17ROCPRIM_400000_NS6detail17trampoline_kernelINS0_14default_configENS1_20scan_config_selectorIN3c104HalfEEEZZNS1_9scan_implILNS1_25lookback_scan_determinismE0ELb0ELb0ES3_PKS6_PS6_S6_ZZZN2at6native31launch_logcumsumexp_cuda_kernelERKNSD_10TensorBaseESH_lENKUlvE_clEvENKUlvE3_clEvEUlS6_S6_E_S6_EEDaPvRmT3_T4_T5_mT6_P12ihipStream_tbENKUlT_T0_E_clISt17integral_constantIbLb0EESY_EEDaST_SU_EUlST_E0_NS1_11comp_targetILNS1_3genE3ELNS1_11target_archE908ELNS1_3gpuE7ELNS1_3repE0EEENS1_30default_config_static_selectorELNS0_4arch9wavefront6targetE1EEEvT1_.uses_vcc, 0
	.set _ZN7rocprim17ROCPRIM_400000_NS6detail17trampoline_kernelINS0_14default_configENS1_20scan_config_selectorIN3c104HalfEEEZZNS1_9scan_implILNS1_25lookback_scan_determinismE0ELb0ELb0ES3_PKS6_PS6_S6_ZZZN2at6native31launch_logcumsumexp_cuda_kernelERKNSD_10TensorBaseESH_lENKUlvE_clEvENKUlvE3_clEvEUlS6_S6_E_S6_EEDaPvRmT3_T4_T5_mT6_P12ihipStream_tbENKUlT_T0_E_clISt17integral_constantIbLb0EESY_EEDaST_SU_EUlST_E0_NS1_11comp_targetILNS1_3genE3ELNS1_11target_archE908ELNS1_3gpuE7ELNS1_3repE0EEENS1_30default_config_static_selectorELNS0_4arch9wavefront6targetE1EEEvT1_.uses_flat_scratch, 0
	.set _ZN7rocprim17ROCPRIM_400000_NS6detail17trampoline_kernelINS0_14default_configENS1_20scan_config_selectorIN3c104HalfEEEZZNS1_9scan_implILNS1_25lookback_scan_determinismE0ELb0ELb0ES3_PKS6_PS6_S6_ZZZN2at6native31launch_logcumsumexp_cuda_kernelERKNSD_10TensorBaseESH_lENKUlvE_clEvENKUlvE3_clEvEUlS6_S6_E_S6_EEDaPvRmT3_T4_T5_mT6_P12ihipStream_tbENKUlT_T0_E_clISt17integral_constantIbLb0EESY_EEDaST_SU_EUlST_E0_NS1_11comp_targetILNS1_3genE3ELNS1_11target_archE908ELNS1_3gpuE7ELNS1_3repE0EEENS1_30default_config_static_selectorELNS0_4arch9wavefront6targetE1EEEvT1_.has_dyn_sized_stack, 0
	.set _ZN7rocprim17ROCPRIM_400000_NS6detail17trampoline_kernelINS0_14default_configENS1_20scan_config_selectorIN3c104HalfEEEZZNS1_9scan_implILNS1_25lookback_scan_determinismE0ELb0ELb0ES3_PKS6_PS6_S6_ZZZN2at6native31launch_logcumsumexp_cuda_kernelERKNSD_10TensorBaseESH_lENKUlvE_clEvENKUlvE3_clEvEUlS6_S6_E_S6_EEDaPvRmT3_T4_T5_mT6_P12ihipStream_tbENKUlT_T0_E_clISt17integral_constantIbLb0EESY_EEDaST_SU_EUlST_E0_NS1_11comp_targetILNS1_3genE3ELNS1_11target_archE908ELNS1_3gpuE7ELNS1_3repE0EEENS1_30default_config_static_selectorELNS0_4arch9wavefront6targetE1EEEvT1_.has_recursion, 0
	.set _ZN7rocprim17ROCPRIM_400000_NS6detail17trampoline_kernelINS0_14default_configENS1_20scan_config_selectorIN3c104HalfEEEZZNS1_9scan_implILNS1_25lookback_scan_determinismE0ELb0ELb0ES3_PKS6_PS6_S6_ZZZN2at6native31launch_logcumsumexp_cuda_kernelERKNSD_10TensorBaseESH_lENKUlvE_clEvENKUlvE3_clEvEUlS6_S6_E_S6_EEDaPvRmT3_T4_T5_mT6_P12ihipStream_tbENKUlT_T0_E_clISt17integral_constantIbLb0EESY_EEDaST_SU_EUlST_E0_NS1_11comp_targetILNS1_3genE3ELNS1_11target_archE908ELNS1_3gpuE7ELNS1_3repE0EEENS1_30default_config_static_selectorELNS0_4arch9wavefront6targetE1EEEvT1_.has_indirect_call, 0
	.section	.AMDGPU.csdata,"",@progbits
; Kernel info:
; codeLenInByte = 0
; TotalNumSgprs: 4
; NumVgprs: 0
; ScratchSize: 0
; MemoryBound: 0
; FloatMode: 240
; IeeeMode: 1
; LDSByteSize: 0 bytes/workgroup (compile time only)
; SGPRBlocks: 0
; VGPRBlocks: 0
; NumSGPRsForWavesPerEU: 4
; NumVGPRsForWavesPerEU: 1
; Occupancy: 10
; WaveLimiterHint : 0
; COMPUTE_PGM_RSRC2:SCRATCH_EN: 0
; COMPUTE_PGM_RSRC2:USER_SGPR: 6
; COMPUTE_PGM_RSRC2:TRAP_HANDLER: 0
; COMPUTE_PGM_RSRC2:TGID_X_EN: 1
; COMPUTE_PGM_RSRC2:TGID_Y_EN: 0
; COMPUTE_PGM_RSRC2:TGID_Z_EN: 0
; COMPUTE_PGM_RSRC2:TIDIG_COMP_CNT: 0
	.section	.text._ZN7rocprim17ROCPRIM_400000_NS6detail17trampoline_kernelINS0_14default_configENS1_20scan_config_selectorIN3c104HalfEEEZZNS1_9scan_implILNS1_25lookback_scan_determinismE0ELb0ELb0ES3_PKS6_PS6_S6_ZZZN2at6native31launch_logcumsumexp_cuda_kernelERKNSD_10TensorBaseESH_lENKUlvE_clEvENKUlvE3_clEvEUlS6_S6_E_S6_EEDaPvRmT3_T4_T5_mT6_P12ihipStream_tbENKUlT_T0_E_clISt17integral_constantIbLb0EESY_EEDaST_SU_EUlST_E0_NS1_11comp_targetILNS1_3genE2ELNS1_11target_archE906ELNS1_3gpuE6ELNS1_3repE0EEENS1_30default_config_static_selectorELNS0_4arch9wavefront6targetE1EEEvT1_,"axG",@progbits,_ZN7rocprim17ROCPRIM_400000_NS6detail17trampoline_kernelINS0_14default_configENS1_20scan_config_selectorIN3c104HalfEEEZZNS1_9scan_implILNS1_25lookback_scan_determinismE0ELb0ELb0ES3_PKS6_PS6_S6_ZZZN2at6native31launch_logcumsumexp_cuda_kernelERKNSD_10TensorBaseESH_lENKUlvE_clEvENKUlvE3_clEvEUlS6_S6_E_S6_EEDaPvRmT3_T4_T5_mT6_P12ihipStream_tbENKUlT_T0_E_clISt17integral_constantIbLb0EESY_EEDaST_SU_EUlST_E0_NS1_11comp_targetILNS1_3genE2ELNS1_11target_archE906ELNS1_3gpuE6ELNS1_3repE0EEENS1_30default_config_static_selectorELNS0_4arch9wavefront6targetE1EEEvT1_,comdat
	.globl	_ZN7rocprim17ROCPRIM_400000_NS6detail17trampoline_kernelINS0_14default_configENS1_20scan_config_selectorIN3c104HalfEEEZZNS1_9scan_implILNS1_25lookback_scan_determinismE0ELb0ELb0ES3_PKS6_PS6_S6_ZZZN2at6native31launch_logcumsumexp_cuda_kernelERKNSD_10TensorBaseESH_lENKUlvE_clEvENKUlvE3_clEvEUlS6_S6_E_S6_EEDaPvRmT3_T4_T5_mT6_P12ihipStream_tbENKUlT_T0_E_clISt17integral_constantIbLb0EESY_EEDaST_SU_EUlST_E0_NS1_11comp_targetILNS1_3genE2ELNS1_11target_archE906ELNS1_3gpuE6ELNS1_3repE0EEENS1_30default_config_static_selectorELNS0_4arch9wavefront6targetE1EEEvT1_ ; -- Begin function _ZN7rocprim17ROCPRIM_400000_NS6detail17trampoline_kernelINS0_14default_configENS1_20scan_config_selectorIN3c104HalfEEEZZNS1_9scan_implILNS1_25lookback_scan_determinismE0ELb0ELb0ES3_PKS6_PS6_S6_ZZZN2at6native31launch_logcumsumexp_cuda_kernelERKNSD_10TensorBaseESH_lENKUlvE_clEvENKUlvE3_clEvEUlS6_S6_E_S6_EEDaPvRmT3_T4_T5_mT6_P12ihipStream_tbENKUlT_T0_E_clISt17integral_constantIbLb0EESY_EEDaST_SU_EUlST_E0_NS1_11comp_targetILNS1_3genE2ELNS1_11target_archE906ELNS1_3gpuE6ELNS1_3repE0EEENS1_30default_config_static_selectorELNS0_4arch9wavefront6targetE1EEEvT1_
	.p2align	8
	.type	_ZN7rocprim17ROCPRIM_400000_NS6detail17trampoline_kernelINS0_14default_configENS1_20scan_config_selectorIN3c104HalfEEEZZNS1_9scan_implILNS1_25lookback_scan_determinismE0ELb0ELb0ES3_PKS6_PS6_S6_ZZZN2at6native31launch_logcumsumexp_cuda_kernelERKNSD_10TensorBaseESH_lENKUlvE_clEvENKUlvE3_clEvEUlS6_S6_E_S6_EEDaPvRmT3_T4_T5_mT6_P12ihipStream_tbENKUlT_T0_E_clISt17integral_constantIbLb0EESY_EEDaST_SU_EUlST_E0_NS1_11comp_targetILNS1_3genE2ELNS1_11target_archE906ELNS1_3gpuE6ELNS1_3repE0EEENS1_30default_config_static_selectorELNS0_4arch9wavefront6targetE1EEEvT1_,@function
_ZN7rocprim17ROCPRIM_400000_NS6detail17trampoline_kernelINS0_14default_configENS1_20scan_config_selectorIN3c104HalfEEEZZNS1_9scan_implILNS1_25lookback_scan_determinismE0ELb0ELb0ES3_PKS6_PS6_S6_ZZZN2at6native31launch_logcumsumexp_cuda_kernelERKNSD_10TensorBaseESH_lENKUlvE_clEvENKUlvE3_clEvEUlS6_S6_E_S6_EEDaPvRmT3_T4_T5_mT6_P12ihipStream_tbENKUlT_T0_E_clISt17integral_constantIbLb0EESY_EEDaST_SU_EUlST_E0_NS1_11comp_targetILNS1_3genE2ELNS1_11target_archE906ELNS1_3gpuE6ELNS1_3repE0EEENS1_30default_config_static_selectorELNS0_4arch9wavefront6targetE1EEEvT1_: ; @_ZN7rocprim17ROCPRIM_400000_NS6detail17trampoline_kernelINS0_14default_configENS1_20scan_config_selectorIN3c104HalfEEEZZNS1_9scan_implILNS1_25lookback_scan_determinismE0ELb0ELb0ES3_PKS6_PS6_S6_ZZZN2at6native31launch_logcumsumexp_cuda_kernelERKNSD_10TensorBaseESH_lENKUlvE_clEvENKUlvE3_clEvEUlS6_S6_E_S6_EEDaPvRmT3_T4_T5_mT6_P12ihipStream_tbENKUlT_T0_E_clISt17integral_constantIbLb0EESY_EEDaST_SU_EUlST_E0_NS1_11comp_targetILNS1_3genE2ELNS1_11target_archE906ELNS1_3gpuE6ELNS1_3repE0EEENS1_30default_config_static_selectorELNS0_4arch9wavefront6targetE1EEEvT1_
; %bb.0:
	s_load_dwordx4 s[48:51], s[4:5], 0x0
	v_mov_b32_e32 v1, 0
	v_lshlrev_b32_e32 v13, 1, v0
	s_waitcnt lgkmcnt(0)
	global_load_ushort v1, v1, s[48:49]
	v_cmp_gt_u32_e64 s[2:3], s50, v0
	s_waitcnt vmcnt(0)
	v_mov_b32_e32 v2, v1
	s_mov_b64 s[0:1], exec
                                        ; implicit-def: $vgpr48 : SGPR spill to VGPR lane
	v_writelane_b32 v48, s2, 0
	v_writelane_b32 v48, s3, 1
	s_and_b64 s[2:3], s[0:1], s[2:3]
	s_mov_b64 exec, s[2:3]
	s_cbranch_execz .LBB372_2
; %bb.1:
	global_load_ushort v2, v13, s[48:49]
.LBB372_2:
	s_or_b64 exec, exec, s[0:1]
	v_or_b32_e32 v3, 0x100, v0
	v_cmp_gt_u32_e64 s[2:3], s50, v3
	v_mov_b32_e32 v3, v1
	s_mov_b64 s[0:1], exec
	v_writelane_b32 v48, s2, 2
	v_writelane_b32 v48, s3, 3
	s_and_b64 s[2:3], s[0:1], s[2:3]
	s_mov_b64 exec, s[2:3]
	s_cbranch_execz .LBB372_4
; %bb.3:
	global_load_ushort v3, v13, s[48:49] offset:512
.LBB372_4:
	s_or_b64 exec, exec, s[0:1]
	v_or_b32_e32 v4, 0x200, v0
	v_cmp_gt_u32_e64 s[2:3], s50, v4
	v_mov_b32_e32 v4, v1
	s_mov_b64 s[0:1], exec
	v_writelane_b32 v48, s2, 4
	v_writelane_b32 v48, s3, 5
	s_and_b64 s[2:3], s[0:1], s[2:3]
	s_mov_b64 exec, s[2:3]
	s_cbranch_execz .LBB372_6
; %bb.5:
	global_load_ushort v4, v13, s[48:49] offset:1024
.LBB372_6:
	;; [unrolled: 13-line block ×6, first 2 shown]
	s_or_b64 exec, exec, s[0:1]
	v_or_b32_e32 v9, 0x700, v0
	v_cmp_gt_u32_e64 s[12:13], s50, v9
	v_mov_b32_e32 v9, v1
	s_and_saveexec_b64 s[0:1], s[12:13]
	s_cbranch_execz .LBB372_16
; %bb.15:
	global_load_ushort v9, v13, s[48:49] offset:3584
.LBB372_16:
	s_or_b64 exec, exec, s[0:1]
	v_or_b32_e32 v11, 0x800, v0
	v_cmp_gt_u32_e64 s[14:15], s50, v11
	v_mov_b32_e32 v10, v1
	s_and_saveexec_b64 s[0:1], s[14:15]
	s_cbranch_execz .LBB372_18
; %bb.17:
	v_lshlrev_b32_e32 v10, 1, v11
	global_load_ushort v10, v10, s[48:49]
.LBB372_18:
	s_or_b64 exec, exec, s[0:1]
	v_or_b32_e32 v12, 0x900, v0
	v_cmp_gt_u32_e64 s[16:17], s50, v12
	v_mov_b32_e32 v11, v1
	s_and_saveexec_b64 s[0:1], s[16:17]
	s_cbranch_execz .LBB372_20
; %bb.19:
	v_lshlrev_b32_e32 v11, 1, v12
	global_load_ushort v11, v11, s[48:49]
.LBB372_20:
	;; [unrolled: 10-line block ×15, first 2 shown]
	s_or_b64 exec, exec, s[0:1]
	v_or_b32_e32 v26, 0x1700, v0
	v_cmp_gt_u32_e64 s[46:47], s50, v26
	s_and_saveexec_b64 s[0:1], s[46:47]
	s_cbranch_execz .LBB372_48
; %bb.47:
	v_lshlrev_b32_e32 v1, 1, v26
	global_load_ushort v1, v1, s[48:49]
.LBB372_48:
	s_or_b64 exec, exec, s[0:1]
	s_waitcnt vmcnt(0)
	ds_write_b16 v13, v2
	ds_write_b16 v13, v3 offset:512
	ds_write_b16 v13, v4 offset:1024
	ds_write_b16 v13, v5 offset:1536
	ds_write_b16 v13, v6 offset:2048
	ds_write_b16 v13, v7 offset:2560
	ds_write_b16 v13, v8 offset:3072
	ds_write_b16 v13, v9 offset:3584
	ds_write_b16 v13, v10 offset:4096
	ds_write_b16 v13, v11 offset:4608
	ds_write_b16 v13, v12 offset:5120
	ds_write_b16 v13, v14 offset:5632
	ds_write_b16 v13, v15 offset:6144
	ds_write_b16 v13, v16 offset:6656
	ds_write_b16 v13, v17 offset:7168
	ds_write_b16 v13, v18 offset:7680
	ds_write_b16 v13, v19 offset:8192
	ds_write_b16 v13, v20 offset:8704
	ds_write_b16 v13, v21 offset:9216
	ds_write_b16 v13, v22 offset:9728
	ds_write_b16 v13, v23 offset:10240
	ds_write_b16 v13, v24 offset:10752
	ds_write_b16 v13, v25 offset:11264
	ds_write_b16 v13, v1 offset:11776
	v_mad_u32_u24 v5, v0, 46, v13
	s_waitcnt lgkmcnt(0)
	s_barrier
	ds_read_b128 v[1:4], v5
	ds_read_b128 v[9:12], v5 offset:16
	ds_read_b128 v[5:8], v5 offset:32
	s_movk_i32 s2, 0x1f8
	s_waitcnt lgkmcnt(0)
	v_cvt_f32_f16_e32 v14, v1
	v_cvt_f32_f16_sdwa v15, v1 dst_sel:DWORD dst_unused:UNUSED_PAD src0_sel:WORD_1
	v_cmp_u_f16_e64 s[94:95], v1, v1
	v_cmp_u_f16_sdwa s[48:49], v1, v1 src0_sel:WORD_1 src1_sel:WORD_1
	v_mov_b32_e32 v32, v14
	v_min_f32_e32 v28, v14, v15
	v_cndmask_b32_e64 v16, v28, v14, s[94:95]
	v_max_f32_e32 v29, v14, v15
	v_cndmask_b32_e64 v17, v16, v15, s[48:49]
	v_cndmask_b32_e64 v16, v29, v14, s[94:95]
	;; [unrolled: 1-line block ×3, first 2 shown]
	v_cmp_neq_f32_e64 s[50:51], v17, v16
	v_cmp_class_f32_e64 s[0:1], v17, s2
	s_or_b64 s[6:7], s[50:51], s[0:1]
	v_mov_b32_e32 v31, v1
	v_mov_b32_e32 v30, v1
	s_barrier
	s_and_saveexec_b64 s[0:1], s[6:7]
	s_cbranch_execz .LBB372_50
; %bb.49:
	v_sub_f32_e32 v17, v17, v16
	s_mov_b32 s3, 0x3fb8aa3b
	v_mul_f32_e32 v18, 0x3fb8aa3b, v17
	v_fma_f32 v19, v17, s3, -v18
	v_rndne_f32_e32 v20, v18
	v_fmac_f32_e32 v19, 0x32a5705f, v17
	v_sub_f32_e32 v18, v18, v20
	v_add_f32_e32 v18, v18, v19
	v_exp_f32_e32 v18, v18
	v_cvt_i32_f32_e32 v19, v20
	s_mov_b32 s3, 0xc2ce8ed0
	v_cmp_ngt_f32_e64 s[50:51], s3, v17
	s_mov_b32 s3, 0x42b17218
	v_ldexp_f32 v18, v18, v19
	v_cndmask_b32_e64 v18, 0, v18, s[50:51]
	v_mov_b32_e32 v19, 0x7f800000
	v_cmp_nlt_f32_e64 s[50:51], s3, v17
	v_cndmask_b32_e64 v20, v19, v18, s[50:51]
	v_add_f32_e32 v21, 1.0, v20
	v_cvt_f64_f32_e32 v[17:18], v21
	v_add_f32_e32 v22, -1.0, v21
	v_sub_f32_e32 v23, v22, v21
	v_sub_f32_e32 v22, v20, v22
	v_frexp_exp_i32_f64_e32 v17, v[17:18]
	v_add_f32_e32 v18, 1.0, v23
	v_add_f32_e32 v18, v22, v18
	v_frexp_mant_f32_e32 v22, v21
	s_mov_b32 s6, 0x3f2aaaab
	v_cmp_gt_f32_e64 s[50:51], s6, v22
	s_mov_b32 s6, 0x3f317218
	s_mov_b32 s3, 0x7f800000
	v_subbrev_co_u32_e64 v17, s[50:51], 0, v17, s[50:51]
	v_sub_u32_e32 v22, 0, v17
	v_ldexp_f32 v21, v21, v22
	v_ldexp_f32 v18, v18, v22
	v_add_f32_e32 v22, -1.0, v21
	v_add_f32_e32 v25, 1.0, v21
	v_add_f32_e32 v23, 1.0, v22
	v_add_f32_e32 v26, -1.0, v25
	v_sub_f32_e32 v23, v21, v23
	v_sub_f32_e32 v21, v21, v26
	v_add_f32_e32 v23, v18, v23
	v_add_f32_e32 v18, v18, v21
	;; [unrolled: 1-line block ×3, first 2 shown]
	v_rcp_f32_e32 v26, v21
	v_add_f32_e32 v24, v22, v23
	v_sub_f32_e32 v22, v22, v24
	v_add_f32_e32 v22, v23, v22
	v_sub_f32_e32 v23, v25, v21
	v_add_f32_e32 v18, v18, v23
	v_mul_f32_e32 v23, v24, v26
	v_mul_f32_e32 v25, v21, v23
	v_fma_f32 v27, v23, v21, -v25
	v_fmac_f32_e32 v27, v23, v18
	v_add_f32_e32 v30, v25, v27
	v_sub_f32_e32 v31, v24, v30
	v_sub_f32_e32 v24, v24, v31
	;; [unrolled: 1-line block ×4, first 2 shown]
	v_add_f32_e32 v22, v22, v24
	v_sub_f32_e32 v24, v25, v27
	v_add_f32_e32 v22, v24, v22
	v_add_f32_e32 v24, v31, v22
	v_mul_f32_e32 v25, v26, v24
	v_mul_f32_e32 v27, v21, v25
	v_fma_f32 v21, v25, v21, -v27
	v_fmac_f32_e32 v21, v25, v18
	v_sub_f32_e32 v18, v31, v24
	v_add_f32_e32 v18, v22, v18
	v_add_f32_e32 v22, v27, v21
	v_sub_f32_e32 v30, v24, v22
	v_sub_f32_e32 v24, v24, v30
	;; [unrolled: 1-line block ×4, first 2 shown]
	v_add_f32_e32 v18, v18, v22
	v_sub_f32_e32 v21, v27, v21
	v_add_f32_e32 v18, v21, v18
	v_add_f32_e32 v21, v23, v25
	v_add_f32_e32 v18, v30, v18
	v_sub_f32_e32 v22, v21, v23
	v_mul_f32_e32 v18, v26, v18
	v_sub_f32_e32 v22, v25, v22
	v_add_f32_e32 v18, v22, v18
	v_cvt_f32_i32_e32 v17, v17
	v_add_f32_e32 v22, v21, v18
	v_mul_f32_e32 v23, v22, v22
	v_mov_b32_e32 v24, 0x3ecc95a3
	v_fmac_f32_e32 v24, 0x3e9b6dac, v23
	v_mov_b32_e32 v25, 0x3f2aaada
	v_fmac_f32_e32 v25, v23, v24
	v_mul_f32_e32 v24, 0x3f317218, v17
	v_fma_f32 v26, v17, s6, -v24
	v_fmac_f32_e32 v26, 0xb102e308, v17
	v_sub_f32_e32 v17, v22, v21
	v_sub_f32_e32 v17, v18, v17
	v_add_f32_e32 v18, v24, v26
	v_sub_f32_e32 v21, v18, v24
	v_ldexp_f32 v24, v22, 1
	v_mul_f32_e32 v22, v22, v23
	v_mul_f32_e32 v22, v22, v25
	v_add_f32_e32 v23, v24, v22
	v_sub_f32_e32 v24, v23, v24
	v_ldexp_f32 v17, v17, 1
	v_sub_f32_e32 v22, v22, v24
	v_add_f32_e32 v17, v17, v22
	v_add_f32_e32 v22, v23, v17
	v_sub_f32_e32 v23, v22, v23
	v_sub_f32_e32 v17, v17, v23
	v_add_f32_e32 v23, v18, v22
	v_sub_f32_e32 v24, v23, v18
	v_sub_f32_e32 v25, v23, v24
	;; [unrolled: 1-line block ×5, first 2 shown]
	v_add_f32_e32 v18, v22, v18
	v_add_f32_e32 v22, v21, v17
	v_sub_f32_e32 v24, v22, v21
	v_sub_f32_e32 v25, v22, v24
	;; [unrolled: 1-line block ×4, first 2 shown]
	v_add_f32_e32 v18, v22, v18
	v_add_f32_e32 v17, v17, v21
	;; [unrolled: 1-line block ×3, first 2 shown]
	v_sub_f32_e32 v22, v21, v23
	v_sub_f32_e32 v18, v18, v22
	v_add_f32_e32 v17, v17, v18
	v_add_f32_e32 v17, v21, v17
	v_cmp_neq_f32_e64 s[50:51], s3, v20
	s_mov_b32 s3, 0x33800000
	v_cndmask_b32_e64 v17, v19, v17, s[50:51]
	v_cmp_lt_f32_e64 s[50:51], |v20|, s3
	v_cndmask_b32_e64 v17, v17, v20, s[50:51]
	v_add_f32_e32 v16, v16, v17
	v_cvt_f16_f32_e32 v31, v16
	v_cvt_f32_f16_e32 v32, v31
	v_mov_b32_e32 v30, v31
.LBB372_50:
	s_or_b64 exec, exec, s[0:1]
	v_cvt_f32_f16_e32 v16, v2
	v_max_f32_e32 v17, v32, v32
	v_cmp_u_f16_e64 s[52:53], v31, v31
	v_cmp_u_f16_e64 s[50:51], v2, v2
	v_min_f32_e32 v18, v17, v16
	v_max_f32_e32 v17, v17, v16
	v_cndmask_b32_e64 v18, v18, v32, s[52:53]
	v_cndmask_b32_e64 v17, v17, v32, s[52:53]
	;; [unrolled: 1-line block ×4, first 2 shown]
	v_cmp_neq_f32_e64 s[52:53], v18, v17
	v_cmp_class_f32_e64 s[0:1], v18, s2
	s_or_b64 s[2:3], s[52:53], s[0:1]
	s_and_saveexec_b64 s[0:1], s[2:3]
	s_cbranch_execz .LBB372_52
; %bb.51:
	v_sub_f32_e32 v18, v18, v17
	s_mov_b32 s2, 0x3fb8aa3b
	v_mul_f32_e32 v19, 0x3fb8aa3b, v18
	v_fma_f32 v20, v18, s2, -v19
	v_rndne_f32_e32 v21, v19
	v_fmac_f32_e32 v20, 0x32a5705f, v18
	v_sub_f32_e32 v19, v19, v21
	v_add_f32_e32 v19, v19, v20
	v_exp_f32_e32 v19, v19
	v_cvt_i32_f32_e32 v20, v21
	s_mov_b32 s2, 0xc2ce8ed0
	v_cmp_ngt_f32_e64 s[52:53], s2, v18
	s_mov_b32 s2, 0x42b17218
	v_ldexp_f32 v19, v19, v20
	v_cndmask_b32_e64 v19, 0, v19, s[52:53]
	v_mov_b32_e32 v20, 0x7f800000
	v_cmp_nlt_f32_e64 s[52:53], s2, v18
	v_cndmask_b32_e64 v21, v20, v19, s[52:53]
	v_add_f32_e32 v22, 1.0, v21
	v_cvt_f64_f32_e32 v[18:19], v22
	v_add_f32_e32 v23, -1.0, v22
	v_sub_f32_e32 v24, v23, v22
	v_sub_f32_e32 v23, v21, v23
	v_frexp_exp_i32_f64_e32 v18, v[18:19]
	v_add_f32_e32 v19, 1.0, v24
	v_add_f32_e32 v19, v23, v19
	v_frexp_mant_f32_e32 v23, v22
	s_mov_b32 s3, 0x3f2aaaab
	v_cmp_gt_f32_e64 s[52:53], s3, v23
	s_mov_b32 s3, 0x3f317218
	s_mov_b32 s2, 0x7f800000
	v_subbrev_co_u32_e64 v18, s[52:53], 0, v18, s[52:53]
	v_sub_u32_e32 v23, 0, v18
	v_ldexp_f32 v22, v22, v23
	v_ldexp_f32 v19, v19, v23
	v_add_f32_e32 v23, -1.0, v22
	v_add_f32_e32 v26, 1.0, v22
	v_add_f32_e32 v24, 1.0, v23
	v_add_f32_e32 v27, -1.0, v26
	v_sub_f32_e32 v24, v22, v24
	v_sub_f32_e32 v22, v22, v27
	v_add_f32_e32 v24, v19, v24
	v_add_f32_e32 v19, v19, v22
	;; [unrolled: 1-line block ×3, first 2 shown]
	v_rcp_f32_e32 v27, v22
	v_add_f32_e32 v25, v23, v24
	v_sub_f32_e32 v23, v23, v25
	v_add_f32_e32 v23, v24, v23
	v_sub_f32_e32 v24, v26, v22
	v_add_f32_e32 v19, v19, v24
	v_mul_f32_e32 v24, v25, v27
	v_mul_f32_e32 v26, v22, v24
	v_fma_f32 v30, v24, v22, -v26
	v_fmac_f32_e32 v30, v24, v19
	v_add_f32_e32 v31, v26, v30
	v_sub_f32_e32 v32, v25, v31
	v_sub_f32_e32 v25, v25, v32
	;; [unrolled: 1-line block ×4, first 2 shown]
	v_add_f32_e32 v23, v23, v25
	v_sub_f32_e32 v25, v26, v30
	v_add_f32_e32 v23, v25, v23
	v_add_f32_e32 v25, v32, v23
	v_mul_f32_e32 v26, v27, v25
	v_mul_f32_e32 v30, v22, v26
	v_fma_f32 v22, v26, v22, -v30
	v_fmac_f32_e32 v22, v26, v19
	v_sub_f32_e32 v19, v32, v25
	v_add_f32_e32 v19, v23, v19
	v_add_f32_e32 v23, v30, v22
	v_sub_f32_e32 v31, v25, v23
	v_sub_f32_e32 v25, v25, v31
	;; [unrolled: 1-line block ×4, first 2 shown]
	v_add_f32_e32 v19, v19, v23
	v_sub_f32_e32 v22, v30, v22
	v_add_f32_e32 v19, v22, v19
	v_add_f32_e32 v22, v24, v26
	;; [unrolled: 1-line block ×3, first 2 shown]
	v_sub_f32_e32 v23, v22, v24
	v_mul_f32_e32 v19, v27, v19
	v_sub_f32_e32 v23, v26, v23
	v_add_f32_e32 v19, v23, v19
	v_cvt_f32_i32_e32 v18, v18
	v_add_f32_e32 v23, v22, v19
	v_mul_f32_e32 v24, v23, v23
	v_mov_b32_e32 v25, 0x3ecc95a3
	v_fmac_f32_e32 v25, 0x3e9b6dac, v24
	v_mov_b32_e32 v26, 0x3f2aaada
	v_fmac_f32_e32 v26, v24, v25
	v_mul_f32_e32 v25, 0x3f317218, v18
	v_fma_f32 v27, v18, s3, -v25
	v_fmac_f32_e32 v27, 0xb102e308, v18
	v_sub_f32_e32 v18, v23, v22
	v_sub_f32_e32 v18, v19, v18
	v_add_f32_e32 v19, v25, v27
	v_sub_f32_e32 v22, v19, v25
	v_ldexp_f32 v25, v23, 1
	v_mul_f32_e32 v23, v23, v24
	v_mul_f32_e32 v23, v23, v26
	v_add_f32_e32 v24, v25, v23
	v_sub_f32_e32 v25, v24, v25
	v_ldexp_f32 v18, v18, 1
	v_sub_f32_e32 v23, v23, v25
	v_add_f32_e32 v18, v18, v23
	v_add_f32_e32 v23, v24, v18
	v_sub_f32_e32 v24, v23, v24
	v_sub_f32_e32 v18, v18, v24
	v_add_f32_e32 v24, v19, v23
	v_sub_f32_e32 v25, v24, v19
	v_sub_f32_e32 v26, v24, v25
	;; [unrolled: 1-line block ×5, first 2 shown]
	v_add_f32_e32 v19, v23, v19
	v_add_f32_e32 v23, v22, v18
	v_sub_f32_e32 v25, v23, v22
	v_sub_f32_e32 v26, v23, v25
	;; [unrolled: 1-line block ×4, first 2 shown]
	v_add_f32_e32 v19, v23, v19
	v_add_f32_e32 v18, v18, v22
	;; [unrolled: 1-line block ×3, first 2 shown]
	v_sub_f32_e32 v23, v22, v24
	v_sub_f32_e32 v19, v19, v23
	v_add_f32_e32 v18, v18, v19
	v_add_f32_e32 v18, v22, v18
	v_cmp_neq_f32_e64 s[52:53], s2, v21
	s_mov_b32 s2, 0x33800000
	v_cndmask_b32_e64 v18, v20, v18, s[52:53]
	v_cmp_lt_f32_e64 s[52:53], |v21|, s2
	v_cndmask_b32_e64 v18, v18, v21, s[52:53]
	v_add_f32_e32 v17, v17, v18
	v_cvt_f16_f32_e32 v31, v17
	v_cvt_f32_f16_e32 v32, v31
	v_mov_b32_e32 v30, v31
.LBB372_52:
	s_or_b64 exec, exec, s[0:1]
	v_cvt_f32_f16_sdwa v17, v2 dst_sel:DWORD dst_unused:UNUSED_PAD src0_sel:WORD_1
	v_max_f32_e32 v19, v32, v32
	v_cmp_u_f16_e64 s[54:55], v31, v31
	v_cmp_u_f16_sdwa s[52:53], v2, v2 src0_sel:WORD_1 src1_sel:WORD_1
	v_min_f32_e32 v18, v19, v17
	v_max_f32_e32 v2, v19, v17
	v_cndmask_b32_e64 v18, v18, v32, s[54:55]
	v_cndmask_b32_e64 v2, v2, v32, s[54:55]
	;; [unrolled: 1-line block ×4, first 2 shown]
	s_movk_i32 s2, 0x1f8
	v_cmp_neq_f32_e64 s[54:55], v18, v2
	v_cmp_class_f32_e64 s[0:1], v18, s2
	s_or_b64 s[6:7], s[54:55], s[0:1]
	s_and_saveexec_b64 s[0:1], s[6:7]
	s_cbranch_execz .LBB372_54
; %bb.53:
	v_sub_f32_e32 v18, v18, v2
	s_mov_b32 s3, 0x3fb8aa3b
	v_mul_f32_e32 v19, 0x3fb8aa3b, v18
	v_fma_f32 v20, v18, s3, -v19
	v_rndne_f32_e32 v21, v19
	v_fmac_f32_e32 v20, 0x32a5705f, v18
	v_sub_f32_e32 v19, v19, v21
	v_add_f32_e32 v19, v19, v20
	v_exp_f32_e32 v19, v19
	v_cvt_i32_f32_e32 v20, v21
	s_mov_b32 s3, 0xc2ce8ed0
	v_cmp_ngt_f32_e64 s[54:55], s3, v18
	s_mov_b32 s3, 0x42b17218
	v_ldexp_f32 v19, v19, v20
	v_cndmask_b32_e64 v19, 0, v19, s[54:55]
	v_mov_b32_e32 v20, 0x7f800000
	v_cmp_nlt_f32_e64 s[54:55], s3, v18
	v_cndmask_b32_e64 v21, v20, v19, s[54:55]
	v_add_f32_e32 v22, 1.0, v21
	v_cvt_f64_f32_e32 v[18:19], v22
	v_add_f32_e32 v23, -1.0, v22
	v_sub_f32_e32 v24, v23, v22
	v_sub_f32_e32 v23, v21, v23
	v_frexp_exp_i32_f64_e32 v18, v[18:19]
	v_add_f32_e32 v19, 1.0, v24
	v_add_f32_e32 v19, v23, v19
	v_frexp_mant_f32_e32 v23, v22
	s_mov_b32 s6, 0x3f2aaaab
	v_cmp_gt_f32_e64 s[54:55], s6, v23
	s_mov_b32 s6, 0x3f317218
	s_mov_b32 s3, 0x7f800000
	v_subbrev_co_u32_e64 v18, s[54:55], 0, v18, s[54:55]
	v_sub_u32_e32 v23, 0, v18
	v_ldexp_f32 v22, v22, v23
	v_ldexp_f32 v19, v19, v23
	v_add_f32_e32 v23, -1.0, v22
	v_add_f32_e32 v26, 1.0, v22
	v_add_f32_e32 v24, 1.0, v23
	v_add_f32_e32 v27, -1.0, v26
	v_sub_f32_e32 v24, v22, v24
	v_sub_f32_e32 v22, v22, v27
	v_add_f32_e32 v24, v19, v24
	v_add_f32_e32 v19, v19, v22
	;; [unrolled: 1-line block ×3, first 2 shown]
	v_rcp_f32_e32 v27, v22
	v_add_f32_e32 v25, v23, v24
	v_sub_f32_e32 v23, v23, v25
	v_add_f32_e32 v23, v24, v23
	v_sub_f32_e32 v24, v26, v22
	v_add_f32_e32 v19, v19, v24
	v_mul_f32_e32 v24, v25, v27
	v_mul_f32_e32 v26, v22, v24
	v_fma_f32 v30, v24, v22, -v26
	v_fmac_f32_e32 v30, v24, v19
	v_add_f32_e32 v31, v26, v30
	v_sub_f32_e32 v32, v25, v31
	v_sub_f32_e32 v25, v25, v32
	;; [unrolled: 1-line block ×4, first 2 shown]
	v_add_f32_e32 v23, v23, v25
	v_sub_f32_e32 v25, v26, v30
	v_add_f32_e32 v23, v25, v23
	v_add_f32_e32 v25, v32, v23
	v_mul_f32_e32 v26, v27, v25
	v_mul_f32_e32 v30, v22, v26
	v_fma_f32 v22, v26, v22, -v30
	v_fmac_f32_e32 v22, v26, v19
	v_sub_f32_e32 v19, v32, v25
	v_add_f32_e32 v19, v23, v19
	v_add_f32_e32 v23, v30, v22
	v_sub_f32_e32 v31, v25, v23
	v_sub_f32_e32 v25, v25, v31
	;; [unrolled: 1-line block ×4, first 2 shown]
	v_add_f32_e32 v19, v19, v23
	v_sub_f32_e32 v22, v30, v22
	v_add_f32_e32 v19, v22, v19
	v_add_f32_e32 v22, v24, v26
	;; [unrolled: 1-line block ×3, first 2 shown]
	v_sub_f32_e32 v23, v22, v24
	v_mul_f32_e32 v19, v27, v19
	v_sub_f32_e32 v23, v26, v23
	v_add_f32_e32 v19, v23, v19
	v_cvt_f32_i32_e32 v18, v18
	v_add_f32_e32 v23, v22, v19
	v_mul_f32_e32 v24, v23, v23
	v_mov_b32_e32 v25, 0x3ecc95a3
	v_fmac_f32_e32 v25, 0x3e9b6dac, v24
	v_mov_b32_e32 v26, 0x3f2aaada
	v_fmac_f32_e32 v26, v24, v25
	v_mul_f32_e32 v25, 0x3f317218, v18
	v_fma_f32 v27, v18, s6, -v25
	v_fmac_f32_e32 v27, 0xb102e308, v18
	v_sub_f32_e32 v18, v23, v22
	v_sub_f32_e32 v18, v19, v18
	v_add_f32_e32 v19, v25, v27
	v_sub_f32_e32 v22, v19, v25
	v_ldexp_f32 v25, v23, 1
	v_mul_f32_e32 v23, v23, v24
	v_mul_f32_e32 v23, v23, v26
	v_add_f32_e32 v24, v25, v23
	v_sub_f32_e32 v25, v24, v25
	v_ldexp_f32 v18, v18, 1
	v_sub_f32_e32 v23, v23, v25
	v_add_f32_e32 v18, v18, v23
	v_add_f32_e32 v23, v24, v18
	v_sub_f32_e32 v24, v23, v24
	v_sub_f32_e32 v18, v18, v24
	v_add_f32_e32 v24, v19, v23
	v_sub_f32_e32 v25, v24, v19
	v_sub_f32_e32 v26, v24, v25
	;; [unrolled: 1-line block ×5, first 2 shown]
	v_add_f32_e32 v19, v23, v19
	v_add_f32_e32 v23, v22, v18
	v_sub_f32_e32 v25, v23, v22
	v_sub_f32_e32 v26, v23, v25
	;; [unrolled: 1-line block ×4, first 2 shown]
	v_add_f32_e32 v19, v23, v19
	v_add_f32_e32 v18, v18, v22
	;; [unrolled: 1-line block ×3, first 2 shown]
	v_sub_f32_e32 v23, v22, v24
	v_sub_f32_e32 v19, v19, v23
	v_add_f32_e32 v18, v18, v19
	v_add_f32_e32 v18, v22, v18
	v_cmp_neq_f32_e64 s[54:55], s3, v21
	s_mov_b32 s3, 0x33800000
	v_cndmask_b32_e64 v18, v20, v18, s[54:55]
	v_cmp_lt_f32_e64 s[54:55], |v21|, s3
	v_cndmask_b32_e64 v18, v18, v21, s[54:55]
	v_add_f32_e32 v2, v2, v18
	v_cvt_f16_f32_e32 v31, v2
	v_cvt_f32_f16_e32 v32, v31
	v_mov_b32_e32 v30, v31
.LBB372_54:
	s_or_b64 exec, exec, s[0:1]
	v_cvt_f32_f16_e32 v2, v3
	v_max_f32_e32 v18, v32, v32
	v_cmp_u_f16_e64 s[56:57], v31, v31
	v_cmp_u_f16_e64 s[54:55], v3, v3
	v_min_f32_e32 v19, v18, v2
	v_max_f32_e32 v18, v18, v2
	v_cndmask_b32_e64 v19, v19, v32, s[56:57]
	v_cndmask_b32_e64 v18, v18, v32, s[56:57]
	;; [unrolled: 1-line block ×4, first 2 shown]
	v_cmp_neq_f32_e64 s[56:57], v19, v18
	v_cmp_class_f32_e64 s[0:1], v19, s2
	s_or_b64 s[2:3], s[56:57], s[0:1]
	s_and_saveexec_b64 s[0:1], s[2:3]
	s_cbranch_execz .LBB372_56
; %bb.55:
	v_sub_f32_e32 v19, v19, v18
	s_mov_b32 s2, 0x3fb8aa3b
	v_mul_f32_e32 v20, 0x3fb8aa3b, v19
	v_fma_f32 v21, v19, s2, -v20
	v_rndne_f32_e32 v22, v20
	v_fmac_f32_e32 v21, 0x32a5705f, v19
	v_sub_f32_e32 v20, v20, v22
	v_add_f32_e32 v20, v20, v21
	v_exp_f32_e32 v20, v20
	v_cvt_i32_f32_e32 v21, v22
	s_mov_b32 s2, 0xc2ce8ed0
	v_cmp_ngt_f32_e64 s[56:57], s2, v19
	s_mov_b32 s2, 0x42b17218
	v_ldexp_f32 v20, v20, v21
	v_cndmask_b32_e64 v20, 0, v20, s[56:57]
	v_mov_b32_e32 v21, 0x7f800000
	v_cmp_nlt_f32_e64 s[56:57], s2, v19
	v_cndmask_b32_e64 v22, v21, v20, s[56:57]
	v_add_f32_e32 v23, 1.0, v22
	v_cvt_f64_f32_e32 v[19:20], v23
	v_add_f32_e32 v24, -1.0, v23
	v_sub_f32_e32 v25, v24, v23
	v_sub_f32_e32 v24, v22, v24
	v_frexp_exp_i32_f64_e32 v19, v[19:20]
	v_add_f32_e32 v20, 1.0, v25
	v_add_f32_e32 v20, v24, v20
	v_frexp_mant_f32_e32 v24, v23
	s_mov_b32 s3, 0x3f2aaaab
	v_cmp_gt_f32_e64 s[56:57], s3, v24
	s_mov_b32 s3, 0x3f317218
	s_mov_b32 s2, 0x7f800000
	v_subbrev_co_u32_e64 v19, s[56:57], 0, v19, s[56:57]
	v_sub_u32_e32 v24, 0, v19
	v_ldexp_f32 v23, v23, v24
	v_ldexp_f32 v20, v20, v24
	v_add_f32_e32 v24, -1.0, v23
	v_add_f32_e32 v27, 1.0, v23
	v_add_f32_e32 v25, 1.0, v24
	v_add_f32_e32 v30, -1.0, v27
	v_sub_f32_e32 v25, v23, v25
	v_sub_f32_e32 v23, v23, v30
	v_add_f32_e32 v25, v20, v25
	v_add_f32_e32 v20, v20, v23
	;; [unrolled: 1-line block ×3, first 2 shown]
	v_rcp_f32_e32 v30, v23
	v_add_f32_e32 v26, v24, v25
	v_sub_f32_e32 v24, v24, v26
	v_add_f32_e32 v24, v25, v24
	v_sub_f32_e32 v25, v27, v23
	v_add_f32_e32 v20, v20, v25
	v_mul_f32_e32 v25, v26, v30
	v_mul_f32_e32 v27, v23, v25
	v_fma_f32 v31, v25, v23, -v27
	v_fmac_f32_e32 v31, v25, v20
	v_add_f32_e32 v32, v27, v31
	v_sub_f32_e32 v33, v26, v32
	v_sub_f32_e32 v26, v26, v33
	;; [unrolled: 1-line block ×4, first 2 shown]
	v_add_f32_e32 v24, v24, v26
	v_sub_f32_e32 v26, v27, v31
	v_add_f32_e32 v24, v26, v24
	v_add_f32_e32 v26, v33, v24
	v_mul_f32_e32 v27, v30, v26
	v_mul_f32_e32 v31, v23, v27
	v_fma_f32 v23, v27, v23, -v31
	v_fmac_f32_e32 v23, v27, v20
	v_sub_f32_e32 v20, v33, v26
	v_add_f32_e32 v20, v24, v20
	v_add_f32_e32 v24, v31, v23
	v_sub_f32_e32 v32, v26, v24
	v_sub_f32_e32 v26, v26, v32
	v_sub_f32_e32 v31, v24, v31
	v_sub_f32_e32 v24, v26, v24
	v_add_f32_e32 v20, v20, v24
	v_sub_f32_e32 v23, v31, v23
	v_add_f32_e32 v20, v23, v20
	v_add_f32_e32 v23, v25, v27
	;; [unrolled: 1-line block ×3, first 2 shown]
	v_sub_f32_e32 v24, v23, v25
	v_mul_f32_e32 v20, v30, v20
	v_sub_f32_e32 v24, v27, v24
	v_add_f32_e32 v20, v24, v20
	v_cvt_f32_i32_e32 v19, v19
	v_add_f32_e32 v24, v23, v20
	v_mul_f32_e32 v25, v24, v24
	v_mov_b32_e32 v26, 0x3ecc95a3
	v_fmac_f32_e32 v26, 0x3e9b6dac, v25
	v_mov_b32_e32 v27, 0x3f2aaada
	v_fmac_f32_e32 v27, v25, v26
	v_mul_f32_e32 v26, 0x3f317218, v19
	v_fma_f32 v30, v19, s3, -v26
	v_fmac_f32_e32 v30, 0xb102e308, v19
	v_sub_f32_e32 v19, v24, v23
	v_sub_f32_e32 v19, v20, v19
	v_add_f32_e32 v20, v26, v30
	v_sub_f32_e32 v23, v20, v26
	v_ldexp_f32 v26, v24, 1
	v_mul_f32_e32 v24, v24, v25
	v_mul_f32_e32 v24, v24, v27
	v_add_f32_e32 v25, v26, v24
	v_sub_f32_e32 v26, v25, v26
	v_ldexp_f32 v19, v19, 1
	v_sub_f32_e32 v24, v24, v26
	v_add_f32_e32 v19, v19, v24
	v_add_f32_e32 v24, v25, v19
	v_sub_f32_e32 v25, v24, v25
	v_sub_f32_e32 v19, v19, v25
	v_add_f32_e32 v25, v20, v24
	v_sub_f32_e32 v26, v25, v20
	v_sub_f32_e32 v27, v25, v26
	;; [unrolled: 1-line block ×5, first 2 shown]
	v_add_f32_e32 v20, v24, v20
	v_add_f32_e32 v24, v23, v19
	v_sub_f32_e32 v26, v24, v23
	v_sub_f32_e32 v27, v24, v26
	v_sub_f32_e32 v23, v23, v27
	v_sub_f32_e32 v19, v19, v26
	v_add_f32_e32 v20, v24, v20
	v_add_f32_e32 v19, v19, v23
	;; [unrolled: 1-line block ×3, first 2 shown]
	v_sub_f32_e32 v24, v23, v25
	v_sub_f32_e32 v20, v20, v24
	v_add_f32_e32 v19, v19, v20
	v_add_f32_e32 v19, v23, v19
	v_cmp_neq_f32_e64 s[56:57], s2, v22
	s_mov_b32 s2, 0x33800000
	v_cndmask_b32_e64 v19, v21, v19, s[56:57]
	v_cmp_lt_f32_e64 s[56:57], |v22|, s2
	v_cndmask_b32_e64 v19, v19, v22, s[56:57]
	v_add_f32_e32 v18, v18, v19
	v_cvt_f16_f32_e32 v31, v18
	v_cvt_f32_f16_e32 v32, v31
	v_mov_b32_e32 v30, v31
.LBB372_56:
	s_or_b64 exec, exec, s[0:1]
	v_cvt_f32_f16_sdwa v18, v3 dst_sel:DWORD dst_unused:UNUSED_PAD src0_sel:WORD_1
	v_max_f32_e32 v20, v32, v32
	v_cmp_u_f16_e64 s[58:59], v31, v31
	v_cmp_u_f16_sdwa s[56:57], v3, v3 src0_sel:WORD_1 src1_sel:WORD_1
	v_min_f32_e32 v19, v20, v18
	v_max_f32_e32 v3, v20, v18
	v_cndmask_b32_e64 v19, v19, v32, s[58:59]
	v_cndmask_b32_e64 v3, v3, v32, s[58:59]
	;; [unrolled: 1-line block ×4, first 2 shown]
	s_movk_i32 s2, 0x1f8
	v_cmp_neq_f32_e64 s[58:59], v19, v3
	v_cmp_class_f32_e64 s[0:1], v19, s2
	s_or_b64 s[6:7], s[58:59], s[0:1]
	s_and_saveexec_b64 s[0:1], s[6:7]
	s_cbranch_execz .LBB372_58
; %bb.57:
	v_sub_f32_e32 v19, v19, v3
	s_mov_b32 s3, 0x3fb8aa3b
	v_mul_f32_e32 v20, 0x3fb8aa3b, v19
	v_fma_f32 v21, v19, s3, -v20
	v_rndne_f32_e32 v22, v20
	v_fmac_f32_e32 v21, 0x32a5705f, v19
	v_sub_f32_e32 v20, v20, v22
	v_add_f32_e32 v20, v20, v21
	v_exp_f32_e32 v20, v20
	v_cvt_i32_f32_e32 v21, v22
	s_mov_b32 s3, 0xc2ce8ed0
	v_cmp_ngt_f32_e64 s[58:59], s3, v19
	s_mov_b32 s3, 0x42b17218
	v_ldexp_f32 v20, v20, v21
	v_cndmask_b32_e64 v20, 0, v20, s[58:59]
	v_mov_b32_e32 v21, 0x7f800000
	v_cmp_nlt_f32_e64 s[58:59], s3, v19
	v_cndmask_b32_e64 v22, v21, v20, s[58:59]
	v_add_f32_e32 v23, 1.0, v22
	v_cvt_f64_f32_e32 v[19:20], v23
	v_add_f32_e32 v24, -1.0, v23
	v_sub_f32_e32 v25, v24, v23
	v_sub_f32_e32 v24, v22, v24
	v_frexp_exp_i32_f64_e32 v19, v[19:20]
	v_add_f32_e32 v20, 1.0, v25
	v_add_f32_e32 v20, v24, v20
	v_frexp_mant_f32_e32 v24, v23
	s_mov_b32 s6, 0x3f2aaaab
	v_cmp_gt_f32_e64 s[58:59], s6, v24
	s_mov_b32 s6, 0x3f317218
	s_mov_b32 s3, 0x7f800000
	v_subbrev_co_u32_e64 v19, s[58:59], 0, v19, s[58:59]
	v_sub_u32_e32 v24, 0, v19
	v_ldexp_f32 v23, v23, v24
	v_ldexp_f32 v20, v20, v24
	v_add_f32_e32 v24, -1.0, v23
	v_add_f32_e32 v27, 1.0, v23
	v_add_f32_e32 v25, 1.0, v24
	v_add_f32_e32 v30, -1.0, v27
	v_sub_f32_e32 v25, v23, v25
	v_sub_f32_e32 v23, v23, v30
	v_add_f32_e32 v25, v20, v25
	v_add_f32_e32 v20, v20, v23
	;; [unrolled: 1-line block ×3, first 2 shown]
	v_rcp_f32_e32 v30, v23
	v_add_f32_e32 v26, v24, v25
	v_sub_f32_e32 v24, v24, v26
	v_add_f32_e32 v24, v25, v24
	v_sub_f32_e32 v25, v27, v23
	v_add_f32_e32 v20, v20, v25
	v_mul_f32_e32 v25, v26, v30
	v_mul_f32_e32 v27, v23, v25
	v_fma_f32 v31, v25, v23, -v27
	v_fmac_f32_e32 v31, v25, v20
	v_add_f32_e32 v32, v27, v31
	v_sub_f32_e32 v33, v26, v32
	v_sub_f32_e32 v26, v26, v33
	;; [unrolled: 1-line block ×4, first 2 shown]
	v_add_f32_e32 v24, v24, v26
	v_sub_f32_e32 v26, v27, v31
	v_add_f32_e32 v24, v26, v24
	v_add_f32_e32 v26, v33, v24
	v_mul_f32_e32 v27, v30, v26
	v_mul_f32_e32 v31, v23, v27
	v_fma_f32 v23, v27, v23, -v31
	v_fmac_f32_e32 v23, v27, v20
	v_sub_f32_e32 v20, v33, v26
	v_add_f32_e32 v20, v24, v20
	v_add_f32_e32 v24, v31, v23
	v_sub_f32_e32 v32, v26, v24
	v_sub_f32_e32 v26, v26, v32
	;; [unrolled: 1-line block ×4, first 2 shown]
	v_add_f32_e32 v20, v20, v24
	v_sub_f32_e32 v23, v31, v23
	v_add_f32_e32 v20, v23, v20
	v_add_f32_e32 v23, v25, v27
	;; [unrolled: 1-line block ×3, first 2 shown]
	v_sub_f32_e32 v24, v23, v25
	v_mul_f32_e32 v20, v30, v20
	v_sub_f32_e32 v24, v27, v24
	v_add_f32_e32 v20, v24, v20
	v_cvt_f32_i32_e32 v19, v19
	v_add_f32_e32 v24, v23, v20
	v_mul_f32_e32 v25, v24, v24
	v_mov_b32_e32 v26, 0x3ecc95a3
	v_fmac_f32_e32 v26, 0x3e9b6dac, v25
	v_mov_b32_e32 v27, 0x3f2aaada
	v_fmac_f32_e32 v27, v25, v26
	v_mul_f32_e32 v26, 0x3f317218, v19
	v_fma_f32 v30, v19, s6, -v26
	v_fmac_f32_e32 v30, 0xb102e308, v19
	v_sub_f32_e32 v19, v24, v23
	v_sub_f32_e32 v19, v20, v19
	v_add_f32_e32 v20, v26, v30
	v_sub_f32_e32 v23, v20, v26
	v_ldexp_f32 v26, v24, 1
	v_mul_f32_e32 v24, v24, v25
	v_mul_f32_e32 v24, v24, v27
	v_add_f32_e32 v25, v26, v24
	v_sub_f32_e32 v26, v25, v26
	v_ldexp_f32 v19, v19, 1
	v_sub_f32_e32 v24, v24, v26
	v_add_f32_e32 v19, v19, v24
	v_add_f32_e32 v24, v25, v19
	v_sub_f32_e32 v25, v24, v25
	v_sub_f32_e32 v19, v19, v25
	v_add_f32_e32 v25, v20, v24
	v_sub_f32_e32 v26, v25, v20
	v_sub_f32_e32 v27, v25, v26
	;; [unrolled: 1-line block ×5, first 2 shown]
	v_add_f32_e32 v20, v24, v20
	v_add_f32_e32 v24, v23, v19
	v_sub_f32_e32 v26, v24, v23
	v_sub_f32_e32 v27, v24, v26
	;; [unrolled: 1-line block ×4, first 2 shown]
	v_add_f32_e32 v20, v24, v20
	v_add_f32_e32 v19, v19, v23
	;; [unrolled: 1-line block ×3, first 2 shown]
	v_sub_f32_e32 v24, v23, v25
	v_sub_f32_e32 v20, v20, v24
	v_add_f32_e32 v19, v19, v20
	v_add_f32_e32 v19, v23, v19
	v_cmp_neq_f32_e64 s[58:59], s3, v22
	s_mov_b32 s3, 0x33800000
	v_cndmask_b32_e64 v19, v21, v19, s[58:59]
	v_cmp_lt_f32_e64 s[58:59], |v22|, s3
	v_cndmask_b32_e64 v19, v19, v22, s[58:59]
	v_add_f32_e32 v3, v3, v19
	v_cvt_f16_f32_e32 v31, v3
	v_cvt_f32_f16_e32 v32, v31
	v_mov_b32_e32 v30, v31
.LBB372_58:
	s_or_b64 exec, exec, s[0:1]
	v_cvt_f32_f16_e32 v3, v4
	v_max_f32_e32 v19, v32, v32
	v_cmp_u_f16_e64 s[60:61], v31, v31
	v_cmp_u_f16_e64 s[58:59], v4, v4
	v_min_f32_e32 v20, v19, v3
	v_max_f32_e32 v19, v19, v3
	v_cndmask_b32_e64 v20, v20, v32, s[60:61]
	v_cndmask_b32_e64 v19, v19, v32, s[60:61]
	;; [unrolled: 1-line block ×4, first 2 shown]
	v_cmp_neq_f32_e64 s[60:61], v20, v19
	v_cmp_class_f32_e64 s[0:1], v20, s2
	s_or_b64 s[2:3], s[60:61], s[0:1]
	s_and_saveexec_b64 s[0:1], s[2:3]
	s_cbranch_execz .LBB372_60
; %bb.59:
	v_sub_f32_e32 v20, v20, v19
	s_mov_b32 s2, 0x3fb8aa3b
	v_mul_f32_e32 v21, 0x3fb8aa3b, v20
	v_fma_f32 v22, v20, s2, -v21
	v_rndne_f32_e32 v23, v21
	v_fmac_f32_e32 v22, 0x32a5705f, v20
	v_sub_f32_e32 v21, v21, v23
	v_add_f32_e32 v21, v21, v22
	v_exp_f32_e32 v21, v21
	v_cvt_i32_f32_e32 v22, v23
	s_mov_b32 s2, 0xc2ce8ed0
	v_cmp_ngt_f32_e64 s[60:61], s2, v20
	s_mov_b32 s2, 0x42b17218
	v_ldexp_f32 v21, v21, v22
	v_cndmask_b32_e64 v21, 0, v21, s[60:61]
	v_mov_b32_e32 v22, 0x7f800000
	v_cmp_nlt_f32_e64 s[60:61], s2, v20
	v_cndmask_b32_e64 v23, v22, v21, s[60:61]
	v_add_f32_e32 v24, 1.0, v23
	v_cvt_f64_f32_e32 v[20:21], v24
	v_add_f32_e32 v25, -1.0, v24
	v_sub_f32_e32 v26, v25, v24
	v_sub_f32_e32 v25, v23, v25
	v_frexp_exp_i32_f64_e32 v20, v[20:21]
	v_add_f32_e32 v21, 1.0, v26
	v_add_f32_e32 v21, v25, v21
	v_frexp_mant_f32_e32 v25, v24
	s_mov_b32 s3, 0x3f2aaaab
	v_cmp_gt_f32_e64 s[60:61], s3, v25
	s_mov_b32 s3, 0x3f317218
	s_mov_b32 s2, 0x7f800000
	v_subbrev_co_u32_e64 v20, s[60:61], 0, v20, s[60:61]
	v_sub_u32_e32 v25, 0, v20
	v_ldexp_f32 v24, v24, v25
	v_ldexp_f32 v21, v21, v25
	v_add_f32_e32 v25, -1.0, v24
	v_add_f32_e32 v30, 1.0, v24
	v_add_f32_e32 v26, 1.0, v25
	v_add_f32_e32 v31, -1.0, v30
	v_sub_f32_e32 v26, v24, v26
	v_sub_f32_e32 v24, v24, v31
	v_add_f32_e32 v26, v21, v26
	v_add_f32_e32 v21, v21, v24
	;; [unrolled: 1-line block ×3, first 2 shown]
	v_rcp_f32_e32 v31, v24
	v_add_f32_e32 v27, v25, v26
	v_sub_f32_e32 v25, v25, v27
	v_add_f32_e32 v25, v26, v25
	v_sub_f32_e32 v26, v30, v24
	v_add_f32_e32 v21, v21, v26
	v_mul_f32_e32 v26, v27, v31
	v_mul_f32_e32 v30, v24, v26
	v_fma_f32 v32, v26, v24, -v30
	v_fmac_f32_e32 v32, v26, v21
	v_add_f32_e32 v33, v30, v32
	v_sub_f32_e32 v34, v27, v33
	v_sub_f32_e32 v27, v27, v34
	;; [unrolled: 1-line block ×4, first 2 shown]
	v_add_f32_e32 v25, v25, v27
	v_sub_f32_e32 v27, v30, v32
	v_add_f32_e32 v25, v27, v25
	v_add_f32_e32 v27, v34, v25
	v_mul_f32_e32 v30, v31, v27
	v_mul_f32_e32 v32, v24, v30
	v_fma_f32 v24, v30, v24, -v32
	v_fmac_f32_e32 v24, v30, v21
	v_sub_f32_e32 v21, v34, v27
	v_add_f32_e32 v21, v25, v21
	v_add_f32_e32 v25, v32, v24
	v_sub_f32_e32 v33, v27, v25
	v_sub_f32_e32 v27, v27, v33
	;; [unrolled: 1-line block ×4, first 2 shown]
	v_add_f32_e32 v21, v21, v25
	v_sub_f32_e32 v24, v32, v24
	v_add_f32_e32 v21, v24, v21
	v_add_f32_e32 v24, v26, v30
	;; [unrolled: 1-line block ×3, first 2 shown]
	v_sub_f32_e32 v25, v24, v26
	v_mul_f32_e32 v21, v31, v21
	v_sub_f32_e32 v25, v30, v25
	v_add_f32_e32 v21, v25, v21
	v_cvt_f32_i32_e32 v20, v20
	v_add_f32_e32 v25, v24, v21
	v_mul_f32_e32 v26, v25, v25
	v_mov_b32_e32 v27, 0x3ecc95a3
	v_fmac_f32_e32 v27, 0x3e9b6dac, v26
	v_mov_b32_e32 v30, 0x3f2aaada
	v_fmac_f32_e32 v30, v26, v27
	v_mul_f32_e32 v27, 0x3f317218, v20
	v_fma_f32 v31, v20, s3, -v27
	v_fmac_f32_e32 v31, 0xb102e308, v20
	v_sub_f32_e32 v20, v25, v24
	v_sub_f32_e32 v20, v21, v20
	v_add_f32_e32 v21, v27, v31
	v_sub_f32_e32 v24, v21, v27
	v_ldexp_f32 v27, v25, 1
	v_mul_f32_e32 v25, v25, v26
	v_mul_f32_e32 v25, v25, v30
	v_add_f32_e32 v26, v27, v25
	v_sub_f32_e32 v27, v26, v27
	v_ldexp_f32 v20, v20, 1
	v_sub_f32_e32 v25, v25, v27
	v_add_f32_e32 v20, v20, v25
	v_add_f32_e32 v25, v26, v20
	v_sub_f32_e32 v26, v25, v26
	v_sub_f32_e32 v20, v20, v26
	v_add_f32_e32 v26, v21, v25
	v_sub_f32_e32 v27, v26, v21
	v_sub_f32_e32 v30, v26, v27
	;; [unrolled: 1-line block ×5, first 2 shown]
	v_add_f32_e32 v21, v25, v21
	v_add_f32_e32 v25, v24, v20
	v_sub_f32_e32 v27, v25, v24
	v_sub_f32_e32 v30, v25, v27
	;; [unrolled: 1-line block ×4, first 2 shown]
	v_add_f32_e32 v21, v25, v21
	v_add_f32_e32 v20, v20, v24
	;; [unrolled: 1-line block ×3, first 2 shown]
	v_sub_f32_e32 v25, v24, v26
	v_sub_f32_e32 v21, v21, v25
	v_add_f32_e32 v20, v20, v21
	v_add_f32_e32 v20, v24, v20
	v_cmp_neq_f32_e64 s[60:61], s2, v23
	s_mov_b32 s2, 0x33800000
	v_cndmask_b32_e64 v20, v22, v20, s[60:61]
	v_cmp_lt_f32_e64 s[60:61], |v23|, s2
	v_cndmask_b32_e64 v20, v20, v23, s[60:61]
	v_add_f32_e32 v19, v19, v20
	v_cvt_f16_f32_e32 v31, v19
	v_cvt_f32_f16_e32 v32, v31
	v_mov_b32_e32 v30, v31
.LBB372_60:
	s_or_b64 exec, exec, s[0:1]
	v_cvt_f32_f16_sdwa v19, v4 dst_sel:DWORD dst_unused:UNUSED_PAD src0_sel:WORD_1
	v_max_f32_e32 v21, v32, v32
	v_cmp_u_f16_e64 s[62:63], v31, v31
	v_cmp_u_f16_sdwa s[60:61], v4, v4 src0_sel:WORD_1 src1_sel:WORD_1
	v_min_f32_e32 v20, v21, v19
	v_max_f32_e32 v4, v21, v19
	v_cndmask_b32_e64 v20, v20, v32, s[62:63]
	v_cndmask_b32_e64 v4, v4, v32, s[62:63]
	;; [unrolled: 1-line block ×4, first 2 shown]
	s_movk_i32 s2, 0x1f8
	v_cmp_neq_f32_e64 s[62:63], v20, v4
	v_cmp_class_f32_e64 s[0:1], v20, s2
	s_or_b64 s[6:7], s[62:63], s[0:1]
	s_and_saveexec_b64 s[0:1], s[6:7]
	s_cbranch_execz .LBB372_62
; %bb.61:
	v_sub_f32_e32 v20, v20, v4
	s_mov_b32 s3, 0x3fb8aa3b
	v_mul_f32_e32 v21, 0x3fb8aa3b, v20
	v_fma_f32 v22, v20, s3, -v21
	v_rndne_f32_e32 v23, v21
	v_fmac_f32_e32 v22, 0x32a5705f, v20
	v_sub_f32_e32 v21, v21, v23
	v_add_f32_e32 v21, v21, v22
	v_exp_f32_e32 v21, v21
	v_cvt_i32_f32_e32 v22, v23
	s_mov_b32 s3, 0xc2ce8ed0
	v_cmp_ngt_f32_e64 s[62:63], s3, v20
	s_mov_b32 s3, 0x42b17218
	v_ldexp_f32 v21, v21, v22
	v_cndmask_b32_e64 v21, 0, v21, s[62:63]
	v_mov_b32_e32 v22, 0x7f800000
	v_cmp_nlt_f32_e64 s[62:63], s3, v20
	v_cndmask_b32_e64 v23, v22, v21, s[62:63]
	v_add_f32_e32 v24, 1.0, v23
	v_cvt_f64_f32_e32 v[20:21], v24
	v_add_f32_e32 v25, -1.0, v24
	v_sub_f32_e32 v26, v25, v24
	v_sub_f32_e32 v25, v23, v25
	v_frexp_exp_i32_f64_e32 v20, v[20:21]
	v_add_f32_e32 v21, 1.0, v26
	v_add_f32_e32 v21, v25, v21
	v_frexp_mant_f32_e32 v25, v24
	s_mov_b32 s6, 0x3f2aaaab
	v_cmp_gt_f32_e64 s[62:63], s6, v25
	s_mov_b32 s6, 0x3f317218
	s_mov_b32 s3, 0x7f800000
	v_subbrev_co_u32_e64 v20, s[62:63], 0, v20, s[62:63]
	v_sub_u32_e32 v25, 0, v20
	v_ldexp_f32 v24, v24, v25
	v_ldexp_f32 v21, v21, v25
	v_add_f32_e32 v25, -1.0, v24
	v_add_f32_e32 v30, 1.0, v24
	v_add_f32_e32 v26, 1.0, v25
	v_add_f32_e32 v31, -1.0, v30
	v_sub_f32_e32 v26, v24, v26
	v_sub_f32_e32 v24, v24, v31
	v_add_f32_e32 v26, v21, v26
	v_add_f32_e32 v21, v21, v24
	;; [unrolled: 1-line block ×3, first 2 shown]
	v_rcp_f32_e32 v31, v24
	v_add_f32_e32 v27, v25, v26
	v_sub_f32_e32 v25, v25, v27
	v_add_f32_e32 v25, v26, v25
	v_sub_f32_e32 v26, v30, v24
	v_add_f32_e32 v21, v21, v26
	v_mul_f32_e32 v26, v27, v31
	v_mul_f32_e32 v30, v24, v26
	v_fma_f32 v32, v26, v24, -v30
	v_fmac_f32_e32 v32, v26, v21
	v_add_f32_e32 v33, v30, v32
	v_sub_f32_e32 v34, v27, v33
	v_sub_f32_e32 v27, v27, v34
	v_sub_f32_e32 v30, v33, v30
	v_sub_f32_e32 v27, v27, v33
	v_add_f32_e32 v25, v25, v27
	v_sub_f32_e32 v27, v30, v32
	v_add_f32_e32 v25, v27, v25
	v_add_f32_e32 v27, v34, v25
	v_mul_f32_e32 v30, v31, v27
	v_mul_f32_e32 v32, v24, v30
	v_fma_f32 v24, v30, v24, -v32
	v_fmac_f32_e32 v24, v30, v21
	v_sub_f32_e32 v21, v34, v27
	v_add_f32_e32 v21, v25, v21
	v_add_f32_e32 v25, v32, v24
	v_sub_f32_e32 v33, v27, v25
	v_sub_f32_e32 v27, v27, v33
	;; [unrolled: 1-line block ×4, first 2 shown]
	v_add_f32_e32 v21, v21, v25
	v_sub_f32_e32 v24, v32, v24
	v_add_f32_e32 v21, v24, v21
	v_add_f32_e32 v24, v26, v30
	;; [unrolled: 1-line block ×3, first 2 shown]
	v_sub_f32_e32 v25, v24, v26
	v_mul_f32_e32 v21, v31, v21
	v_sub_f32_e32 v25, v30, v25
	v_add_f32_e32 v21, v25, v21
	v_cvt_f32_i32_e32 v20, v20
	v_add_f32_e32 v25, v24, v21
	v_mul_f32_e32 v26, v25, v25
	v_mov_b32_e32 v27, 0x3ecc95a3
	v_fmac_f32_e32 v27, 0x3e9b6dac, v26
	v_mov_b32_e32 v30, 0x3f2aaada
	v_fmac_f32_e32 v30, v26, v27
	v_mul_f32_e32 v27, 0x3f317218, v20
	v_fma_f32 v31, v20, s6, -v27
	v_fmac_f32_e32 v31, 0xb102e308, v20
	v_sub_f32_e32 v20, v25, v24
	v_sub_f32_e32 v20, v21, v20
	v_add_f32_e32 v21, v27, v31
	v_sub_f32_e32 v24, v21, v27
	v_ldexp_f32 v27, v25, 1
	v_mul_f32_e32 v25, v25, v26
	v_mul_f32_e32 v25, v25, v30
	v_add_f32_e32 v26, v27, v25
	v_sub_f32_e32 v27, v26, v27
	v_ldexp_f32 v20, v20, 1
	v_sub_f32_e32 v25, v25, v27
	v_add_f32_e32 v20, v20, v25
	v_add_f32_e32 v25, v26, v20
	v_sub_f32_e32 v26, v25, v26
	v_sub_f32_e32 v20, v20, v26
	v_add_f32_e32 v26, v21, v25
	v_sub_f32_e32 v27, v26, v21
	v_sub_f32_e32 v30, v26, v27
	;; [unrolled: 1-line block ×5, first 2 shown]
	v_add_f32_e32 v21, v25, v21
	v_add_f32_e32 v25, v24, v20
	v_sub_f32_e32 v27, v25, v24
	v_sub_f32_e32 v30, v25, v27
	;; [unrolled: 1-line block ×4, first 2 shown]
	v_add_f32_e32 v21, v25, v21
	v_add_f32_e32 v20, v20, v24
	;; [unrolled: 1-line block ×3, first 2 shown]
	v_sub_f32_e32 v25, v24, v26
	v_sub_f32_e32 v21, v21, v25
	v_add_f32_e32 v20, v20, v21
	v_add_f32_e32 v20, v24, v20
	v_cmp_neq_f32_e64 s[62:63], s3, v23
	s_mov_b32 s3, 0x33800000
	v_cndmask_b32_e64 v20, v22, v20, s[62:63]
	v_cmp_lt_f32_e64 s[62:63], |v23|, s3
	v_cndmask_b32_e64 v20, v20, v23, s[62:63]
	v_add_f32_e32 v4, v4, v20
	v_cvt_f16_f32_e32 v31, v4
	v_cvt_f32_f16_e32 v32, v31
	v_mov_b32_e32 v30, v31
.LBB372_62:
	s_or_b64 exec, exec, s[0:1]
	v_cvt_f32_f16_e32 v4, v9
	v_max_f32_e32 v20, v32, v32
	v_cmp_u_f16_e64 s[64:65], v31, v31
	v_cmp_u_f16_e64 s[62:63], v9, v9
	v_min_f32_e32 v21, v20, v4
	v_max_f32_e32 v20, v20, v4
	v_cndmask_b32_e64 v21, v21, v32, s[64:65]
	v_cndmask_b32_e64 v20, v20, v32, s[64:65]
	;; [unrolled: 1-line block ×4, first 2 shown]
	v_cmp_neq_f32_e64 s[64:65], v21, v20
	v_cmp_class_f32_e64 s[0:1], v21, s2
	s_or_b64 s[2:3], s[64:65], s[0:1]
	s_and_saveexec_b64 s[0:1], s[2:3]
	s_cbranch_execz .LBB372_64
; %bb.63:
	v_sub_f32_e32 v21, v21, v20
	s_mov_b32 s2, 0x3fb8aa3b
	v_mul_f32_e32 v22, 0x3fb8aa3b, v21
	v_fma_f32 v23, v21, s2, -v22
	v_rndne_f32_e32 v24, v22
	v_fmac_f32_e32 v23, 0x32a5705f, v21
	v_sub_f32_e32 v22, v22, v24
	v_add_f32_e32 v22, v22, v23
	v_exp_f32_e32 v22, v22
	v_cvt_i32_f32_e32 v23, v24
	s_mov_b32 s2, 0xc2ce8ed0
	v_cmp_ngt_f32_e64 s[64:65], s2, v21
	s_mov_b32 s2, 0x42b17218
	v_ldexp_f32 v22, v22, v23
	v_cndmask_b32_e64 v22, 0, v22, s[64:65]
	v_mov_b32_e32 v23, 0x7f800000
	v_cmp_nlt_f32_e64 s[64:65], s2, v21
	v_cndmask_b32_e64 v24, v23, v22, s[64:65]
	v_add_f32_e32 v25, 1.0, v24
	v_cvt_f64_f32_e32 v[21:22], v25
	v_add_f32_e32 v26, -1.0, v25
	v_sub_f32_e32 v27, v26, v25
	v_sub_f32_e32 v26, v24, v26
	v_frexp_exp_i32_f64_e32 v21, v[21:22]
	v_add_f32_e32 v22, 1.0, v27
	v_add_f32_e32 v22, v26, v22
	v_frexp_mant_f32_e32 v26, v25
	s_mov_b32 s3, 0x3f2aaaab
	v_cmp_gt_f32_e64 s[64:65], s3, v26
	s_mov_b32 s3, 0x3f317218
	s_mov_b32 s2, 0x7f800000
	v_subbrev_co_u32_e64 v21, s[64:65], 0, v21, s[64:65]
	v_sub_u32_e32 v26, 0, v21
	v_ldexp_f32 v25, v25, v26
	v_ldexp_f32 v22, v22, v26
	v_add_f32_e32 v26, -1.0, v25
	v_add_f32_e32 v31, 1.0, v25
	v_add_f32_e32 v27, 1.0, v26
	v_add_f32_e32 v32, -1.0, v31
	v_sub_f32_e32 v27, v25, v27
	v_sub_f32_e32 v25, v25, v32
	v_add_f32_e32 v27, v22, v27
	v_add_f32_e32 v22, v22, v25
	;; [unrolled: 1-line block ×3, first 2 shown]
	v_rcp_f32_e32 v32, v25
	v_add_f32_e32 v30, v26, v27
	v_sub_f32_e32 v26, v26, v30
	v_add_f32_e32 v26, v27, v26
	v_sub_f32_e32 v27, v31, v25
	v_add_f32_e32 v22, v22, v27
	v_mul_f32_e32 v27, v30, v32
	v_mul_f32_e32 v31, v25, v27
	v_fma_f32 v33, v27, v25, -v31
	v_fmac_f32_e32 v33, v27, v22
	v_add_f32_e32 v34, v31, v33
	v_sub_f32_e32 v35, v30, v34
	v_sub_f32_e32 v30, v30, v35
	;; [unrolled: 1-line block ×4, first 2 shown]
	v_add_f32_e32 v26, v26, v30
	v_sub_f32_e32 v30, v31, v33
	v_add_f32_e32 v26, v30, v26
	v_add_f32_e32 v30, v35, v26
	v_mul_f32_e32 v31, v32, v30
	v_mul_f32_e32 v33, v25, v31
	v_fma_f32 v25, v31, v25, -v33
	v_fmac_f32_e32 v25, v31, v22
	v_sub_f32_e32 v22, v35, v30
	v_add_f32_e32 v22, v26, v22
	v_add_f32_e32 v26, v33, v25
	v_sub_f32_e32 v34, v30, v26
	v_sub_f32_e32 v30, v30, v34
	;; [unrolled: 1-line block ×4, first 2 shown]
	v_add_f32_e32 v22, v22, v26
	v_sub_f32_e32 v25, v33, v25
	v_add_f32_e32 v22, v25, v22
	v_add_f32_e32 v25, v27, v31
	;; [unrolled: 1-line block ×3, first 2 shown]
	v_sub_f32_e32 v26, v25, v27
	v_mul_f32_e32 v22, v32, v22
	v_sub_f32_e32 v26, v31, v26
	v_add_f32_e32 v22, v26, v22
	v_cvt_f32_i32_e32 v21, v21
	v_add_f32_e32 v26, v25, v22
	v_mul_f32_e32 v27, v26, v26
	v_mov_b32_e32 v30, 0x3ecc95a3
	v_fmac_f32_e32 v30, 0x3e9b6dac, v27
	v_mov_b32_e32 v31, 0x3f2aaada
	v_fmac_f32_e32 v31, v27, v30
	v_mul_f32_e32 v30, 0x3f317218, v21
	v_fma_f32 v32, v21, s3, -v30
	v_fmac_f32_e32 v32, 0xb102e308, v21
	v_sub_f32_e32 v21, v26, v25
	v_sub_f32_e32 v21, v22, v21
	v_add_f32_e32 v22, v30, v32
	v_sub_f32_e32 v25, v22, v30
	v_ldexp_f32 v30, v26, 1
	v_mul_f32_e32 v26, v26, v27
	v_mul_f32_e32 v26, v26, v31
	v_add_f32_e32 v27, v30, v26
	v_sub_f32_e32 v30, v27, v30
	v_ldexp_f32 v21, v21, 1
	v_sub_f32_e32 v26, v26, v30
	v_add_f32_e32 v21, v21, v26
	v_add_f32_e32 v26, v27, v21
	v_sub_f32_e32 v27, v26, v27
	v_sub_f32_e32 v21, v21, v27
	v_add_f32_e32 v27, v22, v26
	v_sub_f32_e32 v30, v27, v22
	v_sub_f32_e32 v31, v27, v30
	v_sub_f32_e32 v25, v32, v25
	v_sub_f32_e32 v22, v22, v31
	v_sub_f32_e32 v26, v26, v30
	v_add_f32_e32 v22, v26, v22
	v_add_f32_e32 v26, v25, v21
	v_sub_f32_e32 v30, v26, v25
	v_sub_f32_e32 v31, v26, v30
	;; [unrolled: 1-line block ×4, first 2 shown]
	v_add_f32_e32 v22, v26, v22
	v_add_f32_e32 v21, v21, v25
	;; [unrolled: 1-line block ×3, first 2 shown]
	v_sub_f32_e32 v26, v25, v27
	v_sub_f32_e32 v22, v22, v26
	v_add_f32_e32 v21, v21, v22
	v_add_f32_e32 v21, v25, v21
	v_cmp_neq_f32_e64 s[64:65], s2, v24
	s_mov_b32 s2, 0x33800000
	v_cndmask_b32_e64 v21, v23, v21, s[64:65]
	v_cmp_lt_f32_e64 s[64:65], |v24|, s2
	v_cndmask_b32_e64 v21, v21, v24, s[64:65]
	v_add_f32_e32 v20, v20, v21
	v_cvt_f16_f32_e32 v31, v20
	v_cvt_f32_f16_e32 v32, v31
	v_mov_b32_e32 v30, v31
.LBB372_64:
	s_or_b64 exec, exec, s[0:1]
	v_cvt_f32_f16_sdwa v20, v9 dst_sel:DWORD dst_unused:UNUSED_PAD src0_sel:WORD_1
	v_max_f32_e32 v22, v32, v32
	v_cmp_u_f16_e64 s[66:67], v31, v31
	v_cmp_u_f16_sdwa s[64:65], v9, v9 src0_sel:WORD_1 src1_sel:WORD_1
	v_min_f32_e32 v21, v22, v20
	v_max_f32_e32 v9, v22, v20
	v_cndmask_b32_e64 v21, v21, v32, s[66:67]
	v_cndmask_b32_e64 v9, v9, v32, s[66:67]
	;; [unrolled: 1-line block ×4, first 2 shown]
	s_movk_i32 s2, 0x1f8
	v_cmp_neq_f32_e64 s[66:67], v21, v9
	v_cmp_class_f32_e64 s[0:1], v21, s2
	s_or_b64 s[6:7], s[66:67], s[0:1]
	s_and_saveexec_b64 s[0:1], s[6:7]
	s_cbranch_execz .LBB372_66
; %bb.65:
	v_sub_f32_e32 v21, v21, v9
	s_mov_b32 s3, 0x3fb8aa3b
	v_mul_f32_e32 v22, 0x3fb8aa3b, v21
	v_fma_f32 v23, v21, s3, -v22
	v_rndne_f32_e32 v24, v22
	v_fmac_f32_e32 v23, 0x32a5705f, v21
	v_sub_f32_e32 v22, v22, v24
	v_add_f32_e32 v22, v22, v23
	v_exp_f32_e32 v22, v22
	v_cvt_i32_f32_e32 v23, v24
	s_mov_b32 s3, 0xc2ce8ed0
	v_cmp_ngt_f32_e64 s[66:67], s3, v21
	s_mov_b32 s3, 0x42b17218
	v_ldexp_f32 v22, v22, v23
	v_cndmask_b32_e64 v22, 0, v22, s[66:67]
	v_mov_b32_e32 v23, 0x7f800000
	v_cmp_nlt_f32_e64 s[66:67], s3, v21
	v_cndmask_b32_e64 v24, v23, v22, s[66:67]
	v_add_f32_e32 v25, 1.0, v24
	v_cvt_f64_f32_e32 v[21:22], v25
	v_add_f32_e32 v26, -1.0, v25
	v_sub_f32_e32 v27, v26, v25
	v_sub_f32_e32 v26, v24, v26
	v_frexp_exp_i32_f64_e32 v21, v[21:22]
	v_add_f32_e32 v22, 1.0, v27
	v_add_f32_e32 v22, v26, v22
	v_frexp_mant_f32_e32 v26, v25
	s_mov_b32 s6, 0x3f2aaaab
	v_cmp_gt_f32_e64 s[66:67], s6, v26
	s_mov_b32 s6, 0x3f317218
	s_mov_b32 s3, 0x7f800000
	v_subbrev_co_u32_e64 v21, s[66:67], 0, v21, s[66:67]
	v_sub_u32_e32 v26, 0, v21
	v_ldexp_f32 v25, v25, v26
	v_ldexp_f32 v22, v22, v26
	v_add_f32_e32 v26, -1.0, v25
	v_add_f32_e32 v31, 1.0, v25
	v_add_f32_e32 v27, 1.0, v26
	v_add_f32_e32 v32, -1.0, v31
	v_sub_f32_e32 v27, v25, v27
	v_sub_f32_e32 v25, v25, v32
	v_add_f32_e32 v27, v22, v27
	v_add_f32_e32 v22, v22, v25
	;; [unrolled: 1-line block ×3, first 2 shown]
	v_rcp_f32_e32 v32, v25
	v_add_f32_e32 v30, v26, v27
	v_sub_f32_e32 v26, v26, v30
	v_add_f32_e32 v26, v27, v26
	v_sub_f32_e32 v27, v31, v25
	v_add_f32_e32 v22, v22, v27
	v_mul_f32_e32 v27, v30, v32
	v_mul_f32_e32 v31, v25, v27
	v_fma_f32 v33, v27, v25, -v31
	v_fmac_f32_e32 v33, v27, v22
	v_add_f32_e32 v34, v31, v33
	v_sub_f32_e32 v35, v30, v34
	v_sub_f32_e32 v30, v30, v35
	;; [unrolled: 1-line block ×4, first 2 shown]
	v_add_f32_e32 v26, v26, v30
	v_sub_f32_e32 v30, v31, v33
	v_add_f32_e32 v26, v30, v26
	v_add_f32_e32 v30, v35, v26
	v_mul_f32_e32 v31, v32, v30
	v_mul_f32_e32 v33, v25, v31
	v_fma_f32 v25, v31, v25, -v33
	v_fmac_f32_e32 v25, v31, v22
	v_sub_f32_e32 v22, v35, v30
	v_add_f32_e32 v22, v26, v22
	v_add_f32_e32 v26, v33, v25
	v_sub_f32_e32 v34, v30, v26
	v_sub_f32_e32 v30, v30, v34
	;; [unrolled: 1-line block ×4, first 2 shown]
	v_add_f32_e32 v22, v22, v26
	v_sub_f32_e32 v25, v33, v25
	v_add_f32_e32 v22, v25, v22
	v_add_f32_e32 v25, v27, v31
	v_add_f32_e32 v22, v34, v22
	v_sub_f32_e32 v26, v25, v27
	v_mul_f32_e32 v22, v32, v22
	v_sub_f32_e32 v26, v31, v26
	v_add_f32_e32 v22, v26, v22
	v_cvt_f32_i32_e32 v21, v21
	v_add_f32_e32 v26, v25, v22
	v_mul_f32_e32 v27, v26, v26
	v_mov_b32_e32 v30, 0x3ecc95a3
	v_fmac_f32_e32 v30, 0x3e9b6dac, v27
	v_mov_b32_e32 v31, 0x3f2aaada
	v_fmac_f32_e32 v31, v27, v30
	v_mul_f32_e32 v30, 0x3f317218, v21
	v_fma_f32 v32, v21, s6, -v30
	v_fmac_f32_e32 v32, 0xb102e308, v21
	v_sub_f32_e32 v21, v26, v25
	v_sub_f32_e32 v21, v22, v21
	v_add_f32_e32 v22, v30, v32
	v_sub_f32_e32 v25, v22, v30
	v_ldexp_f32 v30, v26, 1
	v_mul_f32_e32 v26, v26, v27
	v_mul_f32_e32 v26, v26, v31
	v_add_f32_e32 v27, v30, v26
	v_sub_f32_e32 v30, v27, v30
	v_ldexp_f32 v21, v21, 1
	v_sub_f32_e32 v26, v26, v30
	v_add_f32_e32 v21, v21, v26
	v_add_f32_e32 v26, v27, v21
	v_sub_f32_e32 v27, v26, v27
	v_sub_f32_e32 v21, v21, v27
	v_add_f32_e32 v27, v22, v26
	v_sub_f32_e32 v30, v27, v22
	v_sub_f32_e32 v31, v27, v30
	;; [unrolled: 1-line block ×5, first 2 shown]
	v_add_f32_e32 v22, v26, v22
	v_add_f32_e32 v26, v25, v21
	v_sub_f32_e32 v30, v26, v25
	v_sub_f32_e32 v31, v26, v30
	;; [unrolled: 1-line block ×4, first 2 shown]
	v_add_f32_e32 v22, v26, v22
	v_add_f32_e32 v21, v21, v25
	;; [unrolled: 1-line block ×3, first 2 shown]
	v_sub_f32_e32 v26, v25, v27
	v_sub_f32_e32 v22, v22, v26
	v_add_f32_e32 v21, v21, v22
	v_add_f32_e32 v21, v25, v21
	v_cmp_neq_f32_e64 s[66:67], s3, v24
	s_mov_b32 s3, 0x33800000
	v_cndmask_b32_e64 v21, v23, v21, s[66:67]
	v_cmp_lt_f32_e64 s[66:67], |v24|, s3
	v_cndmask_b32_e64 v21, v21, v24, s[66:67]
	v_add_f32_e32 v9, v9, v21
	v_cvt_f16_f32_e32 v31, v9
	v_cvt_f32_f16_e32 v32, v31
	v_mov_b32_e32 v30, v31
.LBB372_66:
	s_or_b64 exec, exec, s[0:1]
	v_cvt_f32_f16_e32 v9, v10
	v_max_f32_e32 v21, v32, v32
	v_cmp_u_f16_e64 s[68:69], v31, v31
	v_cmp_u_f16_e64 s[66:67], v10, v10
	v_min_f32_e32 v22, v21, v9
	v_max_f32_e32 v21, v21, v9
	v_cndmask_b32_e64 v22, v22, v32, s[68:69]
	v_cndmask_b32_e64 v21, v21, v32, s[68:69]
	;; [unrolled: 1-line block ×4, first 2 shown]
	v_cmp_neq_f32_e64 s[68:69], v22, v21
	v_cmp_class_f32_e64 s[0:1], v22, s2
	s_or_b64 s[2:3], s[68:69], s[0:1]
	s_and_saveexec_b64 s[0:1], s[2:3]
	s_cbranch_execz .LBB372_68
; %bb.67:
	v_sub_f32_e32 v22, v22, v21
	s_mov_b32 s2, 0x3fb8aa3b
	v_mul_f32_e32 v23, 0x3fb8aa3b, v22
	v_fma_f32 v24, v22, s2, -v23
	v_rndne_f32_e32 v25, v23
	v_fmac_f32_e32 v24, 0x32a5705f, v22
	v_sub_f32_e32 v23, v23, v25
	v_add_f32_e32 v23, v23, v24
	v_exp_f32_e32 v23, v23
	v_cvt_i32_f32_e32 v24, v25
	s_mov_b32 s2, 0xc2ce8ed0
	v_cmp_ngt_f32_e64 s[68:69], s2, v22
	s_mov_b32 s2, 0x42b17218
	v_ldexp_f32 v23, v23, v24
	v_cndmask_b32_e64 v23, 0, v23, s[68:69]
	v_mov_b32_e32 v24, 0x7f800000
	v_cmp_nlt_f32_e64 s[68:69], s2, v22
	v_cndmask_b32_e64 v25, v24, v23, s[68:69]
	v_add_f32_e32 v26, 1.0, v25
	v_cvt_f64_f32_e32 v[22:23], v26
	v_add_f32_e32 v27, -1.0, v26
	v_sub_f32_e32 v30, v27, v26
	v_sub_f32_e32 v27, v25, v27
	v_frexp_exp_i32_f64_e32 v22, v[22:23]
	v_add_f32_e32 v23, 1.0, v30
	v_add_f32_e32 v23, v27, v23
	v_frexp_mant_f32_e32 v27, v26
	s_mov_b32 s3, 0x3f2aaaab
	v_cmp_gt_f32_e64 s[68:69], s3, v27
	s_mov_b32 s3, 0x3f317218
	s_mov_b32 s2, 0x7f800000
	v_subbrev_co_u32_e64 v22, s[68:69], 0, v22, s[68:69]
	v_sub_u32_e32 v27, 0, v22
	v_ldexp_f32 v26, v26, v27
	v_ldexp_f32 v23, v23, v27
	v_add_f32_e32 v27, -1.0, v26
	v_add_f32_e32 v32, 1.0, v26
	v_add_f32_e32 v30, 1.0, v27
	v_add_f32_e32 v33, -1.0, v32
	v_sub_f32_e32 v30, v26, v30
	v_sub_f32_e32 v26, v26, v33
	v_add_f32_e32 v30, v23, v30
	v_add_f32_e32 v23, v23, v26
	;; [unrolled: 1-line block ×3, first 2 shown]
	v_rcp_f32_e32 v33, v26
	v_add_f32_e32 v31, v27, v30
	v_sub_f32_e32 v27, v27, v31
	v_add_f32_e32 v27, v30, v27
	v_sub_f32_e32 v30, v32, v26
	v_add_f32_e32 v23, v23, v30
	v_mul_f32_e32 v30, v31, v33
	v_mul_f32_e32 v32, v26, v30
	v_fma_f32 v34, v30, v26, -v32
	v_fmac_f32_e32 v34, v30, v23
	v_add_f32_e32 v35, v32, v34
	v_sub_f32_e32 v36, v31, v35
	v_sub_f32_e32 v31, v31, v36
	;; [unrolled: 1-line block ×4, first 2 shown]
	v_add_f32_e32 v27, v27, v31
	v_sub_f32_e32 v31, v32, v34
	v_add_f32_e32 v27, v31, v27
	v_add_f32_e32 v31, v36, v27
	v_mul_f32_e32 v32, v33, v31
	v_mul_f32_e32 v34, v26, v32
	v_fma_f32 v26, v32, v26, -v34
	v_fmac_f32_e32 v26, v32, v23
	v_sub_f32_e32 v23, v36, v31
	v_add_f32_e32 v23, v27, v23
	v_add_f32_e32 v27, v34, v26
	v_sub_f32_e32 v35, v31, v27
	v_sub_f32_e32 v31, v31, v35
	;; [unrolled: 1-line block ×4, first 2 shown]
	v_add_f32_e32 v23, v23, v27
	v_sub_f32_e32 v26, v34, v26
	v_add_f32_e32 v23, v26, v23
	v_add_f32_e32 v26, v30, v32
	v_add_f32_e32 v23, v35, v23
	v_sub_f32_e32 v27, v26, v30
	v_mul_f32_e32 v23, v33, v23
	v_sub_f32_e32 v27, v32, v27
	v_add_f32_e32 v23, v27, v23
	v_cvt_f32_i32_e32 v22, v22
	v_add_f32_e32 v27, v26, v23
	v_mul_f32_e32 v30, v27, v27
	v_mov_b32_e32 v31, 0x3ecc95a3
	v_fmac_f32_e32 v31, 0x3e9b6dac, v30
	v_mov_b32_e32 v32, 0x3f2aaada
	v_fmac_f32_e32 v32, v30, v31
	v_mul_f32_e32 v31, 0x3f317218, v22
	v_fma_f32 v33, v22, s3, -v31
	v_fmac_f32_e32 v33, 0xb102e308, v22
	v_sub_f32_e32 v22, v27, v26
	v_sub_f32_e32 v22, v23, v22
	v_add_f32_e32 v23, v31, v33
	v_sub_f32_e32 v26, v23, v31
	v_ldexp_f32 v31, v27, 1
	v_mul_f32_e32 v27, v27, v30
	v_mul_f32_e32 v27, v27, v32
	v_add_f32_e32 v30, v31, v27
	v_sub_f32_e32 v31, v30, v31
	v_ldexp_f32 v22, v22, 1
	v_sub_f32_e32 v27, v27, v31
	v_add_f32_e32 v22, v22, v27
	v_add_f32_e32 v27, v30, v22
	v_sub_f32_e32 v30, v27, v30
	v_sub_f32_e32 v22, v22, v30
	v_add_f32_e32 v30, v23, v27
	v_sub_f32_e32 v31, v30, v23
	v_sub_f32_e32 v32, v30, v31
	;; [unrolled: 1-line block ×5, first 2 shown]
	v_add_f32_e32 v23, v27, v23
	v_add_f32_e32 v27, v26, v22
	v_sub_f32_e32 v31, v27, v26
	v_sub_f32_e32 v32, v27, v31
	;; [unrolled: 1-line block ×4, first 2 shown]
	v_add_f32_e32 v23, v27, v23
	v_add_f32_e32 v22, v22, v26
	;; [unrolled: 1-line block ×3, first 2 shown]
	v_sub_f32_e32 v27, v26, v30
	v_sub_f32_e32 v23, v23, v27
	v_add_f32_e32 v22, v22, v23
	v_add_f32_e32 v22, v26, v22
	v_cmp_neq_f32_e64 s[68:69], s2, v25
	s_mov_b32 s2, 0x33800000
	v_cndmask_b32_e64 v22, v24, v22, s[68:69]
	v_cmp_lt_f32_e64 s[68:69], |v25|, s2
	v_cndmask_b32_e64 v22, v22, v25, s[68:69]
	v_add_f32_e32 v21, v21, v22
	v_cvt_f16_f32_e32 v31, v21
	v_cvt_f32_f16_e32 v32, v31
	v_mov_b32_e32 v30, v31
.LBB372_68:
	s_or_b64 exec, exec, s[0:1]
	v_cvt_f32_f16_sdwa v21, v10 dst_sel:DWORD dst_unused:UNUSED_PAD src0_sel:WORD_1
	v_max_f32_e32 v23, v32, v32
	v_cmp_u_f16_e64 s[70:71], v31, v31
	v_cmp_u_f16_sdwa s[68:69], v10, v10 src0_sel:WORD_1 src1_sel:WORD_1
	v_min_f32_e32 v22, v23, v21
	v_max_f32_e32 v10, v23, v21
	v_cndmask_b32_e64 v22, v22, v32, s[70:71]
	v_cndmask_b32_e64 v10, v10, v32, s[70:71]
	;; [unrolled: 1-line block ×4, first 2 shown]
	s_movk_i32 s2, 0x1f8
	v_cmp_neq_f32_e64 s[70:71], v22, v10
	v_cmp_class_f32_e64 s[0:1], v22, s2
	s_or_b64 s[6:7], s[70:71], s[0:1]
	s_and_saveexec_b64 s[0:1], s[6:7]
	s_cbranch_execz .LBB372_70
; %bb.69:
	v_sub_f32_e32 v22, v22, v10
	s_mov_b32 s3, 0x3fb8aa3b
	v_mul_f32_e32 v23, 0x3fb8aa3b, v22
	v_fma_f32 v24, v22, s3, -v23
	v_rndne_f32_e32 v25, v23
	v_fmac_f32_e32 v24, 0x32a5705f, v22
	v_sub_f32_e32 v23, v23, v25
	v_add_f32_e32 v23, v23, v24
	v_exp_f32_e32 v23, v23
	v_cvt_i32_f32_e32 v24, v25
	s_mov_b32 s3, 0xc2ce8ed0
	v_cmp_ngt_f32_e64 s[70:71], s3, v22
	s_mov_b32 s3, 0x42b17218
	v_ldexp_f32 v23, v23, v24
	v_cndmask_b32_e64 v23, 0, v23, s[70:71]
	v_mov_b32_e32 v24, 0x7f800000
	v_cmp_nlt_f32_e64 s[70:71], s3, v22
	v_cndmask_b32_e64 v25, v24, v23, s[70:71]
	v_add_f32_e32 v26, 1.0, v25
	v_cvt_f64_f32_e32 v[22:23], v26
	v_add_f32_e32 v27, -1.0, v26
	v_sub_f32_e32 v30, v27, v26
	v_sub_f32_e32 v27, v25, v27
	v_frexp_exp_i32_f64_e32 v22, v[22:23]
	v_add_f32_e32 v23, 1.0, v30
	v_add_f32_e32 v23, v27, v23
	v_frexp_mant_f32_e32 v27, v26
	s_mov_b32 s6, 0x3f2aaaab
	v_cmp_gt_f32_e64 s[70:71], s6, v27
	s_mov_b32 s6, 0x3f317218
	s_mov_b32 s3, 0x7f800000
	v_subbrev_co_u32_e64 v22, s[70:71], 0, v22, s[70:71]
	v_sub_u32_e32 v27, 0, v22
	v_ldexp_f32 v26, v26, v27
	v_ldexp_f32 v23, v23, v27
	v_add_f32_e32 v27, -1.0, v26
	v_add_f32_e32 v32, 1.0, v26
	v_add_f32_e32 v30, 1.0, v27
	v_add_f32_e32 v33, -1.0, v32
	v_sub_f32_e32 v30, v26, v30
	v_sub_f32_e32 v26, v26, v33
	v_add_f32_e32 v30, v23, v30
	v_add_f32_e32 v23, v23, v26
	v_add_f32_e32 v26, v32, v23
	v_rcp_f32_e32 v33, v26
	v_add_f32_e32 v31, v27, v30
	v_sub_f32_e32 v27, v27, v31
	v_add_f32_e32 v27, v30, v27
	v_sub_f32_e32 v30, v32, v26
	v_add_f32_e32 v23, v23, v30
	v_mul_f32_e32 v30, v31, v33
	v_mul_f32_e32 v32, v26, v30
	v_fma_f32 v34, v30, v26, -v32
	v_fmac_f32_e32 v34, v30, v23
	v_add_f32_e32 v35, v32, v34
	v_sub_f32_e32 v36, v31, v35
	v_sub_f32_e32 v31, v31, v36
	;; [unrolled: 1-line block ×4, first 2 shown]
	v_add_f32_e32 v27, v27, v31
	v_sub_f32_e32 v31, v32, v34
	v_add_f32_e32 v27, v31, v27
	v_add_f32_e32 v31, v36, v27
	v_mul_f32_e32 v32, v33, v31
	v_mul_f32_e32 v34, v26, v32
	v_fma_f32 v26, v32, v26, -v34
	v_fmac_f32_e32 v26, v32, v23
	v_sub_f32_e32 v23, v36, v31
	v_add_f32_e32 v23, v27, v23
	v_add_f32_e32 v27, v34, v26
	v_sub_f32_e32 v35, v31, v27
	v_sub_f32_e32 v31, v31, v35
	;; [unrolled: 1-line block ×4, first 2 shown]
	v_add_f32_e32 v23, v23, v27
	v_sub_f32_e32 v26, v34, v26
	v_add_f32_e32 v23, v26, v23
	v_add_f32_e32 v26, v30, v32
	;; [unrolled: 1-line block ×3, first 2 shown]
	v_sub_f32_e32 v27, v26, v30
	v_mul_f32_e32 v23, v33, v23
	v_sub_f32_e32 v27, v32, v27
	v_add_f32_e32 v23, v27, v23
	v_cvt_f32_i32_e32 v22, v22
	v_add_f32_e32 v27, v26, v23
	v_mul_f32_e32 v30, v27, v27
	v_mov_b32_e32 v31, 0x3ecc95a3
	v_fmac_f32_e32 v31, 0x3e9b6dac, v30
	v_mov_b32_e32 v32, 0x3f2aaada
	v_fmac_f32_e32 v32, v30, v31
	v_mul_f32_e32 v31, 0x3f317218, v22
	v_fma_f32 v33, v22, s6, -v31
	v_fmac_f32_e32 v33, 0xb102e308, v22
	v_sub_f32_e32 v22, v27, v26
	v_sub_f32_e32 v22, v23, v22
	v_add_f32_e32 v23, v31, v33
	v_sub_f32_e32 v26, v23, v31
	v_ldexp_f32 v31, v27, 1
	v_mul_f32_e32 v27, v27, v30
	v_mul_f32_e32 v27, v27, v32
	v_add_f32_e32 v30, v31, v27
	v_sub_f32_e32 v31, v30, v31
	v_ldexp_f32 v22, v22, 1
	v_sub_f32_e32 v27, v27, v31
	v_add_f32_e32 v22, v22, v27
	v_add_f32_e32 v27, v30, v22
	v_sub_f32_e32 v30, v27, v30
	v_sub_f32_e32 v22, v22, v30
	v_add_f32_e32 v30, v23, v27
	v_sub_f32_e32 v31, v30, v23
	v_sub_f32_e32 v32, v30, v31
	;; [unrolled: 1-line block ×5, first 2 shown]
	v_add_f32_e32 v23, v27, v23
	v_add_f32_e32 v27, v26, v22
	v_sub_f32_e32 v31, v27, v26
	v_sub_f32_e32 v32, v27, v31
	;; [unrolled: 1-line block ×4, first 2 shown]
	v_add_f32_e32 v23, v27, v23
	v_add_f32_e32 v22, v22, v26
	;; [unrolled: 1-line block ×3, first 2 shown]
	v_sub_f32_e32 v27, v26, v30
	v_sub_f32_e32 v23, v23, v27
	v_add_f32_e32 v22, v22, v23
	v_add_f32_e32 v22, v26, v22
	v_cmp_neq_f32_e64 s[70:71], s3, v25
	s_mov_b32 s3, 0x33800000
	v_cndmask_b32_e64 v22, v24, v22, s[70:71]
	v_cmp_lt_f32_e64 s[70:71], |v25|, s3
	v_cndmask_b32_e64 v22, v22, v25, s[70:71]
	v_add_f32_e32 v10, v10, v22
	v_cvt_f16_f32_e32 v31, v10
	v_cvt_f32_f16_e32 v32, v31
	v_mov_b32_e32 v30, v31
.LBB372_70:
	s_or_b64 exec, exec, s[0:1]
	v_cvt_f32_f16_e32 v10, v11
	v_max_f32_e32 v22, v32, v32
	v_cmp_u_f16_e64 s[72:73], v31, v31
	v_cmp_u_f16_e64 s[70:71], v11, v11
	v_min_f32_e32 v23, v22, v10
	v_max_f32_e32 v22, v22, v10
	v_cndmask_b32_e64 v23, v23, v32, s[72:73]
	v_cndmask_b32_e64 v22, v22, v32, s[72:73]
	;; [unrolled: 1-line block ×4, first 2 shown]
	v_cmp_neq_f32_e64 s[72:73], v23, v22
	v_cmp_class_f32_e64 s[0:1], v23, s2
	s_or_b64 s[2:3], s[72:73], s[0:1]
	s_and_saveexec_b64 s[0:1], s[2:3]
	s_cbranch_execz .LBB372_72
; %bb.71:
	v_sub_f32_e32 v23, v23, v22
	s_mov_b32 s2, 0x3fb8aa3b
	v_mul_f32_e32 v24, 0x3fb8aa3b, v23
	v_fma_f32 v25, v23, s2, -v24
	v_rndne_f32_e32 v26, v24
	v_fmac_f32_e32 v25, 0x32a5705f, v23
	v_sub_f32_e32 v24, v24, v26
	v_add_f32_e32 v24, v24, v25
	v_exp_f32_e32 v24, v24
	v_cvt_i32_f32_e32 v25, v26
	s_mov_b32 s2, 0xc2ce8ed0
	v_cmp_ngt_f32_e64 s[72:73], s2, v23
	s_mov_b32 s2, 0x42b17218
	v_ldexp_f32 v24, v24, v25
	v_cndmask_b32_e64 v24, 0, v24, s[72:73]
	v_mov_b32_e32 v25, 0x7f800000
	v_cmp_nlt_f32_e64 s[72:73], s2, v23
	v_cndmask_b32_e64 v26, v25, v24, s[72:73]
	v_add_f32_e32 v27, 1.0, v26
	v_cvt_f64_f32_e32 v[23:24], v27
	v_add_f32_e32 v30, -1.0, v27
	v_sub_f32_e32 v31, v30, v27
	v_sub_f32_e32 v30, v26, v30
	v_frexp_exp_i32_f64_e32 v23, v[23:24]
	v_add_f32_e32 v24, 1.0, v31
	v_add_f32_e32 v24, v30, v24
	v_frexp_mant_f32_e32 v30, v27
	s_mov_b32 s3, 0x3f2aaaab
	v_cmp_gt_f32_e64 s[72:73], s3, v30
	s_mov_b32 s3, 0x3f317218
	s_mov_b32 s2, 0x7f800000
	v_subbrev_co_u32_e64 v23, s[72:73], 0, v23, s[72:73]
	v_sub_u32_e32 v30, 0, v23
	v_ldexp_f32 v27, v27, v30
	v_ldexp_f32 v24, v24, v30
	v_add_f32_e32 v30, -1.0, v27
	v_add_f32_e32 v33, 1.0, v27
	v_add_f32_e32 v31, 1.0, v30
	v_add_f32_e32 v34, -1.0, v33
	v_sub_f32_e32 v31, v27, v31
	v_sub_f32_e32 v27, v27, v34
	v_add_f32_e32 v31, v24, v31
	v_add_f32_e32 v24, v24, v27
	;; [unrolled: 1-line block ×3, first 2 shown]
	v_rcp_f32_e32 v34, v27
	v_add_f32_e32 v32, v30, v31
	v_sub_f32_e32 v30, v30, v32
	v_add_f32_e32 v30, v31, v30
	v_sub_f32_e32 v31, v33, v27
	v_add_f32_e32 v24, v24, v31
	v_mul_f32_e32 v31, v32, v34
	v_mul_f32_e32 v33, v27, v31
	v_fma_f32 v35, v31, v27, -v33
	v_fmac_f32_e32 v35, v31, v24
	v_add_f32_e32 v36, v33, v35
	v_sub_f32_e32 v37, v32, v36
	v_sub_f32_e32 v32, v32, v37
	;; [unrolled: 1-line block ×4, first 2 shown]
	v_add_f32_e32 v30, v30, v32
	v_sub_f32_e32 v32, v33, v35
	v_add_f32_e32 v30, v32, v30
	v_add_f32_e32 v32, v37, v30
	v_mul_f32_e32 v33, v34, v32
	v_mul_f32_e32 v35, v27, v33
	v_fma_f32 v27, v33, v27, -v35
	v_fmac_f32_e32 v27, v33, v24
	v_sub_f32_e32 v24, v37, v32
	v_add_f32_e32 v24, v30, v24
	v_add_f32_e32 v30, v35, v27
	v_sub_f32_e32 v36, v32, v30
	v_sub_f32_e32 v32, v32, v36
	;; [unrolled: 1-line block ×4, first 2 shown]
	v_add_f32_e32 v24, v24, v30
	v_sub_f32_e32 v27, v35, v27
	v_add_f32_e32 v24, v27, v24
	v_add_f32_e32 v27, v31, v33
	;; [unrolled: 1-line block ×3, first 2 shown]
	v_sub_f32_e32 v30, v27, v31
	v_mul_f32_e32 v24, v34, v24
	v_sub_f32_e32 v30, v33, v30
	v_add_f32_e32 v24, v30, v24
	v_cvt_f32_i32_e32 v23, v23
	v_add_f32_e32 v30, v27, v24
	v_mul_f32_e32 v31, v30, v30
	v_mov_b32_e32 v32, 0x3ecc95a3
	v_fmac_f32_e32 v32, 0x3e9b6dac, v31
	v_mov_b32_e32 v33, 0x3f2aaada
	v_fmac_f32_e32 v33, v31, v32
	v_mul_f32_e32 v32, 0x3f317218, v23
	v_fma_f32 v34, v23, s3, -v32
	v_fmac_f32_e32 v34, 0xb102e308, v23
	v_sub_f32_e32 v23, v30, v27
	v_sub_f32_e32 v23, v24, v23
	v_add_f32_e32 v24, v32, v34
	v_sub_f32_e32 v27, v24, v32
	v_ldexp_f32 v32, v30, 1
	v_mul_f32_e32 v30, v30, v31
	v_mul_f32_e32 v30, v30, v33
	v_add_f32_e32 v31, v32, v30
	v_sub_f32_e32 v32, v31, v32
	v_ldexp_f32 v23, v23, 1
	v_sub_f32_e32 v30, v30, v32
	v_add_f32_e32 v23, v23, v30
	v_add_f32_e32 v30, v31, v23
	v_sub_f32_e32 v31, v30, v31
	v_sub_f32_e32 v23, v23, v31
	v_add_f32_e32 v31, v24, v30
	v_sub_f32_e32 v32, v31, v24
	v_sub_f32_e32 v33, v31, v32
	;; [unrolled: 1-line block ×5, first 2 shown]
	v_add_f32_e32 v24, v30, v24
	v_add_f32_e32 v30, v27, v23
	v_sub_f32_e32 v32, v30, v27
	v_sub_f32_e32 v33, v30, v32
	;; [unrolled: 1-line block ×4, first 2 shown]
	v_add_f32_e32 v24, v30, v24
	v_add_f32_e32 v23, v23, v27
	;; [unrolled: 1-line block ×3, first 2 shown]
	v_sub_f32_e32 v30, v27, v31
	v_sub_f32_e32 v24, v24, v30
	v_add_f32_e32 v23, v23, v24
	v_add_f32_e32 v23, v27, v23
	v_cmp_neq_f32_e64 s[72:73], s2, v26
	s_mov_b32 s2, 0x33800000
	v_cndmask_b32_e64 v23, v25, v23, s[72:73]
	v_cmp_lt_f32_e64 s[72:73], |v26|, s2
	v_cndmask_b32_e64 v23, v23, v26, s[72:73]
	v_add_f32_e32 v22, v22, v23
	v_cvt_f16_f32_e32 v31, v22
	v_cvt_f32_f16_e32 v32, v31
	v_mov_b32_e32 v30, v31
.LBB372_72:
	s_or_b64 exec, exec, s[0:1]
	v_cvt_f32_f16_sdwa v22, v11 dst_sel:DWORD dst_unused:UNUSED_PAD src0_sel:WORD_1
	v_max_f32_e32 v24, v32, v32
	v_cmp_u_f16_e64 s[74:75], v31, v31
	v_cmp_u_f16_sdwa s[72:73], v11, v11 src0_sel:WORD_1 src1_sel:WORD_1
	v_min_f32_e32 v23, v24, v22
	v_max_f32_e32 v11, v24, v22
	v_cndmask_b32_e64 v23, v23, v32, s[74:75]
	v_cndmask_b32_e64 v11, v11, v32, s[74:75]
	;; [unrolled: 1-line block ×4, first 2 shown]
	s_movk_i32 s2, 0x1f8
	v_cmp_neq_f32_e64 s[74:75], v23, v11
	v_cmp_class_f32_e64 s[0:1], v23, s2
	s_or_b64 s[6:7], s[74:75], s[0:1]
	s_and_saveexec_b64 s[0:1], s[6:7]
	s_cbranch_execz .LBB372_74
; %bb.73:
	v_sub_f32_e32 v23, v23, v11
	s_mov_b32 s3, 0x3fb8aa3b
	v_mul_f32_e32 v24, 0x3fb8aa3b, v23
	v_fma_f32 v25, v23, s3, -v24
	v_rndne_f32_e32 v26, v24
	v_fmac_f32_e32 v25, 0x32a5705f, v23
	v_sub_f32_e32 v24, v24, v26
	v_add_f32_e32 v24, v24, v25
	v_exp_f32_e32 v24, v24
	v_cvt_i32_f32_e32 v25, v26
	s_mov_b32 s3, 0xc2ce8ed0
	v_cmp_ngt_f32_e64 s[74:75], s3, v23
	s_mov_b32 s3, 0x42b17218
	v_ldexp_f32 v24, v24, v25
	v_cndmask_b32_e64 v24, 0, v24, s[74:75]
	v_mov_b32_e32 v25, 0x7f800000
	v_cmp_nlt_f32_e64 s[74:75], s3, v23
	v_cndmask_b32_e64 v26, v25, v24, s[74:75]
	v_add_f32_e32 v27, 1.0, v26
	v_cvt_f64_f32_e32 v[23:24], v27
	v_add_f32_e32 v30, -1.0, v27
	v_sub_f32_e32 v31, v30, v27
	v_sub_f32_e32 v30, v26, v30
	v_frexp_exp_i32_f64_e32 v23, v[23:24]
	v_add_f32_e32 v24, 1.0, v31
	v_add_f32_e32 v24, v30, v24
	v_frexp_mant_f32_e32 v30, v27
	s_mov_b32 s6, 0x3f2aaaab
	v_cmp_gt_f32_e64 s[74:75], s6, v30
	s_mov_b32 s6, 0x3f317218
	s_mov_b32 s3, 0x7f800000
	v_subbrev_co_u32_e64 v23, s[74:75], 0, v23, s[74:75]
	v_sub_u32_e32 v30, 0, v23
	v_ldexp_f32 v27, v27, v30
	v_ldexp_f32 v24, v24, v30
	v_add_f32_e32 v30, -1.0, v27
	v_add_f32_e32 v33, 1.0, v27
	v_add_f32_e32 v31, 1.0, v30
	v_add_f32_e32 v34, -1.0, v33
	v_sub_f32_e32 v31, v27, v31
	v_sub_f32_e32 v27, v27, v34
	v_add_f32_e32 v31, v24, v31
	v_add_f32_e32 v24, v24, v27
	;; [unrolled: 1-line block ×3, first 2 shown]
	v_rcp_f32_e32 v34, v27
	v_add_f32_e32 v32, v30, v31
	v_sub_f32_e32 v30, v30, v32
	v_add_f32_e32 v30, v31, v30
	v_sub_f32_e32 v31, v33, v27
	v_add_f32_e32 v24, v24, v31
	v_mul_f32_e32 v31, v32, v34
	v_mul_f32_e32 v33, v27, v31
	v_fma_f32 v35, v31, v27, -v33
	v_fmac_f32_e32 v35, v31, v24
	v_add_f32_e32 v36, v33, v35
	v_sub_f32_e32 v37, v32, v36
	v_sub_f32_e32 v32, v32, v37
	v_sub_f32_e32 v33, v36, v33
	v_sub_f32_e32 v32, v32, v36
	v_add_f32_e32 v30, v30, v32
	v_sub_f32_e32 v32, v33, v35
	v_add_f32_e32 v30, v32, v30
	v_add_f32_e32 v32, v37, v30
	v_mul_f32_e32 v33, v34, v32
	v_mul_f32_e32 v35, v27, v33
	v_fma_f32 v27, v33, v27, -v35
	v_fmac_f32_e32 v27, v33, v24
	v_sub_f32_e32 v24, v37, v32
	v_add_f32_e32 v24, v30, v24
	v_add_f32_e32 v30, v35, v27
	v_sub_f32_e32 v36, v32, v30
	v_sub_f32_e32 v32, v32, v36
	;; [unrolled: 1-line block ×4, first 2 shown]
	v_add_f32_e32 v24, v24, v30
	v_sub_f32_e32 v27, v35, v27
	v_add_f32_e32 v24, v27, v24
	v_add_f32_e32 v27, v31, v33
	;; [unrolled: 1-line block ×3, first 2 shown]
	v_sub_f32_e32 v30, v27, v31
	v_mul_f32_e32 v24, v34, v24
	v_sub_f32_e32 v30, v33, v30
	v_add_f32_e32 v24, v30, v24
	v_cvt_f32_i32_e32 v23, v23
	v_add_f32_e32 v30, v27, v24
	v_mul_f32_e32 v31, v30, v30
	v_mov_b32_e32 v32, 0x3ecc95a3
	v_fmac_f32_e32 v32, 0x3e9b6dac, v31
	v_mov_b32_e32 v33, 0x3f2aaada
	v_fmac_f32_e32 v33, v31, v32
	v_mul_f32_e32 v32, 0x3f317218, v23
	v_fma_f32 v34, v23, s6, -v32
	v_fmac_f32_e32 v34, 0xb102e308, v23
	v_sub_f32_e32 v23, v30, v27
	v_sub_f32_e32 v23, v24, v23
	v_add_f32_e32 v24, v32, v34
	v_sub_f32_e32 v27, v24, v32
	v_ldexp_f32 v32, v30, 1
	v_mul_f32_e32 v30, v30, v31
	v_mul_f32_e32 v30, v30, v33
	v_add_f32_e32 v31, v32, v30
	v_sub_f32_e32 v32, v31, v32
	v_ldexp_f32 v23, v23, 1
	v_sub_f32_e32 v30, v30, v32
	v_add_f32_e32 v23, v23, v30
	v_add_f32_e32 v30, v31, v23
	v_sub_f32_e32 v31, v30, v31
	v_sub_f32_e32 v23, v23, v31
	v_add_f32_e32 v31, v24, v30
	v_sub_f32_e32 v32, v31, v24
	v_sub_f32_e32 v33, v31, v32
	;; [unrolled: 1-line block ×5, first 2 shown]
	v_add_f32_e32 v24, v30, v24
	v_add_f32_e32 v30, v27, v23
	v_sub_f32_e32 v32, v30, v27
	v_sub_f32_e32 v33, v30, v32
	;; [unrolled: 1-line block ×4, first 2 shown]
	v_add_f32_e32 v24, v30, v24
	v_add_f32_e32 v23, v23, v27
	;; [unrolled: 1-line block ×3, first 2 shown]
	v_sub_f32_e32 v30, v27, v31
	v_sub_f32_e32 v24, v24, v30
	v_add_f32_e32 v23, v23, v24
	v_add_f32_e32 v23, v27, v23
	v_cmp_neq_f32_e64 s[74:75], s3, v26
	s_mov_b32 s3, 0x33800000
	v_cndmask_b32_e64 v23, v25, v23, s[74:75]
	v_cmp_lt_f32_e64 s[74:75], |v26|, s3
	v_cndmask_b32_e64 v23, v23, v26, s[74:75]
	v_add_f32_e32 v11, v11, v23
	v_cvt_f16_f32_e32 v31, v11
	v_cvt_f32_f16_e32 v32, v31
	v_mov_b32_e32 v30, v31
.LBB372_74:
	s_or_b64 exec, exec, s[0:1]
	v_cvt_f32_f16_e32 v11, v12
	v_max_f32_e32 v23, v32, v32
	v_cmp_u_f16_e64 s[76:77], v31, v31
	v_cmp_u_f16_e64 s[74:75], v12, v12
	v_min_f32_e32 v24, v23, v11
	v_max_f32_e32 v23, v23, v11
	v_cndmask_b32_e64 v24, v24, v32, s[76:77]
	v_cndmask_b32_e64 v23, v23, v32, s[76:77]
	v_cndmask_b32_e64 v24, v24, v11, s[74:75]
	v_cndmask_b32_e64 v23, v23, v11, s[74:75]
	v_cmp_neq_f32_e64 s[76:77], v24, v23
	v_cmp_class_f32_e64 s[0:1], v24, s2
	s_or_b64 s[2:3], s[76:77], s[0:1]
	s_and_saveexec_b64 s[0:1], s[2:3]
	s_cbranch_execz .LBB372_76
; %bb.75:
	v_sub_f32_e32 v24, v24, v23
	s_mov_b32 s2, 0x3fb8aa3b
	v_mul_f32_e32 v25, 0x3fb8aa3b, v24
	v_fma_f32 v26, v24, s2, -v25
	v_rndne_f32_e32 v27, v25
	v_fmac_f32_e32 v26, 0x32a5705f, v24
	v_sub_f32_e32 v25, v25, v27
	v_add_f32_e32 v25, v25, v26
	v_exp_f32_e32 v25, v25
	v_cvt_i32_f32_e32 v26, v27
	s_mov_b32 s2, 0xc2ce8ed0
	v_cmp_ngt_f32_e64 s[76:77], s2, v24
	s_mov_b32 s2, 0x42b17218
	v_ldexp_f32 v25, v25, v26
	v_cndmask_b32_e64 v25, 0, v25, s[76:77]
	v_mov_b32_e32 v26, 0x7f800000
	v_cmp_nlt_f32_e64 s[76:77], s2, v24
	v_cndmask_b32_e64 v27, v26, v25, s[76:77]
	v_add_f32_e32 v30, 1.0, v27
	v_cvt_f64_f32_e32 v[24:25], v30
	v_add_f32_e32 v31, -1.0, v30
	v_sub_f32_e32 v32, v31, v30
	v_sub_f32_e32 v31, v27, v31
	v_frexp_exp_i32_f64_e32 v24, v[24:25]
	v_add_f32_e32 v25, 1.0, v32
	v_add_f32_e32 v25, v31, v25
	v_frexp_mant_f32_e32 v31, v30
	s_mov_b32 s3, 0x3f2aaaab
	v_cmp_gt_f32_e64 s[76:77], s3, v31
	s_mov_b32 s3, 0x3f317218
	s_mov_b32 s2, 0x7f800000
	v_subbrev_co_u32_e64 v24, s[76:77], 0, v24, s[76:77]
	v_sub_u32_e32 v31, 0, v24
	v_ldexp_f32 v30, v30, v31
	v_ldexp_f32 v25, v25, v31
	v_add_f32_e32 v31, -1.0, v30
	v_add_f32_e32 v34, 1.0, v30
	v_add_f32_e32 v32, 1.0, v31
	v_add_f32_e32 v35, -1.0, v34
	v_sub_f32_e32 v32, v30, v32
	v_sub_f32_e32 v30, v30, v35
	v_add_f32_e32 v32, v25, v32
	v_add_f32_e32 v25, v25, v30
	;; [unrolled: 1-line block ×3, first 2 shown]
	v_rcp_f32_e32 v35, v30
	v_add_f32_e32 v33, v31, v32
	v_sub_f32_e32 v31, v31, v33
	v_add_f32_e32 v31, v32, v31
	v_sub_f32_e32 v32, v34, v30
	v_add_f32_e32 v25, v25, v32
	v_mul_f32_e32 v32, v33, v35
	v_mul_f32_e32 v34, v30, v32
	v_fma_f32 v36, v32, v30, -v34
	v_fmac_f32_e32 v36, v32, v25
	v_add_f32_e32 v37, v34, v36
	v_sub_f32_e32 v38, v33, v37
	v_sub_f32_e32 v33, v33, v38
	;; [unrolled: 1-line block ×4, first 2 shown]
	v_add_f32_e32 v31, v31, v33
	v_sub_f32_e32 v33, v34, v36
	v_add_f32_e32 v31, v33, v31
	v_add_f32_e32 v33, v38, v31
	v_mul_f32_e32 v34, v35, v33
	v_mul_f32_e32 v36, v30, v34
	v_fma_f32 v30, v34, v30, -v36
	v_fmac_f32_e32 v30, v34, v25
	v_sub_f32_e32 v25, v38, v33
	v_add_f32_e32 v25, v31, v25
	v_add_f32_e32 v31, v36, v30
	v_sub_f32_e32 v37, v33, v31
	v_sub_f32_e32 v33, v33, v37
	;; [unrolled: 1-line block ×4, first 2 shown]
	v_add_f32_e32 v25, v25, v31
	v_sub_f32_e32 v30, v36, v30
	v_add_f32_e32 v25, v30, v25
	v_add_f32_e32 v30, v32, v34
	;; [unrolled: 1-line block ×3, first 2 shown]
	v_sub_f32_e32 v31, v30, v32
	v_mul_f32_e32 v25, v35, v25
	v_sub_f32_e32 v31, v34, v31
	v_add_f32_e32 v25, v31, v25
	v_cvt_f32_i32_e32 v24, v24
	v_add_f32_e32 v31, v30, v25
	v_mul_f32_e32 v32, v31, v31
	v_mov_b32_e32 v33, 0x3ecc95a3
	v_fmac_f32_e32 v33, 0x3e9b6dac, v32
	v_mov_b32_e32 v34, 0x3f2aaada
	v_fmac_f32_e32 v34, v32, v33
	v_mul_f32_e32 v33, 0x3f317218, v24
	v_fma_f32 v35, v24, s3, -v33
	v_fmac_f32_e32 v35, 0xb102e308, v24
	v_sub_f32_e32 v24, v31, v30
	v_sub_f32_e32 v24, v25, v24
	v_add_f32_e32 v25, v33, v35
	v_sub_f32_e32 v30, v25, v33
	v_ldexp_f32 v33, v31, 1
	v_mul_f32_e32 v31, v31, v32
	v_mul_f32_e32 v31, v31, v34
	v_add_f32_e32 v32, v33, v31
	v_sub_f32_e32 v33, v32, v33
	v_ldexp_f32 v24, v24, 1
	v_sub_f32_e32 v31, v31, v33
	v_add_f32_e32 v24, v24, v31
	v_add_f32_e32 v31, v32, v24
	v_sub_f32_e32 v32, v31, v32
	v_sub_f32_e32 v24, v24, v32
	v_add_f32_e32 v32, v25, v31
	v_sub_f32_e32 v33, v32, v25
	v_sub_f32_e32 v34, v32, v33
	;; [unrolled: 1-line block ×5, first 2 shown]
	v_add_f32_e32 v25, v31, v25
	v_add_f32_e32 v31, v30, v24
	v_sub_f32_e32 v33, v31, v30
	v_sub_f32_e32 v34, v31, v33
	;; [unrolled: 1-line block ×4, first 2 shown]
	v_add_f32_e32 v25, v31, v25
	v_add_f32_e32 v24, v24, v30
	;; [unrolled: 1-line block ×3, first 2 shown]
	v_sub_f32_e32 v31, v30, v32
	v_sub_f32_e32 v25, v25, v31
	v_add_f32_e32 v24, v24, v25
	v_add_f32_e32 v24, v30, v24
	v_cmp_neq_f32_e64 s[76:77], s2, v27
	s_mov_b32 s2, 0x33800000
	v_cndmask_b32_e64 v24, v26, v24, s[76:77]
	v_cmp_lt_f32_e64 s[76:77], |v27|, s2
	v_cndmask_b32_e64 v24, v24, v27, s[76:77]
	v_add_f32_e32 v23, v23, v24
	v_cvt_f16_f32_e32 v31, v23
	v_cvt_f32_f16_e32 v32, v31
	v_mov_b32_e32 v30, v31
.LBB372_76:
	s_or_b64 exec, exec, s[0:1]
	v_cvt_f32_f16_sdwa v23, v12 dst_sel:DWORD dst_unused:UNUSED_PAD src0_sel:WORD_1
	v_max_f32_e32 v25, v32, v32
	v_cmp_u_f16_e64 s[78:79], v31, v31
	v_cmp_u_f16_sdwa s[76:77], v12, v12 src0_sel:WORD_1 src1_sel:WORD_1
	v_min_f32_e32 v24, v25, v23
	v_max_f32_e32 v12, v25, v23
	v_cndmask_b32_e64 v24, v24, v32, s[78:79]
	v_cndmask_b32_e64 v12, v12, v32, s[78:79]
	;; [unrolled: 1-line block ×4, first 2 shown]
	s_movk_i32 s2, 0x1f8
	v_cmp_neq_f32_e64 s[78:79], v24, v12
	v_cmp_class_f32_e64 s[0:1], v24, s2
	s_or_b64 s[6:7], s[78:79], s[0:1]
	s_and_saveexec_b64 s[0:1], s[6:7]
	s_cbranch_execz .LBB372_78
; %bb.77:
	v_sub_f32_e32 v24, v24, v12
	s_mov_b32 s3, 0x3fb8aa3b
	v_mul_f32_e32 v25, 0x3fb8aa3b, v24
	v_fma_f32 v26, v24, s3, -v25
	v_rndne_f32_e32 v27, v25
	v_fmac_f32_e32 v26, 0x32a5705f, v24
	v_sub_f32_e32 v25, v25, v27
	v_add_f32_e32 v25, v25, v26
	v_exp_f32_e32 v25, v25
	v_cvt_i32_f32_e32 v26, v27
	s_mov_b32 s3, 0xc2ce8ed0
	v_cmp_ngt_f32_e64 s[78:79], s3, v24
	s_mov_b32 s3, 0x42b17218
	v_ldexp_f32 v25, v25, v26
	v_cndmask_b32_e64 v25, 0, v25, s[78:79]
	v_mov_b32_e32 v26, 0x7f800000
	v_cmp_nlt_f32_e64 s[78:79], s3, v24
	v_cndmask_b32_e64 v27, v26, v25, s[78:79]
	v_add_f32_e32 v30, 1.0, v27
	v_cvt_f64_f32_e32 v[24:25], v30
	v_add_f32_e32 v31, -1.0, v30
	v_sub_f32_e32 v32, v31, v30
	v_sub_f32_e32 v31, v27, v31
	v_frexp_exp_i32_f64_e32 v24, v[24:25]
	v_add_f32_e32 v25, 1.0, v32
	v_add_f32_e32 v25, v31, v25
	v_frexp_mant_f32_e32 v31, v30
	s_mov_b32 s6, 0x3f2aaaab
	v_cmp_gt_f32_e64 s[78:79], s6, v31
	s_mov_b32 s6, 0x3f317218
	s_mov_b32 s3, 0x7f800000
	v_subbrev_co_u32_e64 v24, s[78:79], 0, v24, s[78:79]
	v_sub_u32_e32 v31, 0, v24
	v_ldexp_f32 v30, v30, v31
	v_ldexp_f32 v25, v25, v31
	v_add_f32_e32 v31, -1.0, v30
	v_add_f32_e32 v34, 1.0, v30
	v_add_f32_e32 v32, 1.0, v31
	v_add_f32_e32 v35, -1.0, v34
	v_sub_f32_e32 v32, v30, v32
	v_sub_f32_e32 v30, v30, v35
	v_add_f32_e32 v32, v25, v32
	v_add_f32_e32 v25, v25, v30
	;; [unrolled: 1-line block ×3, first 2 shown]
	v_rcp_f32_e32 v35, v30
	v_add_f32_e32 v33, v31, v32
	v_sub_f32_e32 v31, v31, v33
	v_add_f32_e32 v31, v32, v31
	v_sub_f32_e32 v32, v34, v30
	v_add_f32_e32 v25, v25, v32
	v_mul_f32_e32 v32, v33, v35
	v_mul_f32_e32 v34, v30, v32
	v_fma_f32 v36, v32, v30, -v34
	v_fmac_f32_e32 v36, v32, v25
	v_add_f32_e32 v37, v34, v36
	v_sub_f32_e32 v38, v33, v37
	v_sub_f32_e32 v33, v33, v38
	v_sub_f32_e32 v34, v37, v34
	v_sub_f32_e32 v33, v33, v37
	v_add_f32_e32 v31, v31, v33
	v_sub_f32_e32 v33, v34, v36
	v_add_f32_e32 v31, v33, v31
	v_add_f32_e32 v33, v38, v31
	v_mul_f32_e32 v34, v35, v33
	v_mul_f32_e32 v36, v30, v34
	v_fma_f32 v30, v34, v30, -v36
	v_fmac_f32_e32 v30, v34, v25
	v_sub_f32_e32 v25, v38, v33
	v_add_f32_e32 v25, v31, v25
	v_add_f32_e32 v31, v36, v30
	v_sub_f32_e32 v37, v33, v31
	v_sub_f32_e32 v33, v33, v37
	;; [unrolled: 1-line block ×4, first 2 shown]
	v_add_f32_e32 v25, v25, v31
	v_sub_f32_e32 v30, v36, v30
	v_add_f32_e32 v25, v30, v25
	v_add_f32_e32 v30, v32, v34
	;; [unrolled: 1-line block ×3, first 2 shown]
	v_sub_f32_e32 v31, v30, v32
	v_mul_f32_e32 v25, v35, v25
	v_sub_f32_e32 v31, v34, v31
	v_add_f32_e32 v25, v31, v25
	v_cvt_f32_i32_e32 v24, v24
	v_add_f32_e32 v31, v30, v25
	v_mul_f32_e32 v32, v31, v31
	v_mov_b32_e32 v33, 0x3ecc95a3
	v_fmac_f32_e32 v33, 0x3e9b6dac, v32
	v_mov_b32_e32 v34, 0x3f2aaada
	v_fmac_f32_e32 v34, v32, v33
	v_mul_f32_e32 v33, 0x3f317218, v24
	v_fma_f32 v35, v24, s6, -v33
	v_fmac_f32_e32 v35, 0xb102e308, v24
	v_sub_f32_e32 v24, v31, v30
	v_sub_f32_e32 v24, v25, v24
	v_add_f32_e32 v25, v33, v35
	v_sub_f32_e32 v30, v25, v33
	v_ldexp_f32 v33, v31, 1
	v_mul_f32_e32 v31, v31, v32
	v_mul_f32_e32 v31, v31, v34
	v_add_f32_e32 v32, v33, v31
	v_sub_f32_e32 v33, v32, v33
	v_ldexp_f32 v24, v24, 1
	v_sub_f32_e32 v31, v31, v33
	v_add_f32_e32 v24, v24, v31
	v_add_f32_e32 v31, v32, v24
	v_sub_f32_e32 v32, v31, v32
	v_sub_f32_e32 v24, v24, v32
	v_add_f32_e32 v32, v25, v31
	v_sub_f32_e32 v33, v32, v25
	v_sub_f32_e32 v34, v32, v33
	;; [unrolled: 1-line block ×5, first 2 shown]
	v_add_f32_e32 v25, v31, v25
	v_add_f32_e32 v31, v30, v24
	v_sub_f32_e32 v33, v31, v30
	v_sub_f32_e32 v34, v31, v33
	;; [unrolled: 1-line block ×4, first 2 shown]
	v_add_f32_e32 v25, v31, v25
	v_add_f32_e32 v24, v24, v30
	;; [unrolled: 1-line block ×3, first 2 shown]
	v_sub_f32_e32 v31, v30, v32
	v_sub_f32_e32 v25, v25, v31
	v_add_f32_e32 v24, v24, v25
	v_add_f32_e32 v24, v30, v24
	v_cmp_neq_f32_e64 s[78:79], s3, v27
	s_mov_b32 s3, 0x33800000
	v_cndmask_b32_e64 v24, v26, v24, s[78:79]
	v_cmp_lt_f32_e64 s[78:79], |v27|, s3
	v_cndmask_b32_e64 v24, v24, v27, s[78:79]
	v_add_f32_e32 v12, v12, v24
	v_cvt_f16_f32_e32 v31, v12
	v_cvt_f32_f16_e32 v32, v31
	v_mov_b32_e32 v30, v31
.LBB372_78:
	s_or_b64 exec, exec, s[0:1]
	v_cvt_f32_f16_e32 v12, v5
	v_max_f32_e32 v24, v32, v32
	v_cmp_u_f16_e64 s[80:81], v31, v31
	v_cmp_u_f16_e64 s[78:79], v5, v5
	v_min_f32_e32 v25, v24, v12
	v_max_f32_e32 v24, v24, v12
	v_cndmask_b32_e64 v25, v25, v32, s[80:81]
	v_cndmask_b32_e64 v24, v24, v32, s[80:81]
	;; [unrolled: 1-line block ×4, first 2 shown]
	v_cmp_neq_f32_e64 s[80:81], v25, v24
	v_cmp_class_f32_e64 s[0:1], v25, s2
	s_or_b64 s[2:3], s[80:81], s[0:1]
	s_and_saveexec_b64 s[0:1], s[2:3]
	s_cbranch_execz .LBB372_80
; %bb.79:
	v_sub_f32_e32 v25, v25, v24
	s_mov_b32 s2, 0x3fb8aa3b
	v_mul_f32_e32 v26, 0x3fb8aa3b, v25
	v_fma_f32 v27, v25, s2, -v26
	v_rndne_f32_e32 v30, v26
	v_fmac_f32_e32 v27, 0x32a5705f, v25
	v_sub_f32_e32 v26, v26, v30
	v_add_f32_e32 v26, v26, v27
	v_exp_f32_e32 v26, v26
	v_cvt_i32_f32_e32 v27, v30
	s_mov_b32 s2, 0xc2ce8ed0
	v_cmp_ngt_f32_e64 s[80:81], s2, v25
	s_mov_b32 s2, 0x42b17218
	v_ldexp_f32 v26, v26, v27
	v_cndmask_b32_e64 v26, 0, v26, s[80:81]
	v_mov_b32_e32 v27, 0x7f800000
	v_cmp_nlt_f32_e64 s[80:81], s2, v25
	v_cndmask_b32_e64 v30, v27, v26, s[80:81]
	v_add_f32_e32 v31, 1.0, v30
	v_cvt_f64_f32_e32 v[25:26], v31
	v_add_f32_e32 v32, -1.0, v31
	v_sub_f32_e32 v33, v32, v31
	v_sub_f32_e32 v32, v30, v32
	v_frexp_exp_i32_f64_e32 v25, v[25:26]
	v_add_f32_e32 v26, 1.0, v33
	v_add_f32_e32 v26, v32, v26
	v_frexp_mant_f32_e32 v32, v31
	s_mov_b32 s3, 0x3f2aaaab
	v_cmp_gt_f32_e64 s[80:81], s3, v32
	s_mov_b32 s3, 0x3f317218
	s_mov_b32 s2, 0x7f800000
	v_subbrev_co_u32_e64 v25, s[80:81], 0, v25, s[80:81]
	v_sub_u32_e32 v32, 0, v25
	v_ldexp_f32 v31, v31, v32
	v_ldexp_f32 v26, v26, v32
	v_add_f32_e32 v32, -1.0, v31
	v_add_f32_e32 v35, 1.0, v31
	v_add_f32_e32 v33, 1.0, v32
	v_add_f32_e32 v36, -1.0, v35
	v_sub_f32_e32 v33, v31, v33
	v_sub_f32_e32 v31, v31, v36
	v_add_f32_e32 v33, v26, v33
	v_add_f32_e32 v26, v26, v31
	;; [unrolled: 1-line block ×3, first 2 shown]
	v_rcp_f32_e32 v36, v31
	v_add_f32_e32 v34, v32, v33
	v_sub_f32_e32 v32, v32, v34
	v_add_f32_e32 v32, v33, v32
	v_sub_f32_e32 v33, v35, v31
	v_add_f32_e32 v26, v26, v33
	v_mul_f32_e32 v33, v34, v36
	v_mul_f32_e32 v35, v31, v33
	v_fma_f32 v37, v33, v31, -v35
	v_fmac_f32_e32 v37, v33, v26
	v_add_f32_e32 v38, v35, v37
	v_sub_f32_e32 v39, v34, v38
	v_sub_f32_e32 v34, v34, v39
	;; [unrolled: 1-line block ×4, first 2 shown]
	v_add_f32_e32 v32, v32, v34
	v_sub_f32_e32 v34, v35, v37
	v_add_f32_e32 v32, v34, v32
	v_add_f32_e32 v34, v39, v32
	v_mul_f32_e32 v35, v36, v34
	v_mul_f32_e32 v37, v31, v35
	v_fma_f32 v31, v35, v31, -v37
	v_fmac_f32_e32 v31, v35, v26
	v_sub_f32_e32 v26, v39, v34
	v_add_f32_e32 v26, v32, v26
	v_add_f32_e32 v32, v37, v31
	v_sub_f32_e32 v38, v34, v32
	v_sub_f32_e32 v34, v34, v38
	;; [unrolled: 1-line block ×4, first 2 shown]
	v_add_f32_e32 v26, v26, v32
	v_sub_f32_e32 v31, v37, v31
	v_add_f32_e32 v26, v31, v26
	v_add_f32_e32 v31, v33, v35
	;; [unrolled: 1-line block ×3, first 2 shown]
	v_sub_f32_e32 v32, v31, v33
	v_mul_f32_e32 v26, v36, v26
	v_sub_f32_e32 v32, v35, v32
	v_add_f32_e32 v26, v32, v26
	v_cvt_f32_i32_e32 v25, v25
	v_add_f32_e32 v32, v31, v26
	v_mul_f32_e32 v33, v32, v32
	v_mov_b32_e32 v34, 0x3ecc95a3
	v_fmac_f32_e32 v34, 0x3e9b6dac, v33
	v_mov_b32_e32 v35, 0x3f2aaada
	v_fmac_f32_e32 v35, v33, v34
	v_mul_f32_e32 v34, 0x3f317218, v25
	v_fma_f32 v36, v25, s3, -v34
	v_fmac_f32_e32 v36, 0xb102e308, v25
	v_sub_f32_e32 v25, v32, v31
	v_sub_f32_e32 v25, v26, v25
	v_add_f32_e32 v26, v34, v36
	v_sub_f32_e32 v31, v26, v34
	v_ldexp_f32 v34, v32, 1
	v_mul_f32_e32 v32, v32, v33
	v_mul_f32_e32 v32, v32, v35
	v_add_f32_e32 v33, v34, v32
	v_sub_f32_e32 v34, v33, v34
	v_ldexp_f32 v25, v25, 1
	v_sub_f32_e32 v32, v32, v34
	v_add_f32_e32 v25, v25, v32
	v_add_f32_e32 v32, v33, v25
	v_sub_f32_e32 v33, v32, v33
	v_sub_f32_e32 v25, v25, v33
	v_add_f32_e32 v33, v26, v32
	v_sub_f32_e32 v34, v33, v26
	v_sub_f32_e32 v35, v33, v34
	;; [unrolled: 1-line block ×5, first 2 shown]
	v_add_f32_e32 v26, v32, v26
	v_add_f32_e32 v32, v31, v25
	v_sub_f32_e32 v34, v32, v31
	v_sub_f32_e32 v35, v32, v34
	;; [unrolled: 1-line block ×4, first 2 shown]
	v_add_f32_e32 v26, v32, v26
	v_add_f32_e32 v25, v25, v31
	;; [unrolled: 1-line block ×3, first 2 shown]
	v_sub_f32_e32 v32, v31, v33
	v_sub_f32_e32 v26, v26, v32
	v_add_f32_e32 v25, v25, v26
	v_add_f32_e32 v25, v31, v25
	v_cmp_neq_f32_e64 s[80:81], s2, v30
	s_mov_b32 s2, 0x33800000
	v_cndmask_b32_e64 v25, v27, v25, s[80:81]
	v_cmp_lt_f32_e64 s[80:81], |v30|, s2
	v_cndmask_b32_e64 v25, v25, v30, s[80:81]
	v_add_f32_e32 v24, v24, v25
	v_cvt_f16_f32_e32 v31, v24
	v_cvt_f32_f16_e32 v32, v31
	v_mov_b32_e32 v30, v31
.LBB372_80:
	s_or_b64 exec, exec, s[0:1]
	v_cvt_f32_f16_sdwa v24, v5 dst_sel:DWORD dst_unused:UNUSED_PAD src0_sel:WORD_1
	v_max_f32_e32 v26, v32, v32
	v_cmp_u_f16_e64 s[82:83], v31, v31
	v_cmp_u_f16_sdwa s[80:81], v5, v5 src0_sel:WORD_1 src1_sel:WORD_1
	v_min_f32_e32 v25, v26, v24
	v_max_f32_e32 v5, v26, v24
	v_cndmask_b32_e64 v25, v25, v32, s[82:83]
	v_cndmask_b32_e64 v5, v5, v32, s[82:83]
	;; [unrolled: 1-line block ×4, first 2 shown]
	s_movk_i32 s2, 0x1f8
	v_cmp_neq_f32_e64 s[82:83], v25, v5
	v_cmp_class_f32_e64 s[0:1], v25, s2
	s_or_b64 s[6:7], s[82:83], s[0:1]
	s_and_saveexec_b64 s[0:1], s[6:7]
	s_cbranch_execz .LBB372_82
; %bb.81:
	v_sub_f32_e32 v25, v25, v5
	s_mov_b32 s3, 0x3fb8aa3b
	v_mul_f32_e32 v26, 0x3fb8aa3b, v25
	v_fma_f32 v27, v25, s3, -v26
	v_rndne_f32_e32 v30, v26
	v_fmac_f32_e32 v27, 0x32a5705f, v25
	v_sub_f32_e32 v26, v26, v30
	v_add_f32_e32 v26, v26, v27
	v_exp_f32_e32 v26, v26
	v_cvt_i32_f32_e32 v27, v30
	s_mov_b32 s3, 0xc2ce8ed0
	v_cmp_ngt_f32_e64 s[82:83], s3, v25
	s_mov_b32 s3, 0x42b17218
	v_ldexp_f32 v26, v26, v27
	v_cndmask_b32_e64 v26, 0, v26, s[82:83]
	v_mov_b32_e32 v27, 0x7f800000
	v_cmp_nlt_f32_e64 s[82:83], s3, v25
	v_cndmask_b32_e64 v30, v27, v26, s[82:83]
	v_add_f32_e32 v31, 1.0, v30
	v_cvt_f64_f32_e32 v[25:26], v31
	v_add_f32_e32 v32, -1.0, v31
	v_sub_f32_e32 v33, v32, v31
	v_sub_f32_e32 v32, v30, v32
	v_frexp_exp_i32_f64_e32 v25, v[25:26]
	v_add_f32_e32 v26, 1.0, v33
	v_add_f32_e32 v26, v32, v26
	v_frexp_mant_f32_e32 v32, v31
	s_mov_b32 s6, 0x3f2aaaab
	v_cmp_gt_f32_e64 s[82:83], s6, v32
	s_mov_b32 s6, 0x3f317218
	s_mov_b32 s3, 0x7f800000
	v_subbrev_co_u32_e64 v25, s[82:83], 0, v25, s[82:83]
	v_sub_u32_e32 v32, 0, v25
	v_ldexp_f32 v31, v31, v32
	v_ldexp_f32 v26, v26, v32
	v_add_f32_e32 v32, -1.0, v31
	v_add_f32_e32 v35, 1.0, v31
	v_add_f32_e32 v33, 1.0, v32
	v_add_f32_e32 v36, -1.0, v35
	v_sub_f32_e32 v33, v31, v33
	v_sub_f32_e32 v31, v31, v36
	v_add_f32_e32 v33, v26, v33
	v_add_f32_e32 v26, v26, v31
	;; [unrolled: 1-line block ×3, first 2 shown]
	v_rcp_f32_e32 v36, v31
	v_add_f32_e32 v34, v32, v33
	v_sub_f32_e32 v32, v32, v34
	v_add_f32_e32 v32, v33, v32
	v_sub_f32_e32 v33, v35, v31
	v_add_f32_e32 v26, v26, v33
	v_mul_f32_e32 v33, v34, v36
	v_mul_f32_e32 v35, v31, v33
	v_fma_f32 v37, v33, v31, -v35
	v_fmac_f32_e32 v37, v33, v26
	v_add_f32_e32 v38, v35, v37
	v_sub_f32_e32 v39, v34, v38
	v_sub_f32_e32 v34, v34, v39
	;; [unrolled: 1-line block ×4, first 2 shown]
	v_add_f32_e32 v32, v32, v34
	v_sub_f32_e32 v34, v35, v37
	v_add_f32_e32 v32, v34, v32
	v_add_f32_e32 v34, v39, v32
	v_mul_f32_e32 v35, v36, v34
	v_mul_f32_e32 v37, v31, v35
	v_fma_f32 v31, v35, v31, -v37
	v_fmac_f32_e32 v31, v35, v26
	v_sub_f32_e32 v26, v39, v34
	v_add_f32_e32 v26, v32, v26
	v_add_f32_e32 v32, v37, v31
	v_sub_f32_e32 v38, v34, v32
	v_sub_f32_e32 v34, v34, v38
	v_sub_f32_e32 v37, v32, v37
	v_sub_f32_e32 v32, v34, v32
	v_add_f32_e32 v26, v26, v32
	v_sub_f32_e32 v31, v37, v31
	v_add_f32_e32 v26, v31, v26
	v_add_f32_e32 v31, v33, v35
	;; [unrolled: 1-line block ×3, first 2 shown]
	v_sub_f32_e32 v32, v31, v33
	v_mul_f32_e32 v26, v36, v26
	v_sub_f32_e32 v32, v35, v32
	v_add_f32_e32 v26, v32, v26
	v_cvt_f32_i32_e32 v25, v25
	v_add_f32_e32 v32, v31, v26
	v_mul_f32_e32 v33, v32, v32
	v_mov_b32_e32 v34, 0x3ecc95a3
	v_fmac_f32_e32 v34, 0x3e9b6dac, v33
	v_mov_b32_e32 v35, 0x3f2aaada
	v_fmac_f32_e32 v35, v33, v34
	v_mul_f32_e32 v34, 0x3f317218, v25
	v_fma_f32 v36, v25, s6, -v34
	v_fmac_f32_e32 v36, 0xb102e308, v25
	v_sub_f32_e32 v25, v32, v31
	v_sub_f32_e32 v25, v26, v25
	v_add_f32_e32 v26, v34, v36
	v_sub_f32_e32 v31, v26, v34
	v_ldexp_f32 v34, v32, 1
	v_mul_f32_e32 v32, v32, v33
	v_mul_f32_e32 v32, v32, v35
	v_add_f32_e32 v33, v34, v32
	v_sub_f32_e32 v34, v33, v34
	v_ldexp_f32 v25, v25, 1
	v_sub_f32_e32 v32, v32, v34
	v_add_f32_e32 v25, v25, v32
	v_add_f32_e32 v32, v33, v25
	v_sub_f32_e32 v33, v32, v33
	v_sub_f32_e32 v25, v25, v33
	v_add_f32_e32 v33, v26, v32
	v_sub_f32_e32 v34, v33, v26
	v_sub_f32_e32 v35, v33, v34
	;; [unrolled: 1-line block ×5, first 2 shown]
	v_add_f32_e32 v26, v32, v26
	v_add_f32_e32 v32, v31, v25
	v_sub_f32_e32 v34, v32, v31
	v_sub_f32_e32 v35, v32, v34
	v_sub_f32_e32 v31, v31, v35
	v_sub_f32_e32 v25, v25, v34
	v_add_f32_e32 v26, v32, v26
	v_add_f32_e32 v25, v25, v31
	;; [unrolled: 1-line block ×3, first 2 shown]
	v_sub_f32_e32 v32, v31, v33
	v_sub_f32_e32 v26, v26, v32
	v_add_f32_e32 v25, v25, v26
	v_add_f32_e32 v25, v31, v25
	v_cmp_neq_f32_e64 s[82:83], s3, v30
	s_mov_b32 s3, 0x33800000
	v_cndmask_b32_e64 v25, v27, v25, s[82:83]
	v_cmp_lt_f32_e64 s[82:83], |v30|, s3
	v_cndmask_b32_e64 v25, v25, v30, s[82:83]
	v_add_f32_e32 v5, v5, v25
	v_cvt_f16_f32_e32 v31, v5
	v_cvt_f32_f16_e32 v32, v31
	v_mov_b32_e32 v30, v31
.LBB372_82:
	s_or_b64 exec, exec, s[0:1]
	v_cvt_f32_f16_e32 v5, v6
	v_max_f32_e32 v25, v32, v32
	v_cmp_u_f16_e64 s[84:85], v31, v31
	v_cmp_u_f16_e64 s[82:83], v6, v6
	v_min_f32_e32 v26, v25, v5
	v_max_f32_e32 v25, v25, v5
	v_cndmask_b32_e64 v26, v26, v32, s[84:85]
	v_cndmask_b32_e64 v25, v25, v32, s[84:85]
	;; [unrolled: 1-line block ×4, first 2 shown]
	v_cmp_neq_f32_e64 s[84:85], v26, v25
	v_cmp_class_f32_e64 s[0:1], v26, s2
	s_or_b64 s[2:3], s[84:85], s[0:1]
	s_and_saveexec_b64 s[0:1], s[2:3]
	s_cbranch_execz .LBB372_84
; %bb.83:
	v_sub_f32_e32 v26, v26, v25
	s_mov_b32 s2, 0x3fb8aa3b
	v_mul_f32_e32 v27, 0x3fb8aa3b, v26
	v_fma_f32 v30, v26, s2, -v27
	v_rndne_f32_e32 v31, v27
	v_fmac_f32_e32 v30, 0x32a5705f, v26
	v_sub_f32_e32 v27, v27, v31
	v_add_f32_e32 v27, v27, v30
	v_exp_f32_e32 v27, v27
	v_cvt_i32_f32_e32 v30, v31
	s_mov_b32 s2, 0xc2ce8ed0
	v_cmp_ngt_f32_e64 s[84:85], s2, v26
	s_mov_b32 s2, 0x42b17218
	v_ldexp_f32 v27, v27, v30
	v_cndmask_b32_e64 v27, 0, v27, s[84:85]
	v_mov_b32_e32 v30, 0x7f800000
	v_cmp_nlt_f32_e64 s[84:85], s2, v26
	v_cndmask_b32_e64 v31, v30, v27, s[84:85]
	v_add_f32_e32 v32, 1.0, v31
	v_cvt_f64_f32_e32 v[26:27], v32
	v_add_f32_e32 v33, -1.0, v32
	v_sub_f32_e32 v34, v33, v32
	v_sub_f32_e32 v33, v31, v33
	v_frexp_exp_i32_f64_e32 v26, v[26:27]
	v_add_f32_e32 v27, 1.0, v34
	v_add_f32_e32 v27, v33, v27
	v_frexp_mant_f32_e32 v33, v32
	s_mov_b32 s3, 0x3f2aaaab
	v_cmp_gt_f32_e64 s[84:85], s3, v33
	s_mov_b32 s3, 0x3f317218
	s_mov_b32 s2, 0x7f800000
	v_subbrev_co_u32_e64 v26, s[84:85], 0, v26, s[84:85]
	v_sub_u32_e32 v33, 0, v26
	v_ldexp_f32 v32, v32, v33
	v_ldexp_f32 v27, v27, v33
	v_add_f32_e32 v33, -1.0, v32
	v_add_f32_e32 v36, 1.0, v32
	v_add_f32_e32 v34, 1.0, v33
	v_add_f32_e32 v37, -1.0, v36
	v_sub_f32_e32 v34, v32, v34
	v_sub_f32_e32 v32, v32, v37
	v_add_f32_e32 v34, v27, v34
	v_add_f32_e32 v27, v27, v32
	v_add_f32_e32 v32, v36, v27
	v_rcp_f32_e32 v37, v32
	v_add_f32_e32 v35, v33, v34
	v_sub_f32_e32 v33, v33, v35
	v_add_f32_e32 v33, v34, v33
	v_sub_f32_e32 v34, v36, v32
	v_add_f32_e32 v27, v27, v34
	v_mul_f32_e32 v34, v35, v37
	v_mul_f32_e32 v36, v32, v34
	v_fma_f32 v38, v34, v32, -v36
	v_fmac_f32_e32 v38, v34, v27
	v_add_f32_e32 v39, v36, v38
	v_sub_f32_e32 v40, v35, v39
	v_sub_f32_e32 v35, v35, v40
	;; [unrolled: 1-line block ×4, first 2 shown]
	v_add_f32_e32 v33, v33, v35
	v_sub_f32_e32 v35, v36, v38
	v_add_f32_e32 v33, v35, v33
	v_add_f32_e32 v35, v40, v33
	v_mul_f32_e32 v36, v37, v35
	v_mul_f32_e32 v38, v32, v36
	v_fma_f32 v32, v36, v32, -v38
	v_fmac_f32_e32 v32, v36, v27
	v_sub_f32_e32 v27, v40, v35
	v_add_f32_e32 v27, v33, v27
	v_add_f32_e32 v33, v38, v32
	v_sub_f32_e32 v39, v35, v33
	v_sub_f32_e32 v35, v35, v39
	;; [unrolled: 1-line block ×4, first 2 shown]
	v_add_f32_e32 v27, v27, v33
	v_sub_f32_e32 v32, v38, v32
	v_add_f32_e32 v27, v32, v27
	v_add_f32_e32 v32, v34, v36
	;; [unrolled: 1-line block ×3, first 2 shown]
	v_sub_f32_e32 v33, v32, v34
	v_mul_f32_e32 v27, v37, v27
	v_sub_f32_e32 v33, v36, v33
	v_add_f32_e32 v27, v33, v27
	v_cvt_f32_i32_e32 v26, v26
	v_add_f32_e32 v33, v32, v27
	v_mul_f32_e32 v34, v33, v33
	v_mov_b32_e32 v35, 0x3ecc95a3
	v_fmac_f32_e32 v35, 0x3e9b6dac, v34
	v_mov_b32_e32 v36, 0x3f2aaada
	v_fmac_f32_e32 v36, v34, v35
	v_mul_f32_e32 v35, 0x3f317218, v26
	v_fma_f32 v37, v26, s3, -v35
	v_fmac_f32_e32 v37, 0xb102e308, v26
	v_sub_f32_e32 v26, v33, v32
	v_sub_f32_e32 v26, v27, v26
	v_add_f32_e32 v27, v35, v37
	v_sub_f32_e32 v32, v27, v35
	v_ldexp_f32 v35, v33, 1
	v_mul_f32_e32 v33, v33, v34
	v_mul_f32_e32 v33, v33, v36
	v_add_f32_e32 v34, v35, v33
	v_sub_f32_e32 v35, v34, v35
	v_ldexp_f32 v26, v26, 1
	v_sub_f32_e32 v33, v33, v35
	v_add_f32_e32 v26, v26, v33
	v_add_f32_e32 v33, v34, v26
	v_sub_f32_e32 v34, v33, v34
	v_sub_f32_e32 v26, v26, v34
	v_add_f32_e32 v34, v27, v33
	v_sub_f32_e32 v35, v34, v27
	v_sub_f32_e32 v36, v34, v35
	;; [unrolled: 1-line block ×5, first 2 shown]
	v_add_f32_e32 v27, v33, v27
	v_add_f32_e32 v33, v32, v26
	v_sub_f32_e32 v35, v33, v32
	v_sub_f32_e32 v36, v33, v35
	;; [unrolled: 1-line block ×4, first 2 shown]
	v_add_f32_e32 v27, v33, v27
	v_add_f32_e32 v26, v26, v32
	;; [unrolled: 1-line block ×3, first 2 shown]
	v_sub_f32_e32 v33, v32, v34
	v_sub_f32_e32 v27, v27, v33
	v_add_f32_e32 v26, v26, v27
	v_add_f32_e32 v26, v32, v26
	v_cmp_neq_f32_e64 s[84:85], s2, v31
	s_mov_b32 s2, 0x33800000
	v_cndmask_b32_e64 v26, v30, v26, s[84:85]
	v_cmp_lt_f32_e64 s[84:85], |v31|, s2
	v_cndmask_b32_e64 v26, v26, v31, s[84:85]
	v_add_f32_e32 v25, v25, v26
	v_cvt_f16_f32_e32 v31, v25
	v_cvt_f32_f16_e32 v32, v31
	v_mov_b32_e32 v30, v31
.LBB372_84:
	s_or_b64 exec, exec, s[0:1]
	v_cvt_f32_f16_sdwa v25, v6 dst_sel:DWORD dst_unused:UNUSED_PAD src0_sel:WORD_1
	v_max_f32_e32 v27, v32, v32
	v_cmp_u_f16_e64 s[86:87], v31, v31
	v_cmp_u_f16_sdwa s[84:85], v6, v6 src0_sel:WORD_1 src1_sel:WORD_1
	v_min_f32_e32 v26, v27, v25
	v_max_f32_e32 v6, v27, v25
	v_cndmask_b32_e64 v26, v26, v32, s[86:87]
	v_cndmask_b32_e64 v6, v6, v32, s[86:87]
	;; [unrolled: 1-line block ×4, first 2 shown]
	s_movk_i32 s2, 0x1f8
	v_cmp_neq_f32_e64 s[86:87], v26, v6
	v_cmp_class_f32_e64 s[0:1], v26, s2
	s_or_b64 s[6:7], s[86:87], s[0:1]
	s_and_saveexec_b64 s[0:1], s[6:7]
	s_cbranch_execz .LBB372_86
; %bb.85:
	v_sub_f32_e32 v26, v26, v6
	s_mov_b32 s3, 0x3fb8aa3b
	v_mul_f32_e32 v27, 0x3fb8aa3b, v26
	v_fma_f32 v30, v26, s3, -v27
	v_rndne_f32_e32 v31, v27
	v_fmac_f32_e32 v30, 0x32a5705f, v26
	v_sub_f32_e32 v27, v27, v31
	v_add_f32_e32 v27, v27, v30
	v_exp_f32_e32 v27, v27
	v_cvt_i32_f32_e32 v30, v31
	s_mov_b32 s3, 0xc2ce8ed0
	v_cmp_ngt_f32_e64 s[86:87], s3, v26
	s_mov_b32 s3, 0x42b17218
	v_ldexp_f32 v27, v27, v30
	v_cndmask_b32_e64 v27, 0, v27, s[86:87]
	v_mov_b32_e32 v30, 0x7f800000
	v_cmp_nlt_f32_e64 s[86:87], s3, v26
	v_cndmask_b32_e64 v31, v30, v27, s[86:87]
	v_add_f32_e32 v32, 1.0, v31
	v_cvt_f64_f32_e32 v[26:27], v32
	v_add_f32_e32 v33, -1.0, v32
	v_sub_f32_e32 v34, v33, v32
	v_sub_f32_e32 v33, v31, v33
	v_frexp_exp_i32_f64_e32 v26, v[26:27]
	v_add_f32_e32 v27, 1.0, v34
	v_add_f32_e32 v27, v33, v27
	v_frexp_mant_f32_e32 v33, v32
	s_mov_b32 s6, 0x3f2aaaab
	v_cmp_gt_f32_e64 s[86:87], s6, v33
	s_mov_b32 s6, 0x3f317218
	s_mov_b32 s3, 0x7f800000
	v_subbrev_co_u32_e64 v26, s[86:87], 0, v26, s[86:87]
	v_sub_u32_e32 v33, 0, v26
	v_ldexp_f32 v32, v32, v33
	v_ldexp_f32 v27, v27, v33
	v_add_f32_e32 v33, -1.0, v32
	v_add_f32_e32 v36, 1.0, v32
	v_add_f32_e32 v34, 1.0, v33
	v_add_f32_e32 v37, -1.0, v36
	v_sub_f32_e32 v34, v32, v34
	v_sub_f32_e32 v32, v32, v37
	v_add_f32_e32 v34, v27, v34
	v_add_f32_e32 v27, v27, v32
	;; [unrolled: 1-line block ×3, first 2 shown]
	v_rcp_f32_e32 v37, v32
	v_add_f32_e32 v35, v33, v34
	v_sub_f32_e32 v33, v33, v35
	v_add_f32_e32 v33, v34, v33
	v_sub_f32_e32 v34, v36, v32
	v_add_f32_e32 v27, v27, v34
	v_mul_f32_e32 v34, v35, v37
	v_mul_f32_e32 v36, v32, v34
	v_fma_f32 v38, v34, v32, -v36
	v_fmac_f32_e32 v38, v34, v27
	v_add_f32_e32 v39, v36, v38
	v_sub_f32_e32 v40, v35, v39
	v_sub_f32_e32 v35, v35, v40
	;; [unrolled: 1-line block ×4, first 2 shown]
	v_add_f32_e32 v33, v33, v35
	v_sub_f32_e32 v35, v36, v38
	v_add_f32_e32 v33, v35, v33
	v_add_f32_e32 v35, v40, v33
	v_mul_f32_e32 v36, v37, v35
	v_mul_f32_e32 v38, v32, v36
	v_fma_f32 v32, v36, v32, -v38
	v_fmac_f32_e32 v32, v36, v27
	v_sub_f32_e32 v27, v40, v35
	v_add_f32_e32 v27, v33, v27
	v_add_f32_e32 v33, v38, v32
	v_sub_f32_e32 v39, v35, v33
	v_sub_f32_e32 v35, v35, v39
	;; [unrolled: 1-line block ×4, first 2 shown]
	v_add_f32_e32 v27, v27, v33
	v_sub_f32_e32 v32, v38, v32
	v_add_f32_e32 v27, v32, v27
	v_add_f32_e32 v32, v34, v36
	;; [unrolled: 1-line block ×3, first 2 shown]
	v_sub_f32_e32 v33, v32, v34
	v_mul_f32_e32 v27, v37, v27
	v_sub_f32_e32 v33, v36, v33
	v_add_f32_e32 v27, v33, v27
	v_cvt_f32_i32_e32 v26, v26
	v_add_f32_e32 v33, v32, v27
	v_mul_f32_e32 v34, v33, v33
	v_mov_b32_e32 v35, 0x3ecc95a3
	v_fmac_f32_e32 v35, 0x3e9b6dac, v34
	v_mov_b32_e32 v36, 0x3f2aaada
	v_fmac_f32_e32 v36, v34, v35
	v_mul_f32_e32 v35, 0x3f317218, v26
	v_fma_f32 v37, v26, s6, -v35
	v_fmac_f32_e32 v37, 0xb102e308, v26
	v_sub_f32_e32 v26, v33, v32
	v_sub_f32_e32 v26, v27, v26
	v_add_f32_e32 v27, v35, v37
	v_sub_f32_e32 v32, v27, v35
	v_ldexp_f32 v35, v33, 1
	v_mul_f32_e32 v33, v33, v34
	v_mul_f32_e32 v33, v33, v36
	v_add_f32_e32 v34, v35, v33
	v_sub_f32_e32 v35, v34, v35
	v_ldexp_f32 v26, v26, 1
	v_sub_f32_e32 v33, v33, v35
	v_add_f32_e32 v26, v26, v33
	v_add_f32_e32 v33, v34, v26
	v_sub_f32_e32 v34, v33, v34
	v_sub_f32_e32 v26, v26, v34
	v_add_f32_e32 v34, v27, v33
	v_sub_f32_e32 v35, v34, v27
	v_sub_f32_e32 v36, v34, v35
	;; [unrolled: 1-line block ×5, first 2 shown]
	v_add_f32_e32 v27, v33, v27
	v_add_f32_e32 v33, v32, v26
	v_sub_f32_e32 v35, v33, v32
	v_sub_f32_e32 v36, v33, v35
	;; [unrolled: 1-line block ×4, first 2 shown]
	v_add_f32_e32 v27, v33, v27
	v_add_f32_e32 v26, v26, v32
	;; [unrolled: 1-line block ×3, first 2 shown]
	v_sub_f32_e32 v33, v32, v34
	v_sub_f32_e32 v27, v27, v33
	v_add_f32_e32 v26, v26, v27
	v_add_f32_e32 v26, v32, v26
	v_cmp_neq_f32_e64 s[86:87], s3, v31
	s_mov_b32 s3, 0x33800000
	v_cndmask_b32_e64 v26, v30, v26, s[86:87]
	v_cmp_lt_f32_e64 s[86:87], |v31|, s3
	v_cndmask_b32_e64 v26, v26, v31, s[86:87]
	v_add_f32_e32 v6, v6, v26
	v_cvt_f16_f32_e32 v31, v6
	v_cvt_f32_f16_e32 v32, v31
	v_mov_b32_e32 v30, v31
.LBB372_86:
	s_or_b64 exec, exec, s[0:1]
	v_cvt_f32_f16_e32 v6, v7
	v_max_f32_e32 v26, v32, v32
	v_cmp_u_f16_e64 s[88:89], v31, v31
	v_cmp_u_f16_e64 s[86:87], v7, v7
	v_min_f32_e32 v27, v26, v6
	v_max_f32_e32 v26, v26, v6
	v_cndmask_b32_e64 v27, v27, v32, s[88:89]
	v_cndmask_b32_e64 v26, v26, v32, s[88:89]
	;; [unrolled: 1-line block ×4, first 2 shown]
	v_cmp_neq_f32_e64 s[88:89], v27, v26
	v_cmp_class_f32_e64 s[0:1], v27, s2
	s_or_b64 s[2:3], s[88:89], s[0:1]
	s_and_saveexec_b64 s[0:1], s[2:3]
	s_cbranch_execz .LBB372_88
; %bb.87:
	v_sub_f32_e32 v27, v27, v26
	s_mov_b32 s2, 0x3fb8aa3b
	v_mul_f32_e32 v30, 0x3fb8aa3b, v27
	v_fma_f32 v31, v27, s2, -v30
	v_rndne_f32_e32 v32, v30
	v_fmac_f32_e32 v31, 0x32a5705f, v27
	v_sub_f32_e32 v30, v30, v32
	v_add_f32_e32 v30, v30, v31
	v_exp_f32_e32 v30, v30
	v_cvt_i32_f32_e32 v31, v32
	s_mov_b32 s2, 0xc2ce8ed0
	v_cmp_ngt_f32_e64 s[88:89], s2, v27
	s_mov_b32 s2, 0x42b17218
	v_ldexp_f32 v30, v30, v31
	v_cndmask_b32_e64 v30, 0, v30, s[88:89]
	v_mov_b32_e32 v32, 0x7f800000
	v_cmp_nlt_f32_e64 s[88:89], s2, v27
	v_cndmask_b32_e64 v27, v32, v30, s[88:89]
	v_add_f32_e32 v33, 1.0, v27
	v_cvt_f64_f32_e32 v[30:31], v33
	v_add_f32_e32 v34, -1.0, v33
	v_sub_f32_e32 v35, v34, v33
	v_sub_f32_e32 v34, v27, v34
	v_frexp_exp_i32_f64_e32 v30, v[30:31]
	v_add_f32_e32 v31, 1.0, v35
	v_add_f32_e32 v31, v34, v31
	v_frexp_mant_f32_e32 v34, v33
	s_mov_b32 s3, 0x3f2aaaab
	v_cmp_gt_f32_e64 s[88:89], s3, v34
	s_mov_b32 s3, 0x3f317218
	s_mov_b32 s2, 0x7f800000
	v_subbrev_co_u32_e64 v30, s[88:89], 0, v30, s[88:89]
	v_sub_u32_e32 v34, 0, v30
	v_ldexp_f32 v33, v33, v34
	v_ldexp_f32 v31, v31, v34
	v_add_f32_e32 v34, -1.0, v33
	v_add_f32_e32 v37, 1.0, v33
	v_add_f32_e32 v35, 1.0, v34
	v_add_f32_e32 v38, -1.0, v37
	v_sub_f32_e32 v35, v33, v35
	v_sub_f32_e32 v33, v33, v38
	v_add_f32_e32 v35, v31, v35
	v_add_f32_e32 v31, v31, v33
	;; [unrolled: 1-line block ×3, first 2 shown]
	v_rcp_f32_e32 v38, v33
	v_add_f32_e32 v36, v34, v35
	v_sub_f32_e32 v34, v34, v36
	v_add_f32_e32 v34, v35, v34
	v_sub_f32_e32 v35, v37, v33
	v_add_f32_e32 v31, v31, v35
	v_mul_f32_e32 v35, v36, v38
	v_mul_f32_e32 v37, v33, v35
	v_fma_f32 v39, v35, v33, -v37
	v_fmac_f32_e32 v39, v35, v31
	v_add_f32_e32 v40, v37, v39
	v_sub_f32_e32 v41, v36, v40
	v_sub_f32_e32 v36, v36, v41
	;; [unrolled: 1-line block ×4, first 2 shown]
	v_add_f32_e32 v34, v34, v36
	v_sub_f32_e32 v36, v37, v39
	v_add_f32_e32 v34, v36, v34
	v_add_f32_e32 v36, v41, v34
	v_mul_f32_e32 v37, v38, v36
	v_mul_f32_e32 v39, v33, v37
	v_fma_f32 v33, v37, v33, -v39
	v_fmac_f32_e32 v33, v37, v31
	v_sub_f32_e32 v31, v41, v36
	v_add_f32_e32 v31, v34, v31
	v_add_f32_e32 v34, v39, v33
	v_sub_f32_e32 v40, v36, v34
	v_sub_f32_e32 v36, v36, v40
	;; [unrolled: 1-line block ×4, first 2 shown]
	v_add_f32_e32 v31, v31, v34
	v_sub_f32_e32 v33, v39, v33
	v_add_f32_e32 v31, v33, v31
	v_add_f32_e32 v33, v35, v37
	;; [unrolled: 1-line block ×3, first 2 shown]
	v_sub_f32_e32 v34, v33, v35
	v_mul_f32_e32 v31, v38, v31
	v_sub_f32_e32 v34, v37, v34
	v_add_f32_e32 v31, v34, v31
	v_cvt_f32_i32_e32 v30, v30
	v_add_f32_e32 v34, v33, v31
	v_mul_f32_e32 v35, v34, v34
	v_mov_b32_e32 v36, 0x3ecc95a3
	v_fmac_f32_e32 v36, 0x3e9b6dac, v35
	v_mov_b32_e32 v37, 0x3f2aaada
	v_fmac_f32_e32 v37, v35, v36
	v_mul_f32_e32 v36, 0x3f317218, v30
	v_fma_f32 v38, v30, s3, -v36
	v_fmac_f32_e32 v38, 0xb102e308, v30
	v_sub_f32_e32 v30, v34, v33
	v_sub_f32_e32 v30, v31, v30
	v_add_f32_e32 v31, v36, v38
	v_sub_f32_e32 v33, v31, v36
	v_ldexp_f32 v36, v34, 1
	v_mul_f32_e32 v34, v34, v35
	v_mul_f32_e32 v34, v34, v37
	v_add_f32_e32 v35, v36, v34
	v_sub_f32_e32 v36, v35, v36
	v_ldexp_f32 v30, v30, 1
	v_sub_f32_e32 v34, v34, v36
	v_add_f32_e32 v30, v30, v34
	v_add_f32_e32 v34, v35, v30
	v_sub_f32_e32 v35, v34, v35
	v_sub_f32_e32 v30, v30, v35
	v_add_f32_e32 v35, v31, v34
	v_sub_f32_e32 v36, v35, v31
	v_sub_f32_e32 v37, v35, v36
	;; [unrolled: 1-line block ×5, first 2 shown]
	v_add_f32_e32 v31, v34, v31
	v_add_f32_e32 v34, v33, v30
	v_sub_f32_e32 v36, v34, v33
	v_sub_f32_e32 v37, v34, v36
	;; [unrolled: 1-line block ×4, first 2 shown]
	v_add_f32_e32 v31, v34, v31
	v_add_f32_e32 v30, v30, v33
	;; [unrolled: 1-line block ×3, first 2 shown]
	v_sub_f32_e32 v34, v33, v35
	v_sub_f32_e32 v31, v31, v34
	v_add_f32_e32 v30, v30, v31
	v_add_f32_e32 v30, v33, v30
	v_cmp_neq_f32_e64 s[88:89], s2, v27
	s_mov_b32 s2, 0x33800000
	v_cndmask_b32_e64 v30, v32, v30, s[88:89]
	v_cmp_lt_f32_e64 s[88:89], |v27|, s2
	v_cndmask_b32_e64 v27, v30, v27, s[88:89]
	v_add_f32_e32 v26, v26, v27
	v_cvt_f16_f32_e32 v31, v26
	v_cvt_f32_f16_e32 v32, v31
	v_mov_b32_e32 v30, v31
.LBB372_88:
	s_or_b64 exec, exec, s[0:1]
	v_cvt_f32_f16_sdwa v26, v7 dst_sel:DWORD dst_unused:UNUSED_PAD src0_sel:WORD_1
	v_max_f32_e32 v33, v32, v32
	v_cmp_u_f16_e64 s[90:91], v31, v31
	v_cmp_u_f16_sdwa s[88:89], v7, v7 src0_sel:WORD_1 src1_sel:WORD_1
	v_min_f32_e32 v27, v33, v26
	v_max_f32_e32 v7, v33, v26
	v_cndmask_b32_e64 v27, v27, v32, s[90:91]
	v_cndmask_b32_e64 v7, v7, v32, s[90:91]
	;; [unrolled: 1-line block ×4, first 2 shown]
	s_movk_i32 s2, 0x1f8
	v_cmp_neq_f32_e64 s[90:91], v27, v7
	v_cmp_class_f32_e64 s[0:1], v27, s2
	s_or_b64 s[6:7], s[90:91], s[0:1]
	s_and_saveexec_b64 s[0:1], s[6:7]
	s_cbranch_execz .LBB372_90
; %bb.89:
	v_sub_f32_e32 v27, v27, v7
	s_mov_b32 s3, 0x3fb8aa3b
	v_mul_f32_e32 v30, 0x3fb8aa3b, v27
	v_fma_f32 v31, v27, s3, -v30
	v_rndne_f32_e32 v32, v30
	v_fmac_f32_e32 v31, 0x32a5705f, v27
	v_sub_f32_e32 v30, v30, v32
	v_add_f32_e32 v30, v30, v31
	v_exp_f32_e32 v30, v30
	v_cvt_i32_f32_e32 v31, v32
	s_mov_b32 s3, 0xc2ce8ed0
	v_cmp_ngt_f32_e64 s[90:91], s3, v27
	s_mov_b32 s3, 0x42b17218
	v_ldexp_f32 v30, v30, v31
	v_cndmask_b32_e64 v30, 0, v30, s[90:91]
	v_mov_b32_e32 v32, 0x7f800000
	v_cmp_nlt_f32_e64 s[90:91], s3, v27
	v_cndmask_b32_e64 v27, v32, v30, s[90:91]
	v_add_f32_e32 v33, 1.0, v27
	v_cvt_f64_f32_e32 v[30:31], v33
	v_add_f32_e32 v34, -1.0, v33
	v_sub_f32_e32 v35, v34, v33
	v_sub_f32_e32 v34, v27, v34
	v_frexp_exp_i32_f64_e32 v30, v[30:31]
	v_add_f32_e32 v31, 1.0, v35
	v_add_f32_e32 v31, v34, v31
	v_frexp_mant_f32_e32 v34, v33
	s_mov_b32 s6, 0x3f2aaaab
	v_cmp_gt_f32_e64 s[90:91], s6, v34
	s_mov_b32 s6, 0x3f317218
	s_mov_b32 s3, 0x7f800000
	v_subbrev_co_u32_e64 v30, s[90:91], 0, v30, s[90:91]
	v_sub_u32_e32 v34, 0, v30
	v_ldexp_f32 v33, v33, v34
	v_ldexp_f32 v31, v31, v34
	v_add_f32_e32 v34, -1.0, v33
	v_add_f32_e32 v37, 1.0, v33
	v_add_f32_e32 v35, 1.0, v34
	v_add_f32_e32 v38, -1.0, v37
	v_sub_f32_e32 v35, v33, v35
	v_sub_f32_e32 v33, v33, v38
	v_add_f32_e32 v35, v31, v35
	v_add_f32_e32 v31, v31, v33
	;; [unrolled: 1-line block ×3, first 2 shown]
	v_rcp_f32_e32 v38, v33
	v_add_f32_e32 v36, v34, v35
	v_sub_f32_e32 v34, v34, v36
	v_add_f32_e32 v34, v35, v34
	v_sub_f32_e32 v35, v37, v33
	v_add_f32_e32 v31, v31, v35
	v_mul_f32_e32 v35, v36, v38
	v_mul_f32_e32 v37, v33, v35
	v_fma_f32 v39, v35, v33, -v37
	v_fmac_f32_e32 v39, v35, v31
	v_add_f32_e32 v40, v37, v39
	v_sub_f32_e32 v41, v36, v40
	v_sub_f32_e32 v36, v36, v41
	;; [unrolled: 1-line block ×4, first 2 shown]
	v_add_f32_e32 v34, v34, v36
	v_sub_f32_e32 v36, v37, v39
	v_add_f32_e32 v34, v36, v34
	v_add_f32_e32 v36, v41, v34
	v_mul_f32_e32 v37, v38, v36
	v_mul_f32_e32 v39, v33, v37
	v_fma_f32 v33, v37, v33, -v39
	v_fmac_f32_e32 v33, v37, v31
	v_sub_f32_e32 v31, v41, v36
	v_add_f32_e32 v31, v34, v31
	v_add_f32_e32 v34, v39, v33
	v_sub_f32_e32 v40, v36, v34
	v_sub_f32_e32 v36, v36, v40
	;; [unrolled: 1-line block ×4, first 2 shown]
	v_add_f32_e32 v31, v31, v34
	v_sub_f32_e32 v33, v39, v33
	v_add_f32_e32 v31, v33, v31
	v_add_f32_e32 v33, v35, v37
	;; [unrolled: 1-line block ×3, first 2 shown]
	v_sub_f32_e32 v34, v33, v35
	v_mul_f32_e32 v31, v38, v31
	v_sub_f32_e32 v34, v37, v34
	v_add_f32_e32 v31, v34, v31
	v_cvt_f32_i32_e32 v30, v30
	v_add_f32_e32 v34, v33, v31
	v_mul_f32_e32 v35, v34, v34
	v_mov_b32_e32 v36, 0x3ecc95a3
	v_fmac_f32_e32 v36, 0x3e9b6dac, v35
	v_mov_b32_e32 v37, 0x3f2aaada
	v_fmac_f32_e32 v37, v35, v36
	v_mul_f32_e32 v36, 0x3f317218, v30
	v_fma_f32 v38, v30, s6, -v36
	v_fmac_f32_e32 v38, 0xb102e308, v30
	v_sub_f32_e32 v30, v34, v33
	v_sub_f32_e32 v30, v31, v30
	v_add_f32_e32 v31, v36, v38
	v_sub_f32_e32 v33, v31, v36
	v_ldexp_f32 v36, v34, 1
	v_mul_f32_e32 v34, v34, v35
	v_mul_f32_e32 v34, v34, v37
	v_add_f32_e32 v35, v36, v34
	v_sub_f32_e32 v36, v35, v36
	v_ldexp_f32 v30, v30, 1
	v_sub_f32_e32 v34, v34, v36
	v_add_f32_e32 v30, v30, v34
	v_add_f32_e32 v34, v35, v30
	v_sub_f32_e32 v35, v34, v35
	v_sub_f32_e32 v30, v30, v35
	v_add_f32_e32 v35, v31, v34
	v_sub_f32_e32 v36, v35, v31
	v_sub_f32_e32 v37, v35, v36
	;; [unrolled: 1-line block ×5, first 2 shown]
	v_add_f32_e32 v31, v34, v31
	v_add_f32_e32 v34, v33, v30
	v_sub_f32_e32 v36, v34, v33
	v_sub_f32_e32 v37, v34, v36
	v_sub_f32_e32 v33, v33, v37
	v_sub_f32_e32 v30, v30, v36
	v_add_f32_e32 v31, v34, v31
	v_add_f32_e32 v30, v30, v33
	;; [unrolled: 1-line block ×3, first 2 shown]
	v_sub_f32_e32 v34, v33, v35
	v_sub_f32_e32 v31, v31, v34
	v_add_f32_e32 v30, v30, v31
	v_add_f32_e32 v30, v33, v30
	v_cmp_neq_f32_e64 s[90:91], s3, v27
	s_mov_b32 s3, 0x33800000
	v_cndmask_b32_e64 v30, v32, v30, s[90:91]
	v_cmp_lt_f32_e64 s[90:91], |v27|, s3
	v_cndmask_b32_e64 v27, v30, v27, s[90:91]
	v_add_f32_e32 v7, v7, v27
	v_cvt_f16_f32_e32 v31, v7
	v_cvt_f32_f16_e32 v32, v31
	v_mov_b32_e32 v30, v31
.LBB372_90:
	s_or_b64 exec, exec, s[0:1]
	v_cvt_f32_f16_e32 v7, v8
	v_max_f32_e32 v27, v32, v32
	v_cmp_u_f16_e64 s[92:93], v31, v31
	v_cmp_u_f16_e64 s[90:91], v8, v8
	v_min_f32_e32 v33, v27, v7
	v_max_f32_e32 v27, v27, v7
	v_cndmask_b32_e64 v33, v33, v32, s[92:93]
	v_cndmask_b32_e64 v27, v27, v32, s[92:93]
	v_cndmask_b32_e64 v33, v33, v7, s[90:91]
	v_cndmask_b32_e64 v27, v27, v7, s[90:91]
	v_cmp_neq_f32_e64 s[92:93], v33, v27
	v_cmp_class_f32_e64 s[0:1], v33, s2
	s_or_b64 s[2:3], s[92:93], s[0:1]
	s_and_saveexec_b64 s[0:1], s[2:3]
	s_cbranch_execz .LBB372_92
; %bb.91:
	v_sub_f32_e32 v30, v33, v27
	s_mov_b32 s2, 0x3fb8aa3b
	v_mul_f32_e32 v31, 0x3fb8aa3b, v30
	v_fma_f32 v32, v30, s2, -v31
	v_rndne_f32_e32 v33, v31
	v_fmac_f32_e32 v32, 0x32a5705f, v30
	v_sub_f32_e32 v31, v31, v33
	v_add_f32_e32 v31, v31, v32
	v_exp_f32_e32 v31, v31
	v_cvt_i32_f32_e32 v32, v33
	s_mov_b32 s2, 0xc2ce8ed0
	v_cmp_ngt_f32_e64 s[92:93], s2, v30
	s_mov_b32 s2, 0x42b17218
	v_ldexp_f32 v31, v31, v32
	v_cndmask_b32_e64 v31, 0, v31, s[92:93]
	v_mov_b32_e32 v32, 0x7f800000
	v_cmp_nlt_f32_e64 s[92:93], s2, v30
	v_cndmask_b32_e64 v33, v32, v31, s[92:93]
	v_add_f32_e32 v34, 1.0, v33
	v_cvt_f64_f32_e32 v[30:31], v34
	v_add_f32_e32 v35, -1.0, v34
	v_sub_f32_e32 v36, v35, v34
	v_sub_f32_e32 v35, v33, v35
	v_frexp_exp_i32_f64_e32 v30, v[30:31]
	v_add_f32_e32 v31, 1.0, v36
	v_add_f32_e32 v31, v35, v31
	v_frexp_mant_f32_e32 v35, v34
	s_mov_b32 s3, 0x3f2aaaab
	v_cmp_gt_f32_e64 s[92:93], s3, v35
	s_mov_b32 s3, 0x3f317218
	s_mov_b32 s2, 0x7f800000
	v_subbrev_co_u32_e64 v30, s[92:93], 0, v30, s[92:93]
	v_sub_u32_e32 v35, 0, v30
	v_ldexp_f32 v34, v34, v35
	v_ldexp_f32 v31, v31, v35
	v_add_f32_e32 v35, -1.0, v34
	v_add_f32_e32 v38, 1.0, v34
	v_add_f32_e32 v36, 1.0, v35
	v_add_f32_e32 v39, -1.0, v38
	v_sub_f32_e32 v36, v34, v36
	v_sub_f32_e32 v34, v34, v39
	v_add_f32_e32 v36, v31, v36
	v_add_f32_e32 v31, v31, v34
	;; [unrolled: 1-line block ×3, first 2 shown]
	v_rcp_f32_e32 v39, v34
	v_add_f32_e32 v37, v35, v36
	v_sub_f32_e32 v35, v35, v37
	v_add_f32_e32 v35, v36, v35
	v_sub_f32_e32 v36, v38, v34
	v_add_f32_e32 v31, v31, v36
	v_mul_f32_e32 v36, v37, v39
	v_mul_f32_e32 v38, v34, v36
	v_fma_f32 v40, v36, v34, -v38
	v_fmac_f32_e32 v40, v36, v31
	v_add_f32_e32 v41, v38, v40
	v_sub_f32_e32 v42, v37, v41
	v_sub_f32_e32 v37, v37, v42
	;; [unrolled: 1-line block ×4, first 2 shown]
	v_add_f32_e32 v35, v35, v37
	v_sub_f32_e32 v37, v38, v40
	v_add_f32_e32 v35, v37, v35
	v_add_f32_e32 v37, v42, v35
	v_mul_f32_e32 v38, v39, v37
	v_mul_f32_e32 v40, v34, v38
	v_fma_f32 v34, v38, v34, -v40
	v_fmac_f32_e32 v34, v38, v31
	v_sub_f32_e32 v31, v42, v37
	v_add_f32_e32 v31, v35, v31
	v_add_f32_e32 v35, v40, v34
	v_sub_f32_e32 v41, v37, v35
	v_sub_f32_e32 v37, v37, v41
	;; [unrolled: 1-line block ×4, first 2 shown]
	v_add_f32_e32 v31, v31, v35
	v_sub_f32_e32 v34, v40, v34
	v_add_f32_e32 v31, v34, v31
	v_add_f32_e32 v34, v36, v38
	;; [unrolled: 1-line block ×3, first 2 shown]
	v_sub_f32_e32 v35, v34, v36
	v_mul_f32_e32 v31, v39, v31
	v_sub_f32_e32 v35, v38, v35
	v_add_f32_e32 v31, v35, v31
	v_cvt_f32_i32_e32 v30, v30
	v_add_f32_e32 v35, v34, v31
	v_mul_f32_e32 v36, v35, v35
	v_mov_b32_e32 v37, 0x3ecc95a3
	v_fmac_f32_e32 v37, 0x3e9b6dac, v36
	v_mov_b32_e32 v38, 0x3f2aaada
	v_fmac_f32_e32 v38, v36, v37
	v_mul_f32_e32 v37, 0x3f317218, v30
	v_fma_f32 v39, v30, s3, -v37
	v_fmac_f32_e32 v39, 0xb102e308, v30
	v_sub_f32_e32 v30, v35, v34
	v_sub_f32_e32 v30, v31, v30
	v_add_f32_e32 v31, v37, v39
	v_sub_f32_e32 v34, v31, v37
	v_ldexp_f32 v37, v35, 1
	v_mul_f32_e32 v35, v35, v36
	v_mul_f32_e32 v35, v35, v38
	v_add_f32_e32 v36, v37, v35
	v_sub_f32_e32 v37, v36, v37
	v_ldexp_f32 v30, v30, 1
	v_sub_f32_e32 v35, v35, v37
	v_add_f32_e32 v30, v30, v35
	v_add_f32_e32 v35, v36, v30
	v_sub_f32_e32 v36, v35, v36
	v_sub_f32_e32 v30, v30, v36
	v_add_f32_e32 v36, v31, v35
	v_sub_f32_e32 v37, v36, v31
	v_sub_f32_e32 v38, v36, v37
	;; [unrolled: 1-line block ×5, first 2 shown]
	v_add_f32_e32 v31, v35, v31
	v_add_f32_e32 v35, v34, v30
	v_sub_f32_e32 v37, v35, v34
	v_sub_f32_e32 v38, v35, v37
	;; [unrolled: 1-line block ×4, first 2 shown]
	v_add_f32_e32 v31, v35, v31
	v_add_f32_e32 v30, v30, v34
	;; [unrolled: 1-line block ×3, first 2 shown]
	v_sub_f32_e32 v35, v34, v36
	v_sub_f32_e32 v31, v31, v35
	v_add_f32_e32 v30, v30, v31
	v_add_f32_e32 v30, v34, v30
	v_cmp_neq_f32_e64 s[92:93], s2, v33
	s_mov_b32 s2, 0x33800000
	v_cndmask_b32_e64 v30, v32, v30, s[92:93]
	v_cmp_lt_f32_e64 s[92:93], |v33|, s2
	v_cndmask_b32_e64 v30, v30, v33, s[92:93]
	v_add_f32_e32 v27, v27, v30
	v_cvt_f16_f32_e32 v31, v27
	v_cvt_f32_f16_e32 v32, v31
	v_mov_b32_e32 v30, v31
.LBB372_92:
	s_or_b64 exec, exec, s[0:1]
	v_cvt_f32_f16_sdwa v27, v8 dst_sel:DWORD dst_unused:UNUSED_PAD src0_sel:WORD_1
	v_max_f32_e32 v33, v32, v32
	v_cmp_u_f16_e32 vcc, v31, v31
	v_cmp_u_f16_sdwa s[92:93], v8, v8 src0_sel:WORD_1 src1_sel:WORD_1
	v_min_f32_e32 v34, v33, v27
	v_max_f32_e32 v8, v33, v27
	v_cndmask_b32_e32 v31, v34, v32, vcc
	v_cndmask_b32_e32 v8, v8, v32, vcc
	v_cndmask_b32_e64 v31, v31, v27, s[92:93]
	v_cndmask_b32_e64 v8, v8, v27, s[92:93]
	s_movk_i32 s0, 0x1f8
	v_cmp_neq_f32_e32 vcc, v31, v8
	v_cmp_class_f32_e64 s[0:1], v31, s0
	s_or_b64 s[2:3], vcc, s[0:1]
	s_and_saveexec_b64 s[0:1], s[2:3]
	s_cbranch_execz .LBB372_94
; %bb.93:
	v_sub_f32_e32 v30, v31, v8
	s_mov_b32 s2, 0x3fb8aa3b
	v_mul_f32_e32 v31, 0x3fb8aa3b, v30
	v_fma_f32 v32, v30, s2, -v31
	v_rndne_f32_e32 v33, v31
	v_fmac_f32_e32 v32, 0x32a5705f, v30
	v_sub_f32_e32 v31, v31, v33
	v_add_f32_e32 v31, v31, v32
	v_exp_f32_e32 v31, v31
	v_cvt_i32_f32_e32 v32, v33
	s_mov_b32 s2, 0xc2ce8ed0
	v_cmp_ngt_f32_e32 vcc, s2, v30
	s_mov_b32 s2, 0x42b17218
	v_ldexp_f32 v31, v31, v32
	v_cndmask_b32_e32 v31, 0, v31, vcc
	v_mov_b32_e32 v32, 0x7f800000
	v_cmp_nlt_f32_e32 vcc, s2, v30
	v_cndmask_b32_e32 v33, v32, v31, vcc
	v_add_f32_e32 v34, 1.0, v33
	v_cvt_f64_f32_e32 v[30:31], v34
	v_add_f32_e32 v35, -1.0, v34
	v_sub_f32_e32 v36, v35, v34
	v_sub_f32_e32 v35, v33, v35
	v_frexp_exp_i32_f64_e32 v30, v[30:31]
	v_add_f32_e32 v31, 1.0, v36
	v_add_f32_e32 v31, v35, v31
	v_frexp_mant_f32_e32 v35, v34
	s_mov_b32 s3, 0x3f2aaaab
	v_cmp_gt_f32_e32 vcc, s3, v35
	s_mov_b32 s3, 0x3f317218
	s_mov_b32 s2, 0x7f800000
	v_subbrev_co_u32_e32 v30, vcc, 0, v30, vcc
	v_sub_u32_e32 v35, 0, v30
	v_ldexp_f32 v34, v34, v35
	v_ldexp_f32 v31, v31, v35
	v_add_f32_e32 v35, -1.0, v34
	v_add_f32_e32 v38, 1.0, v34
	v_add_f32_e32 v36, 1.0, v35
	v_add_f32_e32 v39, -1.0, v38
	v_sub_f32_e32 v36, v34, v36
	v_sub_f32_e32 v34, v34, v39
	v_add_f32_e32 v36, v31, v36
	v_add_f32_e32 v31, v31, v34
	v_add_f32_e32 v34, v38, v31
	v_rcp_f32_e32 v39, v34
	v_add_f32_e32 v37, v35, v36
	v_sub_f32_e32 v35, v35, v37
	v_add_f32_e32 v35, v36, v35
	v_sub_f32_e32 v36, v38, v34
	v_add_f32_e32 v31, v31, v36
	v_mul_f32_e32 v36, v37, v39
	v_mul_f32_e32 v38, v34, v36
	v_fma_f32 v40, v36, v34, -v38
	v_fmac_f32_e32 v40, v36, v31
	v_add_f32_e32 v41, v38, v40
	v_sub_f32_e32 v42, v37, v41
	v_sub_f32_e32 v37, v37, v42
	;; [unrolled: 1-line block ×4, first 2 shown]
	v_add_f32_e32 v35, v35, v37
	v_sub_f32_e32 v37, v38, v40
	v_add_f32_e32 v35, v37, v35
	v_add_f32_e32 v37, v42, v35
	v_mul_f32_e32 v38, v39, v37
	v_mul_f32_e32 v40, v34, v38
	v_fma_f32 v34, v38, v34, -v40
	v_fmac_f32_e32 v34, v38, v31
	v_sub_f32_e32 v31, v42, v37
	v_add_f32_e32 v31, v35, v31
	v_add_f32_e32 v35, v40, v34
	v_sub_f32_e32 v41, v37, v35
	v_sub_f32_e32 v37, v37, v41
	;; [unrolled: 1-line block ×4, first 2 shown]
	v_add_f32_e32 v31, v31, v35
	v_sub_f32_e32 v34, v40, v34
	v_add_f32_e32 v31, v34, v31
	v_add_f32_e32 v34, v36, v38
	;; [unrolled: 1-line block ×3, first 2 shown]
	v_sub_f32_e32 v35, v34, v36
	v_mul_f32_e32 v31, v39, v31
	v_sub_f32_e32 v35, v38, v35
	v_add_f32_e32 v31, v35, v31
	v_cvt_f32_i32_e32 v30, v30
	v_add_f32_e32 v35, v34, v31
	v_mul_f32_e32 v36, v35, v35
	v_mov_b32_e32 v37, 0x3ecc95a3
	v_fmac_f32_e32 v37, 0x3e9b6dac, v36
	v_mov_b32_e32 v38, 0x3f2aaada
	v_fmac_f32_e32 v38, v36, v37
	v_mul_f32_e32 v37, 0x3f317218, v30
	v_fma_f32 v39, v30, s3, -v37
	v_fmac_f32_e32 v39, 0xb102e308, v30
	v_sub_f32_e32 v30, v35, v34
	v_sub_f32_e32 v30, v31, v30
	v_add_f32_e32 v31, v37, v39
	v_sub_f32_e32 v34, v31, v37
	v_ldexp_f32 v37, v35, 1
	v_mul_f32_e32 v35, v35, v36
	v_mul_f32_e32 v35, v35, v38
	v_add_f32_e32 v36, v37, v35
	v_sub_f32_e32 v37, v36, v37
	v_ldexp_f32 v30, v30, 1
	v_sub_f32_e32 v35, v35, v37
	v_add_f32_e32 v30, v30, v35
	v_add_f32_e32 v35, v36, v30
	v_sub_f32_e32 v36, v35, v36
	v_sub_f32_e32 v30, v30, v36
	v_add_f32_e32 v36, v31, v35
	v_sub_f32_e32 v37, v36, v31
	v_sub_f32_e32 v38, v36, v37
	;; [unrolled: 1-line block ×5, first 2 shown]
	v_add_f32_e32 v31, v35, v31
	v_add_f32_e32 v35, v34, v30
	v_sub_f32_e32 v37, v35, v34
	v_sub_f32_e32 v38, v35, v37
	;; [unrolled: 1-line block ×4, first 2 shown]
	v_add_f32_e32 v31, v35, v31
	v_add_f32_e32 v30, v30, v34
	;; [unrolled: 1-line block ×3, first 2 shown]
	v_sub_f32_e32 v35, v34, v36
	v_sub_f32_e32 v31, v31, v35
	v_add_f32_e32 v30, v30, v31
	v_add_f32_e32 v30, v34, v30
	v_cmp_neq_f32_e32 vcc, s2, v33
	s_mov_b32 s2, 0x33800000
	v_cndmask_b32_e32 v30, v32, v30, vcc
	v_cmp_lt_f32_e64 vcc, |v33|, s2
	v_cndmask_b32_e32 v30, v30, v33, vcc
	v_add_f32_e32 v8, v8, v30
	v_cvt_f16_f32_e32 v30, v8
.LBB372_94:
	s_or_b64 exec, exec, s[0:1]
	s_load_dwordx2 s[0:1], s[4:5], 0x18
	v_lshrrev_b32_e32 v8, 4, v0
	v_and_b32_e32 v8, 14, v8
	v_lshl_add_u32 v8, v0, 1, v8
	v_cmp_gt_u32_e32 vcc, 64, v0
	ds_write_b16 v8, v30
	s_waitcnt lgkmcnt(0)
	s_barrier
	s_and_saveexec_b64 s[6:7], vcc
	s_cbranch_execz .LBB372_134
; %bb.95:
	v_lshrrev_b32_e32 v8, 2, v0
	v_and_b32_e32 v8, 62, v8
	v_lshlrev_b32_e32 v31, 3, v0
	v_add_u32_e32 v8, v8, v31
	ds_read_u16 v34, v8
	ds_read_u16 v32, v8 offset:2
	s_movk_i32 s8, 0x1f8
	s_waitcnt lgkmcnt(1)
	v_cvt_f32_f16_e32 v31, v34
	s_waitcnt lgkmcnt(0)
	v_cvt_f32_f16_e32 v33, v32
	v_cmp_u_f16_e64 s[4:5], v34, v34
	v_cmp_u_f16_e32 vcc, v32, v32
	v_min_f32_e32 v35, v31, v33
	v_max_f32_e32 v36, v31, v33
	v_cndmask_b32_e64 v35, v35, v31, s[4:5]
	v_cndmask_b32_e64 v36, v36, v31, s[4:5]
	v_cndmask_b32_e32 v35, v35, v33, vcc
	v_cndmask_b32_e32 v32, v36, v33, vcc
	v_cmp_neq_f32_e32 vcc, v35, v32
	v_cmp_class_f32_e64 s[2:3], v35, s8
	s_or_b64 vcc, vcc, s[2:3]
	v_mov_b32_e32 v33, v31
	s_and_saveexec_b64 s[2:3], vcc
	s_cbranch_execz .LBB372_97
; %bb.96:
	v_sub_f32_e32 v33, v35, v32
	s_mov_b32 s9, 0x3fb8aa3b
	v_mul_f32_e32 v34, 0x3fb8aa3b, v33
	v_fma_f32 v35, v33, s9, -v34
	v_rndne_f32_e32 v36, v34
	v_fmac_f32_e32 v35, 0x32a5705f, v33
	v_sub_f32_e32 v34, v34, v36
	v_add_f32_e32 v34, v34, v35
	v_exp_f32_e32 v34, v34
	v_cvt_i32_f32_e32 v35, v36
	s_mov_b32 s9, 0xc2ce8ed0
	v_cmp_ngt_f32_e32 vcc, s9, v33
	s_mov_b32 s9, 0x42b17218
	v_ldexp_f32 v34, v34, v35
	v_cndmask_b32_e32 v34, 0, v34, vcc
	v_mov_b32_e32 v35, 0x7f800000
	v_cmp_nlt_f32_e32 vcc, s9, v33
	v_cndmask_b32_e32 v36, v35, v34, vcc
	v_add_f32_e32 v37, 1.0, v36
	v_cvt_f64_f32_e32 v[33:34], v37
	v_add_f32_e32 v38, -1.0, v37
	v_sub_f32_e32 v39, v38, v37
	v_sub_f32_e32 v38, v36, v38
	v_frexp_exp_i32_f64_e32 v33, v[33:34]
	v_add_f32_e32 v34, 1.0, v39
	v_add_f32_e32 v34, v38, v34
	v_frexp_mant_f32_e32 v38, v37
	s_mov_b32 s10, 0x3f2aaaab
	v_cmp_gt_f32_e32 vcc, s10, v38
	s_mov_b32 s10, 0x3f317218
	s_mov_b32 s9, 0x7f800000
	v_subbrev_co_u32_e32 v33, vcc, 0, v33, vcc
	v_sub_u32_e32 v38, 0, v33
	v_ldexp_f32 v37, v37, v38
	v_ldexp_f32 v34, v34, v38
	v_add_f32_e32 v38, -1.0, v37
	v_add_f32_e32 v41, 1.0, v37
	v_add_f32_e32 v39, 1.0, v38
	v_add_f32_e32 v42, -1.0, v41
	v_sub_f32_e32 v39, v37, v39
	v_sub_f32_e32 v37, v37, v42
	v_add_f32_e32 v39, v34, v39
	v_add_f32_e32 v34, v34, v37
	;; [unrolled: 1-line block ×3, first 2 shown]
	v_rcp_f32_e32 v42, v37
	v_add_f32_e32 v40, v38, v39
	v_sub_f32_e32 v38, v38, v40
	v_add_f32_e32 v38, v39, v38
	v_sub_f32_e32 v39, v41, v37
	v_add_f32_e32 v34, v34, v39
	v_mul_f32_e32 v39, v40, v42
	v_mul_f32_e32 v41, v37, v39
	v_fma_f32 v43, v39, v37, -v41
	v_fmac_f32_e32 v43, v39, v34
	v_add_f32_e32 v44, v41, v43
	v_sub_f32_e32 v45, v40, v44
	v_sub_f32_e32 v40, v40, v45
	;; [unrolled: 1-line block ×4, first 2 shown]
	v_add_f32_e32 v38, v38, v40
	v_sub_f32_e32 v40, v41, v43
	v_add_f32_e32 v38, v40, v38
	v_add_f32_e32 v40, v45, v38
	v_mul_f32_e32 v41, v42, v40
	v_mul_f32_e32 v43, v37, v41
	v_fma_f32 v37, v41, v37, -v43
	v_fmac_f32_e32 v37, v41, v34
	v_sub_f32_e32 v34, v45, v40
	v_add_f32_e32 v34, v38, v34
	v_add_f32_e32 v38, v43, v37
	v_sub_f32_e32 v44, v40, v38
	v_sub_f32_e32 v40, v40, v44
	;; [unrolled: 1-line block ×4, first 2 shown]
	v_add_f32_e32 v34, v34, v38
	v_sub_f32_e32 v37, v43, v37
	v_add_f32_e32 v34, v37, v34
	v_add_f32_e32 v37, v39, v41
	;; [unrolled: 1-line block ×3, first 2 shown]
	v_sub_f32_e32 v38, v37, v39
	v_mul_f32_e32 v34, v42, v34
	v_sub_f32_e32 v38, v41, v38
	v_add_f32_e32 v34, v38, v34
	v_cvt_f32_i32_e32 v33, v33
	v_add_f32_e32 v38, v37, v34
	v_mul_f32_e32 v39, v38, v38
	v_mov_b32_e32 v40, 0x3ecc95a3
	v_fmac_f32_e32 v40, 0x3e9b6dac, v39
	v_mov_b32_e32 v41, 0x3f2aaada
	v_fmac_f32_e32 v41, v39, v40
	v_mul_f32_e32 v40, 0x3f317218, v33
	v_fma_f32 v42, v33, s10, -v40
	v_fmac_f32_e32 v42, 0xb102e308, v33
	v_sub_f32_e32 v33, v38, v37
	v_sub_f32_e32 v33, v34, v33
	v_add_f32_e32 v34, v40, v42
	v_sub_f32_e32 v37, v34, v40
	v_ldexp_f32 v40, v38, 1
	v_mul_f32_e32 v38, v38, v39
	v_mul_f32_e32 v38, v38, v41
	v_add_f32_e32 v39, v40, v38
	v_sub_f32_e32 v40, v39, v40
	v_ldexp_f32 v33, v33, 1
	v_sub_f32_e32 v38, v38, v40
	v_add_f32_e32 v33, v33, v38
	v_add_f32_e32 v38, v39, v33
	v_sub_f32_e32 v39, v38, v39
	v_sub_f32_e32 v33, v33, v39
	v_add_f32_e32 v39, v34, v38
	v_sub_f32_e32 v40, v39, v34
	v_sub_f32_e32 v41, v39, v40
	;; [unrolled: 1-line block ×5, first 2 shown]
	v_add_f32_e32 v34, v38, v34
	v_add_f32_e32 v38, v37, v33
	v_sub_f32_e32 v40, v38, v37
	v_sub_f32_e32 v41, v38, v40
	v_sub_f32_e32 v37, v37, v41
	v_sub_f32_e32 v33, v33, v40
	v_add_f32_e32 v34, v38, v34
	v_add_f32_e32 v33, v33, v37
	;; [unrolled: 1-line block ×3, first 2 shown]
	v_sub_f32_e32 v38, v37, v39
	v_sub_f32_e32 v34, v34, v38
	v_add_f32_e32 v33, v33, v34
	v_add_f32_e32 v33, v37, v33
	v_cmp_neq_f32_e32 vcc, s9, v36
	s_mov_b32 s9, 0x33800000
	v_cndmask_b32_e32 v33, v35, v33, vcc
	v_cmp_lt_f32_e64 vcc, |v36|, s9
	v_cndmask_b32_e32 v33, v33, v36, vcc
	v_add_f32_e32 v32, v32, v33
	v_cvt_f16_f32_e32 v34, v32
	v_cvt_f32_f16_e32 v33, v34
.LBB372_97:
	s_or_b64 exec, exec, s[2:3]
	ds_read_u16 v32, v8 offset:4
	v_max_f32_e32 v35, v33, v33
	v_cmp_u_f16_e32 vcc, v34, v34
	s_waitcnt lgkmcnt(0)
	v_cvt_f32_f16_e32 v36, v32
	v_min_f32_e32 v37, v35, v36
	v_max_f32_e32 v35, v35, v36
	v_cndmask_b32_e32 v37, v37, v33, vcc
	v_cndmask_b32_e32 v38, v35, v33, vcc
	v_cmp_u_f16_e32 vcc, v32, v32
	v_cndmask_b32_e32 v35, v37, v36, vcc
	v_cndmask_b32_e32 v32, v38, v36, vcc
	v_cmp_neq_f32_e32 vcc, v35, v32
	v_cmp_class_f32_e64 s[2:3], v35, s8
	s_or_b64 s[8:9], vcc, s[2:3]
	s_and_saveexec_b64 s[2:3], s[8:9]
	s_cbranch_execz .LBB372_99
; %bb.98:
	v_sub_f32_e32 v33, v35, v32
	s_mov_b32 s8, 0x3fb8aa3b
	v_mul_f32_e32 v34, 0x3fb8aa3b, v33
	v_fma_f32 v35, v33, s8, -v34
	v_rndne_f32_e32 v36, v34
	v_fmac_f32_e32 v35, 0x32a5705f, v33
	v_sub_f32_e32 v34, v34, v36
	v_add_f32_e32 v34, v34, v35
	v_exp_f32_e32 v34, v34
	v_cvt_i32_f32_e32 v35, v36
	s_mov_b32 s8, 0xc2ce8ed0
	v_cmp_ngt_f32_e32 vcc, s8, v33
	s_mov_b32 s8, 0x42b17218
	v_ldexp_f32 v34, v34, v35
	v_cndmask_b32_e32 v34, 0, v34, vcc
	v_mov_b32_e32 v35, 0x7f800000
	v_cmp_nlt_f32_e32 vcc, s8, v33
	v_cndmask_b32_e32 v36, v35, v34, vcc
	v_add_f32_e32 v37, 1.0, v36
	v_cvt_f64_f32_e32 v[33:34], v37
	v_add_f32_e32 v38, -1.0, v37
	v_sub_f32_e32 v39, v38, v37
	v_sub_f32_e32 v38, v36, v38
	v_frexp_exp_i32_f64_e32 v33, v[33:34]
	v_add_f32_e32 v34, 1.0, v39
	v_add_f32_e32 v34, v38, v34
	v_frexp_mant_f32_e32 v38, v37
	s_mov_b32 s9, 0x3f2aaaab
	v_cmp_gt_f32_e32 vcc, s9, v38
	s_mov_b32 s9, 0x3f317218
	s_mov_b32 s8, 0x7f800000
	v_subbrev_co_u32_e32 v33, vcc, 0, v33, vcc
	v_sub_u32_e32 v38, 0, v33
	v_ldexp_f32 v37, v37, v38
	v_ldexp_f32 v34, v34, v38
	v_add_f32_e32 v38, -1.0, v37
	v_add_f32_e32 v41, 1.0, v37
	v_add_f32_e32 v39, 1.0, v38
	v_add_f32_e32 v42, -1.0, v41
	v_sub_f32_e32 v39, v37, v39
	v_sub_f32_e32 v37, v37, v42
	v_add_f32_e32 v39, v34, v39
	v_add_f32_e32 v34, v34, v37
	;; [unrolled: 1-line block ×3, first 2 shown]
	v_rcp_f32_e32 v42, v37
	v_add_f32_e32 v40, v38, v39
	v_sub_f32_e32 v38, v38, v40
	v_add_f32_e32 v38, v39, v38
	v_sub_f32_e32 v39, v41, v37
	v_add_f32_e32 v34, v34, v39
	v_mul_f32_e32 v39, v40, v42
	v_mul_f32_e32 v41, v37, v39
	v_fma_f32 v43, v39, v37, -v41
	v_fmac_f32_e32 v43, v39, v34
	v_add_f32_e32 v44, v41, v43
	v_sub_f32_e32 v45, v40, v44
	v_sub_f32_e32 v40, v40, v45
	;; [unrolled: 1-line block ×4, first 2 shown]
	v_add_f32_e32 v38, v38, v40
	v_sub_f32_e32 v40, v41, v43
	v_add_f32_e32 v38, v40, v38
	v_add_f32_e32 v40, v45, v38
	v_mul_f32_e32 v41, v42, v40
	v_mul_f32_e32 v43, v37, v41
	v_fma_f32 v37, v41, v37, -v43
	v_fmac_f32_e32 v37, v41, v34
	v_sub_f32_e32 v34, v45, v40
	v_add_f32_e32 v34, v38, v34
	v_add_f32_e32 v38, v43, v37
	v_sub_f32_e32 v44, v40, v38
	v_sub_f32_e32 v40, v40, v44
	v_sub_f32_e32 v43, v38, v43
	v_sub_f32_e32 v38, v40, v38
	v_add_f32_e32 v34, v34, v38
	v_sub_f32_e32 v37, v43, v37
	v_add_f32_e32 v34, v37, v34
	v_add_f32_e32 v37, v39, v41
	;; [unrolled: 1-line block ×3, first 2 shown]
	v_sub_f32_e32 v38, v37, v39
	v_mul_f32_e32 v34, v42, v34
	v_sub_f32_e32 v38, v41, v38
	v_add_f32_e32 v34, v38, v34
	v_cvt_f32_i32_e32 v33, v33
	v_add_f32_e32 v38, v37, v34
	v_mul_f32_e32 v39, v38, v38
	v_mov_b32_e32 v40, 0x3ecc95a3
	v_fmac_f32_e32 v40, 0x3e9b6dac, v39
	v_mov_b32_e32 v41, 0x3f2aaada
	v_fmac_f32_e32 v41, v39, v40
	v_mul_f32_e32 v40, 0x3f317218, v33
	v_fma_f32 v42, v33, s9, -v40
	v_fmac_f32_e32 v42, 0xb102e308, v33
	v_sub_f32_e32 v33, v38, v37
	v_sub_f32_e32 v33, v34, v33
	v_add_f32_e32 v34, v40, v42
	v_sub_f32_e32 v37, v34, v40
	v_ldexp_f32 v40, v38, 1
	v_mul_f32_e32 v38, v38, v39
	v_mul_f32_e32 v38, v38, v41
	v_add_f32_e32 v39, v40, v38
	v_sub_f32_e32 v40, v39, v40
	v_ldexp_f32 v33, v33, 1
	v_sub_f32_e32 v38, v38, v40
	v_add_f32_e32 v33, v33, v38
	v_add_f32_e32 v38, v39, v33
	v_sub_f32_e32 v39, v38, v39
	v_sub_f32_e32 v33, v33, v39
	v_add_f32_e32 v39, v34, v38
	v_sub_f32_e32 v40, v39, v34
	v_sub_f32_e32 v41, v39, v40
	;; [unrolled: 1-line block ×5, first 2 shown]
	v_add_f32_e32 v34, v38, v34
	v_add_f32_e32 v38, v37, v33
	v_sub_f32_e32 v40, v38, v37
	v_sub_f32_e32 v41, v38, v40
	;; [unrolled: 1-line block ×4, first 2 shown]
	v_add_f32_e32 v34, v38, v34
	v_add_f32_e32 v33, v33, v37
	;; [unrolled: 1-line block ×3, first 2 shown]
	v_sub_f32_e32 v38, v37, v39
	v_sub_f32_e32 v34, v34, v38
	v_add_f32_e32 v33, v33, v34
	v_add_f32_e32 v33, v37, v33
	v_cmp_neq_f32_e32 vcc, s8, v36
	s_mov_b32 s8, 0x33800000
	v_cndmask_b32_e32 v33, v35, v33, vcc
	v_cmp_lt_f32_e64 vcc, |v36|, s8
	v_cndmask_b32_e32 v33, v33, v36, vcc
	v_add_f32_e32 v32, v32, v33
	v_cvt_f16_f32_e32 v34, v32
	v_cvt_f32_f16_e32 v33, v34
.LBB372_99:
	s_or_b64 exec, exec, s[2:3]
	ds_read_u16 v32, v8 offset:6
	v_max_f32_e32 v36, v33, v33
	v_cmp_u_f16_e32 vcc, v34, v34
	s_movk_i32 s2, 0x1f8
	s_waitcnt lgkmcnt(0)
	v_cvt_f32_f16_e32 v35, v32
	v_min_f32_e32 v37, v36, v35
	v_max_f32_e32 v36, v36, v35
	v_cndmask_b32_e32 v37, v37, v33, vcc
	v_cndmask_b32_e32 v36, v36, v33, vcc
	v_cmp_u_f16_e32 vcc, v32, v32
	v_cndmask_b32_e32 v33, v37, v35, vcc
	v_cndmask_b32_e32 v32, v36, v35, vcc
	v_cmp_neq_f32_e32 vcc, v33, v32
	v_cmp_class_f32_e64 s[2:3], v33, s2
	s_or_b64 s[8:9], vcc, s[2:3]
	s_and_saveexec_b64 s[2:3], s[8:9]
	s_cbranch_execz .LBB372_101
; %bb.100:
	v_sub_f32_e32 v33, v33, v32
	s_mov_b32 s8, 0x3fb8aa3b
	v_mul_f32_e32 v34, 0x3fb8aa3b, v33
	v_fma_f32 v35, v33, s8, -v34
	v_rndne_f32_e32 v36, v34
	v_fmac_f32_e32 v35, 0x32a5705f, v33
	v_sub_f32_e32 v34, v34, v36
	v_add_f32_e32 v34, v34, v35
	v_exp_f32_e32 v34, v34
	v_cvt_i32_f32_e32 v35, v36
	s_mov_b32 s8, 0xc2ce8ed0
	v_cmp_ngt_f32_e32 vcc, s8, v33
	s_mov_b32 s8, 0x42b17218
	v_ldexp_f32 v34, v34, v35
	v_cndmask_b32_e32 v34, 0, v34, vcc
	v_mov_b32_e32 v35, 0x7f800000
	v_cmp_nlt_f32_e32 vcc, s8, v33
	v_cndmask_b32_e32 v36, v35, v34, vcc
	v_add_f32_e32 v37, 1.0, v36
	v_cvt_f64_f32_e32 v[33:34], v37
	v_add_f32_e32 v38, -1.0, v37
	v_sub_f32_e32 v39, v38, v37
	v_sub_f32_e32 v38, v36, v38
	v_frexp_exp_i32_f64_e32 v33, v[33:34]
	v_add_f32_e32 v34, 1.0, v39
	v_add_f32_e32 v34, v38, v34
	v_frexp_mant_f32_e32 v38, v37
	s_mov_b32 s9, 0x3f2aaaab
	v_cmp_gt_f32_e32 vcc, s9, v38
	s_mov_b32 s9, 0x3f317218
	s_mov_b32 s8, 0x7f800000
	v_subbrev_co_u32_e32 v33, vcc, 0, v33, vcc
	v_sub_u32_e32 v38, 0, v33
	v_ldexp_f32 v37, v37, v38
	v_ldexp_f32 v34, v34, v38
	v_add_f32_e32 v38, -1.0, v37
	v_add_f32_e32 v41, 1.0, v37
	v_add_f32_e32 v39, 1.0, v38
	v_add_f32_e32 v42, -1.0, v41
	v_sub_f32_e32 v39, v37, v39
	v_sub_f32_e32 v37, v37, v42
	v_add_f32_e32 v39, v34, v39
	v_add_f32_e32 v34, v34, v37
	;; [unrolled: 1-line block ×3, first 2 shown]
	v_rcp_f32_e32 v42, v37
	v_add_f32_e32 v40, v38, v39
	v_sub_f32_e32 v38, v38, v40
	v_add_f32_e32 v38, v39, v38
	v_sub_f32_e32 v39, v41, v37
	v_add_f32_e32 v34, v34, v39
	v_mul_f32_e32 v39, v40, v42
	v_mul_f32_e32 v41, v37, v39
	v_fma_f32 v43, v39, v37, -v41
	v_fmac_f32_e32 v43, v39, v34
	v_add_f32_e32 v44, v41, v43
	v_sub_f32_e32 v45, v40, v44
	v_sub_f32_e32 v40, v40, v45
	;; [unrolled: 1-line block ×4, first 2 shown]
	v_add_f32_e32 v38, v38, v40
	v_sub_f32_e32 v40, v41, v43
	v_add_f32_e32 v38, v40, v38
	v_add_f32_e32 v40, v45, v38
	v_mul_f32_e32 v41, v42, v40
	v_mul_f32_e32 v43, v37, v41
	v_fma_f32 v37, v41, v37, -v43
	v_fmac_f32_e32 v37, v41, v34
	v_sub_f32_e32 v34, v45, v40
	v_add_f32_e32 v34, v38, v34
	v_add_f32_e32 v38, v43, v37
	v_sub_f32_e32 v44, v40, v38
	v_sub_f32_e32 v40, v40, v44
	;; [unrolled: 1-line block ×4, first 2 shown]
	v_add_f32_e32 v34, v34, v38
	v_sub_f32_e32 v37, v43, v37
	v_add_f32_e32 v34, v37, v34
	v_add_f32_e32 v37, v39, v41
	;; [unrolled: 1-line block ×3, first 2 shown]
	v_sub_f32_e32 v38, v37, v39
	v_mul_f32_e32 v34, v42, v34
	v_sub_f32_e32 v38, v41, v38
	v_add_f32_e32 v34, v38, v34
	v_cvt_f32_i32_e32 v33, v33
	v_add_f32_e32 v38, v37, v34
	v_mul_f32_e32 v39, v38, v38
	v_mov_b32_e32 v40, 0x3ecc95a3
	v_fmac_f32_e32 v40, 0x3e9b6dac, v39
	v_mov_b32_e32 v41, 0x3f2aaada
	v_fmac_f32_e32 v41, v39, v40
	v_mul_f32_e32 v40, 0x3f317218, v33
	v_fma_f32 v42, v33, s9, -v40
	v_fmac_f32_e32 v42, 0xb102e308, v33
	v_sub_f32_e32 v33, v38, v37
	v_sub_f32_e32 v33, v34, v33
	v_add_f32_e32 v34, v40, v42
	v_sub_f32_e32 v37, v34, v40
	v_ldexp_f32 v40, v38, 1
	v_mul_f32_e32 v38, v38, v39
	v_mul_f32_e32 v38, v38, v41
	v_add_f32_e32 v39, v40, v38
	v_sub_f32_e32 v40, v39, v40
	v_ldexp_f32 v33, v33, 1
	v_sub_f32_e32 v38, v38, v40
	v_add_f32_e32 v33, v33, v38
	v_add_f32_e32 v38, v39, v33
	v_sub_f32_e32 v39, v38, v39
	v_sub_f32_e32 v33, v33, v39
	v_add_f32_e32 v39, v34, v38
	v_sub_f32_e32 v40, v39, v34
	v_sub_f32_e32 v41, v39, v40
	;; [unrolled: 1-line block ×5, first 2 shown]
	v_add_f32_e32 v34, v38, v34
	v_add_f32_e32 v38, v37, v33
	v_sub_f32_e32 v40, v38, v37
	v_sub_f32_e32 v41, v38, v40
	;; [unrolled: 1-line block ×4, first 2 shown]
	v_add_f32_e32 v34, v38, v34
	v_add_f32_e32 v33, v33, v37
	v_add_f32_e32 v37, v39, v34
	v_sub_f32_e32 v38, v37, v39
	v_sub_f32_e32 v34, v34, v38
	v_add_f32_e32 v33, v33, v34
	v_add_f32_e32 v33, v37, v33
	v_cmp_neq_f32_e32 vcc, s8, v36
	s_mov_b32 s8, 0x33800000
	v_cndmask_b32_e32 v33, v35, v33, vcc
	v_cmp_lt_f32_e64 vcc, |v36|, s8
	v_cndmask_b32_e32 v33, v33, v36, vcc
	v_add_f32_e32 v32, v32, v33
	v_cvt_f16_f32_e32 v34, v32
.LBB372_101:
	s_or_b64 exec, exec, s[2:3]
	v_mbcnt_lo_u32_b32 v32, -1, 0
	v_mbcnt_hi_u32_b32 v32, -1, v32
	v_and_b32_e32 v33, 15, v32
	v_and_b32_e32 v35, 0xffff, v34
	v_cmp_ne_u32_e32 vcc, 0, v33
	s_nop 0
	v_mov_b32_dpp v36, v35 row_shr:1 row_mask:0xf bank_mask:0xf
	s_and_saveexec_b64 s[2:3], vcc
	s_xor_b64 s[8:9], exec, s[2:3]
	s_cbranch_execz .LBB372_105
; %bb.102:
	v_cvt_f32_f16_e32 v37, v36
	v_cvt_f32_f16_e32 v38, v34
	v_cmp_u_f16_e64 s[2:3], v36, v36
	v_cmp_u_f16_e32 vcc, v34, v34
	v_min_f32_e32 v35, v37, v38
	v_max_f32_e32 v34, v37, v38
	v_cndmask_b32_e64 v35, v35, v37, s[2:3]
	v_cndmask_b32_e64 v34, v34, v37, s[2:3]
	v_cndmask_b32_e32 v35, v35, v38, vcc
	v_cndmask_b32_e32 v34, v34, v38, vcc
	s_movk_i32 s2, 0x1f8
	v_cmp_neq_f32_e32 vcc, v35, v34
	v_cmp_class_f32_e64 s[2:3], v35, s2
	s_or_b64 vcc, vcc, s[2:3]
	s_and_saveexec_b64 s[2:3], vcc
	s_cbranch_execz .LBB372_104
; %bb.103:
	v_sub_f32_e32 v35, v35, v34
	s_mov_b32 s33, 0x3fb8aa3b
	v_mul_f32_e32 v36, 0x3fb8aa3b, v35
	v_fma_f32 v37, v35, s33, -v36
	v_rndne_f32_e32 v38, v36
	v_fmac_f32_e32 v37, 0x32a5705f, v35
	v_sub_f32_e32 v36, v36, v38
	v_add_f32_e32 v36, v36, v37
	v_exp_f32_e32 v36, v36
	v_cvt_i32_f32_e32 v37, v38
	s_mov_b32 s33, 0xc2ce8ed0
	v_cmp_ngt_f32_e32 vcc, s33, v35
	s_mov_b32 s33, 0x42b17218
	v_ldexp_f32 v36, v36, v37
	v_cndmask_b32_e32 v36, 0, v36, vcc
	v_mov_b32_e32 v37, 0x7f800000
	v_cmp_nlt_f32_e32 vcc, s33, v35
	v_cndmask_b32_e32 v38, v37, v36, vcc
	v_add_f32_e32 v39, 1.0, v38
	v_cvt_f64_f32_e32 v[35:36], v39
	v_add_f32_e32 v40, -1.0, v39
	v_sub_f32_e32 v41, v40, v39
	v_sub_f32_e32 v40, v38, v40
	v_frexp_exp_i32_f64_e32 v35, v[35:36]
	v_add_f32_e32 v36, 1.0, v41
	v_add_f32_e32 v36, v40, v36
	v_frexp_mant_f32_e32 v40, v39
	s_mov_b32 s10, 0x3f2aaaab
	v_cmp_gt_f32_e32 vcc, s10, v40
	s_mov_b32 s10, 0x3f317218
	s_mov_b32 s33, 0x7f800000
	v_subbrev_co_u32_e32 v35, vcc, 0, v35, vcc
	v_sub_u32_e32 v40, 0, v35
	v_ldexp_f32 v39, v39, v40
	v_ldexp_f32 v36, v36, v40
	v_add_f32_e32 v40, -1.0, v39
	v_add_f32_e32 v43, 1.0, v39
	v_add_f32_e32 v41, 1.0, v40
	v_add_f32_e32 v44, -1.0, v43
	v_sub_f32_e32 v41, v39, v41
	v_sub_f32_e32 v39, v39, v44
	v_add_f32_e32 v41, v36, v41
	v_add_f32_e32 v36, v36, v39
	;; [unrolled: 1-line block ×3, first 2 shown]
	v_rcp_f32_e32 v44, v39
	v_add_f32_e32 v42, v40, v41
	v_sub_f32_e32 v40, v40, v42
	v_add_f32_e32 v40, v41, v40
	v_sub_f32_e32 v41, v43, v39
	v_add_f32_e32 v36, v36, v41
	v_mul_f32_e32 v41, v42, v44
	v_mul_f32_e32 v43, v39, v41
	v_fma_f32 v45, v41, v39, -v43
	v_fmac_f32_e32 v45, v41, v36
	v_add_f32_e32 v46, v43, v45
	v_sub_f32_e32 v47, v42, v46
	v_sub_f32_e32 v42, v42, v47
	;; [unrolled: 1-line block ×4, first 2 shown]
	v_add_f32_e32 v40, v40, v42
	v_sub_f32_e32 v42, v43, v45
	v_add_f32_e32 v40, v42, v40
	v_add_f32_e32 v42, v47, v40
	v_mul_f32_e32 v43, v44, v42
	v_mul_f32_e32 v45, v39, v43
	v_fma_f32 v39, v43, v39, -v45
	v_fmac_f32_e32 v39, v43, v36
	v_sub_f32_e32 v36, v47, v42
	v_add_f32_e32 v36, v40, v36
	v_add_f32_e32 v40, v45, v39
	v_sub_f32_e32 v46, v42, v40
	v_sub_f32_e32 v42, v42, v46
	;; [unrolled: 1-line block ×4, first 2 shown]
	v_add_f32_e32 v36, v36, v40
	v_sub_f32_e32 v39, v45, v39
	v_add_f32_e32 v36, v39, v36
	v_add_f32_e32 v39, v41, v43
	;; [unrolled: 1-line block ×3, first 2 shown]
	v_sub_f32_e32 v40, v39, v41
	v_mul_f32_e32 v36, v44, v36
	v_sub_f32_e32 v40, v43, v40
	v_add_f32_e32 v36, v40, v36
	v_cvt_f32_i32_e32 v35, v35
	v_add_f32_e32 v40, v39, v36
	v_mul_f32_e32 v41, v40, v40
	v_mov_b32_e32 v42, 0x3ecc95a3
	v_fmac_f32_e32 v42, 0x3e9b6dac, v41
	v_mov_b32_e32 v43, 0x3f2aaada
	v_fmac_f32_e32 v43, v41, v42
	v_mul_f32_e32 v42, 0x3f317218, v35
	v_fma_f32 v44, v35, s10, -v42
	v_fmac_f32_e32 v44, 0xb102e308, v35
	v_sub_f32_e32 v35, v40, v39
	v_sub_f32_e32 v35, v36, v35
	v_add_f32_e32 v36, v42, v44
	v_sub_f32_e32 v39, v36, v42
	v_ldexp_f32 v42, v40, 1
	v_mul_f32_e32 v40, v40, v41
	v_mul_f32_e32 v40, v40, v43
	v_add_f32_e32 v41, v42, v40
	v_sub_f32_e32 v42, v41, v42
	v_ldexp_f32 v35, v35, 1
	v_sub_f32_e32 v40, v40, v42
	v_add_f32_e32 v35, v35, v40
	v_add_f32_e32 v40, v41, v35
	v_sub_f32_e32 v41, v40, v41
	v_sub_f32_e32 v35, v35, v41
	v_add_f32_e32 v41, v36, v40
	v_sub_f32_e32 v42, v41, v36
	v_sub_f32_e32 v43, v41, v42
	;; [unrolled: 1-line block ×5, first 2 shown]
	v_add_f32_e32 v36, v40, v36
	v_add_f32_e32 v40, v39, v35
	v_sub_f32_e32 v42, v40, v39
	v_sub_f32_e32 v43, v40, v42
	;; [unrolled: 1-line block ×4, first 2 shown]
	v_add_f32_e32 v36, v40, v36
	v_add_f32_e32 v35, v35, v39
	;; [unrolled: 1-line block ×3, first 2 shown]
	v_sub_f32_e32 v40, v39, v41
	v_sub_f32_e32 v36, v36, v40
	v_add_f32_e32 v35, v35, v36
	v_add_f32_e32 v35, v39, v35
	v_cmp_neq_f32_e32 vcc, s33, v38
	s_mov_b32 s10, 0x33800000
	v_cndmask_b32_e32 v35, v37, v35, vcc
	v_cmp_lt_f32_e64 vcc, |v38|, s10
	v_cndmask_b32_e32 v35, v35, v38, vcc
	v_add_f32_e32 v34, v34, v35
	v_cvt_f16_f32_e32 v36, v34
.LBB372_104:
	s_or_b64 exec, exec, s[2:3]
	v_and_b32_e32 v35, 0xffff, v36
	v_mov_b32_e32 v34, v36
.LBB372_105:
	s_or_b64 exec, exec, s[8:9]
	v_mov_b32_dpp v36, v35 row_shr:2 row_mask:0xf bank_mask:0xf
	v_cmp_lt_u32_e32 vcc, 1, v33
	s_and_saveexec_b64 s[8:9], vcc
	s_cbranch_execz .LBB372_109
; %bb.106:
	v_cvt_f32_f16_e32 v37, v36
	v_cvt_f32_f16_e32 v38, v34
	v_cmp_u_f16_e32 vcc, v36, v36
	v_cmp_u_f16_e64 s[2:3], v34, v34
	v_min_f32_e32 v35, v37, v38
	v_max_f32_e32 v34, v37, v38
	v_cndmask_b32_e32 v35, v35, v37, vcc
	v_cndmask_b32_e32 v34, v34, v37, vcc
	v_cndmask_b32_e64 v35, v35, v38, s[2:3]
	v_cndmask_b32_e64 v34, v34, v38, s[2:3]
	s_movk_i32 s2, 0x1f8
	v_cmp_neq_f32_e32 vcc, v35, v34
	v_cmp_class_f32_e64 s[2:3], v35, s2
	s_or_b64 vcc, vcc, s[2:3]
	s_and_saveexec_b64 s[2:3], vcc
	s_cbranch_execz .LBB372_108
; %bb.107:
	v_sub_f32_e32 v35, v35, v34
	s_mov_b32 s10, 0x3fb8aa3b
	v_mul_f32_e32 v36, 0x3fb8aa3b, v35
	v_fma_f32 v37, v35, s10, -v36
	v_rndne_f32_e32 v38, v36
	v_fmac_f32_e32 v37, 0x32a5705f, v35
	v_sub_f32_e32 v36, v36, v38
	v_add_f32_e32 v36, v36, v37
	v_exp_f32_e32 v36, v36
	v_cvt_i32_f32_e32 v37, v38
	s_mov_b32 s10, 0xc2ce8ed0
	v_cmp_ngt_f32_e32 vcc, s10, v35
	s_mov_b32 s10, 0x42b17218
	v_ldexp_f32 v36, v36, v37
	v_cndmask_b32_e32 v36, 0, v36, vcc
	v_mov_b32_e32 v37, 0x7f800000
	v_cmp_nlt_f32_e32 vcc, s10, v35
	v_cndmask_b32_e32 v38, v37, v36, vcc
	v_add_f32_e32 v39, 1.0, v38
	v_cvt_f64_f32_e32 v[35:36], v39
	v_add_f32_e32 v40, -1.0, v39
	v_sub_f32_e32 v41, v40, v39
	v_sub_f32_e32 v40, v38, v40
	v_frexp_exp_i32_f64_e32 v35, v[35:36]
	v_add_f32_e32 v36, 1.0, v41
	v_add_f32_e32 v36, v40, v36
	v_frexp_mant_f32_e32 v40, v39
	s_mov_b32 s11, 0x3f2aaaab
	v_cmp_gt_f32_e32 vcc, s11, v40
	s_mov_b32 s11, 0x3f317218
	s_mov_b32 s10, 0x7f800000
	v_subbrev_co_u32_e32 v35, vcc, 0, v35, vcc
	v_sub_u32_e32 v40, 0, v35
	v_ldexp_f32 v39, v39, v40
	v_ldexp_f32 v36, v36, v40
	v_add_f32_e32 v40, -1.0, v39
	v_add_f32_e32 v43, 1.0, v39
	v_add_f32_e32 v41, 1.0, v40
	v_add_f32_e32 v44, -1.0, v43
	v_sub_f32_e32 v41, v39, v41
	v_sub_f32_e32 v39, v39, v44
	v_add_f32_e32 v41, v36, v41
	v_add_f32_e32 v36, v36, v39
	;; [unrolled: 1-line block ×3, first 2 shown]
	v_rcp_f32_e32 v44, v39
	v_add_f32_e32 v42, v40, v41
	v_sub_f32_e32 v40, v40, v42
	v_add_f32_e32 v40, v41, v40
	v_sub_f32_e32 v41, v43, v39
	v_add_f32_e32 v36, v36, v41
	v_mul_f32_e32 v41, v42, v44
	v_mul_f32_e32 v43, v39, v41
	v_fma_f32 v45, v41, v39, -v43
	v_fmac_f32_e32 v45, v41, v36
	v_add_f32_e32 v46, v43, v45
	v_sub_f32_e32 v47, v42, v46
	v_sub_f32_e32 v42, v42, v47
	;; [unrolled: 1-line block ×4, first 2 shown]
	v_add_f32_e32 v40, v40, v42
	v_sub_f32_e32 v42, v43, v45
	v_add_f32_e32 v40, v42, v40
	v_add_f32_e32 v42, v47, v40
	v_mul_f32_e32 v43, v44, v42
	v_mul_f32_e32 v45, v39, v43
	v_fma_f32 v39, v43, v39, -v45
	v_fmac_f32_e32 v39, v43, v36
	v_sub_f32_e32 v36, v47, v42
	v_add_f32_e32 v36, v40, v36
	v_add_f32_e32 v40, v45, v39
	v_sub_f32_e32 v46, v42, v40
	v_sub_f32_e32 v42, v42, v46
	;; [unrolled: 1-line block ×4, first 2 shown]
	v_add_f32_e32 v36, v36, v40
	v_sub_f32_e32 v39, v45, v39
	v_add_f32_e32 v36, v39, v36
	v_add_f32_e32 v39, v41, v43
	;; [unrolled: 1-line block ×3, first 2 shown]
	v_sub_f32_e32 v40, v39, v41
	v_mul_f32_e32 v36, v44, v36
	v_sub_f32_e32 v40, v43, v40
	v_add_f32_e32 v36, v40, v36
	v_cvt_f32_i32_e32 v35, v35
	v_add_f32_e32 v40, v39, v36
	v_mul_f32_e32 v41, v40, v40
	v_mov_b32_e32 v42, 0x3ecc95a3
	v_fmac_f32_e32 v42, 0x3e9b6dac, v41
	v_mov_b32_e32 v43, 0x3f2aaada
	v_fmac_f32_e32 v43, v41, v42
	v_mul_f32_e32 v42, 0x3f317218, v35
	v_fma_f32 v44, v35, s11, -v42
	v_fmac_f32_e32 v44, 0xb102e308, v35
	v_sub_f32_e32 v35, v40, v39
	v_sub_f32_e32 v35, v36, v35
	v_add_f32_e32 v36, v42, v44
	v_sub_f32_e32 v39, v36, v42
	v_ldexp_f32 v42, v40, 1
	v_mul_f32_e32 v40, v40, v41
	v_mul_f32_e32 v40, v40, v43
	v_add_f32_e32 v41, v42, v40
	v_sub_f32_e32 v42, v41, v42
	v_ldexp_f32 v35, v35, 1
	v_sub_f32_e32 v40, v40, v42
	v_add_f32_e32 v35, v35, v40
	v_add_f32_e32 v40, v41, v35
	v_sub_f32_e32 v41, v40, v41
	v_sub_f32_e32 v35, v35, v41
	v_add_f32_e32 v41, v36, v40
	v_sub_f32_e32 v42, v41, v36
	v_sub_f32_e32 v43, v41, v42
	v_sub_f32_e32 v39, v44, v39
	v_sub_f32_e32 v36, v36, v43
	v_sub_f32_e32 v40, v40, v42
	v_add_f32_e32 v36, v40, v36
	v_add_f32_e32 v40, v39, v35
	v_sub_f32_e32 v42, v40, v39
	v_sub_f32_e32 v43, v40, v42
	;; [unrolled: 1-line block ×4, first 2 shown]
	v_add_f32_e32 v36, v40, v36
	v_add_f32_e32 v35, v35, v39
	;; [unrolled: 1-line block ×3, first 2 shown]
	v_sub_f32_e32 v40, v39, v41
	v_sub_f32_e32 v36, v36, v40
	v_add_f32_e32 v35, v35, v36
	v_add_f32_e32 v35, v39, v35
	v_cmp_neq_f32_e32 vcc, s10, v38
	s_mov_b32 s10, 0x33800000
	v_cndmask_b32_e32 v35, v37, v35, vcc
	v_cmp_lt_f32_e64 vcc, |v38|, s10
	v_cndmask_b32_e32 v35, v35, v38, vcc
	v_add_f32_e32 v34, v34, v35
	v_cvt_f16_f32_e32 v36, v34
.LBB372_108:
	s_or_b64 exec, exec, s[2:3]
	v_and_b32_e32 v35, 0xffff, v36
	v_mov_b32_e32 v34, v36
.LBB372_109:
	s_or_b64 exec, exec, s[8:9]
	v_mov_b32_dpp v36, v35 row_shr:4 row_mask:0xf bank_mask:0xf
	v_cmp_lt_u32_e32 vcc, 3, v33
	s_and_saveexec_b64 s[8:9], vcc
	s_cbranch_execz .LBB372_113
; %bb.110:
	v_cvt_f32_f16_e32 v37, v36
	v_cvt_f32_f16_e32 v38, v34
	v_cmp_u_f16_e32 vcc, v36, v36
	v_cmp_u_f16_e64 s[2:3], v34, v34
	v_min_f32_e32 v35, v37, v38
	v_max_f32_e32 v34, v37, v38
	v_cndmask_b32_e32 v35, v35, v37, vcc
	v_cndmask_b32_e32 v34, v34, v37, vcc
	v_cndmask_b32_e64 v35, v35, v38, s[2:3]
	v_cndmask_b32_e64 v34, v34, v38, s[2:3]
	s_movk_i32 s2, 0x1f8
	v_cmp_neq_f32_e32 vcc, v35, v34
	v_cmp_class_f32_e64 s[2:3], v35, s2
	s_or_b64 vcc, vcc, s[2:3]
	s_and_saveexec_b64 s[2:3], vcc
	s_cbranch_execz .LBB372_112
; %bb.111:
	v_sub_f32_e32 v35, v35, v34
	s_mov_b32 s10, 0x3fb8aa3b
	v_mul_f32_e32 v36, 0x3fb8aa3b, v35
	v_fma_f32 v37, v35, s10, -v36
	v_rndne_f32_e32 v38, v36
	v_fmac_f32_e32 v37, 0x32a5705f, v35
	v_sub_f32_e32 v36, v36, v38
	v_add_f32_e32 v36, v36, v37
	v_exp_f32_e32 v36, v36
	v_cvt_i32_f32_e32 v37, v38
	s_mov_b32 s10, 0xc2ce8ed0
	v_cmp_ngt_f32_e32 vcc, s10, v35
	s_mov_b32 s10, 0x42b17218
	v_ldexp_f32 v36, v36, v37
	v_cndmask_b32_e32 v36, 0, v36, vcc
	v_mov_b32_e32 v37, 0x7f800000
	v_cmp_nlt_f32_e32 vcc, s10, v35
	v_cndmask_b32_e32 v38, v37, v36, vcc
	v_add_f32_e32 v39, 1.0, v38
	v_cvt_f64_f32_e32 v[35:36], v39
	v_add_f32_e32 v40, -1.0, v39
	v_sub_f32_e32 v41, v40, v39
	v_sub_f32_e32 v40, v38, v40
	v_frexp_exp_i32_f64_e32 v35, v[35:36]
	v_add_f32_e32 v36, 1.0, v41
	v_add_f32_e32 v36, v40, v36
	v_frexp_mant_f32_e32 v40, v39
	s_mov_b32 s11, 0x3f2aaaab
	v_cmp_gt_f32_e32 vcc, s11, v40
	s_mov_b32 s11, 0x3f317218
	s_mov_b32 s10, 0x7f800000
	v_subbrev_co_u32_e32 v35, vcc, 0, v35, vcc
	v_sub_u32_e32 v40, 0, v35
	v_ldexp_f32 v39, v39, v40
	v_ldexp_f32 v36, v36, v40
	v_add_f32_e32 v40, -1.0, v39
	v_add_f32_e32 v43, 1.0, v39
	v_add_f32_e32 v41, 1.0, v40
	v_add_f32_e32 v44, -1.0, v43
	v_sub_f32_e32 v41, v39, v41
	v_sub_f32_e32 v39, v39, v44
	v_add_f32_e32 v41, v36, v41
	v_add_f32_e32 v36, v36, v39
	;; [unrolled: 1-line block ×3, first 2 shown]
	v_rcp_f32_e32 v44, v39
	v_add_f32_e32 v42, v40, v41
	v_sub_f32_e32 v40, v40, v42
	v_add_f32_e32 v40, v41, v40
	v_sub_f32_e32 v41, v43, v39
	v_add_f32_e32 v36, v36, v41
	v_mul_f32_e32 v41, v42, v44
	v_mul_f32_e32 v43, v39, v41
	v_fma_f32 v45, v41, v39, -v43
	v_fmac_f32_e32 v45, v41, v36
	v_add_f32_e32 v46, v43, v45
	v_sub_f32_e32 v47, v42, v46
	v_sub_f32_e32 v42, v42, v47
	;; [unrolled: 1-line block ×4, first 2 shown]
	v_add_f32_e32 v40, v40, v42
	v_sub_f32_e32 v42, v43, v45
	v_add_f32_e32 v40, v42, v40
	v_add_f32_e32 v42, v47, v40
	v_mul_f32_e32 v43, v44, v42
	v_mul_f32_e32 v45, v39, v43
	v_fma_f32 v39, v43, v39, -v45
	v_fmac_f32_e32 v39, v43, v36
	v_sub_f32_e32 v36, v47, v42
	v_add_f32_e32 v36, v40, v36
	v_add_f32_e32 v40, v45, v39
	v_sub_f32_e32 v46, v42, v40
	v_sub_f32_e32 v42, v42, v46
	;; [unrolled: 1-line block ×4, first 2 shown]
	v_add_f32_e32 v36, v36, v40
	v_sub_f32_e32 v39, v45, v39
	v_add_f32_e32 v36, v39, v36
	v_add_f32_e32 v39, v41, v43
	;; [unrolled: 1-line block ×3, first 2 shown]
	v_sub_f32_e32 v40, v39, v41
	v_mul_f32_e32 v36, v44, v36
	v_sub_f32_e32 v40, v43, v40
	v_add_f32_e32 v36, v40, v36
	v_cvt_f32_i32_e32 v35, v35
	v_add_f32_e32 v40, v39, v36
	v_mul_f32_e32 v41, v40, v40
	v_mov_b32_e32 v42, 0x3ecc95a3
	v_fmac_f32_e32 v42, 0x3e9b6dac, v41
	v_mov_b32_e32 v43, 0x3f2aaada
	v_fmac_f32_e32 v43, v41, v42
	v_mul_f32_e32 v42, 0x3f317218, v35
	v_fma_f32 v44, v35, s11, -v42
	v_fmac_f32_e32 v44, 0xb102e308, v35
	v_sub_f32_e32 v35, v40, v39
	v_sub_f32_e32 v35, v36, v35
	v_add_f32_e32 v36, v42, v44
	v_sub_f32_e32 v39, v36, v42
	v_ldexp_f32 v42, v40, 1
	v_mul_f32_e32 v40, v40, v41
	v_mul_f32_e32 v40, v40, v43
	v_add_f32_e32 v41, v42, v40
	v_sub_f32_e32 v42, v41, v42
	v_ldexp_f32 v35, v35, 1
	v_sub_f32_e32 v40, v40, v42
	v_add_f32_e32 v35, v35, v40
	v_add_f32_e32 v40, v41, v35
	v_sub_f32_e32 v41, v40, v41
	v_sub_f32_e32 v35, v35, v41
	v_add_f32_e32 v41, v36, v40
	v_sub_f32_e32 v42, v41, v36
	v_sub_f32_e32 v43, v41, v42
	;; [unrolled: 1-line block ×5, first 2 shown]
	v_add_f32_e32 v36, v40, v36
	v_add_f32_e32 v40, v39, v35
	v_sub_f32_e32 v42, v40, v39
	v_sub_f32_e32 v43, v40, v42
	;; [unrolled: 1-line block ×4, first 2 shown]
	v_add_f32_e32 v36, v40, v36
	v_add_f32_e32 v35, v35, v39
	v_add_f32_e32 v39, v41, v36
	v_sub_f32_e32 v40, v39, v41
	v_sub_f32_e32 v36, v36, v40
	v_add_f32_e32 v35, v35, v36
	v_add_f32_e32 v35, v39, v35
	v_cmp_neq_f32_e32 vcc, s10, v38
	s_mov_b32 s10, 0x33800000
	v_cndmask_b32_e32 v35, v37, v35, vcc
	v_cmp_lt_f32_e64 vcc, |v38|, s10
	v_cndmask_b32_e32 v35, v35, v38, vcc
	v_add_f32_e32 v34, v34, v35
	v_cvt_f16_f32_e32 v36, v34
.LBB372_112:
	s_or_b64 exec, exec, s[2:3]
	v_and_b32_e32 v35, 0xffff, v36
	v_mov_b32_e32 v34, v36
.LBB372_113:
	s_or_b64 exec, exec, s[8:9]
	v_mov_b32_dpp v36, v35 row_shr:8 row_mask:0xf bank_mask:0xf
	v_cmp_lt_u32_e32 vcc, 7, v33
	s_and_saveexec_b64 s[8:9], vcc
	s_cbranch_execz .LBB372_117
; %bb.114:
	v_cvt_f32_f16_e32 v33, v36
	v_cvt_f32_f16_e32 v35, v34
	v_cmp_u_f16_e32 vcc, v36, v36
	v_cmp_u_f16_e64 s[2:3], v34, v34
	v_min_f32_e32 v37, v33, v35
	v_cndmask_b32_e32 v37, v37, v33, vcc
	v_cndmask_b32_e64 v34, v37, v35, s[2:3]
	v_max_f32_e32 v37, v33, v35
	v_cndmask_b32_e32 v33, v37, v33, vcc
	v_cndmask_b32_e64 v33, v33, v35, s[2:3]
	s_movk_i32 s2, 0x1f8
	v_cmp_neq_f32_e32 vcc, v34, v33
	v_cmp_class_f32_e64 s[2:3], v34, s2
	s_or_b64 vcc, vcc, s[2:3]
	s_and_saveexec_b64 s[2:3], vcc
	s_cbranch_execz .LBB372_116
; %bb.115:
	v_sub_f32_e32 v34, v34, v33
	s_mov_b32 s10, 0x3fb8aa3b
	v_mul_f32_e32 v35, 0x3fb8aa3b, v34
	v_fma_f32 v36, v34, s10, -v35
	v_rndne_f32_e32 v37, v35
	v_fmac_f32_e32 v36, 0x32a5705f, v34
	v_sub_f32_e32 v35, v35, v37
	v_add_f32_e32 v35, v35, v36
	v_exp_f32_e32 v35, v35
	v_cvt_i32_f32_e32 v36, v37
	s_mov_b32 s10, 0xc2ce8ed0
	v_cmp_ngt_f32_e32 vcc, s10, v34
	s_mov_b32 s10, 0x42b17218
	v_ldexp_f32 v35, v35, v36
	v_cndmask_b32_e32 v35, 0, v35, vcc
	v_mov_b32_e32 v36, 0x7f800000
	v_cmp_nlt_f32_e32 vcc, s10, v34
	v_cndmask_b32_e32 v37, v36, v35, vcc
	v_add_f32_e32 v38, 1.0, v37
	v_cvt_f64_f32_e32 v[34:35], v38
	v_add_f32_e32 v39, -1.0, v38
	v_sub_f32_e32 v40, v39, v38
	v_sub_f32_e32 v39, v37, v39
	v_frexp_exp_i32_f64_e32 v34, v[34:35]
	v_add_f32_e32 v35, 1.0, v40
	v_add_f32_e32 v35, v39, v35
	v_frexp_mant_f32_e32 v39, v38
	s_mov_b32 s11, 0x3f2aaaab
	v_cmp_gt_f32_e32 vcc, s11, v39
	s_mov_b32 s11, 0x3f317218
	s_mov_b32 s10, 0x7f800000
	v_subbrev_co_u32_e32 v34, vcc, 0, v34, vcc
	v_sub_u32_e32 v39, 0, v34
	v_ldexp_f32 v38, v38, v39
	v_ldexp_f32 v35, v35, v39
	v_add_f32_e32 v39, -1.0, v38
	v_add_f32_e32 v42, 1.0, v38
	v_add_f32_e32 v40, 1.0, v39
	v_add_f32_e32 v43, -1.0, v42
	v_sub_f32_e32 v40, v38, v40
	v_sub_f32_e32 v38, v38, v43
	v_add_f32_e32 v40, v35, v40
	v_add_f32_e32 v35, v35, v38
	;; [unrolled: 1-line block ×3, first 2 shown]
	v_rcp_f32_e32 v43, v38
	v_add_f32_e32 v41, v39, v40
	v_sub_f32_e32 v39, v39, v41
	v_add_f32_e32 v39, v40, v39
	v_sub_f32_e32 v40, v42, v38
	v_add_f32_e32 v35, v35, v40
	v_mul_f32_e32 v40, v41, v43
	v_mul_f32_e32 v42, v38, v40
	v_fma_f32 v44, v40, v38, -v42
	v_fmac_f32_e32 v44, v40, v35
	v_add_f32_e32 v45, v42, v44
	v_sub_f32_e32 v46, v41, v45
	v_sub_f32_e32 v41, v41, v46
	;; [unrolled: 1-line block ×4, first 2 shown]
	v_add_f32_e32 v39, v39, v41
	v_sub_f32_e32 v41, v42, v44
	v_add_f32_e32 v39, v41, v39
	v_add_f32_e32 v41, v46, v39
	v_mul_f32_e32 v42, v43, v41
	v_mul_f32_e32 v44, v38, v42
	v_fma_f32 v38, v42, v38, -v44
	v_fmac_f32_e32 v38, v42, v35
	v_sub_f32_e32 v35, v46, v41
	v_add_f32_e32 v35, v39, v35
	v_add_f32_e32 v39, v44, v38
	v_sub_f32_e32 v45, v41, v39
	v_sub_f32_e32 v41, v41, v45
	v_sub_f32_e32 v44, v39, v44
	v_sub_f32_e32 v39, v41, v39
	v_add_f32_e32 v35, v35, v39
	v_sub_f32_e32 v38, v44, v38
	v_add_f32_e32 v35, v38, v35
	v_add_f32_e32 v38, v40, v42
	;; [unrolled: 1-line block ×3, first 2 shown]
	v_sub_f32_e32 v39, v38, v40
	v_mul_f32_e32 v35, v43, v35
	v_sub_f32_e32 v39, v42, v39
	v_add_f32_e32 v35, v39, v35
	v_cvt_f32_i32_e32 v34, v34
	v_add_f32_e32 v39, v38, v35
	v_mul_f32_e32 v40, v39, v39
	v_mov_b32_e32 v41, 0x3ecc95a3
	v_fmac_f32_e32 v41, 0x3e9b6dac, v40
	v_mov_b32_e32 v42, 0x3f2aaada
	v_fmac_f32_e32 v42, v40, v41
	v_mul_f32_e32 v41, 0x3f317218, v34
	v_fma_f32 v43, v34, s11, -v41
	v_fmac_f32_e32 v43, 0xb102e308, v34
	v_sub_f32_e32 v34, v39, v38
	v_sub_f32_e32 v34, v35, v34
	v_add_f32_e32 v35, v41, v43
	v_sub_f32_e32 v38, v35, v41
	v_ldexp_f32 v41, v39, 1
	v_mul_f32_e32 v39, v39, v40
	v_mul_f32_e32 v39, v39, v42
	v_add_f32_e32 v40, v41, v39
	v_sub_f32_e32 v41, v40, v41
	v_ldexp_f32 v34, v34, 1
	v_sub_f32_e32 v39, v39, v41
	v_add_f32_e32 v34, v34, v39
	v_add_f32_e32 v39, v40, v34
	v_sub_f32_e32 v40, v39, v40
	v_sub_f32_e32 v34, v34, v40
	v_add_f32_e32 v40, v35, v39
	v_sub_f32_e32 v41, v40, v35
	v_sub_f32_e32 v42, v40, v41
	;; [unrolled: 1-line block ×5, first 2 shown]
	v_add_f32_e32 v35, v39, v35
	v_add_f32_e32 v39, v38, v34
	v_sub_f32_e32 v41, v39, v38
	v_sub_f32_e32 v42, v39, v41
	;; [unrolled: 1-line block ×4, first 2 shown]
	v_add_f32_e32 v35, v39, v35
	v_add_f32_e32 v34, v34, v38
	;; [unrolled: 1-line block ×3, first 2 shown]
	v_sub_f32_e32 v39, v38, v40
	v_sub_f32_e32 v35, v35, v39
	v_add_f32_e32 v34, v34, v35
	v_add_f32_e32 v34, v38, v34
	v_cmp_neq_f32_e32 vcc, s10, v37
	s_mov_b32 s10, 0x33800000
	v_cndmask_b32_e32 v34, v36, v34, vcc
	v_cmp_lt_f32_e64 vcc, |v37|, s10
	v_cndmask_b32_e32 v34, v34, v37, vcc
	v_add_f32_e32 v33, v33, v34
	v_cvt_f16_f32_e32 v36, v33
.LBB372_116:
	s_or_b64 exec, exec, s[2:3]
	v_and_b32_e32 v35, 0xffff, v36
	v_mov_b32_e32 v34, v36
.LBB372_117:
	s_or_b64 exec, exec, s[8:9]
	v_and_b32_e32 v33, 16, v32
	v_mov_b32_dpp v36, v35 row_bcast:15 row_mask:0xf bank_mask:0xf
	v_cmp_ne_u32_e32 vcc, 0, v33
	s_and_saveexec_b64 s[8:9], vcc
	s_cbranch_execz .LBB372_121
; %bb.118:
	v_cvt_f32_f16_e32 v33, v36
	v_cvt_f32_f16_e32 v35, v34
	v_cmp_u_f16_e32 vcc, v36, v36
	v_cmp_u_f16_e64 s[2:3], v34, v34
	v_min_f32_e32 v37, v33, v35
	v_cndmask_b32_e32 v37, v37, v33, vcc
	v_cndmask_b32_e64 v34, v37, v35, s[2:3]
	v_max_f32_e32 v37, v33, v35
	v_cndmask_b32_e32 v33, v37, v33, vcc
	v_cndmask_b32_e64 v33, v33, v35, s[2:3]
	s_movk_i32 s2, 0x1f8
	v_cmp_neq_f32_e32 vcc, v34, v33
	v_cmp_class_f32_e64 s[2:3], v34, s2
	s_or_b64 vcc, vcc, s[2:3]
	s_and_saveexec_b64 s[2:3], vcc
	s_cbranch_execz .LBB372_120
; %bb.119:
	v_sub_f32_e32 v34, v34, v33
	s_mov_b32 s10, 0x3fb8aa3b
	v_mul_f32_e32 v35, 0x3fb8aa3b, v34
	v_fma_f32 v36, v34, s10, -v35
	v_rndne_f32_e32 v37, v35
	v_fmac_f32_e32 v36, 0x32a5705f, v34
	v_sub_f32_e32 v35, v35, v37
	v_add_f32_e32 v35, v35, v36
	v_exp_f32_e32 v35, v35
	v_cvt_i32_f32_e32 v36, v37
	s_mov_b32 s10, 0xc2ce8ed0
	v_cmp_ngt_f32_e32 vcc, s10, v34
	s_mov_b32 s10, 0x42b17218
	v_ldexp_f32 v35, v35, v36
	v_cndmask_b32_e32 v35, 0, v35, vcc
	v_mov_b32_e32 v36, 0x7f800000
	v_cmp_nlt_f32_e32 vcc, s10, v34
	v_cndmask_b32_e32 v37, v36, v35, vcc
	v_add_f32_e32 v38, 1.0, v37
	v_cvt_f64_f32_e32 v[34:35], v38
	v_add_f32_e32 v39, -1.0, v38
	v_sub_f32_e32 v40, v39, v38
	v_sub_f32_e32 v39, v37, v39
	v_frexp_exp_i32_f64_e32 v34, v[34:35]
	v_add_f32_e32 v35, 1.0, v40
	v_add_f32_e32 v35, v39, v35
	v_frexp_mant_f32_e32 v39, v38
	s_mov_b32 s11, 0x3f2aaaab
	v_cmp_gt_f32_e32 vcc, s11, v39
	s_mov_b32 s11, 0x3f317218
	s_mov_b32 s10, 0x7f800000
	v_subbrev_co_u32_e32 v34, vcc, 0, v34, vcc
	v_sub_u32_e32 v39, 0, v34
	v_ldexp_f32 v38, v38, v39
	v_ldexp_f32 v35, v35, v39
	v_add_f32_e32 v39, -1.0, v38
	v_add_f32_e32 v42, 1.0, v38
	v_add_f32_e32 v40, 1.0, v39
	v_add_f32_e32 v43, -1.0, v42
	v_sub_f32_e32 v40, v38, v40
	v_sub_f32_e32 v38, v38, v43
	v_add_f32_e32 v40, v35, v40
	v_add_f32_e32 v35, v35, v38
	;; [unrolled: 1-line block ×3, first 2 shown]
	v_rcp_f32_e32 v43, v38
	v_add_f32_e32 v41, v39, v40
	v_sub_f32_e32 v39, v39, v41
	v_add_f32_e32 v39, v40, v39
	v_sub_f32_e32 v40, v42, v38
	v_add_f32_e32 v35, v35, v40
	v_mul_f32_e32 v40, v41, v43
	v_mul_f32_e32 v42, v38, v40
	v_fma_f32 v44, v40, v38, -v42
	v_fmac_f32_e32 v44, v40, v35
	v_add_f32_e32 v45, v42, v44
	v_sub_f32_e32 v46, v41, v45
	v_sub_f32_e32 v41, v41, v46
	;; [unrolled: 1-line block ×4, first 2 shown]
	v_add_f32_e32 v39, v39, v41
	v_sub_f32_e32 v41, v42, v44
	v_add_f32_e32 v39, v41, v39
	v_add_f32_e32 v41, v46, v39
	v_mul_f32_e32 v42, v43, v41
	v_mul_f32_e32 v44, v38, v42
	v_fma_f32 v38, v42, v38, -v44
	v_fmac_f32_e32 v38, v42, v35
	v_sub_f32_e32 v35, v46, v41
	v_add_f32_e32 v35, v39, v35
	v_add_f32_e32 v39, v44, v38
	v_sub_f32_e32 v45, v41, v39
	v_sub_f32_e32 v41, v41, v45
	;; [unrolled: 1-line block ×4, first 2 shown]
	v_add_f32_e32 v35, v35, v39
	v_sub_f32_e32 v38, v44, v38
	v_add_f32_e32 v35, v38, v35
	v_add_f32_e32 v38, v40, v42
	;; [unrolled: 1-line block ×3, first 2 shown]
	v_sub_f32_e32 v39, v38, v40
	v_mul_f32_e32 v35, v43, v35
	v_sub_f32_e32 v39, v42, v39
	v_add_f32_e32 v35, v39, v35
	v_cvt_f32_i32_e32 v34, v34
	v_add_f32_e32 v39, v38, v35
	v_mul_f32_e32 v40, v39, v39
	v_mov_b32_e32 v41, 0x3ecc95a3
	v_fmac_f32_e32 v41, 0x3e9b6dac, v40
	v_mov_b32_e32 v42, 0x3f2aaada
	v_fmac_f32_e32 v42, v40, v41
	v_mul_f32_e32 v41, 0x3f317218, v34
	v_fma_f32 v43, v34, s11, -v41
	v_fmac_f32_e32 v43, 0xb102e308, v34
	v_sub_f32_e32 v34, v39, v38
	v_sub_f32_e32 v34, v35, v34
	v_add_f32_e32 v35, v41, v43
	v_sub_f32_e32 v38, v35, v41
	v_ldexp_f32 v41, v39, 1
	v_mul_f32_e32 v39, v39, v40
	v_mul_f32_e32 v39, v39, v42
	v_add_f32_e32 v40, v41, v39
	v_sub_f32_e32 v41, v40, v41
	v_ldexp_f32 v34, v34, 1
	v_sub_f32_e32 v39, v39, v41
	v_add_f32_e32 v34, v34, v39
	v_add_f32_e32 v39, v40, v34
	v_sub_f32_e32 v40, v39, v40
	v_sub_f32_e32 v34, v34, v40
	v_add_f32_e32 v40, v35, v39
	v_sub_f32_e32 v41, v40, v35
	v_sub_f32_e32 v42, v40, v41
	;; [unrolled: 1-line block ×5, first 2 shown]
	v_add_f32_e32 v35, v39, v35
	v_add_f32_e32 v39, v38, v34
	v_sub_f32_e32 v41, v39, v38
	v_sub_f32_e32 v42, v39, v41
	;; [unrolled: 1-line block ×4, first 2 shown]
	v_add_f32_e32 v35, v39, v35
	v_add_f32_e32 v34, v34, v38
	;; [unrolled: 1-line block ×3, first 2 shown]
	v_sub_f32_e32 v39, v38, v40
	v_sub_f32_e32 v35, v35, v39
	v_add_f32_e32 v34, v34, v35
	v_add_f32_e32 v34, v38, v34
	v_cmp_neq_f32_e32 vcc, s10, v37
	s_mov_b32 s10, 0x33800000
	v_cndmask_b32_e32 v34, v36, v34, vcc
	v_cmp_lt_f32_e64 vcc, |v37|, s10
	v_cndmask_b32_e32 v34, v34, v37, vcc
	v_add_f32_e32 v33, v33, v34
	v_cvt_f16_f32_e32 v36, v33
.LBB372_120:
	s_or_b64 exec, exec, s[2:3]
	v_and_b32_e32 v35, 0xffff, v36
	v_mov_b32_e32 v34, v36
.LBB372_121:
	s_or_b64 exec, exec, s[8:9]
	v_mov_b32_dpp v35, v35 row_bcast:31 row_mask:0xf bank_mask:0xf
	v_cmp_lt_u32_e32 vcc, 31, v32
	s_and_saveexec_b64 s[8:9], vcc
	s_cbranch_execz .LBB372_125
; %bb.122:
	v_cvt_f32_f16_e32 v33, v35
	v_cvt_f32_f16_e32 v36, v34
	v_cmp_u_f16_e32 vcc, v35, v35
	v_cmp_u_f16_e64 s[2:3], v34, v34
	v_min_f32_e32 v37, v33, v36
	v_cndmask_b32_e32 v37, v37, v33, vcc
	v_cndmask_b32_e64 v34, v37, v36, s[2:3]
	v_max_f32_e32 v37, v33, v36
	v_cndmask_b32_e32 v33, v37, v33, vcc
	v_cndmask_b32_e64 v33, v33, v36, s[2:3]
	s_movk_i32 s2, 0x1f8
	v_cmp_neq_f32_e32 vcc, v34, v33
	v_cmp_class_f32_e64 s[2:3], v34, s2
	s_or_b64 vcc, vcc, s[2:3]
	s_and_saveexec_b64 s[2:3], vcc
	s_cbranch_execz .LBB372_124
; %bb.123:
	v_sub_f32_e32 v34, v34, v33
	s_mov_b32 s10, 0x3fb8aa3b
	v_mul_f32_e32 v35, 0x3fb8aa3b, v34
	v_fma_f32 v36, v34, s10, -v35
	v_rndne_f32_e32 v37, v35
	v_fmac_f32_e32 v36, 0x32a5705f, v34
	v_sub_f32_e32 v35, v35, v37
	v_add_f32_e32 v35, v35, v36
	v_exp_f32_e32 v35, v35
	v_cvt_i32_f32_e32 v36, v37
	s_mov_b32 s10, 0xc2ce8ed0
	v_cmp_ngt_f32_e32 vcc, s10, v34
	s_mov_b32 s10, 0x42b17218
	v_ldexp_f32 v35, v35, v36
	v_cndmask_b32_e32 v35, 0, v35, vcc
	v_mov_b32_e32 v36, 0x7f800000
	v_cmp_nlt_f32_e32 vcc, s10, v34
	v_cndmask_b32_e32 v37, v36, v35, vcc
	v_add_f32_e32 v38, 1.0, v37
	v_cvt_f64_f32_e32 v[34:35], v38
	v_add_f32_e32 v39, -1.0, v38
	v_sub_f32_e32 v40, v39, v38
	v_sub_f32_e32 v39, v37, v39
	v_frexp_exp_i32_f64_e32 v34, v[34:35]
	v_add_f32_e32 v35, 1.0, v40
	v_add_f32_e32 v35, v39, v35
	v_frexp_mant_f32_e32 v39, v38
	s_mov_b32 s11, 0x3f2aaaab
	v_cmp_gt_f32_e32 vcc, s11, v39
	s_mov_b32 s11, 0x3f317218
	s_mov_b32 s10, 0x7f800000
	v_subbrev_co_u32_e32 v34, vcc, 0, v34, vcc
	v_sub_u32_e32 v39, 0, v34
	v_ldexp_f32 v38, v38, v39
	v_ldexp_f32 v35, v35, v39
	v_add_f32_e32 v39, -1.0, v38
	v_add_f32_e32 v42, 1.0, v38
	v_add_f32_e32 v40, 1.0, v39
	v_add_f32_e32 v43, -1.0, v42
	v_sub_f32_e32 v40, v38, v40
	v_sub_f32_e32 v38, v38, v43
	v_add_f32_e32 v40, v35, v40
	v_add_f32_e32 v35, v35, v38
	;; [unrolled: 1-line block ×3, first 2 shown]
	v_rcp_f32_e32 v43, v38
	v_add_f32_e32 v41, v39, v40
	v_sub_f32_e32 v39, v39, v41
	v_add_f32_e32 v39, v40, v39
	v_sub_f32_e32 v40, v42, v38
	v_add_f32_e32 v35, v35, v40
	v_mul_f32_e32 v40, v41, v43
	v_mul_f32_e32 v42, v38, v40
	v_fma_f32 v44, v40, v38, -v42
	v_fmac_f32_e32 v44, v40, v35
	v_add_f32_e32 v45, v42, v44
	v_sub_f32_e32 v46, v41, v45
	v_sub_f32_e32 v41, v41, v46
	;; [unrolled: 1-line block ×4, first 2 shown]
	v_add_f32_e32 v39, v39, v41
	v_sub_f32_e32 v41, v42, v44
	v_add_f32_e32 v39, v41, v39
	v_add_f32_e32 v41, v46, v39
	v_mul_f32_e32 v42, v43, v41
	v_mul_f32_e32 v44, v38, v42
	v_fma_f32 v38, v42, v38, -v44
	v_fmac_f32_e32 v38, v42, v35
	v_sub_f32_e32 v35, v46, v41
	v_add_f32_e32 v35, v39, v35
	v_add_f32_e32 v39, v44, v38
	v_sub_f32_e32 v45, v41, v39
	v_sub_f32_e32 v41, v41, v45
	;; [unrolled: 1-line block ×4, first 2 shown]
	v_add_f32_e32 v35, v35, v39
	v_sub_f32_e32 v38, v44, v38
	v_add_f32_e32 v35, v38, v35
	v_add_f32_e32 v38, v40, v42
	;; [unrolled: 1-line block ×3, first 2 shown]
	v_sub_f32_e32 v39, v38, v40
	v_mul_f32_e32 v35, v43, v35
	v_sub_f32_e32 v39, v42, v39
	v_add_f32_e32 v35, v39, v35
	v_cvt_f32_i32_e32 v34, v34
	v_add_f32_e32 v39, v38, v35
	v_mul_f32_e32 v40, v39, v39
	v_mov_b32_e32 v41, 0x3ecc95a3
	v_fmac_f32_e32 v41, 0x3e9b6dac, v40
	v_mov_b32_e32 v42, 0x3f2aaada
	v_fmac_f32_e32 v42, v40, v41
	v_mul_f32_e32 v41, 0x3f317218, v34
	v_fma_f32 v43, v34, s11, -v41
	v_fmac_f32_e32 v43, 0xb102e308, v34
	v_sub_f32_e32 v34, v39, v38
	v_sub_f32_e32 v34, v35, v34
	v_add_f32_e32 v35, v41, v43
	v_sub_f32_e32 v38, v35, v41
	v_ldexp_f32 v41, v39, 1
	v_mul_f32_e32 v39, v39, v40
	v_mul_f32_e32 v39, v39, v42
	v_add_f32_e32 v40, v41, v39
	v_sub_f32_e32 v41, v40, v41
	v_ldexp_f32 v34, v34, 1
	v_sub_f32_e32 v39, v39, v41
	v_add_f32_e32 v34, v34, v39
	v_add_f32_e32 v39, v40, v34
	v_sub_f32_e32 v40, v39, v40
	v_sub_f32_e32 v34, v34, v40
	v_add_f32_e32 v40, v35, v39
	v_sub_f32_e32 v41, v40, v35
	v_sub_f32_e32 v42, v40, v41
	;; [unrolled: 1-line block ×5, first 2 shown]
	v_add_f32_e32 v35, v39, v35
	v_add_f32_e32 v39, v38, v34
	v_sub_f32_e32 v41, v39, v38
	v_sub_f32_e32 v42, v39, v41
	;; [unrolled: 1-line block ×4, first 2 shown]
	v_add_f32_e32 v35, v39, v35
	v_add_f32_e32 v34, v34, v38
	;; [unrolled: 1-line block ×3, first 2 shown]
	v_sub_f32_e32 v39, v38, v40
	v_sub_f32_e32 v35, v35, v39
	v_add_f32_e32 v34, v34, v35
	v_add_f32_e32 v34, v38, v34
	v_cmp_neq_f32_e32 vcc, s10, v37
	s_mov_b32 s10, 0x33800000
	v_cndmask_b32_e32 v34, v36, v34, vcc
	v_cmp_lt_f32_e64 vcc, |v37|, s10
	v_cndmask_b32_e32 v34, v34, v37, vcc
	v_add_f32_e32 v33, v33, v34
	v_cvt_f16_f32_e32 v35, v33
.LBB372_124:
	s_or_b64 exec, exec, s[2:3]
	v_mov_b32_e32 v34, v35
.LBB372_125:
	s_or_b64 exec, exec, s[8:9]
	v_add_u32_e32 v33, -1, v32
	v_and_b32_e32 v35, 64, v32
	v_cmp_lt_i32_e32 vcc, v33, v35
	v_cndmask_b32_e32 v32, v33, v32, vcc
	v_lshlrev_b32_e32 v32, 2, v32
	v_and_b32_e32 v33, 0xffff, v34
	ds_bpermute_b32 v32, v32, v33
	v_max_f32_e32 v34, v31, v31
	s_waitcnt lgkmcnt(0)
	v_cvt_f32_f16_e32 v33, v32
	v_cmp_u_f16_e32 vcc, v32, v32
	v_min_f32_e32 v35, v33, v34
	v_max_f32_e32 v34, v33, v34
	v_cndmask_b32_e32 v35, v35, v33, vcc
	v_cndmask_b32_e32 v34, v34, v33, vcc
	v_cndmask_b32_e64 v33, v35, v31, s[4:5]
	v_cndmask_b32_e64 v31, v34, v31, s[4:5]
	s_movk_i32 s4, 0x1f8
	v_cmp_neq_f32_e32 vcc, v33, v31
	v_cmp_class_f32_e64 s[2:3], v33, s4
	s_or_b64 s[8:9], vcc, s[2:3]
	s_and_saveexec_b64 s[2:3], s[8:9]
	s_cbranch_execz .LBB372_127
; %bb.126:
	v_sub_f32_e32 v32, v33, v31
	s_mov_b32 s5, 0x3fb8aa3b
	v_mul_f32_e32 v33, 0x3fb8aa3b, v32
	v_fma_f32 v34, v32, s5, -v33
	v_rndne_f32_e32 v35, v33
	v_fmac_f32_e32 v34, 0x32a5705f, v32
	v_sub_f32_e32 v33, v33, v35
	v_add_f32_e32 v33, v33, v34
	v_exp_f32_e32 v33, v33
	v_cvt_i32_f32_e32 v34, v35
	s_mov_b32 s5, 0xc2ce8ed0
	v_cmp_ngt_f32_e32 vcc, s5, v32
	s_mov_b32 s5, 0x42b17218
	v_ldexp_f32 v33, v33, v34
	v_cndmask_b32_e32 v33, 0, v33, vcc
	v_mov_b32_e32 v34, 0x7f800000
	v_cmp_nlt_f32_e32 vcc, s5, v32
	v_cndmask_b32_e32 v35, v34, v33, vcc
	v_add_f32_e32 v36, 1.0, v35
	v_cvt_f64_f32_e32 v[32:33], v36
	v_add_f32_e32 v37, -1.0, v36
	v_sub_f32_e32 v38, v37, v36
	v_sub_f32_e32 v37, v35, v37
	v_frexp_exp_i32_f64_e32 v32, v[32:33]
	v_add_f32_e32 v33, 1.0, v38
	v_add_f32_e32 v33, v37, v33
	v_frexp_mant_f32_e32 v37, v36
	s_mov_b32 s8, 0x3f2aaaab
	v_cmp_gt_f32_e32 vcc, s8, v37
	s_mov_b32 s8, 0x3f317218
	s_mov_b32 s5, 0x7f800000
	v_subbrev_co_u32_e32 v32, vcc, 0, v32, vcc
	v_sub_u32_e32 v37, 0, v32
	v_ldexp_f32 v36, v36, v37
	v_ldexp_f32 v33, v33, v37
	v_add_f32_e32 v37, -1.0, v36
	v_add_f32_e32 v40, 1.0, v36
	v_add_f32_e32 v38, 1.0, v37
	v_add_f32_e32 v41, -1.0, v40
	v_sub_f32_e32 v38, v36, v38
	v_sub_f32_e32 v36, v36, v41
	v_add_f32_e32 v38, v33, v38
	v_add_f32_e32 v33, v33, v36
	;; [unrolled: 1-line block ×3, first 2 shown]
	v_rcp_f32_e32 v41, v36
	v_add_f32_e32 v39, v37, v38
	v_sub_f32_e32 v37, v37, v39
	v_add_f32_e32 v37, v38, v37
	v_sub_f32_e32 v38, v40, v36
	v_add_f32_e32 v33, v33, v38
	v_mul_f32_e32 v38, v39, v41
	v_mul_f32_e32 v40, v36, v38
	v_fma_f32 v42, v38, v36, -v40
	v_fmac_f32_e32 v42, v38, v33
	v_add_f32_e32 v43, v40, v42
	v_sub_f32_e32 v44, v39, v43
	v_sub_f32_e32 v39, v39, v44
	;; [unrolled: 1-line block ×4, first 2 shown]
	v_add_f32_e32 v37, v37, v39
	v_sub_f32_e32 v39, v40, v42
	v_add_f32_e32 v37, v39, v37
	v_add_f32_e32 v39, v44, v37
	v_mul_f32_e32 v40, v41, v39
	v_mul_f32_e32 v42, v36, v40
	v_fma_f32 v36, v40, v36, -v42
	v_fmac_f32_e32 v36, v40, v33
	v_sub_f32_e32 v33, v44, v39
	v_add_f32_e32 v33, v37, v33
	v_add_f32_e32 v37, v42, v36
	v_sub_f32_e32 v43, v39, v37
	v_sub_f32_e32 v39, v39, v43
	;; [unrolled: 1-line block ×4, first 2 shown]
	v_add_f32_e32 v33, v33, v37
	v_sub_f32_e32 v36, v42, v36
	v_add_f32_e32 v33, v36, v33
	v_add_f32_e32 v36, v38, v40
	;; [unrolled: 1-line block ×3, first 2 shown]
	v_sub_f32_e32 v37, v36, v38
	v_mul_f32_e32 v33, v41, v33
	v_sub_f32_e32 v37, v40, v37
	v_add_f32_e32 v33, v37, v33
	v_cvt_f32_i32_e32 v32, v32
	v_add_f32_e32 v37, v36, v33
	v_mul_f32_e32 v38, v37, v37
	v_mov_b32_e32 v39, 0x3ecc95a3
	v_fmac_f32_e32 v39, 0x3e9b6dac, v38
	v_mov_b32_e32 v40, 0x3f2aaada
	v_fmac_f32_e32 v40, v38, v39
	v_mul_f32_e32 v39, 0x3f317218, v32
	v_fma_f32 v41, v32, s8, -v39
	v_fmac_f32_e32 v41, 0xb102e308, v32
	v_sub_f32_e32 v32, v37, v36
	v_sub_f32_e32 v32, v33, v32
	v_add_f32_e32 v33, v39, v41
	v_sub_f32_e32 v36, v33, v39
	v_ldexp_f32 v39, v37, 1
	v_mul_f32_e32 v37, v37, v38
	v_mul_f32_e32 v37, v37, v40
	v_add_f32_e32 v38, v39, v37
	v_sub_f32_e32 v39, v38, v39
	v_ldexp_f32 v32, v32, 1
	v_sub_f32_e32 v37, v37, v39
	v_add_f32_e32 v32, v32, v37
	v_add_f32_e32 v37, v38, v32
	v_sub_f32_e32 v38, v37, v38
	v_sub_f32_e32 v32, v32, v38
	v_add_f32_e32 v38, v33, v37
	v_sub_f32_e32 v39, v38, v33
	v_sub_f32_e32 v40, v38, v39
	;; [unrolled: 1-line block ×5, first 2 shown]
	v_add_f32_e32 v33, v37, v33
	v_add_f32_e32 v37, v36, v32
	v_sub_f32_e32 v39, v37, v36
	v_sub_f32_e32 v40, v37, v39
	;; [unrolled: 1-line block ×4, first 2 shown]
	v_add_f32_e32 v33, v37, v33
	v_add_f32_e32 v32, v32, v36
	;; [unrolled: 1-line block ×3, first 2 shown]
	v_sub_f32_e32 v37, v36, v38
	v_sub_f32_e32 v33, v33, v37
	v_add_f32_e32 v32, v32, v33
	v_add_f32_e32 v32, v36, v32
	v_cmp_neq_f32_e32 vcc, s5, v35
	s_mov_b32 s5, 0x33800000
	v_cndmask_b32_e32 v32, v34, v32, vcc
	v_cmp_lt_f32_e64 vcc, |v35|, s5
	v_cndmask_b32_e32 v32, v32, v35, vcc
	v_add_f32_e32 v31, v31, v32
	v_cvt_f16_f32_e32 v32, v31
.LBB372_127:
	s_or_b64 exec, exec, s[2:3]
	v_cmp_eq_u32_e32 vcc, 0, v0
	v_cndmask_b32_e32 v31, v32, v30, vcc
	; wave barrier
	ds_write_b16 v8, v31
	; wave barrier
	ds_read_u16 v30, v8 offset:2
	v_cvt_f32_f16_e32 v32, v31
	v_cmp_u_f16_e32 vcc, v31, v31
	s_waitcnt lgkmcnt(0)
	v_cvt_f32_f16_e32 v34, v30
	v_cmp_u_f16_e64 s[2:3], v30, v30
	v_min_f32_e32 v33, v32, v34
	v_max_f32_e32 v30, v32, v34
	v_cndmask_b32_e32 v33, v33, v32, vcc
	v_cndmask_b32_e32 v30, v30, v32, vcc
	v_cndmask_b32_e64 v33, v33, v34, s[2:3]
	v_cndmask_b32_e64 v30, v30, v34, s[2:3]
	v_cmp_neq_f32_e32 vcc, v33, v30
	v_cmp_class_f32_e64 s[2:3], v33, s4
	s_or_b64 s[4:5], vcc, s[2:3]
	s_and_saveexec_b64 s[2:3], s[4:5]
	s_cbranch_execz .LBB372_129
; %bb.128:
	v_sub_f32_e32 v31, v33, v30
	s_mov_b32 s4, 0x3fb8aa3b
	v_mul_f32_e32 v32, 0x3fb8aa3b, v31
	v_fma_f32 v33, v31, s4, -v32
	v_rndne_f32_e32 v34, v32
	v_fmac_f32_e32 v33, 0x32a5705f, v31
	v_sub_f32_e32 v32, v32, v34
	v_add_f32_e32 v32, v32, v33
	v_exp_f32_e32 v32, v32
	v_cvt_i32_f32_e32 v33, v34
	s_mov_b32 s4, 0xc2ce8ed0
	v_cmp_ngt_f32_e32 vcc, s4, v31
	s_mov_b32 s4, 0x42b17218
	v_ldexp_f32 v32, v32, v33
	v_cndmask_b32_e32 v32, 0, v32, vcc
	v_mov_b32_e32 v33, 0x7f800000
	v_cmp_nlt_f32_e32 vcc, s4, v31
	v_cndmask_b32_e32 v34, v33, v32, vcc
	v_add_f32_e32 v35, 1.0, v34
	v_cvt_f64_f32_e32 v[31:32], v35
	v_add_f32_e32 v36, -1.0, v35
	v_sub_f32_e32 v37, v36, v35
	v_sub_f32_e32 v36, v34, v36
	v_frexp_exp_i32_f64_e32 v31, v[31:32]
	v_add_f32_e32 v32, 1.0, v37
	v_add_f32_e32 v32, v36, v32
	v_frexp_mant_f32_e32 v36, v35
	s_mov_b32 s5, 0x3f2aaaab
	v_cmp_gt_f32_e32 vcc, s5, v36
	s_mov_b32 s5, 0x3f317218
	s_mov_b32 s4, 0x7f800000
	v_subbrev_co_u32_e32 v31, vcc, 0, v31, vcc
	v_sub_u32_e32 v36, 0, v31
	v_ldexp_f32 v35, v35, v36
	v_ldexp_f32 v32, v32, v36
	v_add_f32_e32 v36, -1.0, v35
	v_add_f32_e32 v39, 1.0, v35
	v_add_f32_e32 v37, 1.0, v36
	v_add_f32_e32 v40, -1.0, v39
	v_sub_f32_e32 v37, v35, v37
	v_sub_f32_e32 v35, v35, v40
	v_add_f32_e32 v37, v32, v37
	v_add_f32_e32 v32, v32, v35
	;; [unrolled: 1-line block ×3, first 2 shown]
	v_rcp_f32_e32 v40, v35
	v_add_f32_e32 v38, v36, v37
	v_sub_f32_e32 v36, v36, v38
	v_add_f32_e32 v36, v37, v36
	v_sub_f32_e32 v37, v39, v35
	v_add_f32_e32 v32, v32, v37
	v_mul_f32_e32 v37, v38, v40
	v_mul_f32_e32 v39, v35, v37
	v_fma_f32 v41, v37, v35, -v39
	v_fmac_f32_e32 v41, v37, v32
	v_add_f32_e32 v42, v39, v41
	v_sub_f32_e32 v43, v38, v42
	v_sub_f32_e32 v38, v38, v43
	;; [unrolled: 1-line block ×4, first 2 shown]
	v_add_f32_e32 v36, v36, v38
	v_sub_f32_e32 v38, v39, v41
	v_add_f32_e32 v36, v38, v36
	v_add_f32_e32 v38, v43, v36
	v_mul_f32_e32 v39, v40, v38
	v_mul_f32_e32 v41, v35, v39
	v_fma_f32 v35, v39, v35, -v41
	v_fmac_f32_e32 v35, v39, v32
	v_sub_f32_e32 v32, v43, v38
	v_add_f32_e32 v32, v36, v32
	v_add_f32_e32 v36, v41, v35
	v_sub_f32_e32 v42, v38, v36
	v_sub_f32_e32 v38, v38, v42
	;; [unrolled: 1-line block ×4, first 2 shown]
	v_add_f32_e32 v32, v32, v36
	v_sub_f32_e32 v35, v41, v35
	v_add_f32_e32 v32, v35, v32
	v_add_f32_e32 v35, v37, v39
	;; [unrolled: 1-line block ×3, first 2 shown]
	v_sub_f32_e32 v36, v35, v37
	v_mul_f32_e32 v32, v40, v32
	v_sub_f32_e32 v36, v39, v36
	v_add_f32_e32 v32, v36, v32
	v_cvt_f32_i32_e32 v31, v31
	v_add_f32_e32 v36, v35, v32
	v_mul_f32_e32 v37, v36, v36
	v_mov_b32_e32 v38, 0x3ecc95a3
	v_fmac_f32_e32 v38, 0x3e9b6dac, v37
	v_mov_b32_e32 v39, 0x3f2aaada
	v_fmac_f32_e32 v39, v37, v38
	v_mul_f32_e32 v38, 0x3f317218, v31
	v_fma_f32 v40, v31, s5, -v38
	v_fmac_f32_e32 v40, 0xb102e308, v31
	v_sub_f32_e32 v31, v36, v35
	v_sub_f32_e32 v31, v32, v31
	v_add_f32_e32 v32, v38, v40
	v_sub_f32_e32 v35, v32, v38
	v_ldexp_f32 v38, v36, 1
	v_mul_f32_e32 v36, v36, v37
	v_mul_f32_e32 v36, v36, v39
	v_add_f32_e32 v37, v38, v36
	v_sub_f32_e32 v38, v37, v38
	v_ldexp_f32 v31, v31, 1
	v_sub_f32_e32 v36, v36, v38
	v_add_f32_e32 v31, v31, v36
	v_add_f32_e32 v36, v37, v31
	v_sub_f32_e32 v37, v36, v37
	v_sub_f32_e32 v31, v31, v37
	v_add_f32_e32 v37, v32, v36
	v_sub_f32_e32 v38, v37, v32
	v_sub_f32_e32 v39, v37, v38
	;; [unrolled: 1-line block ×5, first 2 shown]
	v_add_f32_e32 v32, v36, v32
	v_add_f32_e32 v36, v35, v31
	v_sub_f32_e32 v38, v36, v35
	v_sub_f32_e32 v39, v36, v38
	;; [unrolled: 1-line block ×4, first 2 shown]
	v_add_f32_e32 v32, v36, v32
	v_add_f32_e32 v31, v31, v35
	;; [unrolled: 1-line block ×3, first 2 shown]
	v_sub_f32_e32 v36, v35, v37
	v_sub_f32_e32 v32, v32, v36
	v_add_f32_e32 v31, v31, v32
	v_add_f32_e32 v31, v35, v31
	v_cmp_neq_f32_e32 vcc, s4, v34
	s_mov_b32 s4, 0x33800000
	v_cndmask_b32_e32 v31, v33, v31, vcc
	v_cmp_lt_f32_e64 vcc, |v34|, s4
	v_cndmask_b32_e32 v31, v31, v34, vcc
	v_add_f32_e32 v30, v30, v31
	v_cvt_f16_f32_e32 v31, v30
	v_cvt_f32_f16_e32 v32, v31
.LBB372_129:
	s_or_b64 exec, exec, s[2:3]
	ds_read_u16 v30, v8 offset:4
	v_max_f32_e32 v33, v32, v32
	v_cmp_u_f16_e32 vcc, v31, v31
	s_movk_i32 s4, 0x1f8
	ds_write_b16 v8, v31 offset:2
	s_waitcnt lgkmcnt(1)
	v_cvt_f32_f16_e32 v34, v30
	v_min_f32_e32 v35, v33, v34
	v_max_f32_e32 v33, v33, v34
	v_cndmask_b32_e32 v35, v35, v32, vcc
	v_cndmask_b32_e32 v36, v33, v32, vcc
	v_cmp_u_f16_e32 vcc, v30, v30
	v_cndmask_b32_e32 v33, v35, v34, vcc
	v_cndmask_b32_e32 v30, v36, v34, vcc
	v_cmp_neq_f32_e32 vcc, v33, v30
	v_cmp_class_f32_e64 s[2:3], v33, s4
	s_or_b64 s[8:9], vcc, s[2:3]
	s_and_saveexec_b64 s[2:3], s[8:9]
	s_cbranch_execz .LBB372_131
; %bb.130:
	v_sub_f32_e32 v31, v33, v30
	s_mov_b32 s5, 0x3fb8aa3b
	v_mul_f32_e32 v32, 0x3fb8aa3b, v31
	v_fma_f32 v33, v31, s5, -v32
	v_rndne_f32_e32 v34, v32
	v_fmac_f32_e32 v33, 0x32a5705f, v31
	v_sub_f32_e32 v32, v32, v34
	v_add_f32_e32 v32, v32, v33
	v_exp_f32_e32 v32, v32
	v_cvt_i32_f32_e32 v33, v34
	s_mov_b32 s5, 0xc2ce8ed0
	v_cmp_ngt_f32_e32 vcc, s5, v31
	s_mov_b32 s5, 0x42b17218
	v_ldexp_f32 v32, v32, v33
	v_cndmask_b32_e32 v32, 0, v32, vcc
	v_mov_b32_e32 v33, 0x7f800000
	v_cmp_nlt_f32_e32 vcc, s5, v31
	v_cndmask_b32_e32 v34, v33, v32, vcc
	v_add_f32_e32 v35, 1.0, v34
	v_cvt_f64_f32_e32 v[31:32], v35
	v_add_f32_e32 v36, -1.0, v35
	v_sub_f32_e32 v37, v36, v35
	v_sub_f32_e32 v36, v34, v36
	v_frexp_exp_i32_f64_e32 v31, v[31:32]
	v_add_f32_e32 v32, 1.0, v37
	v_add_f32_e32 v32, v36, v32
	v_frexp_mant_f32_e32 v36, v35
	s_mov_b32 s8, 0x3f2aaaab
	v_cmp_gt_f32_e32 vcc, s8, v36
	s_mov_b32 s8, 0x3f317218
	s_mov_b32 s5, 0x7f800000
	v_subbrev_co_u32_e32 v31, vcc, 0, v31, vcc
	v_sub_u32_e32 v36, 0, v31
	v_ldexp_f32 v35, v35, v36
	v_ldexp_f32 v32, v32, v36
	v_add_f32_e32 v36, -1.0, v35
	v_add_f32_e32 v39, 1.0, v35
	v_add_f32_e32 v37, 1.0, v36
	v_add_f32_e32 v40, -1.0, v39
	v_sub_f32_e32 v37, v35, v37
	v_sub_f32_e32 v35, v35, v40
	v_add_f32_e32 v37, v32, v37
	v_add_f32_e32 v32, v32, v35
	;; [unrolled: 1-line block ×3, first 2 shown]
	v_rcp_f32_e32 v40, v35
	v_add_f32_e32 v38, v36, v37
	v_sub_f32_e32 v36, v36, v38
	v_add_f32_e32 v36, v37, v36
	v_sub_f32_e32 v37, v39, v35
	v_add_f32_e32 v32, v32, v37
	v_mul_f32_e32 v37, v38, v40
	v_mul_f32_e32 v39, v35, v37
	v_fma_f32 v41, v37, v35, -v39
	v_fmac_f32_e32 v41, v37, v32
	v_add_f32_e32 v42, v39, v41
	v_sub_f32_e32 v43, v38, v42
	v_sub_f32_e32 v38, v38, v43
	;; [unrolled: 1-line block ×4, first 2 shown]
	v_add_f32_e32 v36, v36, v38
	v_sub_f32_e32 v38, v39, v41
	v_add_f32_e32 v36, v38, v36
	v_add_f32_e32 v38, v43, v36
	v_mul_f32_e32 v39, v40, v38
	v_mul_f32_e32 v41, v35, v39
	v_fma_f32 v35, v39, v35, -v41
	v_fmac_f32_e32 v35, v39, v32
	v_sub_f32_e32 v32, v43, v38
	v_add_f32_e32 v32, v36, v32
	v_add_f32_e32 v36, v41, v35
	v_sub_f32_e32 v42, v38, v36
	v_sub_f32_e32 v38, v38, v42
	;; [unrolled: 1-line block ×4, first 2 shown]
	v_add_f32_e32 v32, v32, v36
	v_sub_f32_e32 v35, v41, v35
	v_add_f32_e32 v32, v35, v32
	v_add_f32_e32 v35, v37, v39
	;; [unrolled: 1-line block ×3, first 2 shown]
	v_sub_f32_e32 v36, v35, v37
	v_mul_f32_e32 v32, v40, v32
	v_sub_f32_e32 v36, v39, v36
	v_add_f32_e32 v32, v36, v32
	v_cvt_f32_i32_e32 v31, v31
	v_add_f32_e32 v36, v35, v32
	v_mul_f32_e32 v37, v36, v36
	v_mov_b32_e32 v38, 0x3ecc95a3
	v_fmac_f32_e32 v38, 0x3e9b6dac, v37
	v_mov_b32_e32 v39, 0x3f2aaada
	v_fmac_f32_e32 v39, v37, v38
	v_mul_f32_e32 v38, 0x3f317218, v31
	v_fma_f32 v40, v31, s8, -v38
	v_fmac_f32_e32 v40, 0xb102e308, v31
	v_sub_f32_e32 v31, v36, v35
	v_sub_f32_e32 v31, v32, v31
	v_add_f32_e32 v32, v38, v40
	v_sub_f32_e32 v35, v32, v38
	v_ldexp_f32 v38, v36, 1
	v_mul_f32_e32 v36, v36, v37
	v_mul_f32_e32 v36, v36, v39
	v_add_f32_e32 v37, v38, v36
	v_sub_f32_e32 v38, v37, v38
	v_ldexp_f32 v31, v31, 1
	v_sub_f32_e32 v36, v36, v38
	v_add_f32_e32 v31, v31, v36
	v_add_f32_e32 v36, v37, v31
	v_sub_f32_e32 v37, v36, v37
	v_sub_f32_e32 v31, v31, v37
	v_add_f32_e32 v37, v32, v36
	v_sub_f32_e32 v38, v37, v32
	v_sub_f32_e32 v39, v37, v38
	;; [unrolled: 1-line block ×5, first 2 shown]
	v_add_f32_e32 v32, v36, v32
	v_add_f32_e32 v36, v35, v31
	v_sub_f32_e32 v38, v36, v35
	v_sub_f32_e32 v39, v36, v38
	;; [unrolled: 1-line block ×4, first 2 shown]
	v_add_f32_e32 v32, v36, v32
	v_add_f32_e32 v31, v31, v35
	;; [unrolled: 1-line block ×3, first 2 shown]
	v_sub_f32_e32 v36, v35, v37
	v_sub_f32_e32 v32, v32, v36
	v_add_f32_e32 v31, v31, v32
	v_add_f32_e32 v31, v35, v31
	v_cmp_neq_f32_e32 vcc, s5, v34
	s_mov_b32 s5, 0x33800000
	v_cndmask_b32_e32 v31, v33, v31, vcc
	v_cmp_lt_f32_e64 vcc, |v34|, s5
	v_cndmask_b32_e32 v31, v31, v34, vcc
	v_add_f32_e32 v30, v30, v31
	v_cvt_f16_f32_e32 v31, v30
	v_cvt_f32_f16_e32 v32, v31
.LBB372_131:
	s_or_b64 exec, exec, s[2:3]
	ds_read_u16 v30, v8 offset:6
	v_max_f32_e32 v34, v32, v32
	v_cmp_u_f16_e32 vcc, v31, v31
	ds_write_b16 v8, v31 offset:4
	s_waitcnt lgkmcnt(1)
	v_cvt_f32_f16_e32 v33, v30
	v_min_f32_e32 v35, v34, v33
	v_max_f32_e32 v34, v34, v33
	v_cndmask_b32_e32 v35, v35, v32, vcc
	v_cndmask_b32_e32 v34, v34, v32, vcc
	v_cmp_u_f16_e32 vcc, v30, v30
	v_cndmask_b32_e32 v32, v35, v33, vcc
	v_cndmask_b32_e32 v30, v34, v33, vcc
	v_cmp_neq_f32_e32 vcc, v32, v30
	v_cmp_class_f32_e64 s[2:3], v32, s4
	s_or_b64 s[4:5], vcc, s[2:3]
	s_and_saveexec_b64 s[2:3], s[4:5]
	s_cbranch_execz .LBB372_133
; %bb.132:
	v_sub_f32_e32 v31, v32, v30
	s_mov_b32 s4, 0x3fb8aa3b
	v_mul_f32_e32 v32, 0x3fb8aa3b, v31
	v_fma_f32 v33, v31, s4, -v32
	v_rndne_f32_e32 v34, v32
	v_fmac_f32_e32 v33, 0x32a5705f, v31
	v_sub_f32_e32 v32, v32, v34
	v_add_f32_e32 v32, v32, v33
	v_exp_f32_e32 v32, v32
	v_cvt_i32_f32_e32 v33, v34
	s_mov_b32 s4, 0xc2ce8ed0
	v_cmp_ngt_f32_e32 vcc, s4, v31
	s_mov_b32 s4, 0x42b17218
	v_ldexp_f32 v32, v32, v33
	v_cndmask_b32_e32 v32, 0, v32, vcc
	v_mov_b32_e32 v33, 0x7f800000
	v_cmp_nlt_f32_e32 vcc, s4, v31
	v_cndmask_b32_e32 v34, v33, v32, vcc
	v_add_f32_e32 v35, 1.0, v34
	v_cvt_f64_f32_e32 v[31:32], v35
	v_add_f32_e32 v36, -1.0, v35
	v_sub_f32_e32 v37, v36, v35
	v_sub_f32_e32 v36, v34, v36
	v_frexp_exp_i32_f64_e32 v31, v[31:32]
	v_add_f32_e32 v32, 1.0, v37
	v_add_f32_e32 v32, v36, v32
	v_frexp_mant_f32_e32 v36, v35
	s_mov_b32 s5, 0x3f2aaaab
	v_cmp_gt_f32_e32 vcc, s5, v36
	s_mov_b32 s5, 0x3f317218
	s_mov_b32 s4, 0x7f800000
	v_subbrev_co_u32_e32 v31, vcc, 0, v31, vcc
	v_sub_u32_e32 v36, 0, v31
	v_ldexp_f32 v35, v35, v36
	v_ldexp_f32 v32, v32, v36
	v_add_f32_e32 v36, -1.0, v35
	v_add_f32_e32 v39, 1.0, v35
	v_add_f32_e32 v37, 1.0, v36
	v_add_f32_e32 v40, -1.0, v39
	v_sub_f32_e32 v37, v35, v37
	v_sub_f32_e32 v35, v35, v40
	v_add_f32_e32 v37, v32, v37
	v_add_f32_e32 v32, v32, v35
	;; [unrolled: 1-line block ×3, first 2 shown]
	v_rcp_f32_e32 v40, v35
	v_add_f32_e32 v38, v36, v37
	v_sub_f32_e32 v36, v36, v38
	v_add_f32_e32 v36, v37, v36
	v_sub_f32_e32 v37, v39, v35
	v_add_f32_e32 v32, v32, v37
	v_mul_f32_e32 v37, v38, v40
	v_mul_f32_e32 v39, v35, v37
	v_fma_f32 v41, v37, v35, -v39
	v_fmac_f32_e32 v41, v37, v32
	v_add_f32_e32 v42, v39, v41
	v_sub_f32_e32 v43, v38, v42
	v_sub_f32_e32 v38, v38, v43
	;; [unrolled: 1-line block ×4, first 2 shown]
	v_add_f32_e32 v36, v36, v38
	v_sub_f32_e32 v38, v39, v41
	v_add_f32_e32 v36, v38, v36
	v_add_f32_e32 v38, v43, v36
	v_mul_f32_e32 v39, v40, v38
	v_mul_f32_e32 v41, v35, v39
	v_fma_f32 v35, v39, v35, -v41
	v_fmac_f32_e32 v35, v39, v32
	v_sub_f32_e32 v32, v43, v38
	v_add_f32_e32 v32, v36, v32
	v_add_f32_e32 v36, v41, v35
	v_sub_f32_e32 v42, v38, v36
	v_sub_f32_e32 v38, v38, v42
	;; [unrolled: 1-line block ×4, first 2 shown]
	v_add_f32_e32 v32, v32, v36
	v_sub_f32_e32 v35, v41, v35
	v_add_f32_e32 v32, v35, v32
	v_add_f32_e32 v35, v37, v39
	v_add_f32_e32 v32, v42, v32
	v_sub_f32_e32 v36, v35, v37
	v_mul_f32_e32 v32, v40, v32
	v_sub_f32_e32 v36, v39, v36
	v_add_f32_e32 v32, v36, v32
	v_cvt_f32_i32_e32 v31, v31
	v_add_f32_e32 v36, v35, v32
	v_mul_f32_e32 v37, v36, v36
	v_mov_b32_e32 v38, 0x3ecc95a3
	v_fmac_f32_e32 v38, 0x3e9b6dac, v37
	v_mov_b32_e32 v39, 0x3f2aaada
	v_fmac_f32_e32 v39, v37, v38
	v_mul_f32_e32 v38, 0x3f317218, v31
	v_fma_f32 v40, v31, s5, -v38
	v_fmac_f32_e32 v40, 0xb102e308, v31
	v_sub_f32_e32 v31, v36, v35
	v_sub_f32_e32 v31, v32, v31
	v_add_f32_e32 v32, v38, v40
	v_sub_f32_e32 v35, v32, v38
	v_ldexp_f32 v38, v36, 1
	v_mul_f32_e32 v36, v36, v37
	v_mul_f32_e32 v36, v36, v39
	v_add_f32_e32 v37, v38, v36
	v_sub_f32_e32 v38, v37, v38
	v_ldexp_f32 v31, v31, 1
	v_sub_f32_e32 v36, v36, v38
	v_add_f32_e32 v31, v31, v36
	v_add_f32_e32 v36, v37, v31
	v_sub_f32_e32 v37, v36, v37
	v_sub_f32_e32 v31, v31, v37
	v_add_f32_e32 v37, v32, v36
	v_sub_f32_e32 v38, v37, v32
	v_sub_f32_e32 v39, v37, v38
	;; [unrolled: 1-line block ×5, first 2 shown]
	v_add_f32_e32 v32, v36, v32
	v_add_f32_e32 v36, v35, v31
	v_sub_f32_e32 v38, v36, v35
	v_sub_f32_e32 v39, v36, v38
	;; [unrolled: 1-line block ×4, first 2 shown]
	v_add_f32_e32 v32, v36, v32
	v_add_f32_e32 v31, v31, v35
	v_add_f32_e32 v35, v37, v32
	v_sub_f32_e32 v36, v35, v37
	v_sub_f32_e32 v32, v32, v36
	v_add_f32_e32 v31, v31, v32
	v_add_f32_e32 v31, v35, v31
	v_cmp_neq_f32_e32 vcc, s4, v34
	s_mov_b32 s4, 0x33800000
	v_cndmask_b32_e32 v31, v33, v31, vcc
	v_cmp_lt_f32_e64 vcc, |v34|, s4
	v_cndmask_b32_e32 v31, v31, v34, vcc
	v_add_f32_e32 v30, v30, v31
	v_cvt_f16_f32_e32 v31, v30
.LBB372_133:
	s_or_b64 exec, exec, s[2:3]
	ds_write_b16 v8, v31 offset:6
.LBB372_134:
	s_or_b64 exec, exec, s[6:7]
	v_mul_u32_u24_e32 v8, 46, v0
	v_cmp_ne_u32_e32 vcc, 0, v0
	v_mov_b32_e32 v30, v1
	s_waitcnt lgkmcnt(0)
	s_barrier
	s_and_saveexec_b64 s[2:3], vcc
	s_cbranch_execz .LBB372_138
; %bb.135:
	v_add_u32_e32 v0, -1, v0
	v_lshrrev_b32_e32 v1, 4, v0
	v_and_b32_e32 v1, 0xffffffe, v1
	v_lshl_add_u32 v0, v0, 1, v1
	ds_read_u16 v1, v0
	v_max_f32_e32 v0, v14, v14
	s_movk_i32 s4, 0x1f8
	s_waitcnt lgkmcnt(0)
	v_cvt_f32_f16_e32 v31, v1
	v_cmp_u_f16_e32 vcc, v1, v1
	v_min_f32_e32 v28, v31, v0
	v_max_f32_e32 v0, v31, v0
	v_cndmask_b32_e32 v28, v28, v31, vcc
	v_cndmask_b32_e32 v0, v0, v31, vcc
	v_cndmask_b32_e64 v28, v28, v14, s[94:95]
	v_cndmask_b32_e64 v0, v0, v14, s[94:95]
	v_cmp_neq_f32_e32 vcc, v28, v0
	v_cmp_class_f32_e64 s[4:5], v28, s4
	s_or_b64 s[6:7], vcc, s[4:5]
	s_and_saveexec_b64 s[4:5], s[6:7]
	s_cbranch_execz .LBB372_137
; %bb.136:
	v_sub_f32_e32 v1, v28, v0
	s_mov_b32 s6, 0x3fb8aa3b
	v_mul_f32_e32 v14, 0x3fb8aa3b, v1
	v_fma_f32 v28, v1, s6, -v14
	v_rndne_f32_e32 v29, v14
	v_fmac_f32_e32 v28, 0x32a5705f, v1
	v_sub_f32_e32 v14, v14, v29
	v_add_f32_e32 v14, v14, v28
	v_exp_f32_e32 v14, v14
	v_cvt_i32_f32_e32 v28, v29
	s_mov_b32 s6, 0xc2ce8ed0
	v_cmp_ngt_f32_e32 vcc, s6, v1
	s_mov_b32 s6, 0x42b17218
	v_ldexp_f32 v14, v14, v28
	v_cndmask_b32_e32 v14, 0, v14, vcc
	v_mov_b32_e32 v30, 0x7f800000
	v_cmp_nlt_f32_e32 vcc, s6, v1
	v_cndmask_b32_e32 v1, v30, v14, vcc
	v_add_f32_e32 v14, 1.0, v1
	v_cvt_f64_f32_e32 v[28:29], v14
	v_add_f32_e32 v31, -1.0, v14
	v_sub_f32_e32 v32, v31, v14
	v_sub_f32_e32 v31, v1, v31
	v_frexp_exp_i32_f64_e32 v28, v[28:29]
	v_add_f32_e32 v29, 1.0, v32
	v_add_f32_e32 v29, v31, v29
	v_frexp_mant_f32_e32 v31, v14
	s_mov_b32 s7, 0x3f2aaaab
	v_cmp_gt_f32_e32 vcc, s7, v31
	s_mov_b32 s7, 0x3f317218
	s_mov_b32 s6, 0x7f800000
	v_subbrev_co_u32_e32 v28, vcc, 0, v28, vcc
	v_sub_u32_e32 v31, 0, v28
	v_ldexp_f32 v14, v14, v31
	v_ldexp_f32 v29, v29, v31
	v_add_f32_e32 v31, -1.0, v14
	v_add_f32_e32 v34, 1.0, v14
	v_add_f32_e32 v32, 1.0, v31
	v_add_f32_e32 v35, -1.0, v34
	v_sub_f32_e32 v32, v14, v32
	v_sub_f32_e32 v14, v14, v35
	v_add_f32_e32 v14, v29, v14
	v_add_f32_e32 v32, v29, v32
	v_add_f32_e32 v29, v34, v14
	v_rcp_f32_e32 v35, v29
	v_add_f32_e32 v33, v31, v32
	v_sub_f32_e32 v31, v31, v33
	v_add_f32_e32 v31, v32, v31
	v_sub_f32_e32 v32, v34, v29
	v_add_f32_e32 v14, v14, v32
	v_mul_f32_e32 v32, v33, v35
	v_mul_f32_e32 v34, v29, v32
	v_fma_f32 v36, v32, v29, -v34
	v_fmac_f32_e32 v36, v32, v14
	v_add_f32_e32 v37, v34, v36
	v_sub_f32_e32 v38, v33, v37
	v_sub_f32_e32 v33, v33, v38
	;; [unrolled: 1-line block ×4, first 2 shown]
	v_add_f32_e32 v31, v31, v33
	v_sub_f32_e32 v33, v34, v36
	v_add_f32_e32 v31, v33, v31
	v_add_f32_e32 v33, v38, v31
	v_mul_f32_e32 v34, v35, v33
	v_mul_f32_e32 v36, v29, v34
	v_fma_f32 v29, v34, v29, -v36
	v_fmac_f32_e32 v29, v34, v14
	v_sub_f32_e32 v14, v38, v33
	v_add_f32_e32 v14, v31, v14
	v_add_f32_e32 v31, v36, v29
	v_sub_f32_e32 v37, v33, v31
	v_sub_f32_e32 v33, v33, v37
	;; [unrolled: 1-line block ×4, first 2 shown]
	v_add_f32_e32 v14, v14, v31
	v_sub_f32_e32 v29, v36, v29
	v_add_f32_e32 v14, v29, v14
	v_add_f32_e32 v29, v32, v34
	;; [unrolled: 1-line block ×3, first 2 shown]
	v_sub_f32_e32 v31, v29, v32
	v_mul_f32_e32 v14, v35, v14
	v_sub_f32_e32 v31, v34, v31
	v_add_f32_e32 v14, v31, v14
	v_cvt_f32_i32_e32 v28, v28
	v_add_f32_e32 v31, v29, v14
	v_mul_f32_e32 v32, v31, v31
	v_mov_b32_e32 v33, 0x3ecc95a3
	v_fmac_f32_e32 v33, 0x3e9b6dac, v32
	v_mov_b32_e32 v34, 0x3f2aaada
	v_fmac_f32_e32 v34, v32, v33
	v_mul_f32_e32 v33, 0x3f317218, v28
	v_fma_f32 v35, v28, s7, -v33
	v_fmac_f32_e32 v35, 0xb102e308, v28
	v_sub_f32_e32 v28, v31, v29
	v_sub_f32_e32 v14, v14, v28
	v_add_f32_e32 v28, v33, v35
	v_sub_f32_e32 v29, v28, v33
	v_ldexp_f32 v33, v31, 1
	v_mul_f32_e32 v31, v31, v32
	v_mul_f32_e32 v31, v31, v34
	v_add_f32_e32 v32, v33, v31
	v_sub_f32_e32 v33, v32, v33
	v_ldexp_f32 v14, v14, 1
	v_sub_f32_e32 v31, v31, v33
	v_add_f32_e32 v14, v14, v31
	v_add_f32_e32 v31, v32, v14
	v_sub_f32_e32 v32, v31, v32
	v_sub_f32_e32 v14, v14, v32
	v_add_f32_e32 v32, v28, v31
	v_sub_f32_e32 v33, v32, v28
	v_sub_f32_e32 v34, v32, v33
	;; [unrolled: 1-line block ×5, first 2 shown]
	v_add_f32_e32 v28, v31, v28
	v_add_f32_e32 v31, v29, v14
	v_sub_f32_e32 v33, v31, v29
	v_sub_f32_e32 v34, v31, v33
	;; [unrolled: 1-line block ×4, first 2 shown]
	v_add_f32_e32 v28, v31, v28
	v_add_f32_e32 v14, v14, v29
	;; [unrolled: 1-line block ×3, first 2 shown]
	v_sub_f32_e32 v31, v29, v32
	v_sub_f32_e32 v28, v28, v31
	v_add_f32_e32 v14, v14, v28
	v_add_f32_e32 v14, v29, v14
	v_cmp_neq_f32_e32 vcc, s6, v1
	s_mov_b32 s6, 0x33800000
	v_cndmask_b32_e32 v14, v30, v14, vcc
	v_cmp_lt_f32_e64 vcc, |v1|, s6
	v_cndmask_b32_e32 v1, v14, v1, vcc
	v_add_f32_e32 v0, v0, v1
	v_cvt_f16_f32_e32 v1, v0
	v_cvt_f32_f16_e32 v31, v1
.LBB372_137:
	s_or_b64 exec, exec, s[4:5]
	v_max_f32_e32 v0, v15, v15
	v_max_f32_e32 v14, v31, v31
	v_min_f32_e32 v28, v14, v0
	v_max_f32_e32 v29, v14, v0
	v_mov_b32_e32 v30, v1
	v_mov_b32_e32 v14, v31
	;;#ASMSTART
	;;#ASMEND
.LBB372_138:
	s_or_b64 exec, exec, s[2:3]
	v_cmp_u_f16_e32 vcc, v30, v30
	v_cndmask_b32_e32 v0, v28, v14, vcc
	v_cndmask_b32_e64 v28, v0, v15, s[48:49]
	v_cndmask_b32_e32 v0, v29, v14, vcc
	v_cndmask_b32_e64 v15, v0, v15, s[48:49]
	s_movk_i32 s4, 0x1f8
	v_cmp_neq_f32_e32 vcc, v28, v15
	v_cmp_class_f32_e64 s[2:3], v28, s4
	s_or_b64 s[6:7], vcc, s[2:3]
	v_mov_b32_e32 v0, v1
	s_and_saveexec_b64 s[2:3], s[6:7]
	s_cbranch_execz .LBB372_140
; %bb.139:
	v_sub_f32_e32 v0, v28, v15
	s_mov_b32 s5, 0x3fb8aa3b
	v_mul_f32_e32 v14, 0x3fb8aa3b, v0
	v_fma_f32 v28, v0, s5, -v14
	v_rndne_f32_e32 v29, v14
	v_fmac_f32_e32 v28, 0x32a5705f, v0
	v_sub_f32_e32 v14, v14, v29
	v_add_f32_e32 v14, v14, v28
	v_exp_f32_e32 v14, v14
	v_cvt_i32_f32_e32 v28, v29
	s_mov_b32 s5, 0xc2ce8ed0
	v_cmp_ngt_f32_e32 vcc, s5, v0
	s_mov_b32 s5, 0x42b17218
	v_ldexp_f32 v14, v14, v28
	v_cndmask_b32_e32 v14, 0, v14, vcc
	v_mov_b32_e32 v30, 0x7f800000
	v_cmp_nlt_f32_e32 vcc, s5, v0
	v_cndmask_b32_e32 v0, v30, v14, vcc
	v_add_f32_e32 v14, 1.0, v0
	v_cvt_f64_f32_e32 v[28:29], v14
	v_add_f32_e32 v31, -1.0, v14
	v_sub_f32_e32 v32, v31, v14
	v_sub_f32_e32 v31, v0, v31
	v_frexp_exp_i32_f64_e32 v28, v[28:29]
	v_add_f32_e32 v29, 1.0, v32
	v_add_f32_e32 v29, v31, v29
	v_frexp_mant_f32_e32 v31, v14
	s_mov_b32 s6, 0x3f2aaaab
	v_cmp_gt_f32_e32 vcc, s6, v31
	s_mov_b32 s6, 0x3f317218
	s_mov_b32 s5, 0x7f800000
	v_subbrev_co_u32_e32 v28, vcc, 0, v28, vcc
	v_sub_u32_e32 v31, 0, v28
	v_ldexp_f32 v14, v14, v31
	v_ldexp_f32 v29, v29, v31
	v_add_f32_e32 v31, -1.0, v14
	v_add_f32_e32 v34, 1.0, v14
	v_add_f32_e32 v32, 1.0, v31
	v_add_f32_e32 v35, -1.0, v34
	v_sub_f32_e32 v32, v14, v32
	v_sub_f32_e32 v14, v14, v35
	v_add_f32_e32 v14, v29, v14
	v_add_f32_e32 v32, v29, v32
	;; [unrolled: 1-line block ×3, first 2 shown]
	v_rcp_f32_e32 v35, v29
	v_add_f32_e32 v33, v31, v32
	v_sub_f32_e32 v31, v31, v33
	v_add_f32_e32 v31, v32, v31
	v_sub_f32_e32 v32, v34, v29
	v_add_f32_e32 v14, v14, v32
	v_mul_f32_e32 v32, v33, v35
	v_mul_f32_e32 v34, v29, v32
	v_fma_f32 v36, v32, v29, -v34
	v_fmac_f32_e32 v36, v32, v14
	v_add_f32_e32 v37, v34, v36
	v_sub_f32_e32 v38, v33, v37
	v_sub_f32_e32 v33, v33, v38
	;; [unrolled: 1-line block ×4, first 2 shown]
	v_add_f32_e32 v31, v31, v33
	v_sub_f32_e32 v33, v34, v36
	v_add_f32_e32 v31, v33, v31
	v_add_f32_e32 v33, v38, v31
	v_mul_f32_e32 v34, v35, v33
	v_mul_f32_e32 v36, v29, v34
	v_fma_f32 v29, v34, v29, -v36
	v_fmac_f32_e32 v29, v34, v14
	v_sub_f32_e32 v14, v38, v33
	v_add_f32_e32 v14, v31, v14
	v_add_f32_e32 v31, v36, v29
	v_sub_f32_e32 v37, v33, v31
	v_sub_f32_e32 v33, v33, v37
	;; [unrolled: 1-line block ×4, first 2 shown]
	v_add_f32_e32 v14, v14, v31
	v_sub_f32_e32 v29, v36, v29
	v_add_f32_e32 v14, v29, v14
	v_add_f32_e32 v29, v32, v34
	;; [unrolled: 1-line block ×3, first 2 shown]
	v_sub_f32_e32 v31, v29, v32
	v_mul_f32_e32 v14, v35, v14
	v_sub_f32_e32 v31, v34, v31
	v_add_f32_e32 v14, v31, v14
	v_cvt_f32_i32_e32 v28, v28
	v_add_f32_e32 v31, v29, v14
	v_mul_f32_e32 v32, v31, v31
	v_mov_b32_e32 v33, 0x3ecc95a3
	v_fmac_f32_e32 v33, 0x3e9b6dac, v32
	v_mov_b32_e32 v34, 0x3f2aaada
	v_fmac_f32_e32 v34, v32, v33
	v_mul_f32_e32 v33, 0x3f317218, v28
	v_fma_f32 v35, v28, s6, -v33
	v_fmac_f32_e32 v35, 0xb102e308, v28
	v_sub_f32_e32 v28, v31, v29
	v_sub_f32_e32 v14, v14, v28
	v_add_f32_e32 v28, v33, v35
	v_sub_f32_e32 v29, v28, v33
	v_ldexp_f32 v33, v31, 1
	v_mul_f32_e32 v31, v31, v32
	v_mul_f32_e32 v31, v31, v34
	v_add_f32_e32 v32, v33, v31
	v_sub_f32_e32 v33, v32, v33
	v_ldexp_f32 v14, v14, 1
	v_sub_f32_e32 v31, v31, v33
	v_add_f32_e32 v14, v14, v31
	v_add_f32_e32 v31, v32, v14
	v_sub_f32_e32 v32, v31, v32
	v_sub_f32_e32 v14, v14, v32
	v_add_f32_e32 v32, v28, v31
	v_sub_f32_e32 v33, v32, v28
	v_sub_f32_e32 v34, v32, v33
	;; [unrolled: 1-line block ×5, first 2 shown]
	v_add_f32_e32 v28, v31, v28
	v_add_f32_e32 v31, v29, v14
	v_sub_f32_e32 v33, v31, v29
	v_sub_f32_e32 v34, v31, v33
	;; [unrolled: 1-line block ×4, first 2 shown]
	v_add_f32_e32 v28, v31, v28
	v_add_f32_e32 v14, v14, v29
	;; [unrolled: 1-line block ×3, first 2 shown]
	v_sub_f32_e32 v31, v29, v32
	v_sub_f32_e32 v28, v28, v31
	v_add_f32_e32 v14, v14, v28
	v_add_f32_e32 v14, v29, v14
	v_cmp_neq_f32_e32 vcc, s5, v0
	s_mov_b32 s5, 0x33800000
	v_cndmask_b32_e32 v14, v30, v14, vcc
	v_cmp_lt_f32_e64 vcc, |v0|, s5
	v_cndmask_b32_e32 v0, v14, v0, vcc
	v_add_f32_e32 v0, v15, v0
	v_cvt_f16_f32_e32 v30, v0
	v_cvt_f32_f16_e32 v14, v30
	v_mov_b32_e32 v0, v30
.LBB372_140:
	s_or_b64 exec, exec, s[2:3]
	v_max_f32_e32 v15, v16, v16
	v_max_f32_e32 v29, v14, v14
	v_min_f32_e32 v28, v29, v15
	v_cmp_u_f16_e32 vcc, v30, v30
	v_max_f32_e32 v15, v29, v15
	v_cndmask_b32_e32 v28, v28, v14, vcc
	v_cndmask_b32_e32 v15, v15, v14, vcc
	v_cndmask_b32_e64 v28, v28, v16, s[50:51]
	v_cndmask_b32_e64 v16, v15, v16, s[50:51]
	v_cmp_neq_f32_e32 vcc, v28, v16
	v_cmp_class_f32_e64 s[2:3], v28, s4
	s_or_b64 s[4:5], vcc, s[2:3]
	v_mov_b32_e32 v15, v0
	s_and_saveexec_b64 s[2:3], s[4:5]
	s_cbranch_execz .LBB372_142
; %bb.141:
	v_sub_f32_e32 v14, v28, v16
	s_mov_b32 s4, 0x3fb8aa3b
	v_mul_f32_e32 v15, 0x3fb8aa3b, v14
	v_fma_f32 v28, v14, s4, -v15
	v_rndne_f32_e32 v29, v15
	v_fmac_f32_e32 v28, 0x32a5705f, v14
	v_sub_f32_e32 v15, v15, v29
	v_add_f32_e32 v15, v15, v28
	v_exp_f32_e32 v15, v15
	v_cvt_i32_f32_e32 v28, v29
	s_mov_b32 s4, 0xc2ce8ed0
	v_cmp_ngt_f32_e32 vcc, s4, v14
	s_mov_b32 s4, 0x42b17218
	v_ldexp_f32 v15, v15, v28
	v_cndmask_b32_e32 v15, 0, v15, vcc
	v_mov_b32_e32 v28, 0x7f800000
	v_cmp_nlt_f32_e32 vcc, s4, v14
	v_cndmask_b32_e32 v29, v28, v15, vcc
	v_add_f32_e32 v30, 1.0, v29
	v_cvt_f64_f32_e32 v[14:15], v30
	v_add_f32_e32 v31, -1.0, v30
	v_sub_f32_e32 v32, v31, v30
	v_sub_f32_e32 v31, v29, v31
	v_frexp_exp_i32_f64_e32 v14, v[14:15]
	v_add_f32_e32 v15, 1.0, v32
	v_add_f32_e32 v15, v31, v15
	v_frexp_mant_f32_e32 v31, v30
	s_mov_b32 s5, 0x3f2aaaab
	v_cmp_gt_f32_e32 vcc, s5, v31
	s_mov_b32 s5, 0x3f317218
	s_mov_b32 s4, 0x7f800000
	v_subbrev_co_u32_e32 v14, vcc, 0, v14, vcc
	v_sub_u32_e32 v31, 0, v14
	v_ldexp_f32 v30, v30, v31
	v_ldexp_f32 v15, v15, v31
	v_add_f32_e32 v31, -1.0, v30
	v_add_f32_e32 v34, 1.0, v30
	v_add_f32_e32 v32, 1.0, v31
	v_add_f32_e32 v35, -1.0, v34
	v_sub_f32_e32 v32, v30, v32
	v_sub_f32_e32 v30, v30, v35
	v_add_f32_e32 v32, v15, v32
	v_add_f32_e32 v15, v15, v30
	;; [unrolled: 1-line block ×3, first 2 shown]
	v_rcp_f32_e32 v35, v30
	v_add_f32_e32 v33, v31, v32
	v_sub_f32_e32 v31, v31, v33
	v_add_f32_e32 v31, v32, v31
	v_sub_f32_e32 v32, v34, v30
	v_add_f32_e32 v15, v15, v32
	v_mul_f32_e32 v32, v33, v35
	v_mul_f32_e32 v34, v30, v32
	v_fma_f32 v36, v32, v30, -v34
	v_fmac_f32_e32 v36, v32, v15
	v_add_f32_e32 v37, v34, v36
	v_sub_f32_e32 v38, v33, v37
	v_sub_f32_e32 v33, v33, v38
	;; [unrolled: 1-line block ×4, first 2 shown]
	v_add_f32_e32 v31, v31, v33
	v_sub_f32_e32 v33, v34, v36
	v_add_f32_e32 v31, v33, v31
	v_add_f32_e32 v33, v38, v31
	v_mul_f32_e32 v34, v35, v33
	v_mul_f32_e32 v36, v30, v34
	v_fma_f32 v30, v34, v30, -v36
	v_fmac_f32_e32 v30, v34, v15
	v_sub_f32_e32 v15, v38, v33
	v_add_f32_e32 v15, v31, v15
	v_add_f32_e32 v31, v36, v30
	v_sub_f32_e32 v37, v33, v31
	v_sub_f32_e32 v33, v33, v37
	;; [unrolled: 1-line block ×4, first 2 shown]
	v_add_f32_e32 v15, v15, v31
	v_sub_f32_e32 v30, v36, v30
	v_add_f32_e32 v15, v30, v15
	v_add_f32_e32 v30, v32, v34
	;; [unrolled: 1-line block ×3, first 2 shown]
	v_sub_f32_e32 v31, v30, v32
	v_mul_f32_e32 v15, v35, v15
	v_sub_f32_e32 v31, v34, v31
	v_add_f32_e32 v15, v31, v15
	v_cvt_f32_i32_e32 v14, v14
	v_add_f32_e32 v31, v30, v15
	v_mul_f32_e32 v32, v31, v31
	v_mov_b32_e32 v33, 0x3ecc95a3
	v_fmac_f32_e32 v33, 0x3e9b6dac, v32
	v_mov_b32_e32 v34, 0x3f2aaada
	v_fmac_f32_e32 v34, v32, v33
	v_mul_f32_e32 v33, 0x3f317218, v14
	v_fma_f32 v35, v14, s5, -v33
	v_fmac_f32_e32 v35, 0xb102e308, v14
	v_sub_f32_e32 v14, v31, v30
	v_sub_f32_e32 v14, v15, v14
	v_add_f32_e32 v15, v33, v35
	v_sub_f32_e32 v30, v15, v33
	v_ldexp_f32 v33, v31, 1
	v_mul_f32_e32 v31, v31, v32
	v_mul_f32_e32 v31, v31, v34
	v_add_f32_e32 v32, v33, v31
	v_sub_f32_e32 v33, v32, v33
	v_ldexp_f32 v14, v14, 1
	v_sub_f32_e32 v31, v31, v33
	v_add_f32_e32 v14, v14, v31
	v_add_f32_e32 v31, v32, v14
	v_sub_f32_e32 v32, v31, v32
	v_sub_f32_e32 v14, v14, v32
	v_add_f32_e32 v32, v15, v31
	v_sub_f32_e32 v33, v32, v15
	v_sub_f32_e32 v34, v32, v33
	;; [unrolled: 1-line block ×5, first 2 shown]
	v_add_f32_e32 v15, v31, v15
	v_add_f32_e32 v31, v30, v14
	v_sub_f32_e32 v33, v31, v30
	v_sub_f32_e32 v34, v31, v33
	;; [unrolled: 1-line block ×4, first 2 shown]
	v_add_f32_e32 v15, v31, v15
	v_add_f32_e32 v14, v14, v30
	;; [unrolled: 1-line block ×3, first 2 shown]
	v_sub_f32_e32 v31, v30, v32
	v_sub_f32_e32 v15, v15, v31
	v_add_f32_e32 v14, v14, v15
	v_add_f32_e32 v14, v30, v14
	v_cmp_neq_f32_e32 vcc, s4, v29
	s_mov_b32 s4, 0x33800000
	v_cndmask_b32_e32 v14, v28, v14, vcc
	v_cmp_lt_f32_e64 vcc, |v29|, s4
	v_cndmask_b32_e32 v14, v14, v29, vcc
	v_add_f32_e32 v14, v16, v14
	v_cvt_f16_f32_e32 v30, v14
	v_cvt_f32_f16_e32 v14, v30
	v_mov_b32_e32 v15, v30
.LBB372_142:
	s_or_b64 exec, exec, s[2:3]
	v_max_f32_e32 v16, v17, v17
	v_max_f32_e32 v29, v14, v14
	v_min_f32_e32 v28, v29, v16
	v_cmp_u_f16_e32 vcc, v30, v30
	v_max_f32_e32 v16, v29, v16
	v_cndmask_b32_e32 v28, v28, v14, vcc
	v_cndmask_b32_e32 v16, v16, v14, vcc
	v_cndmask_b32_e64 v28, v28, v17, s[52:53]
	v_cndmask_b32_e64 v17, v16, v17, s[52:53]
	s_movk_i32 s4, 0x1f8
	v_cmp_neq_f32_e32 vcc, v28, v17
	v_cmp_class_f32_e64 s[2:3], v28, s4
	s_or_b64 s[6:7], vcc, s[2:3]
	v_mov_b32_e32 v16, v15
	s_and_saveexec_b64 s[2:3], s[6:7]
	s_cbranch_execz .LBB372_144
; %bb.143:
	v_sub_f32_e32 v14, v28, v17
	s_mov_b32 s5, 0x3fb8aa3b
	v_mul_f32_e32 v16, 0x3fb8aa3b, v14
	v_fma_f32 v28, v14, s5, -v16
	v_rndne_f32_e32 v29, v16
	v_fmac_f32_e32 v28, 0x32a5705f, v14
	v_sub_f32_e32 v16, v16, v29
	v_add_f32_e32 v16, v16, v28
	v_exp_f32_e32 v16, v16
	v_cvt_i32_f32_e32 v28, v29
	s_mov_b32 s5, 0xc2ce8ed0
	v_cmp_ngt_f32_e32 vcc, s5, v14
	s_mov_b32 s5, 0x42b17218
	v_ldexp_f32 v16, v16, v28
	v_cndmask_b32_e32 v16, 0, v16, vcc
	v_mov_b32_e32 v30, 0x7f800000
	v_cmp_nlt_f32_e32 vcc, s5, v14
	v_cndmask_b32_e32 v14, v30, v16, vcc
	v_add_f32_e32 v16, 1.0, v14
	v_cvt_f64_f32_e32 v[28:29], v16
	v_add_f32_e32 v31, -1.0, v16
	v_sub_f32_e32 v32, v31, v16
	v_sub_f32_e32 v31, v14, v31
	v_frexp_exp_i32_f64_e32 v28, v[28:29]
	v_add_f32_e32 v29, 1.0, v32
	v_add_f32_e32 v29, v31, v29
	v_frexp_mant_f32_e32 v31, v16
	s_mov_b32 s6, 0x3f2aaaab
	v_cmp_gt_f32_e32 vcc, s6, v31
	s_mov_b32 s6, 0x3f317218
	s_mov_b32 s5, 0x7f800000
	v_subbrev_co_u32_e32 v28, vcc, 0, v28, vcc
	v_sub_u32_e32 v31, 0, v28
	v_ldexp_f32 v16, v16, v31
	v_ldexp_f32 v29, v29, v31
	v_add_f32_e32 v31, -1.0, v16
	v_add_f32_e32 v34, 1.0, v16
	v_add_f32_e32 v32, 1.0, v31
	v_add_f32_e32 v35, -1.0, v34
	v_sub_f32_e32 v32, v16, v32
	v_sub_f32_e32 v16, v16, v35
	v_add_f32_e32 v16, v29, v16
	v_add_f32_e32 v32, v29, v32
	;; [unrolled: 1-line block ×3, first 2 shown]
	v_rcp_f32_e32 v35, v29
	v_add_f32_e32 v33, v31, v32
	v_sub_f32_e32 v31, v31, v33
	v_add_f32_e32 v31, v32, v31
	v_sub_f32_e32 v32, v34, v29
	v_add_f32_e32 v16, v16, v32
	v_mul_f32_e32 v32, v33, v35
	v_mul_f32_e32 v34, v29, v32
	v_fma_f32 v36, v32, v29, -v34
	v_fmac_f32_e32 v36, v32, v16
	v_add_f32_e32 v37, v34, v36
	v_sub_f32_e32 v38, v33, v37
	v_sub_f32_e32 v33, v33, v38
	;; [unrolled: 1-line block ×4, first 2 shown]
	v_add_f32_e32 v31, v31, v33
	v_sub_f32_e32 v33, v34, v36
	v_add_f32_e32 v31, v33, v31
	v_add_f32_e32 v33, v38, v31
	v_mul_f32_e32 v34, v35, v33
	v_mul_f32_e32 v36, v29, v34
	v_fma_f32 v29, v34, v29, -v36
	v_fmac_f32_e32 v29, v34, v16
	v_sub_f32_e32 v16, v38, v33
	v_add_f32_e32 v16, v31, v16
	v_add_f32_e32 v31, v36, v29
	v_sub_f32_e32 v37, v33, v31
	v_sub_f32_e32 v33, v33, v37
	;; [unrolled: 1-line block ×4, first 2 shown]
	v_add_f32_e32 v16, v16, v31
	v_sub_f32_e32 v29, v36, v29
	v_add_f32_e32 v16, v29, v16
	v_add_f32_e32 v29, v32, v34
	;; [unrolled: 1-line block ×3, first 2 shown]
	v_sub_f32_e32 v31, v29, v32
	v_mul_f32_e32 v16, v35, v16
	v_sub_f32_e32 v31, v34, v31
	v_add_f32_e32 v16, v31, v16
	v_cvt_f32_i32_e32 v28, v28
	v_add_f32_e32 v31, v29, v16
	v_mul_f32_e32 v32, v31, v31
	v_mov_b32_e32 v33, 0x3ecc95a3
	v_fmac_f32_e32 v33, 0x3e9b6dac, v32
	v_mov_b32_e32 v34, 0x3f2aaada
	v_fmac_f32_e32 v34, v32, v33
	v_mul_f32_e32 v33, 0x3f317218, v28
	v_fma_f32 v35, v28, s6, -v33
	v_fmac_f32_e32 v35, 0xb102e308, v28
	v_sub_f32_e32 v28, v31, v29
	v_sub_f32_e32 v16, v16, v28
	v_add_f32_e32 v28, v33, v35
	v_sub_f32_e32 v29, v28, v33
	v_ldexp_f32 v33, v31, 1
	v_mul_f32_e32 v31, v31, v32
	v_mul_f32_e32 v31, v31, v34
	v_add_f32_e32 v32, v33, v31
	v_sub_f32_e32 v33, v32, v33
	v_ldexp_f32 v16, v16, 1
	v_sub_f32_e32 v31, v31, v33
	v_add_f32_e32 v16, v16, v31
	v_add_f32_e32 v31, v32, v16
	v_sub_f32_e32 v32, v31, v32
	v_sub_f32_e32 v16, v16, v32
	v_add_f32_e32 v32, v28, v31
	v_sub_f32_e32 v33, v32, v28
	v_sub_f32_e32 v34, v32, v33
	;; [unrolled: 1-line block ×5, first 2 shown]
	v_add_f32_e32 v28, v31, v28
	v_add_f32_e32 v31, v29, v16
	v_sub_f32_e32 v33, v31, v29
	v_sub_f32_e32 v34, v31, v33
	;; [unrolled: 1-line block ×4, first 2 shown]
	v_add_f32_e32 v28, v31, v28
	v_add_f32_e32 v16, v16, v29
	;; [unrolled: 1-line block ×3, first 2 shown]
	v_sub_f32_e32 v31, v29, v32
	v_sub_f32_e32 v28, v28, v31
	v_add_f32_e32 v16, v16, v28
	v_add_f32_e32 v16, v29, v16
	v_cmp_neq_f32_e32 vcc, s5, v14
	s_mov_b32 s5, 0x33800000
	v_cndmask_b32_e32 v16, v30, v16, vcc
	v_cmp_lt_f32_e64 vcc, |v14|, s5
	v_cndmask_b32_e32 v14, v16, v14, vcc
	v_add_f32_e32 v14, v17, v14
	v_cvt_f16_f32_e32 v30, v14
	v_cvt_f32_f16_e32 v14, v30
	v_mov_b32_e32 v16, v30
.LBB372_144:
	s_or_b64 exec, exec, s[2:3]
	v_max_f32_e32 v17, v2, v2
	v_max_f32_e32 v29, v14, v14
	v_min_f32_e32 v28, v29, v17
	v_cmp_u_f16_e32 vcc, v30, v30
	v_max_f32_e32 v17, v29, v17
	v_cndmask_b32_e32 v28, v28, v14, vcc
	v_cndmask_b32_e32 v17, v17, v14, vcc
	v_cndmask_b32_e64 v28, v28, v2, s[54:55]
	v_cndmask_b32_e64 v17, v17, v2, s[54:55]
	v_cmp_neq_f32_e32 vcc, v28, v17
	v_cmp_class_f32_e64 s[2:3], v28, s4
	s_or_b64 s[4:5], vcc, s[2:3]
	v_mov_b32_e32 v2, v16
	s_and_saveexec_b64 s[2:3], s[4:5]
	s_cbranch_execz .LBB372_146
; %bb.145:
	v_sub_f32_e32 v2, v28, v17
	s_mov_b32 s4, 0x3fb8aa3b
	v_mul_f32_e32 v14, 0x3fb8aa3b, v2
	v_fma_f32 v28, v2, s4, -v14
	v_rndne_f32_e32 v29, v14
	v_fmac_f32_e32 v28, 0x32a5705f, v2
	v_sub_f32_e32 v14, v14, v29
	v_add_f32_e32 v14, v14, v28
	v_exp_f32_e32 v14, v14
	v_cvt_i32_f32_e32 v28, v29
	s_mov_b32 s4, 0xc2ce8ed0
	v_cmp_ngt_f32_e32 vcc, s4, v2
	s_mov_b32 s4, 0x42b17218
	v_ldexp_f32 v14, v14, v28
	v_cndmask_b32_e32 v14, 0, v14, vcc
	v_mov_b32_e32 v30, 0x7f800000
	v_cmp_nlt_f32_e32 vcc, s4, v2
	v_cndmask_b32_e32 v2, v30, v14, vcc
	v_add_f32_e32 v14, 1.0, v2
	v_cvt_f64_f32_e32 v[28:29], v14
	v_add_f32_e32 v31, -1.0, v14
	v_sub_f32_e32 v32, v31, v14
	v_sub_f32_e32 v31, v2, v31
	v_frexp_exp_i32_f64_e32 v28, v[28:29]
	v_add_f32_e32 v29, 1.0, v32
	v_add_f32_e32 v29, v31, v29
	v_frexp_mant_f32_e32 v31, v14
	s_mov_b32 s5, 0x3f2aaaab
	v_cmp_gt_f32_e32 vcc, s5, v31
	s_mov_b32 s5, 0x3f317218
	s_mov_b32 s4, 0x7f800000
	v_subbrev_co_u32_e32 v28, vcc, 0, v28, vcc
	v_sub_u32_e32 v31, 0, v28
	v_ldexp_f32 v14, v14, v31
	v_ldexp_f32 v29, v29, v31
	v_add_f32_e32 v31, -1.0, v14
	v_add_f32_e32 v34, 1.0, v14
	v_add_f32_e32 v32, 1.0, v31
	v_add_f32_e32 v35, -1.0, v34
	v_sub_f32_e32 v32, v14, v32
	v_sub_f32_e32 v14, v14, v35
	v_add_f32_e32 v14, v29, v14
	v_add_f32_e32 v32, v29, v32
	;; [unrolled: 1-line block ×3, first 2 shown]
	v_rcp_f32_e32 v35, v29
	v_add_f32_e32 v33, v31, v32
	v_sub_f32_e32 v31, v31, v33
	v_add_f32_e32 v31, v32, v31
	v_sub_f32_e32 v32, v34, v29
	v_add_f32_e32 v14, v14, v32
	v_mul_f32_e32 v32, v33, v35
	v_mul_f32_e32 v34, v29, v32
	v_fma_f32 v36, v32, v29, -v34
	v_fmac_f32_e32 v36, v32, v14
	v_add_f32_e32 v37, v34, v36
	v_sub_f32_e32 v38, v33, v37
	v_sub_f32_e32 v33, v33, v38
	;; [unrolled: 1-line block ×4, first 2 shown]
	v_add_f32_e32 v31, v31, v33
	v_sub_f32_e32 v33, v34, v36
	v_add_f32_e32 v31, v33, v31
	v_add_f32_e32 v33, v38, v31
	v_mul_f32_e32 v34, v35, v33
	v_mul_f32_e32 v36, v29, v34
	v_fma_f32 v29, v34, v29, -v36
	v_fmac_f32_e32 v29, v34, v14
	v_sub_f32_e32 v14, v38, v33
	v_add_f32_e32 v14, v31, v14
	v_add_f32_e32 v31, v36, v29
	v_sub_f32_e32 v37, v33, v31
	v_sub_f32_e32 v33, v33, v37
	;; [unrolled: 1-line block ×4, first 2 shown]
	v_add_f32_e32 v14, v14, v31
	v_sub_f32_e32 v29, v36, v29
	v_add_f32_e32 v14, v29, v14
	v_add_f32_e32 v29, v32, v34
	;; [unrolled: 1-line block ×3, first 2 shown]
	v_sub_f32_e32 v31, v29, v32
	v_mul_f32_e32 v14, v35, v14
	v_sub_f32_e32 v31, v34, v31
	v_add_f32_e32 v14, v31, v14
	v_cvt_f32_i32_e32 v28, v28
	v_add_f32_e32 v31, v29, v14
	v_mul_f32_e32 v32, v31, v31
	v_mov_b32_e32 v33, 0x3ecc95a3
	v_fmac_f32_e32 v33, 0x3e9b6dac, v32
	v_mov_b32_e32 v34, 0x3f2aaada
	v_fmac_f32_e32 v34, v32, v33
	v_mul_f32_e32 v33, 0x3f317218, v28
	v_fma_f32 v35, v28, s5, -v33
	v_fmac_f32_e32 v35, 0xb102e308, v28
	v_sub_f32_e32 v28, v31, v29
	v_sub_f32_e32 v14, v14, v28
	v_add_f32_e32 v28, v33, v35
	v_sub_f32_e32 v29, v28, v33
	v_ldexp_f32 v33, v31, 1
	v_mul_f32_e32 v31, v31, v32
	v_mul_f32_e32 v31, v31, v34
	v_add_f32_e32 v32, v33, v31
	v_sub_f32_e32 v33, v32, v33
	v_ldexp_f32 v14, v14, 1
	v_sub_f32_e32 v31, v31, v33
	v_add_f32_e32 v14, v14, v31
	v_add_f32_e32 v31, v32, v14
	v_sub_f32_e32 v32, v31, v32
	v_sub_f32_e32 v14, v14, v32
	v_add_f32_e32 v32, v28, v31
	v_sub_f32_e32 v33, v32, v28
	v_sub_f32_e32 v34, v32, v33
	;; [unrolled: 1-line block ×5, first 2 shown]
	v_add_f32_e32 v28, v31, v28
	v_add_f32_e32 v31, v29, v14
	v_sub_f32_e32 v33, v31, v29
	v_sub_f32_e32 v34, v31, v33
	v_sub_f32_e32 v29, v29, v34
	v_sub_f32_e32 v14, v14, v33
	v_add_f32_e32 v28, v31, v28
	v_add_f32_e32 v14, v14, v29
	;; [unrolled: 1-line block ×3, first 2 shown]
	v_sub_f32_e32 v31, v29, v32
	v_sub_f32_e32 v28, v28, v31
	v_add_f32_e32 v14, v14, v28
	v_add_f32_e32 v14, v29, v14
	v_cmp_neq_f32_e32 vcc, s4, v2
	s_mov_b32 s4, 0x33800000
	v_cndmask_b32_e32 v14, v30, v14, vcc
	v_cmp_lt_f32_e64 vcc, |v2|, s4
	v_cndmask_b32_e32 v2, v14, v2, vcc
	v_add_f32_e32 v2, v17, v2
	v_cvt_f16_f32_e32 v30, v2
	v_cvt_f32_f16_e32 v14, v30
	v_mov_b32_e32 v2, v30
.LBB372_146:
	s_or_b64 exec, exec, s[2:3]
	v_max_f32_e32 v17, v18, v18
	v_max_f32_e32 v29, v14, v14
	v_min_f32_e32 v28, v29, v17
	v_cmp_u_f16_e32 vcc, v30, v30
	v_max_f32_e32 v17, v29, v17
	v_cndmask_b32_e32 v28, v28, v14, vcc
	v_cndmask_b32_e32 v17, v17, v14, vcc
	v_cndmask_b32_e64 v28, v28, v18, s[56:57]
	v_cndmask_b32_e64 v18, v17, v18, s[56:57]
	s_movk_i32 s4, 0x1f8
	v_cmp_neq_f32_e32 vcc, v28, v18
	v_cmp_class_f32_e64 s[2:3], v28, s4
	s_or_b64 s[6:7], vcc, s[2:3]
	v_mov_b32_e32 v17, v2
	s_and_saveexec_b64 s[2:3], s[6:7]
	s_cbranch_execz .LBB372_148
; %bb.147:
	v_sub_f32_e32 v14, v28, v18
	s_mov_b32 s5, 0x3fb8aa3b
	v_mul_f32_e32 v17, 0x3fb8aa3b, v14
	v_fma_f32 v28, v14, s5, -v17
	v_rndne_f32_e32 v29, v17
	v_fmac_f32_e32 v28, 0x32a5705f, v14
	v_sub_f32_e32 v17, v17, v29
	v_add_f32_e32 v17, v17, v28
	v_exp_f32_e32 v17, v17
	v_cvt_i32_f32_e32 v28, v29
	s_mov_b32 s5, 0xc2ce8ed0
	v_cmp_ngt_f32_e32 vcc, s5, v14
	s_mov_b32 s5, 0x42b17218
	v_ldexp_f32 v17, v17, v28
	v_cndmask_b32_e32 v17, 0, v17, vcc
	v_mov_b32_e32 v30, 0x7f800000
	v_cmp_nlt_f32_e32 vcc, s5, v14
	v_cndmask_b32_e32 v14, v30, v17, vcc
	v_add_f32_e32 v17, 1.0, v14
	v_cvt_f64_f32_e32 v[28:29], v17
	v_add_f32_e32 v31, -1.0, v17
	v_sub_f32_e32 v32, v31, v17
	v_sub_f32_e32 v31, v14, v31
	v_frexp_exp_i32_f64_e32 v28, v[28:29]
	v_add_f32_e32 v29, 1.0, v32
	v_add_f32_e32 v29, v31, v29
	v_frexp_mant_f32_e32 v31, v17
	s_mov_b32 s6, 0x3f2aaaab
	v_cmp_gt_f32_e32 vcc, s6, v31
	s_mov_b32 s6, 0x3f317218
	s_mov_b32 s5, 0x7f800000
	v_subbrev_co_u32_e32 v28, vcc, 0, v28, vcc
	v_sub_u32_e32 v31, 0, v28
	v_ldexp_f32 v17, v17, v31
	v_ldexp_f32 v29, v29, v31
	v_add_f32_e32 v31, -1.0, v17
	v_add_f32_e32 v34, 1.0, v17
	v_add_f32_e32 v32, 1.0, v31
	v_add_f32_e32 v35, -1.0, v34
	v_sub_f32_e32 v32, v17, v32
	v_sub_f32_e32 v17, v17, v35
	v_add_f32_e32 v17, v29, v17
	v_add_f32_e32 v32, v29, v32
	;; [unrolled: 1-line block ×3, first 2 shown]
	v_rcp_f32_e32 v35, v29
	v_add_f32_e32 v33, v31, v32
	v_sub_f32_e32 v31, v31, v33
	v_add_f32_e32 v31, v32, v31
	v_sub_f32_e32 v32, v34, v29
	v_add_f32_e32 v17, v17, v32
	v_mul_f32_e32 v32, v33, v35
	v_mul_f32_e32 v34, v29, v32
	v_fma_f32 v36, v32, v29, -v34
	v_fmac_f32_e32 v36, v32, v17
	v_add_f32_e32 v37, v34, v36
	v_sub_f32_e32 v38, v33, v37
	v_sub_f32_e32 v33, v33, v38
	;; [unrolled: 1-line block ×4, first 2 shown]
	v_add_f32_e32 v31, v31, v33
	v_sub_f32_e32 v33, v34, v36
	v_add_f32_e32 v31, v33, v31
	v_add_f32_e32 v33, v38, v31
	v_mul_f32_e32 v34, v35, v33
	v_mul_f32_e32 v36, v29, v34
	v_fma_f32 v29, v34, v29, -v36
	v_fmac_f32_e32 v29, v34, v17
	v_sub_f32_e32 v17, v38, v33
	v_add_f32_e32 v17, v31, v17
	v_add_f32_e32 v31, v36, v29
	v_sub_f32_e32 v37, v33, v31
	v_sub_f32_e32 v33, v33, v37
	;; [unrolled: 1-line block ×4, first 2 shown]
	v_add_f32_e32 v17, v17, v31
	v_sub_f32_e32 v29, v36, v29
	v_add_f32_e32 v17, v29, v17
	v_add_f32_e32 v29, v32, v34
	;; [unrolled: 1-line block ×3, first 2 shown]
	v_sub_f32_e32 v31, v29, v32
	v_mul_f32_e32 v17, v35, v17
	v_sub_f32_e32 v31, v34, v31
	v_add_f32_e32 v17, v31, v17
	v_cvt_f32_i32_e32 v28, v28
	v_add_f32_e32 v31, v29, v17
	v_mul_f32_e32 v32, v31, v31
	v_mov_b32_e32 v33, 0x3ecc95a3
	v_fmac_f32_e32 v33, 0x3e9b6dac, v32
	v_mov_b32_e32 v34, 0x3f2aaada
	v_fmac_f32_e32 v34, v32, v33
	v_mul_f32_e32 v33, 0x3f317218, v28
	v_fma_f32 v35, v28, s6, -v33
	v_fmac_f32_e32 v35, 0xb102e308, v28
	v_sub_f32_e32 v28, v31, v29
	v_sub_f32_e32 v17, v17, v28
	v_add_f32_e32 v28, v33, v35
	v_sub_f32_e32 v29, v28, v33
	v_ldexp_f32 v33, v31, 1
	v_mul_f32_e32 v31, v31, v32
	v_mul_f32_e32 v31, v31, v34
	v_add_f32_e32 v32, v33, v31
	v_sub_f32_e32 v33, v32, v33
	v_ldexp_f32 v17, v17, 1
	v_sub_f32_e32 v31, v31, v33
	v_add_f32_e32 v17, v17, v31
	v_add_f32_e32 v31, v32, v17
	v_sub_f32_e32 v32, v31, v32
	v_sub_f32_e32 v17, v17, v32
	v_add_f32_e32 v32, v28, v31
	v_sub_f32_e32 v33, v32, v28
	v_sub_f32_e32 v34, v32, v33
	;; [unrolled: 1-line block ×5, first 2 shown]
	v_add_f32_e32 v28, v31, v28
	v_add_f32_e32 v31, v29, v17
	v_sub_f32_e32 v33, v31, v29
	v_sub_f32_e32 v34, v31, v33
	;; [unrolled: 1-line block ×4, first 2 shown]
	v_add_f32_e32 v28, v31, v28
	v_add_f32_e32 v17, v17, v29
	;; [unrolled: 1-line block ×3, first 2 shown]
	v_sub_f32_e32 v31, v29, v32
	v_sub_f32_e32 v28, v28, v31
	v_add_f32_e32 v17, v17, v28
	v_add_f32_e32 v17, v29, v17
	v_cmp_neq_f32_e32 vcc, s5, v14
	s_mov_b32 s5, 0x33800000
	v_cndmask_b32_e32 v17, v30, v17, vcc
	v_cmp_lt_f32_e64 vcc, |v14|, s5
	v_cndmask_b32_e32 v14, v17, v14, vcc
	v_add_f32_e32 v14, v18, v14
	v_cvt_f16_f32_e32 v30, v14
	v_cvt_f32_f16_e32 v14, v30
	v_mov_b32_e32 v17, v30
.LBB372_148:
	s_or_b64 exec, exec, s[2:3]
	v_max_f32_e32 v18, v3, v3
	v_max_f32_e32 v29, v14, v14
	v_min_f32_e32 v28, v29, v18
	v_cmp_u_f16_e32 vcc, v30, v30
	v_max_f32_e32 v18, v29, v18
	v_cndmask_b32_e32 v28, v28, v14, vcc
	v_cndmask_b32_e32 v18, v18, v14, vcc
	v_cndmask_b32_e64 v28, v28, v3, s[58:59]
	v_cndmask_b32_e64 v18, v18, v3, s[58:59]
	v_cmp_neq_f32_e32 vcc, v28, v18
	v_cmp_class_f32_e64 s[2:3], v28, s4
	s_or_b64 s[4:5], vcc, s[2:3]
	v_mov_b32_e32 v3, v17
	s_and_saveexec_b64 s[2:3], s[4:5]
	s_cbranch_execz .LBB372_150
; %bb.149:
	v_sub_f32_e32 v3, v28, v18
	s_mov_b32 s4, 0x3fb8aa3b
	v_mul_f32_e32 v14, 0x3fb8aa3b, v3
	v_fma_f32 v28, v3, s4, -v14
	v_rndne_f32_e32 v29, v14
	v_fmac_f32_e32 v28, 0x32a5705f, v3
	v_sub_f32_e32 v14, v14, v29
	v_add_f32_e32 v14, v14, v28
	v_exp_f32_e32 v14, v14
	v_cvt_i32_f32_e32 v28, v29
	s_mov_b32 s4, 0xc2ce8ed0
	v_cmp_ngt_f32_e32 vcc, s4, v3
	s_mov_b32 s4, 0x42b17218
	v_ldexp_f32 v14, v14, v28
	v_cndmask_b32_e32 v14, 0, v14, vcc
	v_mov_b32_e32 v30, 0x7f800000
	v_cmp_nlt_f32_e32 vcc, s4, v3
	v_cndmask_b32_e32 v3, v30, v14, vcc
	v_add_f32_e32 v14, 1.0, v3
	v_cvt_f64_f32_e32 v[28:29], v14
	v_add_f32_e32 v31, -1.0, v14
	v_sub_f32_e32 v32, v31, v14
	v_sub_f32_e32 v31, v3, v31
	v_frexp_exp_i32_f64_e32 v28, v[28:29]
	v_add_f32_e32 v29, 1.0, v32
	v_add_f32_e32 v29, v31, v29
	v_frexp_mant_f32_e32 v31, v14
	s_mov_b32 s5, 0x3f2aaaab
	v_cmp_gt_f32_e32 vcc, s5, v31
	s_mov_b32 s5, 0x3f317218
	s_mov_b32 s4, 0x7f800000
	v_subbrev_co_u32_e32 v28, vcc, 0, v28, vcc
	v_sub_u32_e32 v31, 0, v28
	v_ldexp_f32 v14, v14, v31
	v_ldexp_f32 v29, v29, v31
	v_add_f32_e32 v31, -1.0, v14
	v_add_f32_e32 v34, 1.0, v14
	v_add_f32_e32 v32, 1.0, v31
	v_add_f32_e32 v35, -1.0, v34
	v_sub_f32_e32 v32, v14, v32
	v_sub_f32_e32 v14, v14, v35
	v_add_f32_e32 v14, v29, v14
	v_add_f32_e32 v32, v29, v32
	;; [unrolled: 1-line block ×3, first 2 shown]
	v_rcp_f32_e32 v35, v29
	v_add_f32_e32 v33, v31, v32
	v_sub_f32_e32 v31, v31, v33
	v_add_f32_e32 v31, v32, v31
	v_sub_f32_e32 v32, v34, v29
	v_add_f32_e32 v14, v14, v32
	v_mul_f32_e32 v32, v33, v35
	v_mul_f32_e32 v34, v29, v32
	v_fma_f32 v36, v32, v29, -v34
	v_fmac_f32_e32 v36, v32, v14
	v_add_f32_e32 v37, v34, v36
	v_sub_f32_e32 v38, v33, v37
	v_sub_f32_e32 v33, v33, v38
	;; [unrolled: 1-line block ×4, first 2 shown]
	v_add_f32_e32 v31, v31, v33
	v_sub_f32_e32 v33, v34, v36
	v_add_f32_e32 v31, v33, v31
	v_add_f32_e32 v33, v38, v31
	v_mul_f32_e32 v34, v35, v33
	v_mul_f32_e32 v36, v29, v34
	v_fma_f32 v29, v34, v29, -v36
	v_fmac_f32_e32 v29, v34, v14
	v_sub_f32_e32 v14, v38, v33
	v_add_f32_e32 v14, v31, v14
	v_add_f32_e32 v31, v36, v29
	v_sub_f32_e32 v37, v33, v31
	v_sub_f32_e32 v33, v33, v37
	;; [unrolled: 1-line block ×4, first 2 shown]
	v_add_f32_e32 v14, v14, v31
	v_sub_f32_e32 v29, v36, v29
	v_add_f32_e32 v14, v29, v14
	v_add_f32_e32 v29, v32, v34
	;; [unrolled: 1-line block ×3, first 2 shown]
	v_sub_f32_e32 v31, v29, v32
	v_mul_f32_e32 v14, v35, v14
	v_sub_f32_e32 v31, v34, v31
	v_add_f32_e32 v14, v31, v14
	v_cvt_f32_i32_e32 v28, v28
	v_add_f32_e32 v31, v29, v14
	v_mul_f32_e32 v32, v31, v31
	v_mov_b32_e32 v33, 0x3ecc95a3
	v_fmac_f32_e32 v33, 0x3e9b6dac, v32
	v_mov_b32_e32 v34, 0x3f2aaada
	v_fmac_f32_e32 v34, v32, v33
	v_mul_f32_e32 v33, 0x3f317218, v28
	v_fma_f32 v35, v28, s5, -v33
	v_fmac_f32_e32 v35, 0xb102e308, v28
	v_sub_f32_e32 v28, v31, v29
	v_sub_f32_e32 v14, v14, v28
	v_add_f32_e32 v28, v33, v35
	v_sub_f32_e32 v29, v28, v33
	v_ldexp_f32 v33, v31, 1
	v_mul_f32_e32 v31, v31, v32
	v_mul_f32_e32 v31, v31, v34
	v_add_f32_e32 v32, v33, v31
	v_sub_f32_e32 v33, v32, v33
	v_ldexp_f32 v14, v14, 1
	v_sub_f32_e32 v31, v31, v33
	v_add_f32_e32 v14, v14, v31
	v_add_f32_e32 v31, v32, v14
	v_sub_f32_e32 v32, v31, v32
	v_sub_f32_e32 v14, v14, v32
	v_add_f32_e32 v32, v28, v31
	v_sub_f32_e32 v33, v32, v28
	v_sub_f32_e32 v34, v32, v33
	v_sub_f32_e32 v29, v35, v29
	v_sub_f32_e32 v28, v28, v34
	v_sub_f32_e32 v31, v31, v33
	v_add_f32_e32 v28, v31, v28
	v_add_f32_e32 v31, v29, v14
	v_sub_f32_e32 v33, v31, v29
	v_sub_f32_e32 v34, v31, v33
	;; [unrolled: 1-line block ×4, first 2 shown]
	v_add_f32_e32 v28, v31, v28
	v_add_f32_e32 v14, v14, v29
	;; [unrolled: 1-line block ×3, first 2 shown]
	v_sub_f32_e32 v31, v29, v32
	v_sub_f32_e32 v28, v28, v31
	v_add_f32_e32 v14, v14, v28
	v_add_f32_e32 v14, v29, v14
	v_cmp_neq_f32_e32 vcc, s4, v3
	s_mov_b32 s4, 0x33800000
	v_cndmask_b32_e32 v14, v30, v14, vcc
	v_cmp_lt_f32_e64 vcc, |v3|, s4
	v_cndmask_b32_e32 v3, v14, v3, vcc
	v_add_f32_e32 v3, v18, v3
	v_cvt_f16_f32_e32 v30, v3
	v_cvt_f32_f16_e32 v14, v30
	v_mov_b32_e32 v3, v30
.LBB372_150:
	s_or_b64 exec, exec, s[2:3]
	v_max_f32_e32 v18, v19, v19
	v_max_f32_e32 v29, v14, v14
	v_min_f32_e32 v28, v29, v18
	v_cmp_u_f16_e32 vcc, v30, v30
	v_max_f32_e32 v18, v29, v18
	v_cndmask_b32_e32 v28, v28, v14, vcc
	v_cndmask_b32_e32 v18, v18, v14, vcc
	v_cndmask_b32_e64 v28, v28, v19, s[60:61]
	v_cndmask_b32_e64 v19, v18, v19, s[60:61]
	s_movk_i32 s4, 0x1f8
	v_cmp_neq_f32_e32 vcc, v28, v19
	v_cmp_class_f32_e64 s[2:3], v28, s4
	s_or_b64 s[6:7], vcc, s[2:3]
	v_mov_b32_e32 v18, v3
	s_and_saveexec_b64 s[2:3], s[6:7]
	s_cbranch_execz .LBB372_152
; %bb.151:
	v_sub_f32_e32 v14, v28, v19
	s_mov_b32 s5, 0x3fb8aa3b
	v_mul_f32_e32 v18, 0x3fb8aa3b, v14
	v_fma_f32 v28, v14, s5, -v18
	v_rndne_f32_e32 v29, v18
	v_fmac_f32_e32 v28, 0x32a5705f, v14
	v_sub_f32_e32 v18, v18, v29
	v_add_f32_e32 v18, v18, v28
	v_exp_f32_e32 v18, v18
	v_cvt_i32_f32_e32 v28, v29
	s_mov_b32 s5, 0xc2ce8ed0
	v_cmp_ngt_f32_e32 vcc, s5, v14
	s_mov_b32 s5, 0x42b17218
	v_ldexp_f32 v18, v18, v28
	v_cndmask_b32_e32 v18, 0, v18, vcc
	v_mov_b32_e32 v30, 0x7f800000
	v_cmp_nlt_f32_e32 vcc, s5, v14
	v_cndmask_b32_e32 v14, v30, v18, vcc
	v_add_f32_e32 v18, 1.0, v14
	v_cvt_f64_f32_e32 v[28:29], v18
	v_add_f32_e32 v31, -1.0, v18
	v_sub_f32_e32 v32, v31, v18
	v_sub_f32_e32 v31, v14, v31
	v_frexp_exp_i32_f64_e32 v28, v[28:29]
	v_add_f32_e32 v29, 1.0, v32
	v_add_f32_e32 v29, v31, v29
	v_frexp_mant_f32_e32 v31, v18
	s_mov_b32 s6, 0x3f2aaaab
	v_cmp_gt_f32_e32 vcc, s6, v31
	s_mov_b32 s6, 0x3f317218
	s_mov_b32 s5, 0x7f800000
	v_subbrev_co_u32_e32 v28, vcc, 0, v28, vcc
	v_sub_u32_e32 v31, 0, v28
	v_ldexp_f32 v18, v18, v31
	v_ldexp_f32 v29, v29, v31
	v_add_f32_e32 v31, -1.0, v18
	v_add_f32_e32 v34, 1.0, v18
	v_add_f32_e32 v32, 1.0, v31
	v_add_f32_e32 v35, -1.0, v34
	v_sub_f32_e32 v32, v18, v32
	v_sub_f32_e32 v18, v18, v35
	v_add_f32_e32 v18, v29, v18
	v_add_f32_e32 v32, v29, v32
	;; [unrolled: 1-line block ×3, first 2 shown]
	v_rcp_f32_e32 v35, v29
	v_add_f32_e32 v33, v31, v32
	v_sub_f32_e32 v31, v31, v33
	v_add_f32_e32 v31, v32, v31
	v_sub_f32_e32 v32, v34, v29
	v_add_f32_e32 v18, v18, v32
	v_mul_f32_e32 v32, v33, v35
	v_mul_f32_e32 v34, v29, v32
	v_fma_f32 v36, v32, v29, -v34
	v_fmac_f32_e32 v36, v32, v18
	v_add_f32_e32 v37, v34, v36
	v_sub_f32_e32 v38, v33, v37
	v_sub_f32_e32 v33, v33, v38
	v_sub_f32_e32 v34, v37, v34
	v_sub_f32_e32 v33, v33, v37
	v_add_f32_e32 v31, v31, v33
	v_sub_f32_e32 v33, v34, v36
	v_add_f32_e32 v31, v33, v31
	v_add_f32_e32 v33, v38, v31
	v_mul_f32_e32 v34, v35, v33
	v_mul_f32_e32 v36, v29, v34
	v_fma_f32 v29, v34, v29, -v36
	v_fmac_f32_e32 v29, v34, v18
	v_sub_f32_e32 v18, v38, v33
	v_add_f32_e32 v18, v31, v18
	v_add_f32_e32 v31, v36, v29
	v_sub_f32_e32 v37, v33, v31
	v_sub_f32_e32 v33, v33, v37
	;; [unrolled: 1-line block ×4, first 2 shown]
	v_add_f32_e32 v18, v18, v31
	v_sub_f32_e32 v29, v36, v29
	v_add_f32_e32 v18, v29, v18
	v_add_f32_e32 v29, v32, v34
	;; [unrolled: 1-line block ×3, first 2 shown]
	v_sub_f32_e32 v31, v29, v32
	v_mul_f32_e32 v18, v35, v18
	v_sub_f32_e32 v31, v34, v31
	v_add_f32_e32 v18, v31, v18
	v_cvt_f32_i32_e32 v28, v28
	v_add_f32_e32 v31, v29, v18
	v_mul_f32_e32 v32, v31, v31
	v_mov_b32_e32 v33, 0x3ecc95a3
	v_fmac_f32_e32 v33, 0x3e9b6dac, v32
	v_mov_b32_e32 v34, 0x3f2aaada
	v_fmac_f32_e32 v34, v32, v33
	v_mul_f32_e32 v33, 0x3f317218, v28
	v_fma_f32 v35, v28, s6, -v33
	v_fmac_f32_e32 v35, 0xb102e308, v28
	v_sub_f32_e32 v28, v31, v29
	v_sub_f32_e32 v18, v18, v28
	v_add_f32_e32 v28, v33, v35
	v_sub_f32_e32 v29, v28, v33
	v_ldexp_f32 v33, v31, 1
	v_mul_f32_e32 v31, v31, v32
	v_mul_f32_e32 v31, v31, v34
	v_add_f32_e32 v32, v33, v31
	v_sub_f32_e32 v33, v32, v33
	v_ldexp_f32 v18, v18, 1
	v_sub_f32_e32 v31, v31, v33
	v_add_f32_e32 v18, v18, v31
	v_add_f32_e32 v31, v32, v18
	v_sub_f32_e32 v32, v31, v32
	v_sub_f32_e32 v18, v18, v32
	v_add_f32_e32 v32, v28, v31
	v_sub_f32_e32 v33, v32, v28
	v_sub_f32_e32 v34, v32, v33
	;; [unrolled: 1-line block ×5, first 2 shown]
	v_add_f32_e32 v28, v31, v28
	v_add_f32_e32 v31, v29, v18
	v_sub_f32_e32 v33, v31, v29
	v_sub_f32_e32 v34, v31, v33
	;; [unrolled: 1-line block ×4, first 2 shown]
	v_add_f32_e32 v28, v31, v28
	v_add_f32_e32 v18, v18, v29
	;; [unrolled: 1-line block ×3, first 2 shown]
	v_sub_f32_e32 v31, v29, v32
	v_sub_f32_e32 v28, v28, v31
	v_add_f32_e32 v18, v18, v28
	v_add_f32_e32 v18, v29, v18
	v_cmp_neq_f32_e32 vcc, s5, v14
	s_mov_b32 s5, 0x33800000
	v_cndmask_b32_e32 v18, v30, v18, vcc
	v_cmp_lt_f32_e64 vcc, |v14|, s5
	v_cndmask_b32_e32 v14, v18, v14, vcc
	v_add_f32_e32 v14, v19, v14
	v_cvt_f16_f32_e32 v30, v14
	v_cvt_f32_f16_e32 v14, v30
	v_mov_b32_e32 v18, v30
.LBB372_152:
	s_or_b64 exec, exec, s[2:3]
	v_max_f32_e32 v19, v4, v4
	v_max_f32_e32 v29, v14, v14
	v_min_f32_e32 v28, v29, v19
	v_cmp_u_f16_e32 vcc, v30, v30
	v_max_f32_e32 v19, v29, v19
	v_cndmask_b32_e32 v28, v28, v14, vcc
	v_cndmask_b32_e32 v19, v19, v14, vcc
	v_cndmask_b32_e64 v28, v28, v4, s[62:63]
	v_cndmask_b32_e64 v19, v19, v4, s[62:63]
	v_cmp_neq_f32_e32 vcc, v28, v19
	v_cmp_class_f32_e64 s[2:3], v28, s4
	s_or_b64 s[4:5], vcc, s[2:3]
	v_mov_b32_e32 v4, v18
	s_and_saveexec_b64 s[2:3], s[4:5]
	s_cbranch_execz .LBB372_154
; %bb.153:
	v_sub_f32_e32 v4, v28, v19
	s_mov_b32 s4, 0x3fb8aa3b
	v_mul_f32_e32 v14, 0x3fb8aa3b, v4
	v_fma_f32 v28, v4, s4, -v14
	v_rndne_f32_e32 v29, v14
	v_fmac_f32_e32 v28, 0x32a5705f, v4
	v_sub_f32_e32 v14, v14, v29
	v_add_f32_e32 v14, v14, v28
	v_exp_f32_e32 v14, v14
	v_cvt_i32_f32_e32 v28, v29
	s_mov_b32 s4, 0xc2ce8ed0
	v_cmp_ngt_f32_e32 vcc, s4, v4
	s_mov_b32 s4, 0x42b17218
	v_ldexp_f32 v14, v14, v28
	v_cndmask_b32_e32 v14, 0, v14, vcc
	v_mov_b32_e32 v30, 0x7f800000
	v_cmp_nlt_f32_e32 vcc, s4, v4
	v_cndmask_b32_e32 v4, v30, v14, vcc
	v_add_f32_e32 v14, 1.0, v4
	v_cvt_f64_f32_e32 v[28:29], v14
	v_add_f32_e32 v31, -1.0, v14
	v_sub_f32_e32 v32, v31, v14
	v_sub_f32_e32 v31, v4, v31
	v_frexp_exp_i32_f64_e32 v28, v[28:29]
	v_add_f32_e32 v29, 1.0, v32
	v_add_f32_e32 v29, v31, v29
	v_frexp_mant_f32_e32 v31, v14
	s_mov_b32 s5, 0x3f2aaaab
	v_cmp_gt_f32_e32 vcc, s5, v31
	s_mov_b32 s5, 0x3f317218
	s_mov_b32 s4, 0x7f800000
	v_subbrev_co_u32_e32 v28, vcc, 0, v28, vcc
	v_sub_u32_e32 v31, 0, v28
	v_ldexp_f32 v14, v14, v31
	v_ldexp_f32 v29, v29, v31
	v_add_f32_e32 v31, -1.0, v14
	v_add_f32_e32 v34, 1.0, v14
	v_add_f32_e32 v32, 1.0, v31
	v_add_f32_e32 v35, -1.0, v34
	v_sub_f32_e32 v32, v14, v32
	v_sub_f32_e32 v14, v14, v35
	v_add_f32_e32 v14, v29, v14
	v_add_f32_e32 v32, v29, v32
	;; [unrolled: 1-line block ×3, first 2 shown]
	v_rcp_f32_e32 v35, v29
	v_add_f32_e32 v33, v31, v32
	v_sub_f32_e32 v31, v31, v33
	v_add_f32_e32 v31, v32, v31
	v_sub_f32_e32 v32, v34, v29
	v_add_f32_e32 v14, v14, v32
	v_mul_f32_e32 v32, v33, v35
	v_mul_f32_e32 v34, v29, v32
	v_fma_f32 v36, v32, v29, -v34
	v_fmac_f32_e32 v36, v32, v14
	v_add_f32_e32 v37, v34, v36
	v_sub_f32_e32 v38, v33, v37
	v_sub_f32_e32 v33, v33, v38
	;; [unrolled: 1-line block ×4, first 2 shown]
	v_add_f32_e32 v31, v31, v33
	v_sub_f32_e32 v33, v34, v36
	v_add_f32_e32 v31, v33, v31
	v_add_f32_e32 v33, v38, v31
	v_mul_f32_e32 v34, v35, v33
	v_mul_f32_e32 v36, v29, v34
	v_fma_f32 v29, v34, v29, -v36
	v_fmac_f32_e32 v29, v34, v14
	v_sub_f32_e32 v14, v38, v33
	v_add_f32_e32 v14, v31, v14
	v_add_f32_e32 v31, v36, v29
	v_sub_f32_e32 v37, v33, v31
	v_sub_f32_e32 v33, v33, v37
	;; [unrolled: 1-line block ×4, first 2 shown]
	v_add_f32_e32 v14, v14, v31
	v_sub_f32_e32 v29, v36, v29
	v_add_f32_e32 v14, v29, v14
	v_add_f32_e32 v29, v32, v34
	;; [unrolled: 1-line block ×3, first 2 shown]
	v_sub_f32_e32 v31, v29, v32
	v_mul_f32_e32 v14, v35, v14
	v_sub_f32_e32 v31, v34, v31
	v_add_f32_e32 v14, v31, v14
	v_cvt_f32_i32_e32 v28, v28
	v_add_f32_e32 v31, v29, v14
	v_mul_f32_e32 v32, v31, v31
	v_mov_b32_e32 v33, 0x3ecc95a3
	v_fmac_f32_e32 v33, 0x3e9b6dac, v32
	v_mov_b32_e32 v34, 0x3f2aaada
	v_fmac_f32_e32 v34, v32, v33
	v_mul_f32_e32 v33, 0x3f317218, v28
	v_fma_f32 v35, v28, s5, -v33
	v_fmac_f32_e32 v35, 0xb102e308, v28
	v_sub_f32_e32 v28, v31, v29
	v_sub_f32_e32 v14, v14, v28
	v_add_f32_e32 v28, v33, v35
	v_sub_f32_e32 v29, v28, v33
	v_ldexp_f32 v33, v31, 1
	v_mul_f32_e32 v31, v31, v32
	v_mul_f32_e32 v31, v31, v34
	v_add_f32_e32 v32, v33, v31
	v_sub_f32_e32 v33, v32, v33
	v_ldexp_f32 v14, v14, 1
	v_sub_f32_e32 v31, v31, v33
	v_add_f32_e32 v14, v14, v31
	v_add_f32_e32 v31, v32, v14
	v_sub_f32_e32 v32, v31, v32
	v_sub_f32_e32 v14, v14, v32
	v_add_f32_e32 v32, v28, v31
	v_sub_f32_e32 v33, v32, v28
	v_sub_f32_e32 v34, v32, v33
	;; [unrolled: 1-line block ×5, first 2 shown]
	v_add_f32_e32 v28, v31, v28
	v_add_f32_e32 v31, v29, v14
	v_sub_f32_e32 v33, v31, v29
	v_sub_f32_e32 v34, v31, v33
	;; [unrolled: 1-line block ×4, first 2 shown]
	v_add_f32_e32 v28, v31, v28
	v_add_f32_e32 v14, v14, v29
	v_add_f32_e32 v29, v32, v28
	v_sub_f32_e32 v31, v29, v32
	v_sub_f32_e32 v28, v28, v31
	v_add_f32_e32 v14, v14, v28
	v_add_f32_e32 v14, v29, v14
	v_cmp_neq_f32_e32 vcc, s4, v4
	s_mov_b32 s4, 0x33800000
	v_cndmask_b32_e32 v14, v30, v14, vcc
	v_cmp_lt_f32_e64 vcc, |v4|, s4
	v_cndmask_b32_e32 v4, v14, v4, vcc
	v_add_f32_e32 v4, v19, v4
	v_cvt_f16_f32_e32 v30, v4
	v_cvt_f32_f16_e32 v14, v30
	v_mov_b32_e32 v4, v30
.LBB372_154:
	s_or_b64 exec, exec, s[2:3]
	v_max_f32_e32 v19, v20, v20
	v_max_f32_e32 v29, v14, v14
	v_min_f32_e32 v28, v29, v19
	v_cmp_u_f16_e32 vcc, v30, v30
	v_max_f32_e32 v19, v29, v19
	v_cndmask_b32_e32 v28, v28, v14, vcc
	v_cndmask_b32_e32 v19, v19, v14, vcc
	v_cndmask_b32_e64 v28, v28, v20, s[64:65]
	v_cndmask_b32_e64 v20, v19, v20, s[64:65]
	s_movk_i32 s4, 0x1f8
	v_cmp_neq_f32_e32 vcc, v28, v20
	v_cmp_class_f32_e64 s[2:3], v28, s4
	s_or_b64 s[6:7], vcc, s[2:3]
	v_mov_b32_e32 v19, v4
	s_and_saveexec_b64 s[2:3], s[6:7]
	s_cbranch_execz .LBB372_156
; %bb.155:
	v_sub_f32_e32 v14, v28, v20
	s_mov_b32 s5, 0x3fb8aa3b
	v_mul_f32_e32 v19, 0x3fb8aa3b, v14
	v_fma_f32 v28, v14, s5, -v19
	v_rndne_f32_e32 v29, v19
	v_fmac_f32_e32 v28, 0x32a5705f, v14
	v_sub_f32_e32 v19, v19, v29
	v_add_f32_e32 v19, v19, v28
	v_exp_f32_e32 v19, v19
	v_cvt_i32_f32_e32 v28, v29
	s_mov_b32 s5, 0xc2ce8ed0
	v_cmp_ngt_f32_e32 vcc, s5, v14
	s_mov_b32 s5, 0x42b17218
	v_ldexp_f32 v19, v19, v28
	v_cndmask_b32_e32 v19, 0, v19, vcc
	v_mov_b32_e32 v30, 0x7f800000
	v_cmp_nlt_f32_e32 vcc, s5, v14
	v_cndmask_b32_e32 v14, v30, v19, vcc
	v_add_f32_e32 v19, 1.0, v14
	v_cvt_f64_f32_e32 v[28:29], v19
	v_add_f32_e32 v31, -1.0, v19
	v_sub_f32_e32 v32, v31, v19
	v_sub_f32_e32 v31, v14, v31
	v_frexp_exp_i32_f64_e32 v28, v[28:29]
	v_add_f32_e32 v29, 1.0, v32
	v_add_f32_e32 v29, v31, v29
	v_frexp_mant_f32_e32 v31, v19
	s_mov_b32 s6, 0x3f2aaaab
	v_cmp_gt_f32_e32 vcc, s6, v31
	s_mov_b32 s6, 0x3f317218
	s_mov_b32 s5, 0x7f800000
	v_subbrev_co_u32_e32 v28, vcc, 0, v28, vcc
	v_sub_u32_e32 v31, 0, v28
	v_ldexp_f32 v19, v19, v31
	v_ldexp_f32 v29, v29, v31
	v_add_f32_e32 v31, -1.0, v19
	v_add_f32_e32 v34, 1.0, v19
	v_add_f32_e32 v32, 1.0, v31
	v_add_f32_e32 v35, -1.0, v34
	v_sub_f32_e32 v32, v19, v32
	v_sub_f32_e32 v19, v19, v35
	v_add_f32_e32 v19, v29, v19
	v_add_f32_e32 v32, v29, v32
	v_add_f32_e32 v29, v34, v19
	v_rcp_f32_e32 v35, v29
	v_add_f32_e32 v33, v31, v32
	v_sub_f32_e32 v31, v31, v33
	v_add_f32_e32 v31, v32, v31
	v_sub_f32_e32 v32, v34, v29
	v_add_f32_e32 v19, v19, v32
	v_mul_f32_e32 v32, v33, v35
	v_mul_f32_e32 v34, v29, v32
	v_fma_f32 v36, v32, v29, -v34
	v_fmac_f32_e32 v36, v32, v19
	v_add_f32_e32 v37, v34, v36
	v_sub_f32_e32 v38, v33, v37
	v_sub_f32_e32 v33, v33, v38
	v_sub_f32_e32 v34, v37, v34
	v_sub_f32_e32 v33, v33, v37
	v_add_f32_e32 v31, v31, v33
	v_sub_f32_e32 v33, v34, v36
	v_add_f32_e32 v31, v33, v31
	v_add_f32_e32 v33, v38, v31
	v_mul_f32_e32 v34, v35, v33
	v_mul_f32_e32 v36, v29, v34
	v_fma_f32 v29, v34, v29, -v36
	v_fmac_f32_e32 v29, v34, v19
	v_sub_f32_e32 v19, v38, v33
	v_add_f32_e32 v19, v31, v19
	v_add_f32_e32 v31, v36, v29
	v_sub_f32_e32 v37, v33, v31
	v_sub_f32_e32 v33, v33, v37
	;; [unrolled: 1-line block ×4, first 2 shown]
	v_add_f32_e32 v19, v19, v31
	v_sub_f32_e32 v29, v36, v29
	v_add_f32_e32 v19, v29, v19
	v_add_f32_e32 v29, v32, v34
	;; [unrolled: 1-line block ×3, first 2 shown]
	v_sub_f32_e32 v31, v29, v32
	v_mul_f32_e32 v19, v35, v19
	v_sub_f32_e32 v31, v34, v31
	v_add_f32_e32 v19, v31, v19
	v_cvt_f32_i32_e32 v28, v28
	v_add_f32_e32 v31, v29, v19
	v_mul_f32_e32 v32, v31, v31
	v_mov_b32_e32 v33, 0x3ecc95a3
	v_fmac_f32_e32 v33, 0x3e9b6dac, v32
	v_mov_b32_e32 v34, 0x3f2aaada
	v_fmac_f32_e32 v34, v32, v33
	v_mul_f32_e32 v33, 0x3f317218, v28
	v_fma_f32 v35, v28, s6, -v33
	v_fmac_f32_e32 v35, 0xb102e308, v28
	v_sub_f32_e32 v28, v31, v29
	v_sub_f32_e32 v19, v19, v28
	v_add_f32_e32 v28, v33, v35
	v_sub_f32_e32 v29, v28, v33
	v_ldexp_f32 v33, v31, 1
	v_mul_f32_e32 v31, v31, v32
	v_mul_f32_e32 v31, v31, v34
	v_add_f32_e32 v32, v33, v31
	v_sub_f32_e32 v33, v32, v33
	v_ldexp_f32 v19, v19, 1
	v_sub_f32_e32 v31, v31, v33
	v_add_f32_e32 v19, v19, v31
	v_add_f32_e32 v31, v32, v19
	v_sub_f32_e32 v32, v31, v32
	v_sub_f32_e32 v19, v19, v32
	v_add_f32_e32 v32, v28, v31
	v_sub_f32_e32 v33, v32, v28
	v_sub_f32_e32 v34, v32, v33
	;; [unrolled: 1-line block ×5, first 2 shown]
	v_add_f32_e32 v28, v31, v28
	v_add_f32_e32 v31, v29, v19
	v_sub_f32_e32 v33, v31, v29
	v_sub_f32_e32 v34, v31, v33
	;; [unrolled: 1-line block ×4, first 2 shown]
	v_add_f32_e32 v28, v31, v28
	v_add_f32_e32 v19, v19, v29
	;; [unrolled: 1-line block ×3, first 2 shown]
	v_sub_f32_e32 v31, v29, v32
	v_sub_f32_e32 v28, v28, v31
	v_add_f32_e32 v19, v19, v28
	v_add_f32_e32 v19, v29, v19
	v_cmp_neq_f32_e32 vcc, s5, v14
	s_mov_b32 s5, 0x33800000
	v_cndmask_b32_e32 v19, v30, v19, vcc
	v_cmp_lt_f32_e64 vcc, |v14|, s5
	v_cndmask_b32_e32 v14, v19, v14, vcc
	v_add_f32_e32 v14, v20, v14
	v_cvt_f16_f32_e32 v30, v14
	v_cvt_f32_f16_e32 v14, v30
	v_mov_b32_e32 v19, v30
.LBB372_156:
	s_or_b64 exec, exec, s[2:3]
	v_max_f32_e32 v20, v9, v9
	v_max_f32_e32 v29, v14, v14
	v_min_f32_e32 v28, v29, v20
	v_cmp_u_f16_e32 vcc, v30, v30
	v_max_f32_e32 v20, v29, v20
	v_cndmask_b32_e32 v28, v28, v14, vcc
	v_cndmask_b32_e32 v20, v20, v14, vcc
	v_cndmask_b32_e64 v28, v28, v9, s[66:67]
	v_cndmask_b32_e64 v20, v20, v9, s[66:67]
	v_cmp_neq_f32_e32 vcc, v28, v20
	v_cmp_class_f32_e64 s[2:3], v28, s4
	s_or_b64 s[4:5], vcc, s[2:3]
	v_mov_b32_e32 v9, v19
	s_and_saveexec_b64 s[2:3], s[4:5]
	s_cbranch_execz .LBB372_158
; %bb.157:
	v_sub_f32_e32 v9, v28, v20
	s_mov_b32 s4, 0x3fb8aa3b
	v_mul_f32_e32 v14, 0x3fb8aa3b, v9
	v_fma_f32 v28, v9, s4, -v14
	v_rndne_f32_e32 v29, v14
	v_fmac_f32_e32 v28, 0x32a5705f, v9
	v_sub_f32_e32 v14, v14, v29
	v_add_f32_e32 v14, v14, v28
	v_exp_f32_e32 v14, v14
	v_cvt_i32_f32_e32 v28, v29
	s_mov_b32 s4, 0xc2ce8ed0
	v_cmp_ngt_f32_e32 vcc, s4, v9
	s_mov_b32 s4, 0x42b17218
	v_ldexp_f32 v14, v14, v28
	v_cndmask_b32_e32 v14, 0, v14, vcc
	v_mov_b32_e32 v30, 0x7f800000
	v_cmp_nlt_f32_e32 vcc, s4, v9
	v_cndmask_b32_e32 v9, v30, v14, vcc
	v_add_f32_e32 v14, 1.0, v9
	v_cvt_f64_f32_e32 v[28:29], v14
	v_add_f32_e32 v31, -1.0, v14
	v_sub_f32_e32 v32, v31, v14
	v_sub_f32_e32 v31, v9, v31
	v_frexp_exp_i32_f64_e32 v28, v[28:29]
	v_add_f32_e32 v29, 1.0, v32
	v_add_f32_e32 v29, v31, v29
	v_frexp_mant_f32_e32 v31, v14
	s_mov_b32 s5, 0x3f2aaaab
	v_cmp_gt_f32_e32 vcc, s5, v31
	s_mov_b32 s5, 0x3f317218
	s_mov_b32 s4, 0x7f800000
	v_subbrev_co_u32_e32 v28, vcc, 0, v28, vcc
	v_sub_u32_e32 v31, 0, v28
	v_ldexp_f32 v14, v14, v31
	v_ldexp_f32 v29, v29, v31
	v_add_f32_e32 v31, -1.0, v14
	v_add_f32_e32 v34, 1.0, v14
	v_add_f32_e32 v32, 1.0, v31
	v_add_f32_e32 v35, -1.0, v34
	v_sub_f32_e32 v32, v14, v32
	v_sub_f32_e32 v14, v14, v35
	v_add_f32_e32 v14, v29, v14
	v_add_f32_e32 v32, v29, v32
	v_add_f32_e32 v29, v34, v14
	v_rcp_f32_e32 v35, v29
	v_add_f32_e32 v33, v31, v32
	v_sub_f32_e32 v31, v31, v33
	v_add_f32_e32 v31, v32, v31
	v_sub_f32_e32 v32, v34, v29
	v_add_f32_e32 v14, v14, v32
	v_mul_f32_e32 v32, v33, v35
	v_mul_f32_e32 v34, v29, v32
	v_fma_f32 v36, v32, v29, -v34
	v_fmac_f32_e32 v36, v32, v14
	v_add_f32_e32 v37, v34, v36
	v_sub_f32_e32 v38, v33, v37
	v_sub_f32_e32 v33, v33, v38
	;; [unrolled: 1-line block ×4, first 2 shown]
	v_add_f32_e32 v31, v31, v33
	v_sub_f32_e32 v33, v34, v36
	v_add_f32_e32 v31, v33, v31
	v_add_f32_e32 v33, v38, v31
	v_mul_f32_e32 v34, v35, v33
	v_mul_f32_e32 v36, v29, v34
	v_fma_f32 v29, v34, v29, -v36
	v_fmac_f32_e32 v29, v34, v14
	v_sub_f32_e32 v14, v38, v33
	v_add_f32_e32 v14, v31, v14
	v_add_f32_e32 v31, v36, v29
	v_sub_f32_e32 v37, v33, v31
	v_sub_f32_e32 v33, v33, v37
	;; [unrolled: 1-line block ×4, first 2 shown]
	v_add_f32_e32 v14, v14, v31
	v_sub_f32_e32 v29, v36, v29
	v_add_f32_e32 v14, v29, v14
	v_add_f32_e32 v29, v32, v34
	;; [unrolled: 1-line block ×3, first 2 shown]
	v_sub_f32_e32 v31, v29, v32
	v_mul_f32_e32 v14, v35, v14
	v_sub_f32_e32 v31, v34, v31
	v_add_f32_e32 v14, v31, v14
	v_cvt_f32_i32_e32 v28, v28
	v_add_f32_e32 v31, v29, v14
	v_mul_f32_e32 v32, v31, v31
	v_mov_b32_e32 v33, 0x3ecc95a3
	v_fmac_f32_e32 v33, 0x3e9b6dac, v32
	v_mov_b32_e32 v34, 0x3f2aaada
	v_fmac_f32_e32 v34, v32, v33
	v_mul_f32_e32 v33, 0x3f317218, v28
	v_fma_f32 v35, v28, s5, -v33
	v_fmac_f32_e32 v35, 0xb102e308, v28
	v_sub_f32_e32 v28, v31, v29
	v_sub_f32_e32 v14, v14, v28
	v_add_f32_e32 v28, v33, v35
	v_sub_f32_e32 v29, v28, v33
	v_ldexp_f32 v33, v31, 1
	v_mul_f32_e32 v31, v31, v32
	v_mul_f32_e32 v31, v31, v34
	v_add_f32_e32 v32, v33, v31
	v_sub_f32_e32 v33, v32, v33
	v_ldexp_f32 v14, v14, 1
	v_sub_f32_e32 v31, v31, v33
	v_add_f32_e32 v14, v14, v31
	v_add_f32_e32 v31, v32, v14
	v_sub_f32_e32 v32, v31, v32
	v_sub_f32_e32 v14, v14, v32
	v_add_f32_e32 v32, v28, v31
	v_sub_f32_e32 v33, v32, v28
	v_sub_f32_e32 v34, v32, v33
	v_sub_f32_e32 v29, v35, v29
	v_sub_f32_e32 v28, v28, v34
	v_sub_f32_e32 v31, v31, v33
	v_add_f32_e32 v28, v31, v28
	v_add_f32_e32 v31, v29, v14
	v_sub_f32_e32 v33, v31, v29
	v_sub_f32_e32 v34, v31, v33
	;; [unrolled: 1-line block ×4, first 2 shown]
	v_add_f32_e32 v28, v31, v28
	v_add_f32_e32 v14, v14, v29
	;; [unrolled: 1-line block ×3, first 2 shown]
	v_sub_f32_e32 v31, v29, v32
	v_sub_f32_e32 v28, v28, v31
	v_add_f32_e32 v14, v14, v28
	v_add_f32_e32 v14, v29, v14
	v_cmp_neq_f32_e32 vcc, s4, v9
	s_mov_b32 s4, 0x33800000
	v_cndmask_b32_e32 v14, v30, v14, vcc
	v_cmp_lt_f32_e64 vcc, |v9|, s4
	v_cndmask_b32_e32 v9, v14, v9, vcc
	v_add_f32_e32 v9, v20, v9
	v_cvt_f16_f32_e32 v30, v9
	v_cvt_f32_f16_e32 v14, v30
	v_mov_b32_e32 v9, v30
.LBB372_158:
	s_or_b64 exec, exec, s[2:3]
	v_max_f32_e32 v20, v21, v21
	v_max_f32_e32 v29, v14, v14
	v_min_f32_e32 v28, v29, v20
	v_cmp_u_f16_e32 vcc, v30, v30
	v_max_f32_e32 v20, v29, v20
	v_cndmask_b32_e32 v28, v28, v14, vcc
	v_cndmask_b32_e32 v20, v20, v14, vcc
	v_cndmask_b32_e64 v28, v28, v21, s[68:69]
	v_cndmask_b32_e64 v21, v20, v21, s[68:69]
	s_movk_i32 s4, 0x1f8
	v_cmp_neq_f32_e32 vcc, v28, v21
	v_cmp_class_f32_e64 s[2:3], v28, s4
	s_or_b64 s[6:7], vcc, s[2:3]
	v_mov_b32_e32 v20, v9
	s_and_saveexec_b64 s[2:3], s[6:7]
	s_cbranch_execz .LBB372_160
; %bb.159:
	v_sub_f32_e32 v14, v28, v21
	s_mov_b32 s5, 0x3fb8aa3b
	v_mul_f32_e32 v20, 0x3fb8aa3b, v14
	v_fma_f32 v28, v14, s5, -v20
	v_rndne_f32_e32 v29, v20
	v_fmac_f32_e32 v28, 0x32a5705f, v14
	v_sub_f32_e32 v20, v20, v29
	v_add_f32_e32 v20, v20, v28
	v_exp_f32_e32 v20, v20
	v_cvt_i32_f32_e32 v28, v29
	s_mov_b32 s5, 0xc2ce8ed0
	v_cmp_ngt_f32_e32 vcc, s5, v14
	s_mov_b32 s5, 0x42b17218
	v_ldexp_f32 v20, v20, v28
	v_cndmask_b32_e32 v20, 0, v20, vcc
	v_mov_b32_e32 v30, 0x7f800000
	v_cmp_nlt_f32_e32 vcc, s5, v14
	v_cndmask_b32_e32 v14, v30, v20, vcc
	v_add_f32_e32 v20, 1.0, v14
	v_cvt_f64_f32_e32 v[28:29], v20
	v_add_f32_e32 v31, -1.0, v20
	v_sub_f32_e32 v32, v31, v20
	v_sub_f32_e32 v31, v14, v31
	v_frexp_exp_i32_f64_e32 v28, v[28:29]
	v_add_f32_e32 v29, 1.0, v32
	v_add_f32_e32 v29, v31, v29
	v_frexp_mant_f32_e32 v31, v20
	s_mov_b32 s6, 0x3f2aaaab
	v_cmp_gt_f32_e32 vcc, s6, v31
	s_mov_b32 s6, 0x3f317218
	s_mov_b32 s5, 0x7f800000
	v_subbrev_co_u32_e32 v28, vcc, 0, v28, vcc
	v_sub_u32_e32 v31, 0, v28
	v_ldexp_f32 v20, v20, v31
	v_ldexp_f32 v29, v29, v31
	v_add_f32_e32 v31, -1.0, v20
	v_add_f32_e32 v34, 1.0, v20
	v_add_f32_e32 v32, 1.0, v31
	v_add_f32_e32 v35, -1.0, v34
	v_sub_f32_e32 v32, v20, v32
	v_sub_f32_e32 v20, v20, v35
	v_add_f32_e32 v20, v29, v20
	v_add_f32_e32 v32, v29, v32
	;; [unrolled: 1-line block ×3, first 2 shown]
	v_rcp_f32_e32 v35, v29
	v_add_f32_e32 v33, v31, v32
	v_sub_f32_e32 v31, v31, v33
	v_add_f32_e32 v31, v32, v31
	v_sub_f32_e32 v32, v34, v29
	v_add_f32_e32 v20, v20, v32
	v_mul_f32_e32 v32, v33, v35
	v_mul_f32_e32 v34, v29, v32
	v_fma_f32 v36, v32, v29, -v34
	v_fmac_f32_e32 v36, v32, v20
	v_add_f32_e32 v37, v34, v36
	v_sub_f32_e32 v38, v33, v37
	v_sub_f32_e32 v33, v33, v38
	;; [unrolled: 1-line block ×4, first 2 shown]
	v_add_f32_e32 v31, v31, v33
	v_sub_f32_e32 v33, v34, v36
	v_add_f32_e32 v31, v33, v31
	v_add_f32_e32 v33, v38, v31
	v_mul_f32_e32 v34, v35, v33
	v_mul_f32_e32 v36, v29, v34
	v_fma_f32 v29, v34, v29, -v36
	v_fmac_f32_e32 v29, v34, v20
	v_sub_f32_e32 v20, v38, v33
	v_add_f32_e32 v20, v31, v20
	v_add_f32_e32 v31, v36, v29
	v_sub_f32_e32 v37, v33, v31
	v_sub_f32_e32 v33, v33, v37
	;; [unrolled: 1-line block ×4, first 2 shown]
	v_add_f32_e32 v20, v20, v31
	v_sub_f32_e32 v29, v36, v29
	v_add_f32_e32 v20, v29, v20
	v_add_f32_e32 v29, v32, v34
	;; [unrolled: 1-line block ×3, first 2 shown]
	v_sub_f32_e32 v31, v29, v32
	v_mul_f32_e32 v20, v35, v20
	v_sub_f32_e32 v31, v34, v31
	v_add_f32_e32 v20, v31, v20
	v_cvt_f32_i32_e32 v28, v28
	v_add_f32_e32 v31, v29, v20
	v_mul_f32_e32 v32, v31, v31
	v_mov_b32_e32 v33, 0x3ecc95a3
	v_fmac_f32_e32 v33, 0x3e9b6dac, v32
	v_mov_b32_e32 v34, 0x3f2aaada
	v_fmac_f32_e32 v34, v32, v33
	v_mul_f32_e32 v33, 0x3f317218, v28
	v_fma_f32 v35, v28, s6, -v33
	v_fmac_f32_e32 v35, 0xb102e308, v28
	v_sub_f32_e32 v28, v31, v29
	v_sub_f32_e32 v20, v20, v28
	v_add_f32_e32 v28, v33, v35
	v_sub_f32_e32 v29, v28, v33
	v_ldexp_f32 v33, v31, 1
	v_mul_f32_e32 v31, v31, v32
	v_mul_f32_e32 v31, v31, v34
	v_add_f32_e32 v32, v33, v31
	v_sub_f32_e32 v33, v32, v33
	v_ldexp_f32 v20, v20, 1
	v_sub_f32_e32 v31, v31, v33
	v_add_f32_e32 v20, v20, v31
	v_add_f32_e32 v31, v32, v20
	v_sub_f32_e32 v32, v31, v32
	v_sub_f32_e32 v20, v20, v32
	v_add_f32_e32 v32, v28, v31
	v_sub_f32_e32 v33, v32, v28
	v_sub_f32_e32 v34, v32, v33
	;; [unrolled: 1-line block ×5, first 2 shown]
	v_add_f32_e32 v28, v31, v28
	v_add_f32_e32 v31, v29, v20
	v_sub_f32_e32 v33, v31, v29
	v_sub_f32_e32 v34, v31, v33
	;; [unrolled: 1-line block ×4, first 2 shown]
	v_add_f32_e32 v28, v31, v28
	v_add_f32_e32 v20, v20, v29
	;; [unrolled: 1-line block ×3, first 2 shown]
	v_sub_f32_e32 v31, v29, v32
	v_sub_f32_e32 v28, v28, v31
	v_add_f32_e32 v20, v20, v28
	v_add_f32_e32 v20, v29, v20
	v_cmp_neq_f32_e32 vcc, s5, v14
	s_mov_b32 s5, 0x33800000
	v_cndmask_b32_e32 v20, v30, v20, vcc
	v_cmp_lt_f32_e64 vcc, |v14|, s5
	v_cndmask_b32_e32 v14, v20, v14, vcc
	v_add_f32_e32 v14, v21, v14
	v_cvt_f16_f32_e32 v30, v14
	v_cvt_f32_f16_e32 v14, v30
	v_mov_b32_e32 v20, v30
.LBB372_160:
	s_or_b64 exec, exec, s[2:3]
	v_max_f32_e32 v21, v10, v10
	v_max_f32_e32 v29, v14, v14
	v_min_f32_e32 v28, v29, v21
	v_cmp_u_f16_e32 vcc, v30, v30
	v_max_f32_e32 v21, v29, v21
	v_cndmask_b32_e32 v28, v28, v14, vcc
	v_cndmask_b32_e32 v21, v21, v14, vcc
	v_cndmask_b32_e64 v28, v28, v10, s[70:71]
	v_cndmask_b32_e64 v21, v21, v10, s[70:71]
	v_cmp_neq_f32_e32 vcc, v28, v21
	v_cmp_class_f32_e64 s[2:3], v28, s4
	s_or_b64 s[4:5], vcc, s[2:3]
	v_mov_b32_e32 v10, v20
	s_and_saveexec_b64 s[2:3], s[4:5]
	s_cbranch_execz .LBB372_162
; %bb.161:
	v_sub_f32_e32 v10, v28, v21
	s_mov_b32 s4, 0x3fb8aa3b
	v_mul_f32_e32 v14, 0x3fb8aa3b, v10
	v_fma_f32 v28, v10, s4, -v14
	v_rndne_f32_e32 v29, v14
	v_fmac_f32_e32 v28, 0x32a5705f, v10
	v_sub_f32_e32 v14, v14, v29
	v_add_f32_e32 v14, v14, v28
	v_exp_f32_e32 v14, v14
	v_cvt_i32_f32_e32 v28, v29
	s_mov_b32 s4, 0xc2ce8ed0
	v_cmp_ngt_f32_e32 vcc, s4, v10
	s_mov_b32 s4, 0x42b17218
	v_ldexp_f32 v14, v14, v28
	v_cndmask_b32_e32 v14, 0, v14, vcc
	v_mov_b32_e32 v30, 0x7f800000
	v_cmp_nlt_f32_e32 vcc, s4, v10
	v_cndmask_b32_e32 v10, v30, v14, vcc
	v_add_f32_e32 v14, 1.0, v10
	v_cvt_f64_f32_e32 v[28:29], v14
	v_add_f32_e32 v31, -1.0, v14
	v_sub_f32_e32 v32, v31, v14
	v_sub_f32_e32 v31, v10, v31
	v_frexp_exp_i32_f64_e32 v28, v[28:29]
	v_add_f32_e32 v29, 1.0, v32
	v_add_f32_e32 v29, v31, v29
	v_frexp_mant_f32_e32 v31, v14
	s_mov_b32 s5, 0x3f2aaaab
	v_cmp_gt_f32_e32 vcc, s5, v31
	s_mov_b32 s5, 0x3f317218
	s_mov_b32 s4, 0x7f800000
	v_subbrev_co_u32_e32 v28, vcc, 0, v28, vcc
	v_sub_u32_e32 v31, 0, v28
	v_ldexp_f32 v14, v14, v31
	v_ldexp_f32 v29, v29, v31
	v_add_f32_e32 v31, -1.0, v14
	v_add_f32_e32 v34, 1.0, v14
	v_add_f32_e32 v32, 1.0, v31
	v_add_f32_e32 v35, -1.0, v34
	v_sub_f32_e32 v32, v14, v32
	v_sub_f32_e32 v14, v14, v35
	v_add_f32_e32 v14, v29, v14
	v_add_f32_e32 v32, v29, v32
	;; [unrolled: 1-line block ×3, first 2 shown]
	v_rcp_f32_e32 v35, v29
	v_add_f32_e32 v33, v31, v32
	v_sub_f32_e32 v31, v31, v33
	v_add_f32_e32 v31, v32, v31
	v_sub_f32_e32 v32, v34, v29
	v_add_f32_e32 v14, v14, v32
	v_mul_f32_e32 v32, v33, v35
	v_mul_f32_e32 v34, v29, v32
	v_fma_f32 v36, v32, v29, -v34
	v_fmac_f32_e32 v36, v32, v14
	v_add_f32_e32 v37, v34, v36
	v_sub_f32_e32 v38, v33, v37
	v_sub_f32_e32 v33, v33, v38
	;; [unrolled: 1-line block ×4, first 2 shown]
	v_add_f32_e32 v31, v31, v33
	v_sub_f32_e32 v33, v34, v36
	v_add_f32_e32 v31, v33, v31
	v_add_f32_e32 v33, v38, v31
	v_mul_f32_e32 v34, v35, v33
	v_mul_f32_e32 v36, v29, v34
	v_fma_f32 v29, v34, v29, -v36
	v_fmac_f32_e32 v29, v34, v14
	v_sub_f32_e32 v14, v38, v33
	v_add_f32_e32 v14, v31, v14
	v_add_f32_e32 v31, v36, v29
	v_sub_f32_e32 v37, v33, v31
	v_sub_f32_e32 v33, v33, v37
	;; [unrolled: 1-line block ×4, first 2 shown]
	v_add_f32_e32 v14, v14, v31
	v_sub_f32_e32 v29, v36, v29
	v_add_f32_e32 v14, v29, v14
	v_add_f32_e32 v29, v32, v34
	;; [unrolled: 1-line block ×3, first 2 shown]
	v_sub_f32_e32 v31, v29, v32
	v_mul_f32_e32 v14, v35, v14
	v_sub_f32_e32 v31, v34, v31
	v_add_f32_e32 v14, v31, v14
	v_cvt_f32_i32_e32 v28, v28
	v_add_f32_e32 v31, v29, v14
	v_mul_f32_e32 v32, v31, v31
	v_mov_b32_e32 v33, 0x3ecc95a3
	v_fmac_f32_e32 v33, 0x3e9b6dac, v32
	v_mov_b32_e32 v34, 0x3f2aaada
	v_fmac_f32_e32 v34, v32, v33
	v_mul_f32_e32 v33, 0x3f317218, v28
	v_fma_f32 v35, v28, s5, -v33
	v_fmac_f32_e32 v35, 0xb102e308, v28
	v_sub_f32_e32 v28, v31, v29
	v_sub_f32_e32 v14, v14, v28
	v_add_f32_e32 v28, v33, v35
	v_sub_f32_e32 v29, v28, v33
	v_ldexp_f32 v33, v31, 1
	v_mul_f32_e32 v31, v31, v32
	v_mul_f32_e32 v31, v31, v34
	v_add_f32_e32 v32, v33, v31
	v_sub_f32_e32 v33, v32, v33
	v_ldexp_f32 v14, v14, 1
	v_sub_f32_e32 v31, v31, v33
	v_add_f32_e32 v14, v14, v31
	v_add_f32_e32 v31, v32, v14
	v_sub_f32_e32 v32, v31, v32
	v_sub_f32_e32 v14, v14, v32
	v_add_f32_e32 v32, v28, v31
	v_sub_f32_e32 v33, v32, v28
	v_sub_f32_e32 v34, v32, v33
	;; [unrolled: 1-line block ×5, first 2 shown]
	v_add_f32_e32 v28, v31, v28
	v_add_f32_e32 v31, v29, v14
	v_sub_f32_e32 v33, v31, v29
	v_sub_f32_e32 v34, v31, v33
	;; [unrolled: 1-line block ×4, first 2 shown]
	v_add_f32_e32 v28, v31, v28
	v_add_f32_e32 v14, v14, v29
	;; [unrolled: 1-line block ×3, first 2 shown]
	v_sub_f32_e32 v31, v29, v32
	v_sub_f32_e32 v28, v28, v31
	v_add_f32_e32 v14, v14, v28
	v_add_f32_e32 v14, v29, v14
	v_cmp_neq_f32_e32 vcc, s4, v10
	s_mov_b32 s4, 0x33800000
	v_cndmask_b32_e32 v14, v30, v14, vcc
	v_cmp_lt_f32_e64 vcc, |v10|, s4
	v_cndmask_b32_e32 v10, v14, v10, vcc
	v_add_f32_e32 v10, v21, v10
	v_cvt_f16_f32_e32 v30, v10
	v_cvt_f32_f16_e32 v14, v30
	v_mov_b32_e32 v10, v30
.LBB372_162:
	s_or_b64 exec, exec, s[2:3]
	v_max_f32_e32 v21, v22, v22
	v_max_f32_e32 v29, v14, v14
	v_min_f32_e32 v28, v29, v21
	v_cmp_u_f16_e32 vcc, v30, v30
	v_max_f32_e32 v21, v29, v21
	v_cndmask_b32_e32 v28, v28, v14, vcc
	v_cndmask_b32_e32 v21, v21, v14, vcc
	v_cndmask_b32_e64 v28, v28, v22, s[72:73]
	v_cndmask_b32_e64 v22, v21, v22, s[72:73]
	s_movk_i32 s4, 0x1f8
	v_cmp_neq_f32_e32 vcc, v28, v22
	v_cmp_class_f32_e64 s[2:3], v28, s4
	s_or_b64 s[6:7], vcc, s[2:3]
	v_mov_b32_e32 v21, v10
	s_and_saveexec_b64 s[2:3], s[6:7]
	s_cbranch_execz .LBB372_164
; %bb.163:
	v_sub_f32_e32 v14, v28, v22
	s_mov_b32 s5, 0x3fb8aa3b
	v_mul_f32_e32 v21, 0x3fb8aa3b, v14
	v_fma_f32 v28, v14, s5, -v21
	v_rndne_f32_e32 v29, v21
	v_fmac_f32_e32 v28, 0x32a5705f, v14
	v_sub_f32_e32 v21, v21, v29
	v_add_f32_e32 v21, v21, v28
	v_exp_f32_e32 v21, v21
	v_cvt_i32_f32_e32 v28, v29
	s_mov_b32 s5, 0xc2ce8ed0
	v_cmp_ngt_f32_e32 vcc, s5, v14
	s_mov_b32 s5, 0x42b17218
	v_ldexp_f32 v21, v21, v28
	v_cndmask_b32_e32 v21, 0, v21, vcc
	v_mov_b32_e32 v30, 0x7f800000
	v_cmp_nlt_f32_e32 vcc, s5, v14
	v_cndmask_b32_e32 v14, v30, v21, vcc
	v_add_f32_e32 v21, 1.0, v14
	v_cvt_f64_f32_e32 v[28:29], v21
	v_add_f32_e32 v31, -1.0, v21
	v_sub_f32_e32 v32, v31, v21
	v_sub_f32_e32 v31, v14, v31
	v_frexp_exp_i32_f64_e32 v28, v[28:29]
	v_add_f32_e32 v29, 1.0, v32
	v_add_f32_e32 v29, v31, v29
	v_frexp_mant_f32_e32 v31, v21
	s_mov_b32 s6, 0x3f2aaaab
	v_cmp_gt_f32_e32 vcc, s6, v31
	s_mov_b32 s6, 0x3f317218
	s_mov_b32 s5, 0x7f800000
	v_subbrev_co_u32_e32 v28, vcc, 0, v28, vcc
	v_sub_u32_e32 v31, 0, v28
	v_ldexp_f32 v21, v21, v31
	v_ldexp_f32 v29, v29, v31
	v_add_f32_e32 v31, -1.0, v21
	v_add_f32_e32 v34, 1.0, v21
	v_add_f32_e32 v32, 1.0, v31
	v_add_f32_e32 v35, -1.0, v34
	v_sub_f32_e32 v32, v21, v32
	v_sub_f32_e32 v21, v21, v35
	v_add_f32_e32 v21, v29, v21
	v_add_f32_e32 v32, v29, v32
	;; [unrolled: 1-line block ×3, first 2 shown]
	v_rcp_f32_e32 v35, v29
	v_add_f32_e32 v33, v31, v32
	v_sub_f32_e32 v31, v31, v33
	v_add_f32_e32 v31, v32, v31
	v_sub_f32_e32 v32, v34, v29
	v_add_f32_e32 v21, v21, v32
	v_mul_f32_e32 v32, v33, v35
	v_mul_f32_e32 v34, v29, v32
	v_fma_f32 v36, v32, v29, -v34
	v_fmac_f32_e32 v36, v32, v21
	v_add_f32_e32 v37, v34, v36
	v_sub_f32_e32 v38, v33, v37
	v_sub_f32_e32 v33, v33, v38
	;; [unrolled: 1-line block ×4, first 2 shown]
	v_add_f32_e32 v31, v31, v33
	v_sub_f32_e32 v33, v34, v36
	v_add_f32_e32 v31, v33, v31
	v_add_f32_e32 v33, v38, v31
	v_mul_f32_e32 v34, v35, v33
	v_mul_f32_e32 v36, v29, v34
	v_fma_f32 v29, v34, v29, -v36
	v_fmac_f32_e32 v29, v34, v21
	v_sub_f32_e32 v21, v38, v33
	v_add_f32_e32 v21, v31, v21
	v_add_f32_e32 v31, v36, v29
	v_sub_f32_e32 v37, v33, v31
	v_sub_f32_e32 v33, v33, v37
	;; [unrolled: 1-line block ×4, first 2 shown]
	v_add_f32_e32 v21, v21, v31
	v_sub_f32_e32 v29, v36, v29
	v_add_f32_e32 v21, v29, v21
	v_add_f32_e32 v29, v32, v34
	;; [unrolled: 1-line block ×3, first 2 shown]
	v_sub_f32_e32 v31, v29, v32
	v_mul_f32_e32 v21, v35, v21
	v_sub_f32_e32 v31, v34, v31
	v_add_f32_e32 v21, v31, v21
	v_cvt_f32_i32_e32 v28, v28
	v_add_f32_e32 v31, v29, v21
	v_mul_f32_e32 v32, v31, v31
	v_mov_b32_e32 v33, 0x3ecc95a3
	v_fmac_f32_e32 v33, 0x3e9b6dac, v32
	v_mov_b32_e32 v34, 0x3f2aaada
	v_fmac_f32_e32 v34, v32, v33
	v_mul_f32_e32 v33, 0x3f317218, v28
	v_fma_f32 v35, v28, s6, -v33
	v_fmac_f32_e32 v35, 0xb102e308, v28
	v_sub_f32_e32 v28, v31, v29
	v_sub_f32_e32 v21, v21, v28
	v_add_f32_e32 v28, v33, v35
	v_sub_f32_e32 v29, v28, v33
	v_ldexp_f32 v33, v31, 1
	v_mul_f32_e32 v31, v31, v32
	v_mul_f32_e32 v31, v31, v34
	v_add_f32_e32 v32, v33, v31
	v_sub_f32_e32 v33, v32, v33
	v_ldexp_f32 v21, v21, 1
	v_sub_f32_e32 v31, v31, v33
	v_add_f32_e32 v21, v21, v31
	v_add_f32_e32 v31, v32, v21
	v_sub_f32_e32 v32, v31, v32
	v_sub_f32_e32 v21, v21, v32
	v_add_f32_e32 v32, v28, v31
	v_sub_f32_e32 v33, v32, v28
	v_sub_f32_e32 v34, v32, v33
	;; [unrolled: 1-line block ×5, first 2 shown]
	v_add_f32_e32 v28, v31, v28
	v_add_f32_e32 v31, v29, v21
	v_sub_f32_e32 v33, v31, v29
	v_sub_f32_e32 v34, v31, v33
	;; [unrolled: 1-line block ×4, first 2 shown]
	v_add_f32_e32 v28, v31, v28
	v_add_f32_e32 v21, v21, v29
	;; [unrolled: 1-line block ×3, first 2 shown]
	v_sub_f32_e32 v31, v29, v32
	v_sub_f32_e32 v28, v28, v31
	v_add_f32_e32 v21, v21, v28
	v_add_f32_e32 v21, v29, v21
	v_cmp_neq_f32_e32 vcc, s5, v14
	s_mov_b32 s5, 0x33800000
	v_cndmask_b32_e32 v21, v30, v21, vcc
	v_cmp_lt_f32_e64 vcc, |v14|, s5
	v_cndmask_b32_e32 v14, v21, v14, vcc
	v_add_f32_e32 v14, v22, v14
	v_cvt_f16_f32_e32 v30, v14
	v_cvt_f32_f16_e32 v14, v30
	v_mov_b32_e32 v21, v30
.LBB372_164:
	s_or_b64 exec, exec, s[2:3]
	v_max_f32_e32 v22, v11, v11
	v_max_f32_e32 v29, v14, v14
	v_min_f32_e32 v28, v29, v22
	v_cmp_u_f16_e32 vcc, v30, v30
	v_max_f32_e32 v22, v29, v22
	v_cndmask_b32_e32 v28, v28, v14, vcc
	v_cndmask_b32_e32 v22, v22, v14, vcc
	v_cndmask_b32_e64 v28, v28, v11, s[74:75]
	v_cndmask_b32_e64 v22, v22, v11, s[74:75]
	v_cmp_neq_f32_e32 vcc, v28, v22
	v_cmp_class_f32_e64 s[2:3], v28, s4
	s_or_b64 s[4:5], vcc, s[2:3]
	v_mov_b32_e32 v11, v21
	s_and_saveexec_b64 s[2:3], s[4:5]
	s_cbranch_execz .LBB372_166
; %bb.165:
	v_sub_f32_e32 v11, v28, v22
	s_mov_b32 s4, 0x3fb8aa3b
	v_mul_f32_e32 v14, 0x3fb8aa3b, v11
	v_fma_f32 v28, v11, s4, -v14
	v_rndne_f32_e32 v29, v14
	v_fmac_f32_e32 v28, 0x32a5705f, v11
	v_sub_f32_e32 v14, v14, v29
	v_add_f32_e32 v14, v14, v28
	v_exp_f32_e32 v14, v14
	v_cvt_i32_f32_e32 v28, v29
	s_mov_b32 s4, 0xc2ce8ed0
	v_cmp_ngt_f32_e32 vcc, s4, v11
	s_mov_b32 s4, 0x42b17218
	v_ldexp_f32 v14, v14, v28
	v_cndmask_b32_e32 v14, 0, v14, vcc
	v_mov_b32_e32 v30, 0x7f800000
	v_cmp_nlt_f32_e32 vcc, s4, v11
	v_cndmask_b32_e32 v11, v30, v14, vcc
	v_add_f32_e32 v14, 1.0, v11
	v_cvt_f64_f32_e32 v[28:29], v14
	v_add_f32_e32 v31, -1.0, v14
	v_sub_f32_e32 v32, v31, v14
	v_sub_f32_e32 v31, v11, v31
	v_frexp_exp_i32_f64_e32 v28, v[28:29]
	v_add_f32_e32 v29, 1.0, v32
	v_add_f32_e32 v29, v31, v29
	v_frexp_mant_f32_e32 v31, v14
	s_mov_b32 s5, 0x3f2aaaab
	v_cmp_gt_f32_e32 vcc, s5, v31
	s_mov_b32 s5, 0x3f317218
	s_mov_b32 s4, 0x7f800000
	v_subbrev_co_u32_e32 v28, vcc, 0, v28, vcc
	v_sub_u32_e32 v31, 0, v28
	v_ldexp_f32 v14, v14, v31
	v_ldexp_f32 v29, v29, v31
	v_add_f32_e32 v31, -1.0, v14
	v_add_f32_e32 v34, 1.0, v14
	v_add_f32_e32 v32, 1.0, v31
	v_add_f32_e32 v35, -1.0, v34
	v_sub_f32_e32 v32, v14, v32
	v_sub_f32_e32 v14, v14, v35
	v_add_f32_e32 v14, v29, v14
	v_add_f32_e32 v32, v29, v32
	;; [unrolled: 1-line block ×3, first 2 shown]
	v_rcp_f32_e32 v35, v29
	v_add_f32_e32 v33, v31, v32
	v_sub_f32_e32 v31, v31, v33
	v_add_f32_e32 v31, v32, v31
	v_sub_f32_e32 v32, v34, v29
	v_add_f32_e32 v14, v14, v32
	v_mul_f32_e32 v32, v33, v35
	v_mul_f32_e32 v34, v29, v32
	v_fma_f32 v36, v32, v29, -v34
	v_fmac_f32_e32 v36, v32, v14
	v_add_f32_e32 v37, v34, v36
	v_sub_f32_e32 v38, v33, v37
	v_sub_f32_e32 v33, v33, v38
	v_sub_f32_e32 v34, v37, v34
	v_sub_f32_e32 v33, v33, v37
	v_add_f32_e32 v31, v31, v33
	v_sub_f32_e32 v33, v34, v36
	v_add_f32_e32 v31, v33, v31
	v_add_f32_e32 v33, v38, v31
	v_mul_f32_e32 v34, v35, v33
	v_mul_f32_e32 v36, v29, v34
	v_fma_f32 v29, v34, v29, -v36
	v_fmac_f32_e32 v29, v34, v14
	v_sub_f32_e32 v14, v38, v33
	v_add_f32_e32 v14, v31, v14
	v_add_f32_e32 v31, v36, v29
	v_sub_f32_e32 v37, v33, v31
	v_sub_f32_e32 v33, v33, v37
	;; [unrolled: 1-line block ×4, first 2 shown]
	v_add_f32_e32 v14, v14, v31
	v_sub_f32_e32 v29, v36, v29
	v_add_f32_e32 v14, v29, v14
	v_add_f32_e32 v29, v32, v34
	;; [unrolled: 1-line block ×3, first 2 shown]
	v_sub_f32_e32 v31, v29, v32
	v_mul_f32_e32 v14, v35, v14
	v_sub_f32_e32 v31, v34, v31
	v_add_f32_e32 v14, v31, v14
	v_cvt_f32_i32_e32 v28, v28
	v_add_f32_e32 v31, v29, v14
	v_mul_f32_e32 v32, v31, v31
	v_mov_b32_e32 v33, 0x3ecc95a3
	v_fmac_f32_e32 v33, 0x3e9b6dac, v32
	v_mov_b32_e32 v34, 0x3f2aaada
	v_fmac_f32_e32 v34, v32, v33
	v_mul_f32_e32 v33, 0x3f317218, v28
	v_fma_f32 v35, v28, s5, -v33
	v_fmac_f32_e32 v35, 0xb102e308, v28
	v_sub_f32_e32 v28, v31, v29
	v_sub_f32_e32 v14, v14, v28
	v_add_f32_e32 v28, v33, v35
	v_sub_f32_e32 v29, v28, v33
	v_ldexp_f32 v33, v31, 1
	v_mul_f32_e32 v31, v31, v32
	v_mul_f32_e32 v31, v31, v34
	v_add_f32_e32 v32, v33, v31
	v_sub_f32_e32 v33, v32, v33
	v_ldexp_f32 v14, v14, 1
	v_sub_f32_e32 v31, v31, v33
	v_add_f32_e32 v14, v14, v31
	v_add_f32_e32 v31, v32, v14
	v_sub_f32_e32 v32, v31, v32
	v_sub_f32_e32 v14, v14, v32
	v_add_f32_e32 v32, v28, v31
	v_sub_f32_e32 v33, v32, v28
	v_sub_f32_e32 v34, v32, v33
	;; [unrolled: 1-line block ×5, first 2 shown]
	v_add_f32_e32 v28, v31, v28
	v_add_f32_e32 v31, v29, v14
	v_sub_f32_e32 v33, v31, v29
	v_sub_f32_e32 v34, v31, v33
	;; [unrolled: 1-line block ×4, first 2 shown]
	v_add_f32_e32 v28, v31, v28
	v_add_f32_e32 v14, v14, v29
	;; [unrolled: 1-line block ×3, first 2 shown]
	v_sub_f32_e32 v31, v29, v32
	v_sub_f32_e32 v28, v28, v31
	v_add_f32_e32 v14, v14, v28
	v_add_f32_e32 v14, v29, v14
	v_cmp_neq_f32_e32 vcc, s4, v11
	s_mov_b32 s4, 0x33800000
	v_cndmask_b32_e32 v14, v30, v14, vcc
	v_cmp_lt_f32_e64 vcc, |v11|, s4
	v_cndmask_b32_e32 v11, v14, v11, vcc
	v_add_f32_e32 v11, v22, v11
	v_cvt_f16_f32_e32 v30, v11
	v_cvt_f32_f16_e32 v14, v30
	v_mov_b32_e32 v11, v30
.LBB372_166:
	s_or_b64 exec, exec, s[2:3]
	v_max_f32_e32 v22, v23, v23
	v_max_f32_e32 v29, v14, v14
	v_min_f32_e32 v28, v29, v22
	v_cmp_u_f16_e32 vcc, v30, v30
	v_max_f32_e32 v22, v29, v22
	v_cndmask_b32_e32 v28, v28, v14, vcc
	v_cndmask_b32_e32 v22, v22, v14, vcc
	v_cndmask_b32_e64 v28, v28, v23, s[76:77]
	v_cndmask_b32_e64 v23, v22, v23, s[76:77]
	s_movk_i32 s4, 0x1f8
	v_cmp_neq_f32_e32 vcc, v28, v23
	v_cmp_class_f32_e64 s[2:3], v28, s4
	s_or_b64 s[6:7], vcc, s[2:3]
	v_mov_b32_e32 v22, v11
	s_and_saveexec_b64 s[2:3], s[6:7]
	s_cbranch_execz .LBB372_168
; %bb.167:
	v_sub_f32_e32 v14, v28, v23
	s_mov_b32 s5, 0x3fb8aa3b
	v_mul_f32_e32 v22, 0x3fb8aa3b, v14
	v_fma_f32 v28, v14, s5, -v22
	v_rndne_f32_e32 v29, v22
	v_fmac_f32_e32 v28, 0x32a5705f, v14
	v_sub_f32_e32 v22, v22, v29
	v_add_f32_e32 v22, v22, v28
	v_exp_f32_e32 v22, v22
	v_cvt_i32_f32_e32 v28, v29
	s_mov_b32 s5, 0xc2ce8ed0
	v_cmp_ngt_f32_e32 vcc, s5, v14
	s_mov_b32 s5, 0x42b17218
	v_ldexp_f32 v22, v22, v28
	v_cndmask_b32_e32 v22, 0, v22, vcc
	v_mov_b32_e32 v30, 0x7f800000
	v_cmp_nlt_f32_e32 vcc, s5, v14
	v_cndmask_b32_e32 v14, v30, v22, vcc
	v_add_f32_e32 v22, 1.0, v14
	v_cvt_f64_f32_e32 v[28:29], v22
	v_add_f32_e32 v31, -1.0, v22
	v_sub_f32_e32 v32, v31, v22
	v_sub_f32_e32 v31, v14, v31
	v_frexp_exp_i32_f64_e32 v28, v[28:29]
	v_add_f32_e32 v29, 1.0, v32
	v_add_f32_e32 v29, v31, v29
	v_frexp_mant_f32_e32 v31, v22
	s_mov_b32 s6, 0x3f2aaaab
	v_cmp_gt_f32_e32 vcc, s6, v31
	s_mov_b32 s6, 0x3f317218
	s_mov_b32 s5, 0x7f800000
	v_subbrev_co_u32_e32 v28, vcc, 0, v28, vcc
	v_sub_u32_e32 v31, 0, v28
	v_ldexp_f32 v22, v22, v31
	v_ldexp_f32 v29, v29, v31
	v_add_f32_e32 v31, -1.0, v22
	v_add_f32_e32 v34, 1.0, v22
	v_add_f32_e32 v32, 1.0, v31
	v_add_f32_e32 v35, -1.0, v34
	v_sub_f32_e32 v32, v22, v32
	v_sub_f32_e32 v22, v22, v35
	v_add_f32_e32 v22, v29, v22
	v_add_f32_e32 v32, v29, v32
	;; [unrolled: 1-line block ×3, first 2 shown]
	v_rcp_f32_e32 v35, v29
	v_add_f32_e32 v33, v31, v32
	v_sub_f32_e32 v31, v31, v33
	v_add_f32_e32 v31, v32, v31
	v_sub_f32_e32 v32, v34, v29
	v_add_f32_e32 v22, v22, v32
	v_mul_f32_e32 v32, v33, v35
	v_mul_f32_e32 v34, v29, v32
	v_fma_f32 v36, v32, v29, -v34
	v_fmac_f32_e32 v36, v32, v22
	v_add_f32_e32 v37, v34, v36
	v_sub_f32_e32 v38, v33, v37
	v_sub_f32_e32 v33, v33, v38
	;; [unrolled: 1-line block ×4, first 2 shown]
	v_add_f32_e32 v31, v31, v33
	v_sub_f32_e32 v33, v34, v36
	v_add_f32_e32 v31, v33, v31
	v_add_f32_e32 v33, v38, v31
	v_mul_f32_e32 v34, v35, v33
	v_mul_f32_e32 v36, v29, v34
	v_fma_f32 v29, v34, v29, -v36
	v_fmac_f32_e32 v29, v34, v22
	v_sub_f32_e32 v22, v38, v33
	v_add_f32_e32 v22, v31, v22
	v_add_f32_e32 v31, v36, v29
	v_sub_f32_e32 v37, v33, v31
	v_sub_f32_e32 v33, v33, v37
	;; [unrolled: 1-line block ×4, first 2 shown]
	v_add_f32_e32 v22, v22, v31
	v_sub_f32_e32 v29, v36, v29
	v_add_f32_e32 v22, v29, v22
	v_add_f32_e32 v29, v32, v34
	;; [unrolled: 1-line block ×3, first 2 shown]
	v_sub_f32_e32 v31, v29, v32
	v_mul_f32_e32 v22, v35, v22
	v_sub_f32_e32 v31, v34, v31
	v_add_f32_e32 v22, v31, v22
	v_cvt_f32_i32_e32 v28, v28
	v_add_f32_e32 v31, v29, v22
	v_mul_f32_e32 v32, v31, v31
	v_mov_b32_e32 v33, 0x3ecc95a3
	v_fmac_f32_e32 v33, 0x3e9b6dac, v32
	v_mov_b32_e32 v34, 0x3f2aaada
	v_fmac_f32_e32 v34, v32, v33
	v_mul_f32_e32 v33, 0x3f317218, v28
	v_fma_f32 v35, v28, s6, -v33
	v_fmac_f32_e32 v35, 0xb102e308, v28
	v_sub_f32_e32 v28, v31, v29
	v_sub_f32_e32 v22, v22, v28
	v_add_f32_e32 v28, v33, v35
	v_sub_f32_e32 v29, v28, v33
	v_ldexp_f32 v33, v31, 1
	v_mul_f32_e32 v31, v31, v32
	v_mul_f32_e32 v31, v31, v34
	v_add_f32_e32 v32, v33, v31
	v_sub_f32_e32 v33, v32, v33
	v_ldexp_f32 v22, v22, 1
	v_sub_f32_e32 v31, v31, v33
	v_add_f32_e32 v22, v22, v31
	v_add_f32_e32 v31, v32, v22
	v_sub_f32_e32 v32, v31, v32
	v_sub_f32_e32 v22, v22, v32
	v_add_f32_e32 v32, v28, v31
	v_sub_f32_e32 v33, v32, v28
	v_sub_f32_e32 v34, v32, v33
	;; [unrolled: 1-line block ×5, first 2 shown]
	v_add_f32_e32 v28, v31, v28
	v_add_f32_e32 v31, v29, v22
	v_sub_f32_e32 v33, v31, v29
	v_sub_f32_e32 v34, v31, v33
	;; [unrolled: 1-line block ×4, first 2 shown]
	v_add_f32_e32 v28, v31, v28
	v_add_f32_e32 v22, v22, v29
	;; [unrolled: 1-line block ×3, first 2 shown]
	v_sub_f32_e32 v31, v29, v32
	v_sub_f32_e32 v28, v28, v31
	v_add_f32_e32 v22, v22, v28
	v_add_f32_e32 v22, v29, v22
	v_cmp_neq_f32_e32 vcc, s5, v14
	s_mov_b32 s5, 0x33800000
	v_cndmask_b32_e32 v22, v30, v22, vcc
	v_cmp_lt_f32_e64 vcc, |v14|, s5
	v_cndmask_b32_e32 v14, v22, v14, vcc
	v_add_f32_e32 v14, v23, v14
	v_cvt_f16_f32_e32 v30, v14
	v_cvt_f32_f16_e32 v14, v30
	v_mov_b32_e32 v22, v30
.LBB372_168:
	s_or_b64 exec, exec, s[2:3]
	v_max_f32_e32 v23, v12, v12
	v_max_f32_e32 v29, v14, v14
	v_min_f32_e32 v28, v29, v23
	v_cmp_u_f16_e32 vcc, v30, v30
	v_max_f32_e32 v23, v29, v23
	v_cndmask_b32_e32 v28, v28, v14, vcc
	v_cndmask_b32_e32 v23, v23, v14, vcc
	v_cndmask_b32_e64 v28, v28, v12, s[78:79]
	v_cndmask_b32_e64 v23, v23, v12, s[78:79]
	v_cmp_neq_f32_e32 vcc, v28, v23
	v_cmp_class_f32_e64 s[2:3], v28, s4
	s_or_b64 s[4:5], vcc, s[2:3]
	v_mov_b32_e32 v12, v22
	s_and_saveexec_b64 s[2:3], s[4:5]
	s_cbranch_execz .LBB372_170
; %bb.169:
	v_sub_f32_e32 v12, v28, v23
	s_mov_b32 s4, 0x3fb8aa3b
	v_mul_f32_e32 v14, 0x3fb8aa3b, v12
	v_fma_f32 v28, v12, s4, -v14
	v_rndne_f32_e32 v29, v14
	v_fmac_f32_e32 v28, 0x32a5705f, v12
	v_sub_f32_e32 v14, v14, v29
	v_add_f32_e32 v14, v14, v28
	v_exp_f32_e32 v14, v14
	v_cvt_i32_f32_e32 v28, v29
	s_mov_b32 s4, 0xc2ce8ed0
	v_cmp_ngt_f32_e32 vcc, s4, v12
	s_mov_b32 s4, 0x42b17218
	v_ldexp_f32 v14, v14, v28
	v_cndmask_b32_e32 v14, 0, v14, vcc
	v_mov_b32_e32 v30, 0x7f800000
	v_cmp_nlt_f32_e32 vcc, s4, v12
	v_cndmask_b32_e32 v12, v30, v14, vcc
	v_add_f32_e32 v14, 1.0, v12
	v_cvt_f64_f32_e32 v[28:29], v14
	v_add_f32_e32 v31, -1.0, v14
	v_sub_f32_e32 v32, v31, v14
	v_sub_f32_e32 v31, v12, v31
	v_frexp_exp_i32_f64_e32 v28, v[28:29]
	v_add_f32_e32 v29, 1.0, v32
	v_add_f32_e32 v29, v31, v29
	v_frexp_mant_f32_e32 v31, v14
	s_mov_b32 s5, 0x3f2aaaab
	v_cmp_gt_f32_e32 vcc, s5, v31
	s_mov_b32 s5, 0x3f317218
	s_mov_b32 s4, 0x7f800000
	v_subbrev_co_u32_e32 v28, vcc, 0, v28, vcc
	v_sub_u32_e32 v31, 0, v28
	v_ldexp_f32 v14, v14, v31
	v_ldexp_f32 v29, v29, v31
	v_add_f32_e32 v31, -1.0, v14
	v_add_f32_e32 v34, 1.0, v14
	v_add_f32_e32 v32, 1.0, v31
	v_add_f32_e32 v35, -1.0, v34
	v_sub_f32_e32 v32, v14, v32
	v_sub_f32_e32 v14, v14, v35
	v_add_f32_e32 v14, v29, v14
	v_add_f32_e32 v32, v29, v32
	;; [unrolled: 1-line block ×3, first 2 shown]
	v_rcp_f32_e32 v35, v29
	v_add_f32_e32 v33, v31, v32
	v_sub_f32_e32 v31, v31, v33
	v_add_f32_e32 v31, v32, v31
	v_sub_f32_e32 v32, v34, v29
	v_add_f32_e32 v14, v14, v32
	v_mul_f32_e32 v32, v33, v35
	v_mul_f32_e32 v34, v29, v32
	v_fma_f32 v36, v32, v29, -v34
	v_fmac_f32_e32 v36, v32, v14
	v_add_f32_e32 v37, v34, v36
	v_sub_f32_e32 v38, v33, v37
	v_sub_f32_e32 v33, v33, v38
	;; [unrolled: 1-line block ×4, first 2 shown]
	v_add_f32_e32 v31, v31, v33
	v_sub_f32_e32 v33, v34, v36
	v_add_f32_e32 v31, v33, v31
	v_add_f32_e32 v33, v38, v31
	v_mul_f32_e32 v34, v35, v33
	v_mul_f32_e32 v36, v29, v34
	v_fma_f32 v29, v34, v29, -v36
	v_fmac_f32_e32 v29, v34, v14
	v_sub_f32_e32 v14, v38, v33
	v_add_f32_e32 v14, v31, v14
	v_add_f32_e32 v31, v36, v29
	v_sub_f32_e32 v37, v33, v31
	v_sub_f32_e32 v33, v33, v37
	;; [unrolled: 1-line block ×4, first 2 shown]
	v_add_f32_e32 v14, v14, v31
	v_sub_f32_e32 v29, v36, v29
	v_add_f32_e32 v14, v29, v14
	v_add_f32_e32 v29, v32, v34
	;; [unrolled: 1-line block ×3, first 2 shown]
	v_sub_f32_e32 v31, v29, v32
	v_mul_f32_e32 v14, v35, v14
	v_sub_f32_e32 v31, v34, v31
	v_add_f32_e32 v14, v31, v14
	v_cvt_f32_i32_e32 v28, v28
	v_add_f32_e32 v31, v29, v14
	v_mul_f32_e32 v32, v31, v31
	v_mov_b32_e32 v33, 0x3ecc95a3
	v_fmac_f32_e32 v33, 0x3e9b6dac, v32
	v_mov_b32_e32 v34, 0x3f2aaada
	v_fmac_f32_e32 v34, v32, v33
	v_mul_f32_e32 v33, 0x3f317218, v28
	v_fma_f32 v35, v28, s5, -v33
	v_fmac_f32_e32 v35, 0xb102e308, v28
	v_sub_f32_e32 v28, v31, v29
	v_sub_f32_e32 v14, v14, v28
	v_add_f32_e32 v28, v33, v35
	v_sub_f32_e32 v29, v28, v33
	v_ldexp_f32 v33, v31, 1
	v_mul_f32_e32 v31, v31, v32
	v_mul_f32_e32 v31, v31, v34
	v_add_f32_e32 v32, v33, v31
	v_sub_f32_e32 v33, v32, v33
	v_ldexp_f32 v14, v14, 1
	v_sub_f32_e32 v31, v31, v33
	v_add_f32_e32 v14, v14, v31
	v_add_f32_e32 v31, v32, v14
	v_sub_f32_e32 v32, v31, v32
	v_sub_f32_e32 v14, v14, v32
	v_add_f32_e32 v32, v28, v31
	v_sub_f32_e32 v33, v32, v28
	v_sub_f32_e32 v34, v32, v33
	;; [unrolled: 1-line block ×5, first 2 shown]
	v_add_f32_e32 v28, v31, v28
	v_add_f32_e32 v31, v29, v14
	v_sub_f32_e32 v33, v31, v29
	v_sub_f32_e32 v34, v31, v33
	;; [unrolled: 1-line block ×4, first 2 shown]
	v_add_f32_e32 v28, v31, v28
	v_add_f32_e32 v14, v14, v29
	;; [unrolled: 1-line block ×3, first 2 shown]
	v_sub_f32_e32 v31, v29, v32
	v_sub_f32_e32 v28, v28, v31
	v_add_f32_e32 v14, v14, v28
	v_add_f32_e32 v14, v29, v14
	v_cmp_neq_f32_e32 vcc, s4, v12
	s_mov_b32 s4, 0x33800000
	v_cndmask_b32_e32 v14, v30, v14, vcc
	v_cmp_lt_f32_e64 vcc, |v12|, s4
	v_cndmask_b32_e32 v12, v14, v12, vcc
	v_add_f32_e32 v12, v23, v12
	v_cvt_f16_f32_e32 v30, v12
	v_cvt_f32_f16_e32 v14, v30
	v_mov_b32_e32 v12, v30
.LBB372_170:
	s_or_b64 exec, exec, s[2:3]
	v_max_f32_e32 v23, v24, v24
	v_max_f32_e32 v29, v14, v14
	v_min_f32_e32 v28, v29, v23
	v_cmp_u_f16_e32 vcc, v30, v30
	v_max_f32_e32 v23, v29, v23
	v_cndmask_b32_e32 v28, v28, v14, vcc
	v_cndmask_b32_e32 v23, v23, v14, vcc
	v_cndmask_b32_e64 v28, v28, v24, s[80:81]
	v_cndmask_b32_e64 v24, v23, v24, s[80:81]
	s_movk_i32 s4, 0x1f8
	v_cmp_neq_f32_e32 vcc, v28, v24
	v_cmp_class_f32_e64 s[2:3], v28, s4
	s_or_b64 s[6:7], vcc, s[2:3]
	v_mov_b32_e32 v23, v12
	s_and_saveexec_b64 s[2:3], s[6:7]
	s_cbranch_execz .LBB372_172
; %bb.171:
	v_sub_f32_e32 v14, v28, v24
	s_mov_b32 s5, 0x3fb8aa3b
	v_mul_f32_e32 v23, 0x3fb8aa3b, v14
	v_fma_f32 v28, v14, s5, -v23
	v_rndne_f32_e32 v29, v23
	v_fmac_f32_e32 v28, 0x32a5705f, v14
	v_sub_f32_e32 v23, v23, v29
	v_add_f32_e32 v23, v23, v28
	v_exp_f32_e32 v23, v23
	v_cvt_i32_f32_e32 v28, v29
	s_mov_b32 s5, 0xc2ce8ed0
	v_cmp_ngt_f32_e32 vcc, s5, v14
	s_mov_b32 s5, 0x42b17218
	v_ldexp_f32 v23, v23, v28
	v_cndmask_b32_e32 v23, 0, v23, vcc
	v_mov_b32_e32 v30, 0x7f800000
	v_cmp_nlt_f32_e32 vcc, s5, v14
	v_cndmask_b32_e32 v14, v30, v23, vcc
	v_add_f32_e32 v23, 1.0, v14
	v_cvt_f64_f32_e32 v[28:29], v23
	v_add_f32_e32 v31, -1.0, v23
	v_sub_f32_e32 v32, v31, v23
	v_sub_f32_e32 v31, v14, v31
	v_frexp_exp_i32_f64_e32 v28, v[28:29]
	v_add_f32_e32 v29, 1.0, v32
	v_add_f32_e32 v29, v31, v29
	v_frexp_mant_f32_e32 v31, v23
	s_mov_b32 s6, 0x3f2aaaab
	v_cmp_gt_f32_e32 vcc, s6, v31
	s_mov_b32 s6, 0x3f317218
	s_mov_b32 s5, 0x7f800000
	v_subbrev_co_u32_e32 v28, vcc, 0, v28, vcc
	v_sub_u32_e32 v31, 0, v28
	v_ldexp_f32 v23, v23, v31
	v_ldexp_f32 v29, v29, v31
	v_add_f32_e32 v31, -1.0, v23
	v_add_f32_e32 v34, 1.0, v23
	v_add_f32_e32 v32, 1.0, v31
	v_add_f32_e32 v35, -1.0, v34
	v_sub_f32_e32 v32, v23, v32
	v_sub_f32_e32 v23, v23, v35
	v_add_f32_e32 v23, v29, v23
	v_add_f32_e32 v32, v29, v32
	v_add_f32_e32 v29, v34, v23
	v_rcp_f32_e32 v35, v29
	v_add_f32_e32 v33, v31, v32
	v_sub_f32_e32 v31, v31, v33
	v_add_f32_e32 v31, v32, v31
	v_sub_f32_e32 v32, v34, v29
	v_add_f32_e32 v23, v23, v32
	v_mul_f32_e32 v32, v33, v35
	v_mul_f32_e32 v34, v29, v32
	v_fma_f32 v36, v32, v29, -v34
	v_fmac_f32_e32 v36, v32, v23
	v_add_f32_e32 v37, v34, v36
	v_sub_f32_e32 v38, v33, v37
	v_sub_f32_e32 v33, v33, v38
	;; [unrolled: 1-line block ×4, first 2 shown]
	v_add_f32_e32 v31, v31, v33
	v_sub_f32_e32 v33, v34, v36
	v_add_f32_e32 v31, v33, v31
	v_add_f32_e32 v33, v38, v31
	v_mul_f32_e32 v34, v35, v33
	v_mul_f32_e32 v36, v29, v34
	v_fma_f32 v29, v34, v29, -v36
	v_fmac_f32_e32 v29, v34, v23
	v_sub_f32_e32 v23, v38, v33
	v_add_f32_e32 v23, v31, v23
	v_add_f32_e32 v31, v36, v29
	v_sub_f32_e32 v37, v33, v31
	v_sub_f32_e32 v33, v33, v37
	;; [unrolled: 1-line block ×4, first 2 shown]
	v_add_f32_e32 v23, v23, v31
	v_sub_f32_e32 v29, v36, v29
	v_add_f32_e32 v23, v29, v23
	v_add_f32_e32 v29, v32, v34
	v_add_f32_e32 v23, v37, v23
	v_sub_f32_e32 v31, v29, v32
	v_mul_f32_e32 v23, v35, v23
	v_sub_f32_e32 v31, v34, v31
	v_add_f32_e32 v23, v31, v23
	v_cvt_f32_i32_e32 v28, v28
	v_add_f32_e32 v31, v29, v23
	v_mul_f32_e32 v32, v31, v31
	v_mov_b32_e32 v33, 0x3ecc95a3
	v_fmac_f32_e32 v33, 0x3e9b6dac, v32
	v_mov_b32_e32 v34, 0x3f2aaada
	v_fmac_f32_e32 v34, v32, v33
	v_mul_f32_e32 v33, 0x3f317218, v28
	v_fma_f32 v35, v28, s6, -v33
	v_fmac_f32_e32 v35, 0xb102e308, v28
	v_sub_f32_e32 v28, v31, v29
	v_sub_f32_e32 v23, v23, v28
	v_add_f32_e32 v28, v33, v35
	v_sub_f32_e32 v29, v28, v33
	v_ldexp_f32 v33, v31, 1
	v_mul_f32_e32 v31, v31, v32
	v_mul_f32_e32 v31, v31, v34
	v_add_f32_e32 v32, v33, v31
	v_sub_f32_e32 v33, v32, v33
	v_ldexp_f32 v23, v23, 1
	v_sub_f32_e32 v31, v31, v33
	v_add_f32_e32 v23, v23, v31
	v_add_f32_e32 v31, v32, v23
	v_sub_f32_e32 v32, v31, v32
	v_sub_f32_e32 v23, v23, v32
	v_add_f32_e32 v32, v28, v31
	v_sub_f32_e32 v33, v32, v28
	v_sub_f32_e32 v34, v32, v33
	;; [unrolled: 1-line block ×5, first 2 shown]
	v_add_f32_e32 v28, v31, v28
	v_add_f32_e32 v31, v29, v23
	v_sub_f32_e32 v33, v31, v29
	v_sub_f32_e32 v34, v31, v33
	;; [unrolled: 1-line block ×4, first 2 shown]
	v_add_f32_e32 v28, v31, v28
	v_add_f32_e32 v23, v23, v29
	;; [unrolled: 1-line block ×3, first 2 shown]
	v_sub_f32_e32 v31, v29, v32
	v_sub_f32_e32 v28, v28, v31
	v_add_f32_e32 v23, v23, v28
	v_add_f32_e32 v23, v29, v23
	v_cmp_neq_f32_e32 vcc, s5, v14
	s_mov_b32 s5, 0x33800000
	v_cndmask_b32_e32 v23, v30, v23, vcc
	v_cmp_lt_f32_e64 vcc, |v14|, s5
	v_cndmask_b32_e32 v14, v23, v14, vcc
	v_add_f32_e32 v14, v24, v14
	v_cvt_f16_f32_e32 v30, v14
	v_cvt_f32_f16_e32 v14, v30
	v_mov_b32_e32 v23, v30
.LBB372_172:
	s_or_b64 exec, exec, s[2:3]
	v_max_f32_e32 v24, v5, v5
	v_max_f32_e32 v29, v14, v14
	v_min_f32_e32 v28, v29, v24
	v_cmp_u_f16_e32 vcc, v30, v30
	v_max_f32_e32 v24, v29, v24
	v_cndmask_b32_e32 v28, v28, v14, vcc
	v_cndmask_b32_e32 v24, v24, v14, vcc
	v_cndmask_b32_e64 v28, v28, v5, s[82:83]
	v_cndmask_b32_e64 v24, v24, v5, s[82:83]
	v_cmp_neq_f32_e32 vcc, v28, v24
	v_cmp_class_f32_e64 s[2:3], v28, s4
	s_or_b64 s[4:5], vcc, s[2:3]
	v_mov_b32_e32 v5, v23
	s_and_saveexec_b64 s[2:3], s[4:5]
	s_cbranch_execz .LBB372_174
; %bb.173:
	v_sub_f32_e32 v5, v28, v24
	s_mov_b32 s4, 0x3fb8aa3b
	v_mul_f32_e32 v14, 0x3fb8aa3b, v5
	v_fma_f32 v28, v5, s4, -v14
	v_rndne_f32_e32 v29, v14
	v_fmac_f32_e32 v28, 0x32a5705f, v5
	v_sub_f32_e32 v14, v14, v29
	v_add_f32_e32 v14, v14, v28
	v_exp_f32_e32 v14, v14
	v_cvt_i32_f32_e32 v28, v29
	s_mov_b32 s4, 0xc2ce8ed0
	v_cmp_ngt_f32_e32 vcc, s4, v5
	s_mov_b32 s4, 0x42b17218
	v_ldexp_f32 v14, v14, v28
	v_cndmask_b32_e32 v14, 0, v14, vcc
	v_mov_b32_e32 v30, 0x7f800000
	v_cmp_nlt_f32_e32 vcc, s4, v5
	v_cndmask_b32_e32 v5, v30, v14, vcc
	v_add_f32_e32 v14, 1.0, v5
	v_cvt_f64_f32_e32 v[28:29], v14
	v_add_f32_e32 v31, -1.0, v14
	v_sub_f32_e32 v32, v31, v14
	v_sub_f32_e32 v31, v5, v31
	v_frexp_exp_i32_f64_e32 v28, v[28:29]
	v_add_f32_e32 v29, 1.0, v32
	v_add_f32_e32 v29, v31, v29
	v_frexp_mant_f32_e32 v31, v14
	s_mov_b32 s5, 0x3f2aaaab
	v_cmp_gt_f32_e32 vcc, s5, v31
	s_mov_b32 s5, 0x3f317218
	s_mov_b32 s4, 0x7f800000
	v_subbrev_co_u32_e32 v28, vcc, 0, v28, vcc
	v_sub_u32_e32 v31, 0, v28
	v_ldexp_f32 v14, v14, v31
	v_ldexp_f32 v29, v29, v31
	v_add_f32_e32 v31, -1.0, v14
	v_add_f32_e32 v34, 1.0, v14
	v_add_f32_e32 v32, 1.0, v31
	v_add_f32_e32 v35, -1.0, v34
	v_sub_f32_e32 v32, v14, v32
	v_sub_f32_e32 v14, v14, v35
	v_add_f32_e32 v14, v29, v14
	v_add_f32_e32 v32, v29, v32
	;; [unrolled: 1-line block ×3, first 2 shown]
	v_rcp_f32_e32 v35, v29
	v_add_f32_e32 v33, v31, v32
	v_sub_f32_e32 v31, v31, v33
	v_add_f32_e32 v31, v32, v31
	v_sub_f32_e32 v32, v34, v29
	v_add_f32_e32 v14, v14, v32
	v_mul_f32_e32 v32, v33, v35
	v_mul_f32_e32 v34, v29, v32
	v_fma_f32 v36, v32, v29, -v34
	v_fmac_f32_e32 v36, v32, v14
	v_add_f32_e32 v37, v34, v36
	v_sub_f32_e32 v38, v33, v37
	v_sub_f32_e32 v33, v33, v38
	;; [unrolled: 1-line block ×4, first 2 shown]
	v_add_f32_e32 v31, v31, v33
	v_sub_f32_e32 v33, v34, v36
	v_add_f32_e32 v31, v33, v31
	v_add_f32_e32 v33, v38, v31
	v_mul_f32_e32 v34, v35, v33
	v_mul_f32_e32 v36, v29, v34
	v_fma_f32 v29, v34, v29, -v36
	v_fmac_f32_e32 v29, v34, v14
	v_sub_f32_e32 v14, v38, v33
	v_add_f32_e32 v14, v31, v14
	v_add_f32_e32 v31, v36, v29
	v_sub_f32_e32 v37, v33, v31
	v_sub_f32_e32 v33, v33, v37
	;; [unrolled: 1-line block ×4, first 2 shown]
	v_add_f32_e32 v14, v14, v31
	v_sub_f32_e32 v29, v36, v29
	v_add_f32_e32 v14, v29, v14
	v_add_f32_e32 v29, v32, v34
	;; [unrolled: 1-line block ×3, first 2 shown]
	v_sub_f32_e32 v31, v29, v32
	v_mul_f32_e32 v14, v35, v14
	v_sub_f32_e32 v31, v34, v31
	v_add_f32_e32 v14, v31, v14
	v_cvt_f32_i32_e32 v28, v28
	v_add_f32_e32 v31, v29, v14
	v_mul_f32_e32 v32, v31, v31
	v_mov_b32_e32 v33, 0x3ecc95a3
	v_fmac_f32_e32 v33, 0x3e9b6dac, v32
	v_mov_b32_e32 v34, 0x3f2aaada
	v_fmac_f32_e32 v34, v32, v33
	v_mul_f32_e32 v33, 0x3f317218, v28
	v_fma_f32 v35, v28, s5, -v33
	v_fmac_f32_e32 v35, 0xb102e308, v28
	v_sub_f32_e32 v28, v31, v29
	v_sub_f32_e32 v14, v14, v28
	v_add_f32_e32 v28, v33, v35
	v_sub_f32_e32 v29, v28, v33
	v_ldexp_f32 v33, v31, 1
	v_mul_f32_e32 v31, v31, v32
	v_mul_f32_e32 v31, v31, v34
	v_add_f32_e32 v32, v33, v31
	v_sub_f32_e32 v33, v32, v33
	v_ldexp_f32 v14, v14, 1
	v_sub_f32_e32 v31, v31, v33
	v_add_f32_e32 v14, v14, v31
	v_add_f32_e32 v31, v32, v14
	v_sub_f32_e32 v32, v31, v32
	v_sub_f32_e32 v14, v14, v32
	v_add_f32_e32 v32, v28, v31
	v_sub_f32_e32 v33, v32, v28
	v_sub_f32_e32 v34, v32, v33
	;; [unrolled: 1-line block ×5, first 2 shown]
	v_add_f32_e32 v28, v31, v28
	v_add_f32_e32 v31, v29, v14
	v_sub_f32_e32 v33, v31, v29
	v_sub_f32_e32 v34, v31, v33
	;; [unrolled: 1-line block ×4, first 2 shown]
	v_add_f32_e32 v28, v31, v28
	v_add_f32_e32 v14, v14, v29
	;; [unrolled: 1-line block ×3, first 2 shown]
	v_sub_f32_e32 v31, v29, v32
	v_sub_f32_e32 v28, v28, v31
	v_add_f32_e32 v14, v14, v28
	v_add_f32_e32 v14, v29, v14
	v_cmp_neq_f32_e32 vcc, s4, v5
	s_mov_b32 s4, 0x33800000
	v_cndmask_b32_e32 v14, v30, v14, vcc
	v_cmp_lt_f32_e64 vcc, |v5|, s4
	v_cndmask_b32_e32 v5, v14, v5, vcc
	v_add_f32_e32 v5, v24, v5
	v_cvt_f16_f32_e32 v30, v5
	v_cvt_f32_f16_e32 v14, v30
	v_mov_b32_e32 v5, v30
.LBB372_174:
	s_or_b64 exec, exec, s[2:3]
	v_max_f32_e32 v24, v25, v25
	v_max_f32_e32 v29, v14, v14
	v_min_f32_e32 v28, v29, v24
	v_cmp_u_f16_e32 vcc, v30, v30
	v_max_f32_e32 v24, v29, v24
	v_cndmask_b32_e32 v28, v28, v14, vcc
	v_cndmask_b32_e32 v24, v24, v14, vcc
	v_cndmask_b32_e64 v28, v28, v25, s[84:85]
	v_cndmask_b32_e64 v25, v24, v25, s[84:85]
	s_movk_i32 s4, 0x1f8
	v_cmp_neq_f32_e32 vcc, v28, v25
	v_cmp_class_f32_e64 s[2:3], v28, s4
	s_or_b64 s[6:7], vcc, s[2:3]
	v_mov_b32_e32 v24, v5
	s_and_saveexec_b64 s[2:3], s[6:7]
	s_cbranch_execz .LBB372_176
; %bb.175:
	v_sub_f32_e32 v14, v28, v25
	s_mov_b32 s5, 0x3fb8aa3b
	v_mul_f32_e32 v24, 0x3fb8aa3b, v14
	v_fma_f32 v28, v14, s5, -v24
	v_rndne_f32_e32 v29, v24
	v_fmac_f32_e32 v28, 0x32a5705f, v14
	v_sub_f32_e32 v24, v24, v29
	v_add_f32_e32 v24, v24, v28
	v_exp_f32_e32 v24, v24
	v_cvt_i32_f32_e32 v28, v29
	s_mov_b32 s5, 0xc2ce8ed0
	v_cmp_ngt_f32_e32 vcc, s5, v14
	s_mov_b32 s5, 0x42b17218
	v_ldexp_f32 v24, v24, v28
	v_cndmask_b32_e32 v24, 0, v24, vcc
	v_mov_b32_e32 v30, 0x7f800000
	v_cmp_nlt_f32_e32 vcc, s5, v14
	v_cndmask_b32_e32 v14, v30, v24, vcc
	v_add_f32_e32 v24, 1.0, v14
	v_cvt_f64_f32_e32 v[28:29], v24
	v_add_f32_e32 v31, -1.0, v24
	v_sub_f32_e32 v32, v31, v24
	v_sub_f32_e32 v31, v14, v31
	v_frexp_exp_i32_f64_e32 v28, v[28:29]
	v_add_f32_e32 v29, 1.0, v32
	v_add_f32_e32 v29, v31, v29
	v_frexp_mant_f32_e32 v31, v24
	s_mov_b32 s6, 0x3f2aaaab
	v_cmp_gt_f32_e32 vcc, s6, v31
	s_mov_b32 s6, 0x3f317218
	s_mov_b32 s5, 0x7f800000
	v_subbrev_co_u32_e32 v28, vcc, 0, v28, vcc
	v_sub_u32_e32 v31, 0, v28
	v_ldexp_f32 v24, v24, v31
	v_ldexp_f32 v29, v29, v31
	v_add_f32_e32 v31, -1.0, v24
	v_add_f32_e32 v34, 1.0, v24
	v_add_f32_e32 v32, 1.0, v31
	v_add_f32_e32 v35, -1.0, v34
	v_sub_f32_e32 v32, v24, v32
	v_sub_f32_e32 v24, v24, v35
	v_add_f32_e32 v24, v29, v24
	v_add_f32_e32 v32, v29, v32
	;; [unrolled: 1-line block ×3, first 2 shown]
	v_rcp_f32_e32 v35, v29
	v_add_f32_e32 v33, v31, v32
	v_sub_f32_e32 v31, v31, v33
	v_add_f32_e32 v31, v32, v31
	v_sub_f32_e32 v32, v34, v29
	v_add_f32_e32 v24, v24, v32
	v_mul_f32_e32 v32, v33, v35
	v_mul_f32_e32 v34, v29, v32
	v_fma_f32 v36, v32, v29, -v34
	v_fmac_f32_e32 v36, v32, v24
	v_add_f32_e32 v37, v34, v36
	v_sub_f32_e32 v38, v33, v37
	v_sub_f32_e32 v33, v33, v38
	;; [unrolled: 1-line block ×4, first 2 shown]
	v_add_f32_e32 v31, v31, v33
	v_sub_f32_e32 v33, v34, v36
	v_add_f32_e32 v31, v33, v31
	v_add_f32_e32 v33, v38, v31
	v_mul_f32_e32 v34, v35, v33
	v_mul_f32_e32 v36, v29, v34
	v_fma_f32 v29, v34, v29, -v36
	v_fmac_f32_e32 v29, v34, v24
	v_sub_f32_e32 v24, v38, v33
	v_add_f32_e32 v24, v31, v24
	v_add_f32_e32 v31, v36, v29
	v_sub_f32_e32 v37, v33, v31
	v_sub_f32_e32 v33, v33, v37
	;; [unrolled: 1-line block ×4, first 2 shown]
	v_add_f32_e32 v24, v24, v31
	v_sub_f32_e32 v29, v36, v29
	v_add_f32_e32 v24, v29, v24
	v_add_f32_e32 v29, v32, v34
	;; [unrolled: 1-line block ×3, first 2 shown]
	v_sub_f32_e32 v31, v29, v32
	v_mul_f32_e32 v24, v35, v24
	v_sub_f32_e32 v31, v34, v31
	v_add_f32_e32 v24, v31, v24
	v_cvt_f32_i32_e32 v28, v28
	v_add_f32_e32 v31, v29, v24
	v_mul_f32_e32 v32, v31, v31
	v_mov_b32_e32 v33, 0x3ecc95a3
	v_fmac_f32_e32 v33, 0x3e9b6dac, v32
	v_mov_b32_e32 v34, 0x3f2aaada
	v_fmac_f32_e32 v34, v32, v33
	v_mul_f32_e32 v33, 0x3f317218, v28
	v_fma_f32 v35, v28, s6, -v33
	v_fmac_f32_e32 v35, 0xb102e308, v28
	v_sub_f32_e32 v28, v31, v29
	v_sub_f32_e32 v24, v24, v28
	v_add_f32_e32 v28, v33, v35
	v_sub_f32_e32 v29, v28, v33
	v_ldexp_f32 v33, v31, 1
	v_mul_f32_e32 v31, v31, v32
	v_mul_f32_e32 v31, v31, v34
	v_add_f32_e32 v32, v33, v31
	v_sub_f32_e32 v33, v32, v33
	v_ldexp_f32 v24, v24, 1
	v_sub_f32_e32 v31, v31, v33
	v_add_f32_e32 v24, v24, v31
	v_add_f32_e32 v31, v32, v24
	v_sub_f32_e32 v32, v31, v32
	v_sub_f32_e32 v24, v24, v32
	v_add_f32_e32 v32, v28, v31
	v_sub_f32_e32 v33, v32, v28
	v_sub_f32_e32 v34, v32, v33
	;; [unrolled: 1-line block ×5, first 2 shown]
	v_add_f32_e32 v28, v31, v28
	v_add_f32_e32 v31, v29, v24
	v_sub_f32_e32 v33, v31, v29
	v_sub_f32_e32 v34, v31, v33
	;; [unrolled: 1-line block ×4, first 2 shown]
	v_add_f32_e32 v28, v31, v28
	v_add_f32_e32 v24, v24, v29
	;; [unrolled: 1-line block ×3, first 2 shown]
	v_sub_f32_e32 v31, v29, v32
	v_sub_f32_e32 v28, v28, v31
	v_add_f32_e32 v24, v24, v28
	v_add_f32_e32 v24, v29, v24
	v_cmp_neq_f32_e32 vcc, s5, v14
	s_mov_b32 s5, 0x33800000
	v_cndmask_b32_e32 v24, v30, v24, vcc
	v_cmp_lt_f32_e64 vcc, |v14|, s5
	v_cndmask_b32_e32 v14, v24, v14, vcc
	v_add_f32_e32 v14, v25, v14
	v_cvt_f16_f32_e32 v30, v14
	v_cvt_f32_f16_e32 v14, v30
	v_mov_b32_e32 v24, v30
.LBB372_176:
	s_or_b64 exec, exec, s[2:3]
	v_max_f32_e32 v25, v6, v6
	v_max_f32_e32 v29, v14, v14
	v_min_f32_e32 v28, v29, v25
	v_cmp_u_f16_e32 vcc, v30, v30
	v_max_f32_e32 v25, v29, v25
	v_cndmask_b32_e32 v28, v28, v14, vcc
	v_cndmask_b32_e32 v25, v25, v14, vcc
	v_cndmask_b32_e64 v28, v28, v6, s[86:87]
	v_cndmask_b32_e64 v25, v25, v6, s[86:87]
	v_cmp_neq_f32_e32 vcc, v28, v25
	v_cmp_class_f32_e64 s[2:3], v28, s4
	s_or_b64 s[4:5], vcc, s[2:3]
	v_mov_b32_e32 v6, v24
	s_and_saveexec_b64 s[2:3], s[4:5]
	s_cbranch_execz .LBB372_178
; %bb.177:
	v_sub_f32_e32 v6, v28, v25
	s_mov_b32 s4, 0x3fb8aa3b
	v_mul_f32_e32 v14, 0x3fb8aa3b, v6
	v_fma_f32 v28, v6, s4, -v14
	v_rndne_f32_e32 v29, v14
	v_fmac_f32_e32 v28, 0x32a5705f, v6
	v_sub_f32_e32 v14, v14, v29
	v_add_f32_e32 v14, v14, v28
	v_exp_f32_e32 v14, v14
	v_cvt_i32_f32_e32 v28, v29
	s_mov_b32 s4, 0xc2ce8ed0
	v_cmp_ngt_f32_e32 vcc, s4, v6
	s_mov_b32 s4, 0x42b17218
	v_ldexp_f32 v14, v14, v28
	v_cndmask_b32_e32 v14, 0, v14, vcc
	v_mov_b32_e32 v30, 0x7f800000
	v_cmp_nlt_f32_e32 vcc, s4, v6
	v_cndmask_b32_e32 v6, v30, v14, vcc
	v_add_f32_e32 v14, 1.0, v6
	v_cvt_f64_f32_e32 v[28:29], v14
	v_add_f32_e32 v31, -1.0, v14
	v_sub_f32_e32 v32, v31, v14
	v_sub_f32_e32 v31, v6, v31
	v_frexp_exp_i32_f64_e32 v28, v[28:29]
	v_add_f32_e32 v29, 1.0, v32
	v_add_f32_e32 v29, v31, v29
	v_frexp_mant_f32_e32 v31, v14
	s_mov_b32 s5, 0x3f2aaaab
	v_cmp_gt_f32_e32 vcc, s5, v31
	s_mov_b32 s5, 0x3f317218
	s_mov_b32 s4, 0x7f800000
	v_subbrev_co_u32_e32 v28, vcc, 0, v28, vcc
	v_sub_u32_e32 v31, 0, v28
	v_ldexp_f32 v14, v14, v31
	v_ldexp_f32 v29, v29, v31
	v_add_f32_e32 v31, -1.0, v14
	v_add_f32_e32 v34, 1.0, v14
	v_add_f32_e32 v32, 1.0, v31
	v_add_f32_e32 v35, -1.0, v34
	v_sub_f32_e32 v32, v14, v32
	v_sub_f32_e32 v14, v14, v35
	v_add_f32_e32 v14, v29, v14
	v_add_f32_e32 v32, v29, v32
	;; [unrolled: 1-line block ×3, first 2 shown]
	v_rcp_f32_e32 v35, v29
	v_add_f32_e32 v33, v31, v32
	v_sub_f32_e32 v31, v31, v33
	v_add_f32_e32 v31, v32, v31
	v_sub_f32_e32 v32, v34, v29
	v_add_f32_e32 v14, v14, v32
	v_mul_f32_e32 v32, v33, v35
	v_mul_f32_e32 v34, v29, v32
	v_fma_f32 v36, v32, v29, -v34
	v_fmac_f32_e32 v36, v32, v14
	v_add_f32_e32 v37, v34, v36
	v_sub_f32_e32 v38, v33, v37
	v_sub_f32_e32 v33, v33, v38
	;; [unrolled: 1-line block ×4, first 2 shown]
	v_add_f32_e32 v31, v31, v33
	v_sub_f32_e32 v33, v34, v36
	v_add_f32_e32 v31, v33, v31
	v_add_f32_e32 v33, v38, v31
	v_mul_f32_e32 v34, v35, v33
	v_mul_f32_e32 v36, v29, v34
	v_fma_f32 v29, v34, v29, -v36
	v_fmac_f32_e32 v29, v34, v14
	v_sub_f32_e32 v14, v38, v33
	v_add_f32_e32 v14, v31, v14
	v_add_f32_e32 v31, v36, v29
	v_sub_f32_e32 v37, v33, v31
	v_sub_f32_e32 v33, v33, v37
	;; [unrolled: 1-line block ×4, first 2 shown]
	v_add_f32_e32 v14, v14, v31
	v_sub_f32_e32 v29, v36, v29
	v_add_f32_e32 v14, v29, v14
	v_add_f32_e32 v29, v32, v34
	v_add_f32_e32 v14, v37, v14
	v_sub_f32_e32 v31, v29, v32
	v_mul_f32_e32 v14, v35, v14
	v_sub_f32_e32 v31, v34, v31
	v_add_f32_e32 v14, v31, v14
	v_cvt_f32_i32_e32 v28, v28
	v_add_f32_e32 v31, v29, v14
	v_mul_f32_e32 v32, v31, v31
	v_mov_b32_e32 v33, 0x3ecc95a3
	v_fmac_f32_e32 v33, 0x3e9b6dac, v32
	v_mov_b32_e32 v34, 0x3f2aaada
	v_fmac_f32_e32 v34, v32, v33
	v_mul_f32_e32 v33, 0x3f317218, v28
	v_fma_f32 v35, v28, s5, -v33
	v_fmac_f32_e32 v35, 0xb102e308, v28
	v_sub_f32_e32 v28, v31, v29
	v_sub_f32_e32 v14, v14, v28
	v_add_f32_e32 v28, v33, v35
	v_sub_f32_e32 v29, v28, v33
	v_ldexp_f32 v33, v31, 1
	v_mul_f32_e32 v31, v31, v32
	v_mul_f32_e32 v31, v31, v34
	v_add_f32_e32 v32, v33, v31
	v_sub_f32_e32 v33, v32, v33
	v_ldexp_f32 v14, v14, 1
	v_sub_f32_e32 v31, v31, v33
	v_add_f32_e32 v14, v14, v31
	v_add_f32_e32 v31, v32, v14
	v_sub_f32_e32 v32, v31, v32
	v_sub_f32_e32 v14, v14, v32
	v_add_f32_e32 v32, v28, v31
	v_sub_f32_e32 v33, v32, v28
	v_sub_f32_e32 v34, v32, v33
	v_sub_f32_e32 v29, v35, v29
	v_sub_f32_e32 v28, v28, v34
	v_sub_f32_e32 v31, v31, v33
	v_add_f32_e32 v28, v31, v28
	v_add_f32_e32 v31, v29, v14
	v_sub_f32_e32 v33, v31, v29
	v_sub_f32_e32 v34, v31, v33
	;; [unrolled: 1-line block ×4, first 2 shown]
	v_add_f32_e32 v28, v31, v28
	v_add_f32_e32 v14, v14, v29
	;; [unrolled: 1-line block ×3, first 2 shown]
	v_sub_f32_e32 v31, v29, v32
	v_sub_f32_e32 v28, v28, v31
	v_add_f32_e32 v14, v14, v28
	v_add_f32_e32 v14, v29, v14
	v_cmp_neq_f32_e32 vcc, s4, v6
	s_mov_b32 s4, 0x33800000
	v_cndmask_b32_e32 v14, v30, v14, vcc
	v_cmp_lt_f32_e64 vcc, |v6|, s4
	v_cndmask_b32_e32 v6, v14, v6, vcc
	v_add_f32_e32 v6, v25, v6
	v_cvt_f16_f32_e32 v30, v6
	v_cvt_f32_f16_e32 v14, v30
	v_mov_b32_e32 v6, v30
.LBB372_178:
	s_or_b64 exec, exec, s[2:3]
	v_max_f32_e32 v25, v26, v26
	v_max_f32_e32 v29, v14, v14
	v_min_f32_e32 v28, v29, v25
	v_cmp_u_f16_e32 vcc, v30, v30
	v_max_f32_e32 v25, v29, v25
	v_cndmask_b32_e32 v28, v28, v14, vcc
	v_cndmask_b32_e32 v25, v25, v14, vcc
	v_cndmask_b32_e64 v28, v28, v26, s[88:89]
	v_cndmask_b32_e64 v26, v25, v26, s[88:89]
	s_movk_i32 s4, 0x1f8
	v_cmp_neq_f32_e32 vcc, v28, v26
	v_cmp_class_f32_e64 s[2:3], v28, s4
	s_or_b64 s[6:7], vcc, s[2:3]
	v_mov_b32_e32 v25, v6
	s_and_saveexec_b64 s[2:3], s[6:7]
	s_cbranch_execz .LBB372_180
; %bb.179:
	v_sub_f32_e32 v14, v28, v26
	s_mov_b32 s5, 0x3fb8aa3b
	v_mul_f32_e32 v25, 0x3fb8aa3b, v14
	v_fma_f32 v28, v14, s5, -v25
	v_rndne_f32_e32 v29, v25
	v_fmac_f32_e32 v28, 0x32a5705f, v14
	v_sub_f32_e32 v25, v25, v29
	v_add_f32_e32 v25, v25, v28
	v_exp_f32_e32 v25, v25
	v_cvt_i32_f32_e32 v28, v29
	s_mov_b32 s5, 0xc2ce8ed0
	v_cmp_ngt_f32_e32 vcc, s5, v14
	s_mov_b32 s5, 0x42b17218
	v_ldexp_f32 v25, v25, v28
	v_cndmask_b32_e32 v25, 0, v25, vcc
	v_mov_b32_e32 v30, 0x7f800000
	v_cmp_nlt_f32_e32 vcc, s5, v14
	v_cndmask_b32_e32 v14, v30, v25, vcc
	v_add_f32_e32 v25, 1.0, v14
	v_cvt_f64_f32_e32 v[28:29], v25
	v_add_f32_e32 v31, -1.0, v25
	v_sub_f32_e32 v32, v31, v25
	v_sub_f32_e32 v31, v14, v31
	v_frexp_exp_i32_f64_e32 v28, v[28:29]
	v_add_f32_e32 v29, 1.0, v32
	v_add_f32_e32 v29, v31, v29
	v_frexp_mant_f32_e32 v31, v25
	s_mov_b32 s6, 0x3f2aaaab
	v_cmp_gt_f32_e32 vcc, s6, v31
	s_mov_b32 s6, 0x3f317218
	s_mov_b32 s5, 0x7f800000
	v_subbrev_co_u32_e32 v28, vcc, 0, v28, vcc
	v_sub_u32_e32 v31, 0, v28
	v_ldexp_f32 v25, v25, v31
	v_ldexp_f32 v29, v29, v31
	v_add_f32_e32 v31, -1.0, v25
	v_add_f32_e32 v34, 1.0, v25
	v_add_f32_e32 v32, 1.0, v31
	v_add_f32_e32 v35, -1.0, v34
	v_sub_f32_e32 v32, v25, v32
	v_sub_f32_e32 v25, v25, v35
	v_add_f32_e32 v25, v29, v25
	v_add_f32_e32 v32, v29, v32
	;; [unrolled: 1-line block ×3, first 2 shown]
	v_rcp_f32_e32 v35, v29
	v_add_f32_e32 v33, v31, v32
	v_sub_f32_e32 v31, v31, v33
	v_add_f32_e32 v31, v32, v31
	v_sub_f32_e32 v32, v34, v29
	v_add_f32_e32 v25, v25, v32
	v_mul_f32_e32 v32, v33, v35
	v_mul_f32_e32 v34, v29, v32
	v_fma_f32 v36, v32, v29, -v34
	v_fmac_f32_e32 v36, v32, v25
	v_add_f32_e32 v37, v34, v36
	v_sub_f32_e32 v38, v33, v37
	v_sub_f32_e32 v33, v33, v38
	;; [unrolled: 1-line block ×4, first 2 shown]
	v_add_f32_e32 v31, v31, v33
	v_sub_f32_e32 v33, v34, v36
	v_add_f32_e32 v31, v33, v31
	v_add_f32_e32 v33, v38, v31
	v_mul_f32_e32 v34, v35, v33
	v_mul_f32_e32 v36, v29, v34
	v_fma_f32 v29, v34, v29, -v36
	v_fmac_f32_e32 v29, v34, v25
	v_sub_f32_e32 v25, v38, v33
	v_add_f32_e32 v25, v31, v25
	v_add_f32_e32 v31, v36, v29
	v_sub_f32_e32 v37, v33, v31
	v_sub_f32_e32 v33, v33, v37
	;; [unrolled: 1-line block ×4, first 2 shown]
	v_add_f32_e32 v25, v25, v31
	v_sub_f32_e32 v29, v36, v29
	v_add_f32_e32 v25, v29, v25
	v_add_f32_e32 v29, v32, v34
	;; [unrolled: 1-line block ×3, first 2 shown]
	v_sub_f32_e32 v31, v29, v32
	v_mul_f32_e32 v25, v35, v25
	v_sub_f32_e32 v31, v34, v31
	v_add_f32_e32 v25, v31, v25
	v_cvt_f32_i32_e32 v28, v28
	v_add_f32_e32 v31, v29, v25
	v_mul_f32_e32 v32, v31, v31
	v_mov_b32_e32 v33, 0x3ecc95a3
	v_fmac_f32_e32 v33, 0x3e9b6dac, v32
	v_mov_b32_e32 v34, 0x3f2aaada
	v_fmac_f32_e32 v34, v32, v33
	v_mul_f32_e32 v33, 0x3f317218, v28
	v_fma_f32 v35, v28, s6, -v33
	v_fmac_f32_e32 v35, 0xb102e308, v28
	v_sub_f32_e32 v28, v31, v29
	v_sub_f32_e32 v25, v25, v28
	v_add_f32_e32 v28, v33, v35
	v_sub_f32_e32 v29, v28, v33
	v_ldexp_f32 v33, v31, 1
	v_mul_f32_e32 v31, v31, v32
	v_mul_f32_e32 v31, v31, v34
	v_add_f32_e32 v32, v33, v31
	v_sub_f32_e32 v33, v32, v33
	v_ldexp_f32 v25, v25, 1
	v_sub_f32_e32 v31, v31, v33
	v_add_f32_e32 v25, v25, v31
	v_add_f32_e32 v31, v32, v25
	v_sub_f32_e32 v32, v31, v32
	v_sub_f32_e32 v25, v25, v32
	v_add_f32_e32 v32, v28, v31
	v_sub_f32_e32 v33, v32, v28
	v_sub_f32_e32 v34, v32, v33
	v_sub_f32_e32 v29, v35, v29
	v_sub_f32_e32 v28, v28, v34
	v_sub_f32_e32 v31, v31, v33
	v_add_f32_e32 v28, v31, v28
	v_add_f32_e32 v31, v29, v25
	v_sub_f32_e32 v33, v31, v29
	v_sub_f32_e32 v34, v31, v33
	;; [unrolled: 1-line block ×4, first 2 shown]
	v_add_f32_e32 v28, v31, v28
	v_add_f32_e32 v25, v25, v29
	;; [unrolled: 1-line block ×3, first 2 shown]
	v_sub_f32_e32 v31, v29, v32
	v_sub_f32_e32 v28, v28, v31
	v_add_f32_e32 v25, v25, v28
	v_add_f32_e32 v25, v29, v25
	v_cmp_neq_f32_e32 vcc, s5, v14
	s_mov_b32 s5, 0x33800000
	v_cndmask_b32_e32 v25, v30, v25, vcc
	v_cmp_lt_f32_e64 vcc, |v14|, s5
	v_cndmask_b32_e32 v14, v25, v14, vcc
	v_add_f32_e32 v14, v26, v14
	v_cvt_f16_f32_e32 v30, v14
	v_cvt_f32_f16_e32 v14, v30
	v_mov_b32_e32 v25, v30
.LBB372_180:
	s_or_b64 exec, exec, s[2:3]
	v_max_f32_e32 v26, v7, v7
	v_max_f32_e32 v29, v14, v14
	v_min_f32_e32 v28, v29, v26
	v_cmp_u_f16_e32 vcc, v30, v30
	v_max_f32_e32 v26, v29, v26
	v_cndmask_b32_e32 v28, v28, v14, vcc
	v_cndmask_b32_e32 v26, v26, v14, vcc
	v_cndmask_b32_e64 v28, v28, v7, s[90:91]
	v_cndmask_b32_e64 v26, v26, v7, s[90:91]
	v_cmp_neq_f32_e32 vcc, v28, v26
	v_cmp_class_f32_e64 s[2:3], v28, s4
	s_or_b64 s[4:5], vcc, s[2:3]
	v_mov_b32_e32 v7, v25
	s_and_saveexec_b64 s[2:3], s[4:5]
	s_cbranch_execz .LBB372_182
; %bb.181:
	v_sub_f32_e32 v7, v28, v26
	s_mov_b32 s4, 0x3fb8aa3b
	v_mul_f32_e32 v14, 0x3fb8aa3b, v7
	v_fma_f32 v28, v7, s4, -v14
	v_rndne_f32_e32 v29, v14
	v_fmac_f32_e32 v28, 0x32a5705f, v7
	v_sub_f32_e32 v14, v14, v29
	v_add_f32_e32 v14, v14, v28
	v_exp_f32_e32 v14, v14
	v_cvt_i32_f32_e32 v28, v29
	s_mov_b32 s4, 0xc2ce8ed0
	v_cmp_ngt_f32_e32 vcc, s4, v7
	s_mov_b32 s4, 0x42b17218
	v_ldexp_f32 v14, v14, v28
	v_cndmask_b32_e32 v14, 0, v14, vcc
	v_mov_b32_e32 v30, 0x7f800000
	v_cmp_nlt_f32_e32 vcc, s4, v7
	v_cndmask_b32_e32 v7, v30, v14, vcc
	v_add_f32_e32 v14, 1.0, v7
	v_cvt_f64_f32_e32 v[28:29], v14
	v_add_f32_e32 v31, -1.0, v14
	v_sub_f32_e32 v32, v31, v14
	v_sub_f32_e32 v31, v7, v31
	v_frexp_exp_i32_f64_e32 v28, v[28:29]
	v_add_f32_e32 v29, 1.0, v32
	v_add_f32_e32 v29, v31, v29
	v_frexp_mant_f32_e32 v31, v14
	s_mov_b32 s5, 0x3f2aaaab
	v_cmp_gt_f32_e32 vcc, s5, v31
	s_mov_b32 s5, 0x3f317218
	s_mov_b32 s4, 0x7f800000
	v_subbrev_co_u32_e32 v28, vcc, 0, v28, vcc
	v_sub_u32_e32 v31, 0, v28
	v_ldexp_f32 v14, v14, v31
	v_ldexp_f32 v29, v29, v31
	v_add_f32_e32 v31, -1.0, v14
	v_add_f32_e32 v34, 1.0, v14
	v_add_f32_e32 v32, 1.0, v31
	v_add_f32_e32 v35, -1.0, v34
	v_sub_f32_e32 v32, v14, v32
	v_sub_f32_e32 v14, v14, v35
	v_add_f32_e32 v14, v29, v14
	v_add_f32_e32 v32, v29, v32
	;; [unrolled: 1-line block ×3, first 2 shown]
	v_rcp_f32_e32 v35, v29
	v_add_f32_e32 v33, v31, v32
	v_sub_f32_e32 v31, v31, v33
	v_add_f32_e32 v31, v32, v31
	v_sub_f32_e32 v32, v34, v29
	v_add_f32_e32 v14, v14, v32
	v_mul_f32_e32 v32, v33, v35
	v_mul_f32_e32 v34, v29, v32
	v_fma_f32 v36, v32, v29, -v34
	v_fmac_f32_e32 v36, v32, v14
	v_add_f32_e32 v37, v34, v36
	v_sub_f32_e32 v38, v33, v37
	v_sub_f32_e32 v33, v33, v38
	;; [unrolled: 1-line block ×4, first 2 shown]
	v_add_f32_e32 v31, v31, v33
	v_sub_f32_e32 v33, v34, v36
	v_add_f32_e32 v31, v33, v31
	v_add_f32_e32 v33, v38, v31
	v_mul_f32_e32 v34, v35, v33
	v_mul_f32_e32 v36, v29, v34
	v_fma_f32 v29, v34, v29, -v36
	v_fmac_f32_e32 v29, v34, v14
	v_sub_f32_e32 v14, v38, v33
	v_add_f32_e32 v14, v31, v14
	v_add_f32_e32 v31, v36, v29
	v_sub_f32_e32 v37, v33, v31
	v_sub_f32_e32 v33, v33, v37
	;; [unrolled: 1-line block ×4, first 2 shown]
	v_add_f32_e32 v14, v14, v31
	v_sub_f32_e32 v29, v36, v29
	v_add_f32_e32 v14, v29, v14
	v_add_f32_e32 v29, v32, v34
	;; [unrolled: 1-line block ×3, first 2 shown]
	v_sub_f32_e32 v31, v29, v32
	v_mul_f32_e32 v14, v35, v14
	v_sub_f32_e32 v31, v34, v31
	v_add_f32_e32 v14, v31, v14
	v_cvt_f32_i32_e32 v28, v28
	v_add_f32_e32 v31, v29, v14
	v_mul_f32_e32 v32, v31, v31
	v_mov_b32_e32 v33, 0x3ecc95a3
	v_fmac_f32_e32 v33, 0x3e9b6dac, v32
	v_mov_b32_e32 v34, 0x3f2aaada
	v_fmac_f32_e32 v34, v32, v33
	v_mul_f32_e32 v33, 0x3f317218, v28
	v_fma_f32 v35, v28, s5, -v33
	v_fmac_f32_e32 v35, 0xb102e308, v28
	v_sub_f32_e32 v28, v31, v29
	v_sub_f32_e32 v14, v14, v28
	v_add_f32_e32 v28, v33, v35
	v_sub_f32_e32 v29, v28, v33
	v_ldexp_f32 v33, v31, 1
	v_mul_f32_e32 v31, v31, v32
	v_mul_f32_e32 v31, v31, v34
	v_add_f32_e32 v32, v33, v31
	v_sub_f32_e32 v33, v32, v33
	v_ldexp_f32 v14, v14, 1
	v_sub_f32_e32 v31, v31, v33
	v_add_f32_e32 v14, v14, v31
	v_add_f32_e32 v31, v32, v14
	v_sub_f32_e32 v32, v31, v32
	v_sub_f32_e32 v14, v14, v32
	v_add_f32_e32 v32, v28, v31
	v_sub_f32_e32 v33, v32, v28
	v_sub_f32_e32 v34, v32, v33
	;; [unrolled: 1-line block ×5, first 2 shown]
	v_add_f32_e32 v28, v31, v28
	v_add_f32_e32 v31, v29, v14
	v_sub_f32_e32 v33, v31, v29
	v_sub_f32_e32 v34, v31, v33
	;; [unrolled: 1-line block ×4, first 2 shown]
	v_add_f32_e32 v28, v31, v28
	v_add_f32_e32 v14, v14, v29
	;; [unrolled: 1-line block ×3, first 2 shown]
	v_sub_f32_e32 v31, v29, v32
	v_sub_f32_e32 v28, v28, v31
	v_add_f32_e32 v14, v14, v28
	v_add_f32_e32 v14, v29, v14
	v_cmp_neq_f32_e32 vcc, s4, v7
	s_mov_b32 s4, 0x33800000
	v_cndmask_b32_e32 v14, v30, v14, vcc
	v_cmp_lt_f32_e64 vcc, |v7|, s4
	v_cndmask_b32_e32 v7, v14, v7, vcc
	v_add_f32_e32 v7, v26, v7
	v_cvt_f16_f32_e32 v30, v7
	v_cvt_f32_f16_e32 v14, v30
	v_mov_b32_e32 v7, v30
.LBB372_182:
	s_or_b64 exec, exec, s[2:3]
	v_max_f32_e32 v26, v27, v27
	v_max_f32_e32 v29, v14, v14
	v_min_f32_e32 v28, v29, v26
	v_cmp_u_f16_e32 vcc, v30, v30
	v_max_f32_e32 v26, v29, v26
	v_cndmask_b32_e32 v28, v28, v14, vcc
	v_cndmask_b32_e32 v14, v26, v14, vcc
	v_cndmask_b32_e64 v28, v28, v27, s[92:93]
	v_cndmask_b32_e64 v14, v14, v27, s[92:93]
	s_movk_i32 s2, 0x1f8
	v_cmp_neq_f32_e32 vcc, v28, v14
	v_cmp_class_f32_e64 s[2:3], v28, s2
	s_or_b64 s[4:5], vcc, s[2:3]
	v_mov_b32_e32 v26, v7
	s_and_saveexec_b64 s[2:3], s[4:5]
	s_cbranch_execz .LBB372_184
; %bb.183:
	v_sub_f32_e32 v26, v28, v14
	s_mov_b32 s4, 0x3fb8aa3b
	v_mul_f32_e32 v27, 0x3fb8aa3b, v26
	v_fma_f32 v28, v26, s4, -v27
	v_rndne_f32_e32 v29, v27
	v_fmac_f32_e32 v28, 0x32a5705f, v26
	v_sub_f32_e32 v27, v27, v29
	v_add_f32_e32 v27, v27, v28
	v_exp_f32_e32 v27, v27
	v_cvt_i32_f32_e32 v28, v29
	s_mov_b32 s4, 0xc2ce8ed0
	v_cmp_ngt_f32_e32 vcc, s4, v26
	s_mov_b32 s4, 0x42b17218
	v_ldexp_f32 v27, v27, v28
	v_cndmask_b32_e32 v27, 0, v27, vcc
	v_mov_b32_e32 v28, 0x7f800000
	v_cmp_nlt_f32_e32 vcc, s4, v26
	v_cndmask_b32_e32 v29, v28, v27, vcc
	v_add_f32_e32 v30, 1.0, v29
	v_cvt_f64_f32_e32 v[26:27], v30
	v_add_f32_e32 v31, -1.0, v30
	v_sub_f32_e32 v32, v31, v30
	v_sub_f32_e32 v31, v29, v31
	v_frexp_exp_i32_f64_e32 v26, v[26:27]
	v_add_f32_e32 v27, 1.0, v32
	v_add_f32_e32 v27, v31, v27
	v_frexp_mant_f32_e32 v31, v30
	s_mov_b32 s5, 0x3f2aaaab
	v_cmp_gt_f32_e32 vcc, s5, v31
	s_mov_b32 s5, 0x3f317218
	s_mov_b32 s4, 0x7f800000
	v_subbrev_co_u32_e32 v26, vcc, 0, v26, vcc
	v_sub_u32_e32 v31, 0, v26
	v_ldexp_f32 v30, v30, v31
	v_ldexp_f32 v27, v27, v31
	v_add_f32_e32 v31, -1.0, v30
	v_add_f32_e32 v34, 1.0, v30
	v_add_f32_e32 v32, 1.0, v31
	v_add_f32_e32 v35, -1.0, v34
	v_sub_f32_e32 v32, v30, v32
	v_sub_f32_e32 v30, v30, v35
	v_add_f32_e32 v32, v27, v32
	v_add_f32_e32 v27, v27, v30
	;; [unrolled: 1-line block ×3, first 2 shown]
	v_rcp_f32_e32 v35, v30
	v_add_f32_e32 v33, v31, v32
	v_sub_f32_e32 v31, v31, v33
	v_add_f32_e32 v31, v32, v31
	v_sub_f32_e32 v32, v34, v30
	v_add_f32_e32 v27, v27, v32
	v_mul_f32_e32 v32, v33, v35
	v_mul_f32_e32 v34, v30, v32
	v_fma_f32 v36, v32, v30, -v34
	v_fmac_f32_e32 v36, v32, v27
	v_add_f32_e32 v37, v34, v36
	v_sub_f32_e32 v38, v33, v37
	v_sub_f32_e32 v33, v33, v38
	;; [unrolled: 1-line block ×4, first 2 shown]
	v_add_f32_e32 v31, v31, v33
	v_sub_f32_e32 v33, v34, v36
	v_add_f32_e32 v31, v33, v31
	v_add_f32_e32 v33, v38, v31
	v_mul_f32_e32 v34, v35, v33
	v_mul_f32_e32 v36, v30, v34
	v_fma_f32 v30, v34, v30, -v36
	v_fmac_f32_e32 v30, v34, v27
	v_sub_f32_e32 v27, v38, v33
	v_add_f32_e32 v27, v31, v27
	v_add_f32_e32 v31, v36, v30
	v_sub_f32_e32 v37, v33, v31
	v_sub_f32_e32 v33, v33, v37
	;; [unrolled: 1-line block ×4, first 2 shown]
	v_add_f32_e32 v27, v27, v31
	v_sub_f32_e32 v30, v36, v30
	v_add_f32_e32 v27, v30, v27
	v_add_f32_e32 v30, v32, v34
	;; [unrolled: 1-line block ×3, first 2 shown]
	v_sub_f32_e32 v31, v30, v32
	v_mul_f32_e32 v27, v35, v27
	v_sub_f32_e32 v31, v34, v31
	v_add_f32_e32 v27, v31, v27
	v_cvt_f32_i32_e32 v26, v26
	v_add_f32_e32 v31, v30, v27
	v_mul_f32_e32 v32, v31, v31
	v_mov_b32_e32 v33, 0x3ecc95a3
	v_fmac_f32_e32 v33, 0x3e9b6dac, v32
	v_mov_b32_e32 v34, 0x3f2aaada
	v_fmac_f32_e32 v34, v32, v33
	v_mul_f32_e32 v33, 0x3f317218, v26
	v_fma_f32 v35, v26, s5, -v33
	v_fmac_f32_e32 v35, 0xb102e308, v26
	v_sub_f32_e32 v26, v31, v30
	v_sub_f32_e32 v26, v27, v26
	v_add_f32_e32 v27, v33, v35
	v_sub_f32_e32 v30, v27, v33
	v_ldexp_f32 v33, v31, 1
	v_mul_f32_e32 v31, v31, v32
	v_mul_f32_e32 v31, v31, v34
	v_add_f32_e32 v32, v33, v31
	v_sub_f32_e32 v33, v32, v33
	v_ldexp_f32 v26, v26, 1
	v_sub_f32_e32 v31, v31, v33
	v_add_f32_e32 v26, v26, v31
	v_add_f32_e32 v31, v32, v26
	v_sub_f32_e32 v32, v31, v32
	v_sub_f32_e32 v26, v26, v32
	v_add_f32_e32 v32, v27, v31
	v_sub_f32_e32 v33, v32, v27
	v_sub_f32_e32 v34, v32, v33
	;; [unrolled: 1-line block ×5, first 2 shown]
	v_add_f32_e32 v27, v31, v27
	v_add_f32_e32 v31, v30, v26
	v_sub_f32_e32 v33, v31, v30
	v_sub_f32_e32 v34, v31, v33
	;; [unrolled: 1-line block ×4, first 2 shown]
	v_add_f32_e32 v27, v31, v27
	v_add_f32_e32 v26, v26, v30
	;; [unrolled: 1-line block ×3, first 2 shown]
	v_sub_f32_e32 v31, v30, v32
	v_sub_f32_e32 v27, v27, v31
	v_add_f32_e32 v26, v26, v27
	v_add_f32_e32 v26, v30, v26
	v_cmp_neq_f32_e32 vcc, s4, v29
	s_mov_b32 s4, 0x33800000
	v_cndmask_b32_e32 v26, v28, v26, vcc
	v_cmp_lt_f32_e64 vcc, |v29|, s4
	v_cndmask_b32_e32 v26, v26, v29, vcc
	v_add_f32_e32 v14, v14, v26
	v_cvt_f16_f32_e32 v26, v14
.LBB372_184:
	s_or_b64 exec, exec, s[2:3]
	s_mov_b32 s2, 0x5040100
	v_add_u32_e32 v8, v13, v8
	v_perm_b32 v18, v18, v3, s2
	v_perm_b32 v17, v17, v2, s2
	;; [unrolled: 1-line block ×8, first 2 shown]
	s_barrier
	ds_write_b128 v8, v[0:3] offset:16
	v_perm_b32 v3, v26, v7, s2
	v_perm_b32 v2, v25, v6, s2
	;; [unrolled: 1-line block ×4, first 2 shown]
	ds_write_b128 v8, v[15:18]
	ds_write_b128 v8, v[0:3] offset:32
	s_waitcnt lgkmcnt(0)
	s_barrier
	ds_read_u16 v25, v13 offset:512
	ds_read_u16 v24, v13 offset:1024
	;; [unrolled: 1-line block ×23, first 2 shown]
	v_mov_b32_e32 v1, s1
	v_add_co_u32_e32 v0, vcc, s0, v13
	v_addc_co_u32_e32 v1, vcc, 0, v1, vcc
	s_mov_b64 s[0:1], exec
	v_readlane_b32 s2, v48, 0
	v_readlane_b32 s3, v48, 1
	s_and_b64 s[2:3], s[0:1], s[2:3]
	s_mov_b64 exec, s[2:3]
	s_cbranch_execz .LBB372_186
; %bb.185:
	ds_read_u16 v13, v13
	s_waitcnt lgkmcnt(0)
	global_store_short v[0:1], v13, off
.LBB372_186:
	s_or_b64 exec, exec, s[0:1]
	s_mov_b64 s[0:1], exec
	v_readlane_b32 s2, v48, 2
	v_readlane_b32 s3, v48, 3
	s_and_b64 s[2:3], s[0:1], s[2:3]
	s_mov_b64 exec, s[2:3]
	s_cbranch_execz .LBB372_188
; %bb.187:
	s_waitcnt lgkmcnt(14)
	global_store_short v[0:1], v25, off offset:512
.LBB372_188:
	s_or_b64 exec, exec, s[0:1]
	s_mov_b64 s[0:1], exec
	v_readlane_b32 s2, v48, 4
	v_readlane_b32 s3, v48, 5
	s_and_b64 s[2:3], s[0:1], s[2:3]
	s_mov_b64 exec, s[2:3]
	s_cbranch_execz .LBB372_190
; %bb.189:
	s_waitcnt lgkmcnt(14)
	global_store_short v[0:1], v24, off offset:1024
.LBB372_190:
	;; [unrolled: 11-line block ×5, first 2 shown]
	s_or_b64 exec, exec, s[0:1]
	s_mov_b64 s[0:1], exec
	v_readlane_b32 s2, v48, 12
	v_readlane_b32 s3, v48, 13
	s_and_b64 s[2:3], s[0:1], s[2:3]
	s_mov_b64 exec, s[2:3]
	s_cbranch_execnz .LBB372_215
; %bb.197:
	s_or_b64 exec, exec, s[0:1]
	s_and_saveexec_b64 s[0:1], s[12:13]
	s_cbranch_execnz .LBB372_216
.LBB372_198:
	s_or_b64 exec, exec, s[0:1]
	s_and_saveexec_b64 s[0:1], s[14:15]
	s_cbranch_execnz .LBB372_217
.LBB372_199:
	s_or_b64 exec, exec, s[0:1]
	s_and_saveexec_b64 s[0:1], s[16:17]
	s_cbranch_execnz .LBB372_218
.LBB372_200:
	s_or_b64 exec, exec, s[0:1]
	s_and_saveexec_b64 s[0:1], s[18:19]
	s_cbranch_execnz .LBB372_219
.LBB372_201:
	s_or_b64 exec, exec, s[0:1]
	s_and_saveexec_b64 s[0:1], s[20:21]
	s_cbranch_execnz .LBB372_220
.LBB372_202:
	s_or_b64 exec, exec, s[0:1]
	s_and_saveexec_b64 s[0:1], s[22:23]
	s_cbranch_execnz .LBB372_221
.LBB372_203:
	s_or_b64 exec, exec, s[0:1]
	s_and_saveexec_b64 s[0:1], s[24:25]
	s_cbranch_execnz .LBB372_222
.LBB372_204:
	s_or_b64 exec, exec, s[0:1]
	s_and_saveexec_b64 s[0:1], s[26:27]
	s_cbranch_execnz .LBB372_223
.LBB372_205:
	s_or_b64 exec, exec, s[0:1]
	s_and_saveexec_b64 s[0:1], s[28:29]
	s_cbranch_execnz .LBB372_224
.LBB372_206:
	s_or_b64 exec, exec, s[0:1]
	s_and_saveexec_b64 s[0:1], s[30:31]
	s_cbranch_execnz .LBB372_225
.LBB372_207:
	s_or_b64 exec, exec, s[0:1]
	s_and_saveexec_b64 s[0:1], s[34:35]
	s_cbranch_execnz .LBB372_226
.LBB372_208:
	s_or_b64 exec, exec, s[0:1]
	s_and_saveexec_b64 s[0:1], s[36:37]
	s_cbranch_execnz .LBB372_227
.LBB372_209:
	s_or_b64 exec, exec, s[0:1]
	s_and_saveexec_b64 s[0:1], s[38:39]
	s_cbranch_execnz .LBB372_228
.LBB372_210:
	s_or_b64 exec, exec, s[0:1]
	s_and_saveexec_b64 s[0:1], s[40:41]
	s_cbranch_execnz .LBB372_229
.LBB372_211:
	s_or_b64 exec, exec, s[0:1]
	s_and_saveexec_b64 s[0:1], s[42:43]
	s_cbranch_execnz .LBB372_230
.LBB372_212:
	s_or_b64 exec, exec, s[0:1]
	s_and_saveexec_b64 s[0:1], s[44:45]
	s_cbranch_execnz .LBB372_231
.LBB372_213:
	s_or_b64 exec, exec, s[0:1]
	s_and_saveexec_b64 s[0:1], s[46:47]
	s_cbranch_execnz .LBB372_232
.LBB372_214:
	s_endpgm
.LBB372_215:
	s_waitcnt lgkmcnt(14)
	global_store_short v[0:1], v20, off offset:3072
	s_or_b64 exec, exec, s[0:1]
	s_and_saveexec_b64 s[0:1], s[12:13]
	s_cbranch_execz .LBB372_198
.LBB372_216:
	s_waitcnt lgkmcnt(14)
	global_store_short v[0:1], v19, off offset:3584
	s_or_b64 exec, exec, s[0:1]
	s_and_saveexec_b64 s[0:1], s[14:15]
	s_cbranch_execz .LBB372_199
.LBB372_217:
	s_waitcnt lgkmcnt(14)
	v_add_co_u32_e32 v19, vcc, 0x1000, v0
	v_addc_co_u32_e32 v20, vcc, 0, v1, vcc
	global_store_short v[19:20], v18, off
	s_or_b64 exec, exec, s[0:1]
	s_and_saveexec_b64 s[0:1], s[16:17]
	s_cbranch_execz .LBB372_200
.LBB372_218:
	s_waitcnt lgkmcnt(14)
	v_add_co_u32_e32 v18, vcc, 0x1000, v0
	v_addc_co_u32_e32 v19, vcc, 0, v1, vcc
	global_store_short v[18:19], v17, off offset:512
	s_or_b64 exec, exec, s[0:1]
	s_and_saveexec_b64 s[0:1], s[18:19]
	s_cbranch_execz .LBB372_201
.LBB372_219:
	s_waitcnt lgkmcnt(14)
	v_add_co_u32_e32 v17, vcc, 0x1000, v0
	v_addc_co_u32_e32 v18, vcc, 0, v1, vcc
	s_waitcnt lgkmcnt(13)
	global_store_short v[17:18], v16, off offset:1024
	s_or_b64 exec, exec, s[0:1]
	s_and_saveexec_b64 s[0:1], s[20:21]
	s_cbranch_execz .LBB372_202
.LBB372_220:
	s_waitcnt lgkmcnt(13)
	v_add_co_u32_e32 v16, vcc, 0x1000, v0
	v_addc_co_u32_e32 v17, vcc, 0, v1, vcc
	s_waitcnt lgkmcnt(12)
	global_store_short v[16:17], v15, off offset:1536
	s_or_b64 exec, exec, s[0:1]
	s_and_saveexec_b64 s[0:1], s[22:23]
	s_cbranch_execz .LBB372_203
.LBB372_221:
	s_waitcnt lgkmcnt(12)
	v_add_co_u32_e32 v15, vcc, 0x1000, v0
	v_addc_co_u32_e32 v16, vcc, 0, v1, vcc
	s_waitcnt lgkmcnt(11)
	global_store_short v[15:16], v14, off offset:2048
	s_or_b64 exec, exec, s[0:1]
	s_and_saveexec_b64 s[0:1], s[24:25]
	s_cbranch_execz .LBB372_204
.LBB372_222:
	v_add_co_u32_e32 v13, vcc, 0x1000, v0
	s_waitcnt lgkmcnt(11)
	v_addc_co_u32_e32 v14, vcc, 0, v1, vcc
	s_waitcnt lgkmcnt(10)
	global_store_short v[13:14], v12, off offset:2560
	s_or_b64 exec, exec, s[0:1]
	s_and_saveexec_b64 s[0:1], s[26:27]
	s_cbranch_execz .LBB372_205
.LBB372_223:
	s_waitcnt lgkmcnt(10)
	v_add_co_u32_e32 v12, vcc, 0x1000, v0
	v_addc_co_u32_e32 v13, vcc, 0, v1, vcc
	s_waitcnt lgkmcnt(9)
	global_store_short v[12:13], v11, off offset:3072
	s_or_b64 exec, exec, s[0:1]
	s_and_saveexec_b64 s[0:1], s[28:29]
	s_cbranch_execz .LBB372_206
.LBB372_224:
	s_waitcnt lgkmcnt(9)
	v_add_co_u32_e32 v11, vcc, 0x1000, v0
	v_addc_co_u32_e32 v12, vcc, 0, v1, vcc
	s_waitcnt lgkmcnt(8)
	global_store_short v[11:12], v10, off offset:3584
	s_or_b64 exec, exec, s[0:1]
	s_and_saveexec_b64 s[0:1], s[30:31]
	s_cbranch_execz .LBB372_207
.LBB372_225:
	s_waitcnt lgkmcnt(8)
	v_add_co_u32_e32 v10, vcc, 0x2000, v0
	v_addc_co_u32_e32 v11, vcc, 0, v1, vcc
	s_waitcnt lgkmcnt(7)
	global_store_short v[10:11], v9, off
	s_or_b64 exec, exec, s[0:1]
	s_and_saveexec_b64 s[0:1], s[34:35]
	s_cbranch_execz .LBB372_208
.LBB372_226:
	s_waitcnt lgkmcnt(7)
	v_add_co_u32_e32 v9, vcc, 0x2000, v0
	v_addc_co_u32_e32 v10, vcc, 0, v1, vcc
	s_waitcnt lgkmcnt(6)
	global_store_short v[9:10], v8, off offset:512
	s_or_b64 exec, exec, s[0:1]
	s_and_saveexec_b64 s[0:1], s[36:37]
	s_cbranch_execz .LBB372_209
.LBB372_227:
	s_waitcnt lgkmcnt(6)
	v_add_co_u32_e32 v8, vcc, 0x2000, v0
	v_addc_co_u32_e32 v9, vcc, 0, v1, vcc
	s_waitcnt lgkmcnt(5)
	global_store_short v[8:9], v7, off offset:1024
	s_or_b64 exec, exec, s[0:1]
	s_and_saveexec_b64 s[0:1], s[38:39]
	s_cbranch_execz .LBB372_210
.LBB372_228:
	s_waitcnt lgkmcnt(5)
	v_add_co_u32_e32 v7, vcc, 0x2000, v0
	v_addc_co_u32_e32 v8, vcc, 0, v1, vcc
	s_waitcnt lgkmcnt(4)
	global_store_short v[7:8], v6, off offset:1536
	s_or_b64 exec, exec, s[0:1]
	s_and_saveexec_b64 s[0:1], s[40:41]
	s_cbranch_execz .LBB372_211
.LBB372_229:
	s_waitcnt lgkmcnt(4)
	v_add_co_u32_e32 v6, vcc, 0x2000, v0
	v_addc_co_u32_e32 v7, vcc, 0, v1, vcc
	s_waitcnt lgkmcnt(3)
	global_store_short v[6:7], v5, off offset:2048
	s_or_b64 exec, exec, s[0:1]
	s_and_saveexec_b64 s[0:1], s[42:43]
	s_cbranch_execz .LBB372_212
.LBB372_230:
	s_waitcnt lgkmcnt(3)
	v_add_co_u32_e32 v5, vcc, 0x2000, v0
	v_addc_co_u32_e32 v6, vcc, 0, v1, vcc
	s_waitcnt lgkmcnt(2)
	global_store_short v[5:6], v4, off offset:2560
	s_or_b64 exec, exec, s[0:1]
	s_and_saveexec_b64 s[0:1], s[44:45]
	s_cbranch_execz .LBB372_213
.LBB372_231:
	s_waitcnt lgkmcnt(2)
	v_add_co_u32_e32 v4, vcc, 0x2000, v0
	v_addc_co_u32_e32 v5, vcc, 0, v1, vcc
	s_waitcnt lgkmcnt(1)
	global_store_short v[4:5], v3, off offset:3072
	s_or_b64 exec, exec, s[0:1]
	s_and_saveexec_b64 s[0:1], s[46:47]
	s_cbranch_execz .LBB372_214
.LBB372_232:
	v_add_co_u32_e32 v0, vcc, 0x2000, v0
	v_addc_co_u32_e32 v1, vcc, 0, v1, vcc
	s_waitcnt lgkmcnt(0)
	global_store_short v[0:1], v2, off offset:3584
	s_endpgm
	.section	.rodata,"a",@progbits
	.p2align	6, 0x0
	.amdhsa_kernel _ZN7rocprim17ROCPRIM_400000_NS6detail17trampoline_kernelINS0_14default_configENS1_20scan_config_selectorIN3c104HalfEEEZZNS1_9scan_implILNS1_25lookback_scan_determinismE0ELb0ELb0ES3_PKS6_PS6_S6_ZZZN2at6native31launch_logcumsumexp_cuda_kernelERKNSD_10TensorBaseESH_lENKUlvE_clEvENKUlvE3_clEvEUlS6_S6_E_S6_EEDaPvRmT3_T4_T5_mT6_P12ihipStream_tbENKUlT_T0_E_clISt17integral_constantIbLb0EESY_EEDaST_SU_EUlST_E0_NS1_11comp_targetILNS1_3genE2ELNS1_11target_archE906ELNS1_3gpuE6ELNS1_3repE0EEENS1_30default_config_static_selectorELNS0_4arch9wavefront6targetE1EEEvT1_
		.amdhsa_group_segment_fixed_size 12288
		.amdhsa_private_segment_fixed_size 0
		.amdhsa_kernarg_size 32
		.amdhsa_user_sgpr_count 6
		.amdhsa_user_sgpr_private_segment_buffer 1
		.amdhsa_user_sgpr_dispatch_ptr 0
		.amdhsa_user_sgpr_queue_ptr 0
		.amdhsa_user_sgpr_kernarg_segment_ptr 1
		.amdhsa_user_sgpr_dispatch_id 0
		.amdhsa_user_sgpr_flat_scratch_init 0
		.amdhsa_user_sgpr_private_segment_size 0
		.amdhsa_uses_dynamic_stack 0
		.amdhsa_system_sgpr_private_segment_wavefront_offset 0
		.amdhsa_system_sgpr_workgroup_id_x 1
		.amdhsa_system_sgpr_workgroup_id_y 0
		.amdhsa_system_sgpr_workgroup_id_z 0
		.amdhsa_system_sgpr_workgroup_info 0
		.amdhsa_system_vgpr_workitem_id 0
		.amdhsa_next_free_vgpr 49
		.amdhsa_next_free_sgpr 98
		.amdhsa_reserve_vcc 1
		.amdhsa_reserve_flat_scratch 0
		.amdhsa_float_round_mode_32 0
		.amdhsa_float_round_mode_16_64 0
		.amdhsa_float_denorm_mode_32 3
		.amdhsa_float_denorm_mode_16_64 3
		.amdhsa_dx10_clamp 1
		.amdhsa_ieee_mode 1
		.amdhsa_fp16_overflow 0
		.amdhsa_exception_fp_ieee_invalid_op 0
		.amdhsa_exception_fp_denorm_src 0
		.amdhsa_exception_fp_ieee_div_zero 0
		.amdhsa_exception_fp_ieee_overflow 0
		.amdhsa_exception_fp_ieee_underflow 0
		.amdhsa_exception_fp_ieee_inexact 0
		.amdhsa_exception_int_div_zero 0
	.end_amdhsa_kernel
	.section	.text._ZN7rocprim17ROCPRIM_400000_NS6detail17trampoline_kernelINS0_14default_configENS1_20scan_config_selectorIN3c104HalfEEEZZNS1_9scan_implILNS1_25lookback_scan_determinismE0ELb0ELb0ES3_PKS6_PS6_S6_ZZZN2at6native31launch_logcumsumexp_cuda_kernelERKNSD_10TensorBaseESH_lENKUlvE_clEvENKUlvE3_clEvEUlS6_S6_E_S6_EEDaPvRmT3_T4_T5_mT6_P12ihipStream_tbENKUlT_T0_E_clISt17integral_constantIbLb0EESY_EEDaST_SU_EUlST_E0_NS1_11comp_targetILNS1_3genE2ELNS1_11target_archE906ELNS1_3gpuE6ELNS1_3repE0EEENS1_30default_config_static_selectorELNS0_4arch9wavefront6targetE1EEEvT1_,"axG",@progbits,_ZN7rocprim17ROCPRIM_400000_NS6detail17trampoline_kernelINS0_14default_configENS1_20scan_config_selectorIN3c104HalfEEEZZNS1_9scan_implILNS1_25lookback_scan_determinismE0ELb0ELb0ES3_PKS6_PS6_S6_ZZZN2at6native31launch_logcumsumexp_cuda_kernelERKNSD_10TensorBaseESH_lENKUlvE_clEvENKUlvE3_clEvEUlS6_S6_E_S6_EEDaPvRmT3_T4_T5_mT6_P12ihipStream_tbENKUlT_T0_E_clISt17integral_constantIbLb0EESY_EEDaST_SU_EUlST_E0_NS1_11comp_targetILNS1_3genE2ELNS1_11target_archE906ELNS1_3gpuE6ELNS1_3repE0EEENS1_30default_config_static_selectorELNS0_4arch9wavefront6targetE1EEEvT1_,comdat
.Lfunc_end372:
	.size	_ZN7rocprim17ROCPRIM_400000_NS6detail17trampoline_kernelINS0_14default_configENS1_20scan_config_selectorIN3c104HalfEEEZZNS1_9scan_implILNS1_25lookback_scan_determinismE0ELb0ELb0ES3_PKS6_PS6_S6_ZZZN2at6native31launch_logcumsumexp_cuda_kernelERKNSD_10TensorBaseESH_lENKUlvE_clEvENKUlvE3_clEvEUlS6_S6_E_S6_EEDaPvRmT3_T4_T5_mT6_P12ihipStream_tbENKUlT_T0_E_clISt17integral_constantIbLb0EESY_EEDaST_SU_EUlST_E0_NS1_11comp_targetILNS1_3genE2ELNS1_11target_archE906ELNS1_3gpuE6ELNS1_3repE0EEENS1_30default_config_static_selectorELNS0_4arch9wavefront6targetE1EEEvT1_, .Lfunc_end372-_ZN7rocprim17ROCPRIM_400000_NS6detail17trampoline_kernelINS0_14default_configENS1_20scan_config_selectorIN3c104HalfEEEZZNS1_9scan_implILNS1_25lookback_scan_determinismE0ELb0ELb0ES3_PKS6_PS6_S6_ZZZN2at6native31launch_logcumsumexp_cuda_kernelERKNSD_10TensorBaseESH_lENKUlvE_clEvENKUlvE3_clEvEUlS6_S6_E_S6_EEDaPvRmT3_T4_T5_mT6_P12ihipStream_tbENKUlT_T0_E_clISt17integral_constantIbLb0EESY_EEDaST_SU_EUlST_E0_NS1_11comp_targetILNS1_3genE2ELNS1_11target_archE906ELNS1_3gpuE6ELNS1_3repE0EEENS1_30default_config_static_selectorELNS0_4arch9wavefront6targetE1EEEvT1_
                                        ; -- End function
	.set _ZN7rocprim17ROCPRIM_400000_NS6detail17trampoline_kernelINS0_14default_configENS1_20scan_config_selectorIN3c104HalfEEEZZNS1_9scan_implILNS1_25lookback_scan_determinismE0ELb0ELb0ES3_PKS6_PS6_S6_ZZZN2at6native31launch_logcumsumexp_cuda_kernelERKNSD_10TensorBaseESH_lENKUlvE_clEvENKUlvE3_clEvEUlS6_S6_E_S6_EEDaPvRmT3_T4_T5_mT6_P12ihipStream_tbENKUlT_T0_E_clISt17integral_constantIbLb0EESY_EEDaST_SU_EUlST_E0_NS1_11comp_targetILNS1_3genE2ELNS1_11target_archE906ELNS1_3gpuE6ELNS1_3repE0EEENS1_30default_config_static_selectorELNS0_4arch9wavefront6targetE1EEEvT1_.num_vgpr, 49
	.set _ZN7rocprim17ROCPRIM_400000_NS6detail17trampoline_kernelINS0_14default_configENS1_20scan_config_selectorIN3c104HalfEEEZZNS1_9scan_implILNS1_25lookback_scan_determinismE0ELb0ELb0ES3_PKS6_PS6_S6_ZZZN2at6native31launch_logcumsumexp_cuda_kernelERKNSD_10TensorBaseESH_lENKUlvE_clEvENKUlvE3_clEvEUlS6_S6_E_S6_EEDaPvRmT3_T4_T5_mT6_P12ihipStream_tbENKUlT_T0_E_clISt17integral_constantIbLb0EESY_EEDaST_SU_EUlST_E0_NS1_11comp_targetILNS1_3genE2ELNS1_11target_archE906ELNS1_3gpuE6ELNS1_3repE0EEENS1_30default_config_static_selectorELNS0_4arch9wavefront6targetE1EEEvT1_.num_agpr, 0
	.set _ZN7rocprim17ROCPRIM_400000_NS6detail17trampoline_kernelINS0_14default_configENS1_20scan_config_selectorIN3c104HalfEEEZZNS1_9scan_implILNS1_25lookback_scan_determinismE0ELb0ELb0ES3_PKS6_PS6_S6_ZZZN2at6native31launch_logcumsumexp_cuda_kernelERKNSD_10TensorBaseESH_lENKUlvE_clEvENKUlvE3_clEvEUlS6_S6_E_S6_EEDaPvRmT3_T4_T5_mT6_P12ihipStream_tbENKUlT_T0_E_clISt17integral_constantIbLb0EESY_EEDaST_SU_EUlST_E0_NS1_11comp_targetILNS1_3genE2ELNS1_11target_archE906ELNS1_3gpuE6ELNS1_3repE0EEENS1_30default_config_static_selectorELNS0_4arch9wavefront6targetE1EEEvT1_.numbered_sgpr, 96
	.set _ZN7rocprim17ROCPRIM_400000_NS6detail17trampoline_kernelINS0_14default_configENS1_20scan_config_selectorIN3c104HalfEEEZZNS1_9scan_implILNS1_25lookback_scan_determinismE0ELb0ELb0ES3_PKS6_PS6_S6_ZZZN2at6native31launch_logcumsumexp_cuda_kernelERKNSD_10TensorBaseESH_lENKUlvE_clEvENKUlvE3_clEvEUlS6_S6_E_S6_EEDaPvRmT3_T4_T5_mT6_P12ihipStream_tbENKUlT_T0_E_clISt17integral_constantIbLb0EESY_EEDaST_SU_EUlST_E0_NS1_11comp_targetILNS1_3genE2ELNS1_11target_archE906ELNS1_3gpuE6ELNS1_3repE0EEENS1_30default_config_static_selectorELNS0_4arch9wavefront6targetE1EEEvT1_.num_named_barrier, 0
	.set _ZN7rocprim17ROCPRIM_400000_NS6detail17trampoline_kernelINS0_14default_configENS1_20scan_config_selectorIN3c104HalfEEEZZNS1_9scan_implILNS1_25lookback_scan_determinismE0ELb0ELb0ES3_PKS6_PS6_S6_ZZZN2at6native31launch_logcumsumexp_cuda_kernelERKNSD_10TensorBaseESH_lENKUlvE_clEvENKUlvE3_clEvEUlS6_S6_E_S6_EEDaPvRmT3_T4_T5_mT6_P12ihipStream_tbENKUlT_T0_E_clISt17integral_constantIbLb0EESY_EEDaST_SU_EUlST_E0_NS1_11comp_targetILNS1_3genE2ELNS1_11target_archE906ELNS1_3gpuE6ELNS1_3repE0EEENS1_30default_config_static_selectorELNS0_4arch9wavefront6targetE1EEEvT1_.private_seg_size, 0
	.set _ZN7rocprim17ROCPRIM_400000_NS6detail17trampoline_kernelINS0_14default_configENS1_20scan_config_selectorIN3c104HalfEEEZZNS1_9scan_implILNS1_25lookback_scan_determinismE0ELb0ELb0ES3_PKS6_PS6_S6_ZZZN2at6native31launch_logcumsumexp_cuda_kernelERKNSD_10TensorBaseESH_lENKUlvE_clEvENKUlvE3_clEvEUlS6_S6_E_S6_EEDaPvRmT3_T4_T5_mT6_P12ihipStream_tbENKUlT_T0_E_clISt17integral_constantIbLb0EESY_EEDaST_SU_EUlST_E0_NS1_11comp_targetILNS1_3genE2ELNS1_11target_archE906ELNS1_3gpuE6ELNS1_3repE0EEENS1_30default_config_static_selectorELNS0_4arch9wavefront6targetE1EEEvT1_.uses_vcc, 1
	.set _ZN7rocprim17ROCPRIM_400000_NS6detail17trampoline_kernelINS0_14default_configENS1_20scan_config_selectorIN3c104HalfEEEZZNS1_9scan_implILNS1_25lookback_scan_determinismE0ELb0ELb0ES3_PKS6_PS6_S6_ZZZN2at6native31launch_logcumsumexp_cuda_kernelERKNSD_10TensorBaseESH_lENKUlvE_clEvENKUlvE3_clEvEUlS6_S6_E_S6_EEDaPvRmT3_T4_T5_mT6_P12ihipStream_tbENKUlT_T0_E_clISt17integral_constantIbLb0EESY_EEDaST_SU_EUlST_E0_NS1_11comp_targetILNS1_3genE2ELNS1_11target_archE906ELNS1_3gpuE6ELNS1_3repE0EEENS1_30default_config_static_selectorELNS0_4arch9wavefront6targetE1EEEvT1_.uses_flat_scratch, 0
	.set _ZN7rocprim17ROCPRIM_400000_NS6detail17trampoline_kernelINS0_14default_configENS1_20scan_config_selectorIN3c104HalfEEEZZNS1_9scan_implILNS1_25lookback_scan_determinismE0ELb0ELb0ES3_PKS6_PS6_S6_ZZZN2at6native31launch_logcumsumexp_cuda_kernelERKNSD_10TensorBaseESH_lENKUlvE_clEvENKUlvE3_clEvEUlS6_S6_E_S6_EEDaPvRmT3_T4_T5_mT6_P12ihipStream_tbENKUlT_T0_E_clISt17integral_constantIbLb0EESY_EEDaST_SU_EUlST_E0_NS1_11comp_targetILNS1_3genE2ELNS1_11target_archE906ELNS1_3gpuE6ELNS1_3repE0EEENS1_30default_config_static_selectorELNS0_4arch9wavefront6targetE1EEEvT1_.has_dyn_sized_stack, 0
	.set _ZN7rocprim17ROCPRIM_400000_NS6detail17trampoline_kernelINS0_14default_configENS1_20scan_config_selectorIN3c104HalfEEEZZNS1_9scan_implILNS1_25lookback_scan_determinismE0ELb0ELb0ES3_PKS6_PS6_S6_ZZZN2at6native31launch_logcumsumexp_cuda_kernelERKNSD_10TensorBaseESH_lENKUlvE_clEvENKUlvE3_clEvEUlS6_S6_E_S6_EEDaPvRmT3_T4_T5_mT6_P12ihipStream_tbENKUlT_T0_E_clISt17integral_constantIbLb0EESY_EEDaST_SU_EUlST_E0_NS1_11comp_targetILNS1_3genE2ELNS1_11target_archE906ELNS1_3gpuE6ELNS1_3repE0EEENS1_30default_config_static_selectorELNS0_4arch9wavefront6targetE1EEEvT1_.has_recursion, 0
	.set _ZN7rocprim17ROCPRIM_400000_NS6detail17trampoline_kernelINS0_14default_configENS1_20scan_config_selectorIN3c104HalfEEEZZNS1_9scan_implILNS1_25lookback_scan_determinismE0ELb0ELb0ES3_PKS6_PS6_S6_ZZZN2at6native31launch_logcumsumexp_cuda_kernelERKNSD_10TensorBaseESH_lENKUlvE_clEvENKUlvE3_clEvEUlS6_S6_E_S6_EEDaPvRmT3_T4_T5_mT6_P12ihipStream_tbENKUlT_T0_E_clISt17integral_constantIbLb0EESY_EEDaST_SU_EUlST_E0_NS1_11comp_targetILNS1_3genE2ELNS1_11target_archE906ELNS1_3gpuE6ELNS1_3repE0EEENS1_30default_config_static_selectorELNS0_4arch9wavefront6targetE1EEEvT1_.has_indirect_call, 0
	.section	.AMDGPU.csdata,"",@progbits
; Kernel info:
; codeLenInByte = 48084
; TotalNumSgprs: 100
; NumVgprs: 49
; ScratchSize: 0
; MemoryBound: 0
; FloatMode: 240
; IeeeMode: 1
; LDSByteSize: 12288 bytes/workgroup (compile time only)
; SGPRBlocks: 12
; VGPRBlocks: 12
; NumSGPRsForWavesPerEU: 102
; NumVGPRsForWavesPerEU: 49
; Occupancy: 4
; WaveLimiterHint : 0
; COMPUTE_PGM_RSRC2:SCRATCH_EN: 0
; COMPUTE_PGM_RSRC2:USER_SGPR: 6
; COMPUTE_PGM_RSRC2:TRAP_HANDLER: 0
; COMPUTE_PGM_RSRC2:TGID_X_EN: 1
; COMPUTE_PGM_RSRC2:TGID_Y_EN: 0
; COMPUTE_PGM_RSRC2:TGID_Z_EN: 0
; COMPUTE_PGM_RSRC2:TIDIG_COMP_CNT: 0
	.section	.text._ZN7rocprim17ROCPRIM_400000_NS6detail17trampoline_kernelINS0_14default_configENS1_20scan_config_selectorIN3c104HalfEEEZZNS1_9scan_implILNS1_25lookback_scan_determinismE0ELb0ELb0ES3_PKS6_PS6_S6_ZZZN2at6native31launch_logcumsumexp_cuda_kernelERKNSD_10TensorBaseESH_lENKUlvE_clEvENKUlvE3_clEvEUlS6_S6_E_S6_EEDaPvRmT3_T4_T5_mT6_P12ihipStream_tbENKUlT_T0_E_clISt17integral_constantIbLb0EESY_EEDaST_SU_EUlST_E0_NS1_11comp_targetILNS1_3genE10ELNS1_11target_archE1201ELNS1_3gpuE5ELNS1_3repE0EEENS1_30default_config_static_selectorELNS0_4arch9wavefront6targetE1EEEvT1_,"axG",@progbits,_ZN7rocprim17ROCPRIM_400000_NS6detail17trampoline_kernelINS0_14default_configENS1_20scan_config_selectorIN3c104HalfEEEZZNS1_9scan_implILNS1_25lookback_scan_determinismE0ELb0ELb0ES3_PKS6_PS6_S6_ZZZN2at6native31launch_logcumsumexp_cuda_kernelERKNSD_10TensorBaseESH_lENKUlvE_clEvENKUlvE3_clEvEUlS6_S6_E_S6_EEDaPvRmT3_T4_T5_mT6_P12ihipStream_tbENKUlT_T0_E_clISt17integral_constantIbLb0EESY_EEDaST_SU_EUlST_E0_NS1_11comp_targetILNS1_3genE10ELNS1_11target_archE1201ELNS1_3gpuE5ELNS1_3repE0EEENS1_30default_config_static_selectorELNS0_4arch9wavefront6targetE1EEEvT1_,comdat
	.globl	_ZN7rocprim17ROCPRIM_400000_NS6detail17trampoline_kernelINS0_14default_configENS1_20scan_config_selectorIN3c104HalfEEEZZNS1_9scan_implILNS1_25lookback_scan_determinismE0ELb0ELb0ES3_PKS6_PS6_S6_ZZZN2at6native31launch_logcumsumexp_cuda_kernelERKNSD_10TensorBaseESH_lENKUlvE_clEvENKUlvE3_clEvEUlS6_S6_E_S6_EEDaPvRmT3_T4_T5_mT6_P12ihipStream_tbENKUlT_T0_E_clISt17integral_constantIbLb0EESY_EEDaST_SU_EUlST_E0_NS1_11comp_targetILNS1_3genE10ELNS1_11target_archE1201ELNS1_3gpuE5ELNS1_3repE0EEENS1_30default_config_static_selectorELNS0_4arch9wavefront6targetE1EEEvT1_ ; -- Begin function _ZN7rocprim17ROCPRIM_400000_NS6detail17trampoline_kernelINS0_14default_configENS1_20scan_config_selectorIN3c104HalfEEEZZNS1_9scan_implILNS1_25lookback_scan_determinismE0ELb0ELb0ES3_PKS6_PS6_S6_ZZZN2at6native31launch_logcumsumexp_cuda_kernelERKNSD_10TensorBaseESH_lENKUlvE_clEvENKUlvE3_clEvEUlS6_S6_E_S6_EEDaPvRmT3_T4_T5_mT6_P12ihipStream_tbENKUlT_T0_E_clISt17integral_constantIbLb0EESY_EEDaST_SU_EUlST_E0_NS1_11comp_targetILNS1_3genE10ELNS1_11target_archE1201ELNS1_3gpuE5ELNS1_3repE0EEENS1_30default_config_static_selectorELNS0_4arch9wavefront6targetE1EEEvT1_
	.p2align	8
	.type	_ZN7rocprim17ROCPRIM_400000_NS6detail17trampoline_kernelINS0_14default_configENS1_20scan_config_selectorIN3c104HalfEEEZZNS1_9scan_implILNS1_25lookback_scan_determinismE0ELb0ELb0ES3_PKS6_PS6_S6_ZZZN2at6native31launch_logcumsumexp_cuda_kernelERKNSD_10TensorBaseESH_lENKUlvE_clEvENKUlvE3_clEvEUlS6_S6_E_S6_EEDaPvRmT3_T4_T5_mT6_P12ihipStream_tbENKUlT_T0_E_clISt17integral_constantIbLb0EESY_EEDaST_SU_EUlST_E0_NS1_11comp_targetILNS1_3genE10ELNS1_11target_archE1201ELNS1_3gpuE5ELNS1_3repE0EEENS1_30default_config_static_selectorELNS0_4arch9wavefront6targetE1EEEvT1_,@function
_ZN7rocprim17ROCPRIM_400000_NS6detail17trampoline_kernelINS0_14default_configENS1_20scan_config_selectorIN3c104HalfEEEZZNS1_9scan_implILNS1_25lookback_scan_determinismE0ELb0ELb0ES3_PKS6_PS6_S6_ZZZN2at6native31launch_logcumsumexp_cuda_kernelERKNSD_10TensorBaseESH_lENKUlvE_clEvENKUlvE3_clEvEUlS6_S6_E_S6_EEDaPvRmT3_T4_T5_mT6_P12ihipStream_tbENKUlT_T0_E_clISt17integral_constantIbLb0EESY_EEDaST_SU_EUlST_E0_NS1_11comp_targetILNS1_3genE10ELNS1_11target_archE1201ELNS1_3gpuE5ELNS1_3repE0EEENS1_30default_config_static_selectorELNS0_4arch9wavefront6targetE1EEEvT1_: ; @_ZN7rocprim17ROCPRIM_400000_NS6detail17trampoline_kernelINS0_14default_configENS1_20scan_config_selectorIN3c104HalfEEEZZNS1_9scan_implILNS1_25lookback_scan_determinismE0ELb0ELb0ES3_PKS6_PS6_S6_ZZZN2at6native31launch_logcumsumexp_cuda_kernelERKNSD_10TensorBaseESH_lENKUlvE_clEvENKUlvE3_clEvEUlS6_S6_E_S6_EEDaPvRmT3_T4_T5_mT6_P12ihipStream_tbENKUlT_T0_E_clISt17integral_constantIbLb0EESY_EEDaST_SU_EUlST_E0_NS1_11comp_targetILNS1_3genE10ELNS1_11target_archE1201ELNS1_3gpuE5ELNS1_3repE0EEENS1_30default_config_static_selectorELNS0_4arch9wavefront6targetE1EEEvT1_
; %bb.0:
	.section	.rodata,"a",@progbits
	.p2align	6, 0x0
	.amdhsa_kernel _ZN7rocprim17ROCPRIM_400000_NS6detail17trampoline_kernelINS0_14default_configENS1_20scan_config_selectorIN3c104HalfEEEZZNS1_9scan_implILNS1_25lookback_scan_determinismE0ELb0ELb0ES3_PKS6_PS6_S6_ZZZN2at6native31launch_logcumsumexp_cuda_kernelERKNSD_10TensorBaseESH_lENKUlvE_clEvENKUlvE3_clEvEUlS6_S6_E_S6_EEDaPvRmT3_T4_T5_mT6_P12ihipStream_tbENKUlT_T0_E_clISt17integral_constantIbLb0EESY_EEDaST_SU_EUlST_E0_NS1_11comp_targetILNS1_3genE10ELNS1_11target_archE1201ELNS1_3gpuE5ELNS1_3repE0EEENS1_30default_config_static_selectorELNS0_4arch9wavefront6targetE1EEEvT1_
		.amdhsa_group_segment_fixed_size 0
		.amdhsa_private_segment_fixed_size 0
		.amdhsa_kernarg_size 32
		.amdhsa_user_sgpr_count 6
		.amdhsa_user_sgpr_private_segment_buffer 1
		.amdhsa_user_sgpr_dispatch_ptr 0
		.amdhsa_user_sgpr_queue_ptr 0
		.amdhsa_user_sgpr_kernarg_segment_ptr 1
		.amdhsa_user_sgpr_dispatch_id 0
		.amdhsa_user_sgpr_flat_scratch_init 0
		.amdhsa_user_sgpr_private_segment_size 0
		.amdhsa_uses_dynamic_stack 0
		.amdhsa_system_sgpr_private_segment_wavefront_offset 0
		.amdhsa_system_sgpr_workgroup_id_x 1
		.amdhsa_system_sgpr_workgroup_id_y 0
		.amdhsa_system_sgpr_workgroup_id_z 0
		.amdhsa_system_sgpr_workgroup_info 0
		.amdhsa_system_vgpr_workitem_id 0
		.amdhsa_next_free_vgpr 1
		.amdhsa_next_free_sgpr 0
		.amdhsa_reserve_vcc 0
		.amdhsa_reserve_flat_scratch 0
		.amdhsa_float_round_mode_32 0
		.amdhsa_float_round_mode_16_64 0
		.amdhsa_float_denorm_mode_32 3
		.amdhsa_float_denorm_mode_16_64 3
		.amdhsa_dx10_clamp 1
		.amdhsa_ieee_mode 1
		.amdhsa_fp16_overflow 0
		.amdhsa_exception_fp_ieee_invalid_op 0
		.amdhsa_exception_fp_denorm_src 0
		.amdhsa_exception_fp_ieee_div_zero 0
		.amdhsa_exception_fp_ieee_overflow 0
		.amdhsa_exception_fp_ieee_underflow 0
		.amdhsa_exception_fp_ieee_inexact 0
		.amdhsa_exception_int_div_zero 0
	.end_amdhsa_kernel
	.section	.text._ZN7rocprim17ROCPRIM_400000_NS6detail17trampoline_kernelINS0_14default_configENS1_20scan_config_selectorIN3c104HalfEEEZZNS1_9scan_implILNS1_25lookback_scan_determinismE0ELb0ELb0ES3_PKS6_PS6_S6_ZZZN2at6native31launch_logcumsumexp_cuda_kernelERKNSD_10TensorBaseESH_lENKUlvE_clEvENKUlvE3_clEvEUlS6_S6_E_S6_EEDaPvRmT3_T4_T5_mT6_P12ihipStream_tbENKUlT_T0_E_clISt17integral_constantIbLb0EESY_EEDaST_SU_EUlST_E0_NS1_11comp_targetILNS1_3genE10ELNS1_11target_archE1201ELNS1_3gpuE5ELNS1_3repE0EEENS1_30default_config_static_selectorELNS0_4arch9wavefront6targetE1EEEvT1_,"axG",@progbits,_ZN7rocprim17ROCPRIM_400000_NS6detail17trampoline_kernelINS0_14default_configENS1_20scan_config_selectorIN3c104HalfEEEZZNS1_9scan_implILNS1_25lookback_scan_determinismE0ELb0ELb0ES3_PKS6_PS6_S6_ZZZN2at6native31launch_logcumsumexp_cuda_kernelERKNSD_10TensorBaseESH_lENKUlvE_clEvENKUlvE3_clEvEUlS6_S6_E_S6_EEDaPvRmT3_T4_T5_mT6_P12ihipStream_tbENKUlT_T0_E_clISt17integral_constantIbLb0EESY_EEDaST_SU_EUlST_E0_NS1_11comp_targetILNS1_3genE10ELNS1_11target_archE1201ELNS1_3gpuE5ELNS1_3repE0EEENS1_30default_config_static_selectorELNS0_4arch9wavefront6targetE1EEEvT1_,comdat
.Lfunc_end373:
	.size	_ZN7rocprim17ROCPRIM_400000_NS6detail17trampoline_kernelINS0_14default_configENS1_20scan_config_selectorIN3c104HalfEEEZZNS1_9scan_implILNS1_25lookback_scan_determinismE0ELb0ELb0ES3_PKS6_PS6_S6_ZZZN2at6native31launch_logcumsumexp_cuda_kernelERKNSD_10TensorBaseESH_lENKUlvE_clEvENKUlvE3_clEvEUlS6_S6_E_S6_EEDaPvRmT3_T4_T5_mT6_P12ihipStream_tbENKUlT_T0_E_clISt17integral_constantIbLb0EESY_EEDaST_SU_EUlST_E0_NS1_11comp_targetILNS1_3genE10ELNS1_11target_archE1201ELNS1_3gpuE5ELNS1_3repE0EEENS1_30default_config_static_selectorELNS0_4arch9wavefront6targetE1EEEvT1_, .Lfunc_end373-_ZN7rocprim17ROCPRIM_400000_NS6detail17trampoline_kernelINS0_14default_configENS1_20scan_config_selectorIN3c104HalfEEEZZNS1_9scan_implILNS1_25lookback_scan_determinismE0ELb0ELb0ES3_PKS6_PS6_S6_ZZZN2at6native31launch_logcumsumexp_cuda_kernelERKNSD_10TensorBaseESH_lENKUlvE_clEvENKUlvE3_clEvEUlS6_S6_E_S6_EEDaPvRmT3_T4_T5_mT6_P12ihipStream_tbENKUlT_T0_E_clISt17integral_constantIbLb0EESY_EEDaST_SU_EUlST_E0_NS1_11comp_targetILNS1_3genE10ELNS1_11target_archE1201ELNS1_3gpuE5ELNS1_3repE0EEENS1_30default_config_static_selectorELNS0_4arch9wavefront6targetE1EEEvT1_
                                        ; -- End function
	.set _ZN7rocprim17ROCPRIM_400000_NS6detail17trampoline_kernelINS0_14default_configENS1_20scan_config_selectorIN3c104HalfEEEZZNS1_9scan_implILNS1_25lookback_scan_determinismE0ELb0ELb0ES3_PKS6_PS6_S6_ZZZN2at6native31launch_logcumsumexp_cuda_kernelERKNSD_10TensorBaseESH_lENKUlvE_clEvENKUlvE3_clEvEUlS6_S6_E_S6_EEDaPvRmT3_T4_T5_mT6_P12ihipStream_tbENKUlT_T0_E_clISt17integral_constantIbLb0EESY_EEDaST_SU_EUlST_E0_NS1_11comp_targetILNS1_3genE10ELNS1_11target_archE1201ELNS1_3gpuE5ELNS1_3repE0EEENS1_30default_config_static_selectorELNS0_4arch9wavefront6targetE1EEEvT1_.num_vgpr, 0
	.set _ZN7rocprim17ROCPRIM_400000_NS6detail17trampoline_kernelINS0_14default_configENS1_20scan_config_selectorIN3c104HalfEEEZZNS1_9scan_implILNS1_25lookback_scan_determinismE0ELb0ELb0ES3_PKS6_PS6_S6_ZZZN2at6native31launch_logcumsumexp_cuda_kernelERKNSD_10TensorBaseESH_lENKUlvE_clEvENKUlvE3_clEvEUlS6_S6_E_S6_EEDaPvRmT3_T4_T5_mT6_P12ihipStream_tbENKUlT_T0_E_clISt17integral_constantIbLb0EESY_EEDaST_SU_EUlST_E0_NS1_11comp_targetILNS1_3genE10ELNS1_11target_archE1201ELNS1_3gpuE5ELNS1_3repE0EEENS1_30default_config_static_selectorELNS0_4arch9wavefront6targetE1EEEvT1_.num_agpr, 0
	.set _ZN7rocprim17ROCPRIM_400000_NS6detail17trampoline_kernelINS0_14default_configENS1_20scan_config_selectorIN3c104HalfEEEZZNS1_9scan_implILNS1_25lookback_scan_determinismE0ELb0ELb0ES3_PKS6_PS6_S6_ZZZN2at6native31launch_logcumsumexp_cuda_kernelERKNSD_10TensorBaseESH_lENKUlvE_clEvENKUlvE3_clEvEUlS6_S6_E_S6_EEDaPvRmT3_T4_T5_mT6_P12ihipStream_tbENKUlT_T0_E_clISt17integral_constantIbLb0EESY_EEDaST_SU_EUlST_E0_NS1_11comp_targetILNS1_3genE10ELNS1_11target_archE1201ELNS1_3gpuE5ELNS1_3repE0EEENS1_30default_config_static_selectorELNS0_4arch9wavefront6targetE1EEEvT1_.numbered_sgpr, 0
	.set _ZN7rocprim17ROCPRIM_400000_NS6detail17trampoline_kernelINS0_14default_configENS1_20scan_config_selectorIN3c104HalfEEEZZNS1_9scan_implILNS1_25lookback_scan_determinismE0ELb0ELb0ES3_PKS6_PS6_S6_ZZZN2at6native31launch_logcumsumexp_cuda_kernelERKNSD_10TensorBaseESH_lENKUlvE_clEvENKUlvE3_clEvEUlS6_S6_E_S6_EEDaPvRmT3_T4_T5_mT6_P12ihipStream_tbENKUlT_T0_E_clISt17integral_constantIbLb0EESY_EEDaST_SU_EUlST_E0_NS1_11comp_targetILNS1_3genE10ELNS1_11target_archE1201ELNS1_3gpuE5ELNS1_3repE0EEENS1_30default_config_static_selectorELNS0_4arch9wavefront6targetE1EEEvT1_.num_named_barrier, 0
	.set _ZN7rocprim17ROCPRIM_400000_NS6detail17trampoline_kernelINS0_14default_configENS1_20scan_config_selectorIN3c104HalfEEEZZNS1_9scan_implILNS1_25lookback_scan_determinismE0ELb0ELb0ES3_PKS6_PS6_S6_ZZZN2at6native31launch_logcumsumexp_cuda_kernelERKNSD_10TensorBaseESH_lENKUlvE_clEvENKUlvE3_clEvEUlS6_S6_E_S6_EEDaPvRmT3_T4_T5_mT6_P12ihipStream_tbENKUlT_T0_E_clISt17integral_constantIbLb0EESY_EEDaST_SU_EUlST_E0_NS1_11comp_targetILNS1_3genE10ELNS1_11target_archE1201ELNS1_3gpuE5ELNS1_3repE0EEENS1_30default_config_static_selectorELNS0_4arch9wavefront6targetE1EEEvT1_.private_seg_size, 0
	.set _ZN7rocprim17ROCPRIM_400000_NS6detail17trampoline_kernelINS0_14default_configENS1_20scan_config_selectorIN3c104HalfEEEZZNS1_9scan_implILNS1_25lookback_scan_determinismE0ELb0ELb0ES3_PKS6_PS6_S6_ZZZN2at6native31launch_logcumsumexp_cuda_kernelERKNSD_10TensorBaseESH_lENKUlvE_clEvENKUlvE3_clEvEUlS6_S6_E_S6_EEDaPvRmT3_T4_T5_mT6_P12ihipStream_tbENKUlT_T0_E_clISt17integral_constantIbLb0EESY_EEDaST_SU_EUlST_E0_NS1_11comp_targetILNS1_3genE10ELNS1_11target_archE1201ELNS1_3gpuE5ELNS1_3repE0EEENS1_30default_config_static_selectorELNS0_4arch9wavefront6targetE1EEEvT1_.uses_vcc, 0
	.set _ZN7rocprim17ROCPRIM_400000_NS6detail17trampoline_kernelINS0_14default_configENS1_20scan_config_selectorIN3c104HalfEEEZZNS1_9scan_implILNS1_25lookback_scan_determinismE0ELb0ELb0ES3_PKS6_PS6_S6_ZZZN2at6native31launch_logcumsumexp_cuda_kernelERKNSD_10TensorBaseESH_lENKUlvE_clEvENKUlvE3_clEvEUlS6_S6_E_S6_EEDaPvRmT3_T4_T5_mT6_P12ihipStream_tbENKUlT_T0_E_clISt17integral_constantIbLb0EESY_EEDaST_SU_EUlST_E0_NS1_11comp_targetILNS1_3genE10ELNS1_11target_archE1201ELNS1_3gpuE5ELNS1_3repE0EEENS1_30default_config_static_selectorELNS0_4arch9wavefront6targetE1EEEvT1_.uses_flat_scratch, 0
	.set _ZN7rocprim17ROCPRIM_400000_NS6detail17trampoline_kernelINS0_14default_configENS1_20scan_config_selectorIN3c104HalfEEEZZNS1_9scan_implILNS1_25lookback_scan_determinismE0ELb0ELb0ES3_PKS6_PS6_S6_ZZZN2at6native31launch_logcumsumexp_cuda_kernelERKNSD_10TensorBaseESH_lENKUlvE_clEvENKUlvE3_clEvEUlS6_S6_E_S6_EEDaPvRmT3_T4_T5_mT6_P12ihipStream_tbENKUlT_T0_E_clISt17integral_constantIbLb0EESY_EEDaST_SU_EUlST_E0_NS1_11comp_targetILNS1_3genE10ELNS1_11target_archE1201ELNS1_3gpuE5ELNS1_3repE0EEENS1_30default_config_static_selectorELNS0_4arch9wavefront6targetE1EEEvT1_.has_dyn_sized_stack, 0
	.set _ZN7rocprim17ROCPRIM_400000_NS6detail17trampoline_kernelINS0_14default_configENS1_20scan_config_selectorIN3c104HalfEEEZZNS1_9scan_implILNS1_25lookback_scan_determinismE0ELb0ELb0ES3_PKS6_PS6_S6_ZZZN2at6native31launch_logcumsumexp_cuda_kernelERKNSD_10TensorBaseESH_lENKUlvE_clEvENKUlvE3_clEvEUlS6_S6_E_S6_EEDaPvRmT3_T4_T5_mT6_P12ihipStream_tbENKUlT_T0_E_clISt17integral_constantIbLb0EESY_EEDaST_SU_EUlST_E0_NS1_11comp_targetILNS1_3genE10ELNS1_11target_archE1201ELNS1_3gpuE5ELNS1_3repE0EEENS1_30default_config_static_selectorELNS0_4arch9wavefront6targetE1EEEvT1_.has_recursion, 0
	.set _ZN7rocprim17ROCPRIM_400000_NS6detail17trampoline_kernelINS0_14default_configENS1_20scan_config_selectorIN3c104HalfEEEZZNS1_9scan_implILNS1_25lookback_scan_determinismE0ELb0ELb0ES3_PKS6_PS6_S6_ZZZN2at6native31launch_logcumsumexp_cuda_kernelERKNSD_10TensorBaseESH_lENKUlvE_clEvENKUlvE3_clEvEUlS6_S6_E_S6_EEDaPvRmT3_T4_T5_mT6_P12ihipStream_tbENKUlT_T0_E_clISt17integral_constantIbLb0EESY_EEDaST_SU_EUlST_E0_NS1_11comp_targetILNS1_3genE10ELNS1_11target_archE1201ELNS1_3gpuE5ELNS1_3repE0EEENS1_30default_config_static_selectorELNS0_4arch9wavefront6targetE1EEEvT1_.has_indirect_call, 0
	.section	.AMDGPU.csdata,"",@progbits
; Kernel info:
; codeLenInByte = 0
; TotalNumSgprs: 4
; NumVgprs: 0
; ScratchSize: 0
; MemoryBound: 0
; FloatMode: 240
; IeeeMode: 1
; LDSByteSize: 0 bytes/workgroup (compile time only)
; SGPRBlocks: 0
; VGPRBlocks: 0
; NumSGPRsForWavesPerEU: 4
; NumVGPRsForWavesPerEU: 1
; Occupancy: 10
; WaveLimiterHint : 0
; COMPUTE_PGM_RSRC2:SCRATCH_EN: 0
; COMPUTE_PGM_RSRC2:USER_SGPR: 6
; COMPUTE_PGM_RSRC2:TRAP_HANDLER: 0
; COMPUTE_PGM_RSRC2:TGID_X_EN: 1
; COMPUTE_PGM_RSRC2:TGID_Y_EN: 0
; COMPUTE_PGM_RSRC2:TGID_Z_EN: 0
; COMPUTE_PGM_RSRC2:TIDIG_COMP_CNT: 0
	.section	.text._ZN7rocprim17ROCPRIM_400000_NS6detail17trampoline_kernelINS0_14default_configENS1_20scan_config_selectorIN3c104HalfEEEZZNS1_9scan_implILNS1_25lookback_scan_determinismE0ELb0ELb0ES3_PKS6_PS6_S6_ZZZN2at6native31launch_logcumsumexp_cuda_kernelERKNSD_10TensorBaseESH_lENKUlvE_clEvENKUlvE3_clEvEUlS6_S6_E_S6_EEDaPvRmT3_T4_T5_mT6_P12ihipStream_tbENKUlT_T0_E_clISt17integral_constantIbLb0EESY_EEDaST_SU_EUlST_E0_NS1_11comp_targetILNS1_3genE10ELNS1_11target_archE1200ELNS1_3gpuE4ELNS1_3repE0EEENS1_30default_config_static_selectorELNS0_4arch9wavefront6targetE1EEEvT1_,"axG",@progbits,_ZN7rocprim17ROCPRIM_400000_NS6detail17trampoline_kernelINS0_14default_configENS1_20scan_config_selectorIN3c104HalfEEEZZNS1_9scan_implILNS1_25lookback_scan_determinismE0ELb0ELb0ES3_PKS6_PS6_S6_ZZZN2at6native31launch_logcumsumexp_cuda_kernelERKNSD_10TensorBaseESH_lENKUlvE_clEvENKUlvE3_clEvEUlS6_S6_E_S6_EEDaPvRmT3_T4_T5_mT6_P12ihipStream_tbENKUlT_T0_E_clISt17integral_constantIbLb0EESY_EEDaST_SU_EUlST_E0_NS1_11comp_targetILNS1_3genE10ELNS1_11target_archE1200ELNS1_3gpuE4ELNS1_3repE0EEENS1_30default_config_static_selectorELNS0_4arch9wavefront6targetE1EEEvT1_,comdat
	.globl	_ZN7rocprim17ROCPRIM_400000_NS6detail17trampoline_kernelINS0_14default_configENS1_20scan_config_selectorIN3c104HalfEEEZZNS1_9scan_implILNS1_25lookback_scan_determinismE0ELb0ELb0ES3_PKS6_PS6_S6_ZZZN2at6native31launch_logcumsumexp_cuda_kernelERKNSD_10TensorBaseESH_lENKUlvE_clEvENKUlvE3_clEvEUlS6_S6_E_S6_EEDaPvRmT3_T4_T5_mT6_P12ihipStream_tbENKUlT_T0_E_clISt17integral_constantIbLb0EESY_EEDaST_SU_EUlST_E0_NS1_11comp_targetILNS1_3genE10ELNS1_11target_archE1200ELNS1_3gpuE4ELNS1_3repE0EEENS1_30default_config_static_selectorELNS0_4arch9wavefront6targetE1EEEvT1_ ; -- Begin function _ZN7rocprim17ROCPRIM_400000_NS6detail17trampoline_kernelINS0_14default_configENS1_20scan_config_selectorIN3c104HalfEEEZZNS1_9scan_implILNS1_25lookback_scan_determinismE0ELb0ELb0ES3_PKS6_PS6_S6_ZZZN2at6native31launch_logcumsumexp_cuda_kernelERKNSD_10TensorBaseESH_lENKUlvE_clEvENKUlvE3_clEvEUlS6_S6_E_S6_EEDaPvRmT3_T4_T5_mT6_P12ihipStream_tbENKUlT_T0_E_clISt17integral_constantIbLb0EESY_EEDaST_SU_EUlST_E0_NS1_11comp_targetILNS1_3genE10ELNS1_11target_archE1200ELNS1_3gpuE4ELNS1_3repE0EEENS1_30default_config_static_selectorELNS0_4arch9wavefront6targetE1EEEvT1_
	.p2align	8
	.type	_ZN7rocprim17ROCPRIM_400000_NS6detail17trampoline_kernelINS0_14default_configENS1_20scan_config_selectorIN3c104HalfEEEZZNS1_9scan_implILNS1_25lookback_scan_determinismE0ELb0ELb0ES3_PKS6_PS6_S6_ZZZN2at6native31launch_logcumsumexp_cuda_kernelERKNSD_10TensorBaseESH_lENKUlvE_clEvENKUlvE3_clEvEUlS6_S6_E_S6_EEDaPvRmT3_T4_T5_mT6_P12ihipStream_tbENKUlT_T0_E_clISt17integral_constantIbLb0EESY_EEDaST_SU_EUlST_E0_NS1_11comp_targetILNS1_3genE10ELNS1_11target_archE1200ELNS1_3gpuE4ELNS1_3repE0EEENS1_30default_config_static_selectorELNS0_4arch9wavefront6targetE1EEEvT1_,@function
_ZN7rocprim17ROCPRIM_400000_NS6detail17trampoline_kernelINS0_14default_configENS1_20scan_config_selectorIN3c104HalfEEEZZNS1_9scan_implILNS1_25lookback_scan_determinismE0ELb0ELb0ES3_PKS6_PS6_S6_ZZZN2at6native31launch_logcumsumexp_cuda_kernelERKNSD_10TensorBaseESH_lENKUlvE_clEvENKUlvE3_clEvEUlS6_S6_E_S6_EEDaPvRmT3_T4_T5_mT6_P12ihipStream_tbENKUlT_T0_E_clISt17integral_constantIbLb0EESY_EEDaST_SU_EUlST_E0_NS1_11comp_targetILNS1_3genE10ELNS1_11target_archE1200ELNS1_3gpuE4ELNS1_3repE0EEENS1_30default_config_static_selectorELNS0_4arch9wavefront6targetE1EEEvT1_: ; @_ZN7rocprim17ROCPRIM_400000_NS6detail17trampoline_kernelINS0_14default_configENS1_20scan_config_selectorIN3c104HalfEEEZZNS1_9scan_implILNS1_25lookback_scan_determinismE0ELb0ELb0ES3_PKS6_PS6_S6_ZZZN2at6native31launch_logcumsumexp_cuda_kernelERKNSD_10TensorBaseESH_lENKUlvE_clEvENKUlvE3_clEvEUlS6_S6_E_S6_EEDaPvRmT3_T4_T5_mT6_P12ihipStream_tbENKUlT_T0_E_clISt17integral_constantIbLb0EESY_EEDaST_SU_EUlST_E0_NS1_11comp_targetILNS1_3genE10ELNS1_11target_archE1200ELNS1_3gpuE4ELNS1_3repE0EEENS1_30default_config_static_selectorELNS0_4arch9wavefront6targetE1EEEvT1_
; %bb.0:
	.section	.rodata,"a",@progbits
	.p2align	6, 0x0
	.amdhsa_kernel _ZN7rocprim17ROCPRIM_400000_NS6detail17trampoline_kernelINS0_14default_configENS1_20scan_config_selectorIN3c104HalfEEEZZNS1_9scan_implILNS1_25lookback_scan_determinismE0ELb0ELb0ES3_PKS6_PS6_S6_ZZZN2at6native31launch_logcumsumexp_cuda_kernelERKNSD_10TensorBaseESH_lENKUlvE_clEvENKUlvE3_clEvEUlS6_S6_E_S6_EEDaPvRmT3_T4_T5_mT6_P12ihipStream_tbENKUlT_T0_E_clISt17integral_constantIbLb0EESY_EEDaST_SU_EUlST_E0_NS1_11comp_targetILNS1_3genE10ELNS1_11target_archE1200ELNS1_3gpuE4ELNS1_3repE0EEENS1_30default_config_static_selectorELNS0_4arch9wavefront6targetE1EEEvT1_
		.amdhsa_group_segment_fixed_size 0
		.amdhsa_private_segment_fixed_size 0
		.amdhsa_kernarg_size 32
		.amdhsa_user_sgpr_count 6
		.amdhsa_user_sgpr_private_segment_buffer 1
		.amdhsa_user_sgpr_dispatch_ptr 0
		.amdhsa_user_sgpr_queue_ptr 0
		.amdhsa_user_sgpr_kernarg_segment_ptr 1
		.amdhsa_user_sgpr_dispatch_id 0
		.amdhsa_user_sgpr_flat_scratch_init 0
		.amdhsa_user_sgpr_private_segment_size 0
		.amdhsa_uses_dynamic_stack 0
		.amdhsa_system_sgpr_private_segment_wavefront_offset 0
		.amdhsa_system_sgpr_workgroup_id_x 1
		.amdhsa_system_sgpr_workgroup_id_y 0
		.amdhsa_system_sgpr_workgroup_id_z 0
		.amdhsa_system_sgpr_workgroup_info 0
		.amdhsa_system_vgpr_workitem_id 0
		.amdhsa_next_free_vgpr 1
		.amdhsa_next_free_sgpr 0
		.amdhsa_reserve_vcc 0
		.amdhsa_reserve_flat_scratch 0
		.amdhsa_float_round_mode_32 0
		.amdhsa_float_round_mode_16_64 0
		.amdhsa_float_denorm_mode_32 3
		.amdhsa_float_denorm_mode_16_64 3
		.amdhsa_dx10_clamp 1
		.amdhsa_ieee_mode 1
		.amdhsa_fp16_overflow 0
		.amdhsa_exception_fp_ieee_invalid_op 0
		.amdhsa_exception_fp_denorm_src 0
		.amdhsa_exception_fp_ieee_div_zero 0
		.amdhsa_exception_fp_ieee_overflow 0
		.amdhsa_exception_fp_ieee_underflow 0
		.amdhsa_exception_fp_ieee_inexact 0
		.amdhsa_exception_int_div_zero 0
	.end_amdhsa_kernel
	.section	.text._ZN7rocprim17ROCPRIM_400000_NS6detail17trampoline_kernelINS0_14default_configENS1_20scan_config_selectorIN3c104HalfEEEZZNS1_9scan_implILNS1_25lookback_scan_determinismE0ELb0ELb0ES3_PKS6_PS6_S6_ZZZN2at6native31launch_logcumsumexp_cuda_kernelERKNSD_10TensorBaseESH_lENKUlvE_clEvENKUlvE3_clEvEUlS6_S6_E_S6_EEDaPvRmT3_T4_T5_mT6_P12ihipStream_tbENKUlT_T0_E_clISt17integral_constantIbLb0EESY_EEDaST_SU_EUlST_E0_NS1_11comp_targetILNS1_3genE10ELNS1_11target_archE1200ELNS1_3gpuE4ELNS1_3repE0EEENS1_30default_config_static_selectorELNS0_4arch9wavefront6targetE1EEEvT1_,"axG",@progbits,_ZN7rocprim17ROCPRIM_400000_NS6detail17trampoline_kernelINS0_14default_configENS1_20scan_config_selectorIN3c104HalfEEEZZNS1_9scan_implILNS1_25lookback_scan_determinismE0ELb0ELb0ES3_PKS6_PS6_S6_ZZZN2at6native31launch_logcumsumexp_cuda_kernelERKNSD_10TensorBaseESH_lENKUlvE_clEvENKUlvE3_clEvEUlS6_S6_E_S6_EEDaPvRmT3_T4_T5_mT6_P12ihipStream_tbENKUlT_T0_E_clISt17integral_constantIbLb0EESY_EEDaST_SU_EUlST_E0_NS1_11comp_targetILNS1_3genE10ELNS1_11target_archE1200ELNS1_3gpuE4ELNS1_3repE0EEENS1_30default_config_static_selectorELNS0_4arch9wavefront6targetE1EEEvT1_,comdat
.Lfunc_end374:
	.size	_ZN7rocprim17ROCPRIM_400000_NS6detail17trampoline_kernelINS0_14default_configENS1_20scan_config_selectorIN3c104HalfEEEZZNS1_9scan_implILNS1_25lookback_scan_determinismE0ELb0ELb0ES3_PKS6_PS6_S6_ZZZN2at6native31launch_logcumsumexp_cuda_kernelERKNSD_10TensorBaseESH_lENKUlvE_clEvENKUlvE3_clEvEUlS6_S6_E_S6_EEDaPvRmT3_T4_T5_mT6_P12ihipStream_tbENKUlT_T0_E_clISt17integral_constantIbLb0EESY_EEDaST_SU_EUlST_E0_NS1_11comp_targetILNS1_3genE10ELNS1_11target_archE1200ELNS1_3gpuE4ELNS1_3repE0EEENS1_30default_config_static_selectorELNS0_4arch9wavefront6targetE1EEEvT1_, .Lfunc_end374-_ZN7rocprim17ROCPRIM_400000_NS6detail17trampoline_kernelINS0_14default_configENS1_20scan_config_selectorIN3c104HalfEEEZZNS1_9scan_implILNS1_25lookback_scan_determinismE0ELb0ELb0ES3_PKS6_PS6_S6_ZZZN2at6native31launch_logcumsumexp_cuda_kernelERKNSD_10TensorBaseESH_lENKUlvE_clEvENKUlvE3_clEvEUlS6_S6_E_S6_EEDaPvRmT3_T4_T5_mT6_P12ihipStream_tbENKUlT_T0_E_clISt17integral_constantIbLb0EESY_EEDaST_SU_EUlST_E0_NS1_11comp_targetILNS1_3genE10ELNS1_11target_archE1200ELNS1_3gpuE4ELNS1_3repE0EEENS1_30default_config_static_selectorELNS0_4arch9wavefront6targetE1EEEvT1_
                                        ; -- End function
	.set _ZN7rocprim17ROCPRIM_400000_NS6detail17trampoline_kernelINS0_14default_configENS1_20scan_config_selectorIN3c104HalfEEEZZNS1_9scan_implILNS1_25lookback_scan_determinismE0ELb0ELb0ES3_PKS6_PS6_S6_ZZZN2at6native31launch_logcumsumexp_cuda_kernelERKNSD_10TensorBaseESH_lENKUlvE_clEvENKUlvE3_clEvEUlS6_S6_E_S6_EEDaPvRmT3_T4_T5_mT6_P12ihipStream_tbENKUlT_T0_E_clISt17integral_constantIbLb0EESY_EEDaST_SU_EUlST_E0_NS1_11comp_targetILNS1_3genE10ELNS1_11target_archE1200ELNS1_3gpuE4ELNS1_3repE0EEENS1_30default_config_static_selectorELNS0_4arch9wavefront6targetE1EEEvT1_.num_vgpr, 0
	.set _ZN7rocprim17ROCPRIM_400000_NS6detail17trampoline_kernelINS0_14default_configENS1_20scan_config_selectorIN3c104HalfEEEZZNS1_9scan_implILNS1_25lookback_scan_determinismE0ELb0ELb0ES3_PKS6_PS6_S6_ZZZN2at6native31launch_logcumsumexp_cuda_kernelERKNSD_10TensorBaseESH_lENKUlvE_clEvENKUlvE3_clEvEUlS6_S6_E_S6_EEDaPvRmT3_T4_T5_mT6_P12ihipStream_tbENKUlT_T0_E_clISt17integral_constantIbLb0EESY_EEDaST_SU_EUlST_E0_NS1_11comp_targetILNS1_3genE10ELNS1_11target_archE1200ELNS1_3gpuE4ELNS1_3repE0EEENS1_30default_config_static_selectorELNS0_4arch9wavefront6targetE1EEEvT1_.num_agpr, 0
	.set _ZN7rocprim17ROCPRIM_400000_NS6detail17trampoline_kernelINS0_14default_configENS1_20scan_config_selectorIN3c104HalfEEEZZNS1_9scan_implILNS1_25lookback_scan_determinismE0ELb0ELb0ES3_PKS6_PS6_S6_ZZZN2at6native31launch_logcumsumexp_cuda_kernelERKNSD_10TensorBaseESH_lENKUlvE_clEvENKUlvE3_clEvEUlS6_S6_E_S6_EEDaPvRmT3_T4_T5_mT6_P12ihipStream_tbENKUlT_T0_E_clISt17integral_constantIbLb0EESY_EEDaST_SU_EUlST_E0_NS1_11comp_targetILNS1_3genE10ELNS1_11target_archE1200ELNS1_3gpuE4ELNS1_3repE0EEENS1_30default_config_static_selectorELNS0_4arch9wavefront6targetE1EEEvT1_.numbered_sgpr, 0
	.set _ZN7rocprim17ROCPRIM_400000_NS6detail17trampoline_kernelINS0_14default_configENS1_20scan_config_selectorIN3c104HalfEEEZZNS1_9scan_implILNS1_25lookback_scan_determinismE0ELb0ELb0ES3_PKS6_PS6_S6_ZZZN2at6native31launch_logcumsumexp_cuda_kernelERKNSD_10TensorBaseESH_lENKUlvE_clEvENKUlvE3_clEvEUlS6_S6_E_S6_EEDaPvRmT3_T4_T5_mT6_P12ihipStream_tbENKUlT_T0_E_clISt17integral_constantIbLb0EESY_EEDaST_SU_EUlST_E0_NS1_11comp_targetILNS1_3genE10ELNS1_11target_archE1200ELNS1_3gpuE4ELNS1_3repE0EEENS1_30default_config_static_selectorELNS0_4arch9wavefront6targetE1EEEvT1_.num_named_barrier, 0
	.set _ZN7rocprim17ROCPRIM_400000_NS6detail17trampoline_kernelINS0_14default_configENS1_20scan_config_selectorIN3c104HalfEEEZZNS1_9scan_implILNS1_25lookback_scan_determinismE0ELb0ELb0ES3_PKS6_PS6_S6_ZZZN2at6native31launch_logcumsumexp_cuda_kernelERKNSD_10TensorBaseESH_lENKUlvE_clEvENKUlvE3_clEvEUlS6_S6_E_S6_EEDaPvRmT3_T4_T5_mT6_P12ihipStream_tbENKUlT_T0_E_clISt17integral_constantIbLb0EESY_EEDaST_SU_EUlST_E0_NS1_11comp_targetILNS1_3genE10ELNS1_11target_archE1200ELNS1_3gpuE4ELNS1_3repE0EEENS1_30default_config_static_selectorELNS0_4arch9wavefront6targetE1EEEvT1_.private_seg_size, 0
	.set _ZN7rocprim17ROCPRIM_400000_NS6detail17trampoline_kernelINS0_14default_configENS1_20scan_config_selectorIN3c104HalfEEEZZNS1_9scan_implILNS1_25lookback_scan_determinismE0ELb0ELb0ES3_PKS6_PS6_S6_ZZZN2at6native31launch_logcumsumexp_cuda_kernelERKNSD_10TensorBaseESH_lENKUlvE_clEvENKUlvE3_clEvEUlS6_S6_E_S6_EEDaPvRmT3_T4_T5_mT6_P12ihipStream_tbENKUlT_T0_E_clISt17integral_constantIbLb0EESY_EEDaST_SU_EUlST_E0_NS1_11comp_targetILNS1_3genE10ELNS1_11target_archE1200ELNS1_3gpuE4ELNS1_3repE0EEENS1_30default_config_static_selectorELNS0_4arch9wavefront6targetE1EEEvT1_.uses_vcc, 0
	.set _ZN7rocprim17ROCPRIM_400000_NS6detail17trampoline_kernelINS0_14default_configENS1_20scan_config_selectorIN3c104HalfEEEZZNS1_9scan_implILNS1_25lookback_scan_determinismE0ELb0ELb0ES3_PKS6_PS6_S6_ZZZN2at6native31launch_logcumsumexp_cuda_kernelERKNSD_10TensorBaseESH_lENKUlvE_clEvENKUlvE3_clEvEUlS6_S6_E_S6_EEDaPvRmT3_T4_T5_mT6_P12ihipStream_tbENKUlT_T0_E_clISt17integral_constantIbLb0EESY_EEDaST_SU_EUlST_E0_NS1_11comp_targetILNS1_3genE10ELNS1_11target_archE1200ELNS1_3gpuE4ELNS1_3repE0EEENS1_30default_config_static_selectorELNS0_4arch9wavefront6targetE1EEEvT1_.uses_flat_scratch, 0
	.set _ZN7rocprim17ROCPRIM_400000_NS6detail17trampoline_kernelINS0_14default_configENS1_20scan_config_selectorIN3c104HalfEEEZZNS1_9scan_implILNS1_25lookback_scan_determinismE0ELb0ELb0ES3_PKS6_PS6_S6_ZZZN2at6native31launch_logcumsumexp_cuda_kernelERKNSD_10TensorBaseESH_lENKUlvE_clEvENKUlvE3_clEvEUlS6_S6_E_S6_EEDaPvRmT3_T4_T5_mT6_P12ihipStream_tbENKUlT_T0_E_clISt17integral_constantIbLb0EESY_EEDaST_SU_EUlST_E0_NS1_11comp_targetILNS1_3genE10ELNS1_11target_archE1200ELNS1_3gpuE4ELNS1_3repE0EEENS1_30default_config_static_selectorELNS0_4arch9wavefront6targetE1EEEvT1_.has_dyn_sized_stack, 0
	.set _ZN7rocprim17ROCPRIM_400000_NS6detail17trampoline_kernelINS0_14default_configENS1_20scan_config_selectorIN3c104HalfEEEZZNS1_9scan_implILNS1_25lookback_scan_determinismE0ELb0ELb0ES3_PKS6_PS6_S6_ZZZN2at6native31launch_logcumsumexp_cuda_kernelERKNSD_10TensorBaseESH_lENKUlvE_clEvENKUlvE3_clEvEUlS6_S6_E_S6_EEDaPvRmT3_T4_T5_mT6_P12ihipStream_tbENKUlT_T0_E_clISt17integral_constantIbLb0EESY_EEDaST_SU_EUlST_E0_NS1_11comp_targetILNS1_3genE10ELNS1_11target_archE1200ELNS1_3gpuE4ELNS1_3repE0EEENS1_30default_config_static_selectorELNS0_4arch9wavefront6targetE1EEEvT1_.has_recursion, 0
	.set _ZN7rocprim17ROCPRIM_400000_NS6detail17trampoline_kernelINS0_14default_configENS1_20scan_config_selectorIN3c104HalfEEEZZNS1_9scan_implILNS1_25lookback_scan_determinismE0ELb0ELb0ES3_PKS6_PS6_S6_ZZZN2at6native31launch_logcumsumexp_cuda_kernelERKNSD_10TensorBaseESH_lENKUlvE_clEvENKUlvE3_clEvEUlS6_S6_E_S6_EEDaPvRmT3_T4_T5_mT6_P12ihipStream_tbENKUlT_T0_E_clISt17integral_constantIbLb0EESY_EEDaST_SU_EUlST_E0_NS1_11comp_targetILNS1_3genE10ELNS1_11target_archE1200ELNS1_3gpuE4ELNS1_3repE0EEENS1_30default_config_static_selectorELNS0_4arch9wavefront6targetE1EEEvT1_.has_indirect_call, 0
	.section	.AMDGPU.csdata,"",@progbits
; Kernel info:
; codeLenInByte = 0
; TotalNumSgprs: 4
; NumVgprs: 0
; ScratchSize: 0
; MemoryBound: 0
; FloatMode: 240
; IeeeMode: 1
; LDSByteSize: 0 bytes/workgroup (compile time only)
; SGPRBlocks: 0
; VGPRBlocks: 0
; NumSGPRsForWavesPerEU: 4
; NumVGPRsForWavesPerEU: 1
; Occupancy: 10
; WaveLimiterHint : 0
; COMPUTE_PGM_RSRC2:SCRATCH_EN: 0
; COMPUTE_PGM_RSRC2:USER_SGPR: 6
; COMPUTE_PGM_RSRC2:TRAP_HANDLER: 0
; COMPUTE_PGM_RSRC2:TGID_X_EN: 1
; COMPUTE_PGM_RSRC2:TGID_Y_EN: 0
; COMPUTE_PGM_RSRC2:TGID_Z_EN: 0
; COMPUTE_PGM_RSRC2:TIDIG_COMP_CNT: 0
	.section	.text._ZN7rocprim17ROCPRIM_400000_NS6detail17trampoline_kernelINS0_14default_configENS1_20scan_config_selectorIN3c104HalfEEEZZNS1_9scan_implILNS1_25lookback_scan_determinismE0ELb0ELb0ES3_PKS6_PS6_S6_ZZZN2at6native31launch_logcumsumexp_cuda_kernelERKNSD_10TensorBaseESH_lENKUlvE_clEvENKUlvE3_clEvEUlS6_S6_E_S6_EEDaPvRmT3_T4_T5_mT6_P12ihipStream_tbENKUlT_T0_E_clISt17integral_constantIbLb0EESY_EEDaST_SU_EUlST_E0_NS1_11comp_targetILNS1_3genE9ELNS1_11target_archE1100ELNS1_3gpuE3ELNS1_3repE0EEENS1_30default_config_static_selectorELNS0_4arch9wavefront6targetE1EEEvT1_,"axG",@progbits,_ZN7rocprim17ROCPRIM_400000_NS6detail17trampoline_kernelINS0_14default_configENS1_20scan_config_selectorIN3c104HalfEEEZZNS1_9scan_implILNS1_25lookback_scan_determinismE0ELb0ELb0ES3_PKS6_PS6_S6_ZZZN2at6native31launch_logcumsumexp_cuda_kernelERKNSD_10TensorBaseESH_lENKUlvE_clEvENKUlvE3_clEvEUlS6_S6_E_S6_EEDaPvRmT3_T4_T5_mT6_P12ihipStream_tbENKUlT_T0_E_clISt17integral_constantIbLb0EESY_EEDaST_SU_EUlST_E0_NS1_11comp_targetILNS1_3genE9ELNS1_11target_archE1100ELNS1_3gpuE3ELNS1_3repE0EEENS1_30default_config_static_selectorELNS0_4arch9wavefront6targetE1EEEvT1_,comdat
	.globl	_ZN7rocprim17ROCPRIM_400000_NS6detail17trampoline_kernelINS0_14default_configENS1_20scan_config_selectorIN3c104HalfEEEZZNS1_9scan_implILNS1_25lookback_scan_determinismE0ELb0ELb0ES3_PKS6_PS6_S6_ZZZN2at6native31launch_logcumsumexp_cuda_kernelERKNSD_10TensorBaseESH_lENKUlvE_clEvENKUlvE3_clEvEUlS6_S6_E_S6_EEDaPvRmT3_T4_T5_mT6_P12ihipStream_tbENKUlT_T0_E_clISt17integral_constantIbLb0EESY_EEDaST_SU_EUlST_E0_NS1_11comp_targetILNS1_3genE9ELNS1_11target_archE1100ELNS1_3gpuE3ELNS1_3repE0EEENS1_30default_config_static_selectorELNS0_4arch9wavefront6targetE1EEEvT1_ ; -- Begin function _ZN7rocprim17ROCPRIM_400000_NS6detail17trampoline_kernelINS0_14default_configENS1_20scan_config_selectorIN3c104HalfEEEZZNS1_9scan_implILNS1_25lookback_scan_determinismE0ELb0ELb0ES3_PKS6_PS6_S6_ZZZN2at6native31launch_logcumsumexp_cuda_kernelERKNSD_10TensorBaseESH_lENKUlvE_clEvENKUlvE3_clEvEUlS6_S6_E_S6_EEDaPvRmT3_T4_T5_mT6_P12ihipStream_tbENKUlT_T0_E_clISt17integral_constantIbLb0EESY_EEDaST_SU_EUlST_E0_NS1_11comp_targetILNS1_3genE9ELNS1_11target_archE1100ELNS1_3gpuE3ELNS1_3repE0EEENS1_30default_config_static_selectorELNS0_4arch9wavefront6targetE1EEEvT1_
	.p2align	8
	.type	_ZN7rocprim17ROCPRIM_400000_NS6detail17trampoline_kernelINS0_14default_configENS1_20scan_config_selectorIN3c104HalfEEEZZNS1_9scan_implILNS1_25lookback_scan_determinismE0ELb0ELb0ES3_PKS6_PS6_S6_ZZZN2at6native31launch_logcumsumexp_cuda_kernelERKNSD_10TensorBaseESH_lENKUlvE_clEvENKUlvE3_clEvEUlS6_S6_E_S6_EEDaPvRmT3_T4_T5_mT6_P12ihipStream_tbENKUlT_T0_E_clISt17integral_constantIbLb0EESY_EEDaST_SU_EUlST_E0_NS1_11comp_targetILNS1_3genE9ELNS1_11target_archE1100ELNS1_3gpuE3ELNS1_3repE0EEENS1_30default_config_static_selectorELNS0_4arch9wavefront6targetE1EEEvT1_,@function
_ZN7rocprim17ROCPRIM_400000_NS6detail17trampoline_kernelINS0_14default_configENS1_20scan_config_selectorIN3c104HalfEEEZZNS1_9scan_implILNS1_25lookback_scan_determinismE0ELb0ELb0ES3_PKS6_PS6_S6_ZZZN2at6native31launch_logcumsumexp_cuda_kernelERKNSD_10TensorBaseESH_lENKUlvE_clEvENKUlvE3_clEvEUlS6_S6_E_S6_EEDaPvRmT3_T4_T5_mT6_P12ihipStream_tbENKUlT_T0_E_clISt17integral_constantIbLb0EESY_EEDaST_SU_EUlST_E0_NS1_11comp_targetILNS1_3genE9ELNS1_11target_archE1100ELNS1_3gpuE3ELNS1_3repE0EEENS1_30default_config_static_selectorELNS0_4arch9wavefront6targetE1EEEvT1_: ; @_ZN7rocprim17ROCPRIM_400000_NS6detail17trampoline_kernelINS0_14default_configENS1_20scan_config_selectorIN3c104HalfEEEZZNS1_9scan_implILNS1_25lookback_scan_determinismE0ELb0ELb0ES3_PKS6_PS6_S6_ZZZN2at6native31launch_logcumsumexp_cuda_kernelERKNSD_10TensorBaseESH_lENKUlvE_clEvENKUlvE3_clEvEUlS6_S6_E_S6_EEDaPvRmT3_T4_T5_mT6_P12ihipStream_tbENKUlT_T0_E_clISt17integral_constantIbLb0EESY_EEDaST_SU_EUlST_E0_NS1_11comp_targetILNS1_3genE9ELNS1_11target_archE1100ELNS1_3gpuE3ELNS1_3repE0EEENS1_30default_config_static_selectorELNS0_4arch9wavefront6targetE1EEEvT1_
; %bb.0:
	.section	.rodata,"a",@progbits
	.p2align	6, 0x0
	.amdhsa_kernel _ZN7rocprim17ROCPRIM_400000_NS6detail17trampoline_kernelINS0_14default_configENS1_20scan_config_selectorIN3c104HalfEEEZZNS1_9scan_implILNS1_25lookback_scan_determinismE0ELb0ELb0ES3_PKS6_PS6_S6_ZZZN2at6native31launch_logcumsumexp_cuda_kernelERKNSD_10TensorBaseESH_lENKUlvE_clEvENKUlvE3_clEvEUlS6_S6_E_S6_EEDaPvRmT3_T4_T5_mT6_P12ihipStream_tbENKUlT_T0_E_clISt17integral_constantIbLb0EESY_EEDaST_SU_EUlST_E0_NS1_11comp_targetILNS1_3genE9ELNS1_11target_archE1100ELNS1_3gpuE3ELNS1_3repE0EEENS1_30default_config_static_selectorELNS0_4arch9wavefront6targetE1EEEvT1_
		.amdhsa_group_segment_fixed_size 0
		.amdhsa_private_segment_fixed_size 0
		.amdhsa_kernarg_size 32
		.amdhsa_user_sgpr_count 6
		.amdhsa_user_sgpr_private_segment_buffer 1
		.amdhsa_user_sgpr_dispatch_ptr 0
		.amdhsa_user_sgpr_queue_ptr 0
		.amdhsa_user_sgpr_kernarg_segment_ptr 1
		.amdhsa_user_sgpr_dispatch_id 0
		.amdhsa_user_sgpr_flat_scratch_init 0
		.amdhsa_user_sgpr_private_segment_size 0
		.amdhsa_uses_dynamic_stack 0
		.amdhsa_system_sgpr_private_segment_wavefront_offset 0
		.amdhsa_system_sgpr_workgroup_id_x 1
		.amdhsa_system_sgpr_workgroup_id_y 0
		.amdhsa_system_sgpr_workgroup_id_z 0
		.amdhsa_system_sgpr_workgroup_info 0
		.amdhsa_system_vgpr_workitem_id 0
		.amdhsa_next_free_vgpr 1
		.amdhsa_next_free_sgpr 0
		.amdhsa_reserve_vcc 0
		.amdhsa_reserve_flat_scratch 0
		.amdhsa_float_round_mode_32 0
		.amdhsa_float_round_mode_16_64 0
		.amdhsa_float_denorm_mode_32 3
		.amdhsa_float_denorm_mode_16_64 3
		.amdhsa_dx10_clamp 1
		.amdhsa_ieee_mode 1
		.amdhsa_fp16_overflow 0
		.amdhsa_exception_fp_ieee_invalid_op 0
		.amdhsa_exception_fp_denorm_src 0
		.amdhsa_exception_fp_ieee_div_zero 0
		.amdhsa_exception_fp_ieee_overflow 0
		.amdhsa_exception_fp_ieee_underflow 0
		.amdhsa_exception_fp_ieee_inexact 0
		.amdhsa_exception_int_div_zero 0
	.end_amdhsa_kernel
	.section	.text._ZN7rocprim17ROCPRIM_400000_NS6detail17trampoline_kernelINS0_14default_configENS1_20scan_config_selectorIN3c104HalfEEEZZNS1_9scan_implILNS1_25lookback_scan_determinismE0ELb0ELb0ES3_PKS6_PS6_S6_ZZZN2at6native31launch_logcumsumexp_cuda_kernelERKNSD_10TensorBaseESH_lENKUlvE_clEvENKUlvE3_clEvEUlS6_S6_E_S6_EEDaPvRmT3_T4_T5_mT6_P12ihipStream_tbENKUlT_T0_E_clISt17integral_constantIbLb0EESY_EEDaST_SU_EUlST_E0_NS1_11comp_targetILNS1_3genE9ELNS1_11target_archE1100ELNS1_3gpuE3ELNS1_3repE0EEENS1_30default_config_static_selectorELNS0_4arch9wavefront6targetE1EEEvT1_,"axG",@progbits,_ZN7rocprim17ROCPRIM_400000_NS6detail17trampoline_kernelINS0_14default_configENS1_20scan_config_selectorIN3c104HalfEEEZZNS1_9scan_implILNS1_25lookback_scan_determinismE0ELb0ELb0ES3_PKS6_PS6_S6_ZZZN2at6native31launch_logcumsumexp_cuda_kernelERKNSD_10TensorBaseESH_lENKUlvE_clEvENKUlvE3_clEvEUlS6_S6_E_S6_EEDaPvRmT3_T4_T5_mT6_P12ihipStream_tbENKUlT_T0_E_clISt17integral_constantIbLb0EESY_EEDaST_SU_EUlST_E0_NS1_11comp_targetILNS1_3genE9ELNS1_11target_archE1100ELNS1_3gpuE3ELNS1_3repE0EEENS1_30default_config_static_selectorELNS0_4arch9wavefront6targetE1EEEvT1_,comdat
.Lfunc_end375:
	.size	_ZN7rocprim17ROCPRIM_400000_NS6detail17trampoline_kernelINS0_14default_configENS1_20scan_config_selectorIN3c104HalfEEEZZNS1_9scan_implILNS1_25lookback_scan_determinismE0ELb0ELb0ES3_PKS6_PS6_S6_ZZZN2at6native31launch_logcumsumexp_cuda_kernelERKNSD_10TensorBaseESH_lENKUlvE_clEvENKUlvE3_clEvEUlS6_S6_E_S6_EEDaPvRmT3_T4_T5_mT6_P12ihipStream_tbENKUlT_T0_E_clISt17integral_constantIbLb0EESY_EEDaST_SU_EUlST_E0_NS1_11comp_targetILNS1_3genE9ELNS1_11target_archE1100ELNS1_3gpuE3ELNS1_3repE0EEENS1_30default_config_static_selectorELNS0_4arch9wavefront6targetE1EEEvT1_, .Lfunc_end375-_ZN7rocprim17ROCPRIM_400000_NS6detail17trampoline_kernelINS0_14default_configENS1_20scan_config_selectorIN3c104HalfEEEZZNS1_9scan_implILNS1_25lookback_scan_determinismE0ELb0ELb0ES3_PKS6_PS6_S6_ZZZN2at6native31launch_logcumsumexp_cuda_kernelERKNSD_10TensorBaseESH_lENKUlvE_clEvENKUlvE3_clEvEUlS6_S6_E_S6_EEDaPvRmT3_T4_T5_mT6_P12ihipStream_tbENKUlT_T0_E_clISt17integral_constantIbLb0EESY_EEDaST_SU_EUlST_E0_NS1_11comp_targetILNS1_3genE9ELNS1_11target_archE1100ELNS1_3gpuE3ELNS1_3repE0EEENS1_30default_config_static_selectorELNS0_4arch9wavefront6targetE1EEEvT1_
                                        ; -- End function
	.set _ZN7rocprim17ROCPRIM_400000_NS6detail17trampoline_kernelINS0_14default_configENS1_20scan_config_selectorIN3c104HalfEEEZZNS1_9scan_implILNS1_25lookback_scan_determinismE0ELb0ELb0ES3_PKS6_PS6_S6_ZZZN2at6native31launch_logcumsumexp_cuda_kernelERKNSD_10TensorBaseESH_lENKUlvE_clEvENKUlvE3_clEvEUlS6_S6_E_S6_EEDaPvRmT3_T4_T5_mT6_P12ihipStream_tbENKUlT_T0_E_clISt17integral_constantIbLb0EESY_EEDaST_SU_EUlST_E0_NS1_11comp_targetILNS1_3genE9ELNS1_11target_archE1100ELNS1_3gpuE3ELNS1_3repE0EEENS1_30default_config_static_selectorELNS0_4arch9wavefront6targetE1EEEvT1_.num_vgpr, 0
	.set _ZN7rocprim17ROCPRIM_400000_NS6detail17trampoline_kernelINS0_14default_configENS1_20scan_config_selectorIN3c104HalfEEEZZNS1_9scan_implILNS1_25lookback_scan_determinismE0ELb0ELb0ES3_PKS6_PS6_S6_ZZZN2at6native31launch_logcumsumexp_cuda_kernelERKNSD_10TensorBaseESH_lENKUlvE_clEvENKUlvE3_clEvEUlS6_S6_E_S6_EEDaPvRmT3_T4_T5_mT6_P12ihipStream_tbENKUlT_T0_E_clISt17integral_constantIbLb0EESY_EEDaST_SU_EUlST_E0_NS1_11comp_targetILNS1_3genE9ELNS1_11target_archE1100ELNS1_3gpuE3ELNS1_3repE0EEENS1_30default_config_static_selectorELNS0_4arch9wavefront6targetE1EEEvT1_.num_agpr, 0
	.set _ZN7rocprim17ROCPRIM_400000_NS6detail17trampoline_kernelINS0_14default_configENS1_20scan_config_selectorIN3c104HalfEEEZZNS1_9scan_implILNS1_25lookback_scan_determinismE0ELb0ELb0ES3_PKS6_PS6_S6_ZZZN2at6native31launch_logcumsumexp_cuda_kernelERKNSD_10TensorBaseESH_lENKUlvE_clEvENKUlvE3_clEvEUlS6_S6_E_S6_EEDaPvRmT3_T4_T5_mT6_P12ihipStream_tbENKUlT_T0_E_clISt17integral_constantIbLb0EESY_EEDaST_SU_EUlST_E0_NS1_11comp_targetILNS1_3genE9ELNS1_11target_archE1100ELNS1_3gpuE3ELNS1_3repE0EEENS1_30default_config_static_selectorELNS0_4arch9wavefront6targetE1EEEvT1_.numbered_sgpr, 0
	.set _ZN7rocprim17ROCPRIM_400000_NS6detail17trampoline_kernelINS0_14default_configENS1_20scan_config_selectorIN3c104HalfEEEZZNS1_9scan_implILNS1_25lookback_scan_determinismE0ELb0ELb0ES3_PKS6_PS6_S6_ZZZN2at6native31launch_logcumsumexp_cuda_kernelERKNSD_10TensorBaseESH_lENKUlvE_clEvENKUlvE3_clEvEUlS6_S6_E_S6_EEDaPvRmT3_T4_T5_mT6_P12ihipStream_tbENKUlT_T0_E_clISt17integral_constantIbLb0EESY_EEDaST_SU_EUlST_E0_NS1_11comp_targetILNS1_3genE9ELNS1_11target_archE1100ELNS1_3gpuE3ELNS1_3repE0EEENS1_30default_config_static_selectorELNS0_4arch9wavefront6targetE1EEEvT1_.num_named_barrier, 0
	.set _ZN7rocprim17ROCPRIM_400000_NS6detail17trampoline_kernelINS0_14default_configENS1_20scan_config_selectorIN3c104HalfEEEZZNS1_9scan_implILNS1_25lookback_scan_determinismE0ELb0ELb0ES3_PKS6_PS6_S6_ZZZN2at6native31launch_logcumsumexp_cuda_kernelERKNSD_10TensorBaseESH_lENKUlvE_clEvENKUlvE3_clEvEUlS6_S6_E_S6_EEDaPvRmT3_T4_T5_mT6_P12ihipStream_tbENKUlT_T0_E_clISt17integral_constantIbLb0EESY_EEDaST_SU_EUlST_E0_NS1_11comp_targetILNS1_3genE9ELNS1_11target_archE1100ELNS1_3gpuE3ELNS1_3repE0EEENS1_30default_config_static_selectorELNS0_4arch9wavefront6targetE1EEEvT1_.private_seg_size, 0
	.set _ZN7rocprim17ROCPRIM_400000_NS6detail17trampoline_kernelINS0_14default_configENS1_20scan_config_selectorIN3c104HalfEEEZZNS1_9scan_implILNS1_25lookback_scan_determinismE0ELb0ELb0ES3_PKS6_PS6_S6_ZZZN2at6native31launch_logcumsumexp_cuda_kernelERKNSD_10TensorBaseESH_lENKUlvE_clEvENKUlvE3_clEvEUlS6_S6_E_S6_EEDaPvRmT3_T4_T5_mT6_P12ihipStream_tbENKUlT_T0_E_clISt17integral_constantIbLb0EESY_EEDaST_SU_EUlST_E0_NS1_11comp_targetILNS1_3genE9ELNS1_11target_archE1100ELNS1_3gpuE3ELNS1_3repE0EEENS1_30default_config_static_selectorELNS0_4arch9wavefront6targetE1EEEvT1_.uses_vcc, 0
	.set _ZN7rocprim17ROCPRIM_400000_NS6detail17trampoline_kernelINS0_14default_configENS1_20scan_config_selectorIN3c104HalfEEEZZNS1_9scan_implILNS1_25lookback_scan_determinismE0ELb0ELb0ES3_PKS6_PS6_S6_ZZZN2at6native31launch_logcumsumexp_cuda_kernelERKNSD_10TensorBaseESH_lENKUlvE_clEvENKUlvE3_clEvEUlS6_S6_E_S6_EEDaPvRmT3_T4_T5_mT6_P12ihipStream_tbENKUlT_T0_E_clISt17integral_constantIbLb0EESY_EEDaST_SU_EUlST_E0_NS1_11comp_targetILNS1_3genE9ELNS1_11target_archE1100ELNS1_3gpuE3ELNS1_3repE0EEENS1_30default_config_static_selectorELNS0_4arch9wavefront6targetE1EEEvT1_.uses_flat_scratch, 0
	.set _ZN7rocprim17ROCPRIM_400000_NS6detail17trampoline_kernelINS0_14default_configENS1_20scan_config_selectorIN3c104HalfEEEZZNS1_9scan_implILNS1_25lookback_scan_determinismE0ELb0ELb0ES3_PKS6_PS6_S6_ZZZN2at6native31launch_logcumsumexp_cuda_kernelERKNSD_10TensorBaseESH_lENKUlvE_clEvENKUlvE3_clEvEUlS6_S6_E_S6_EEDaPvRmT3_T4_T5_mT6_P12ihipStream_tbENKUlT_T0_E_clISt17integral_constantIbLb0EESY_EEDaST_SU_EUlST_E0_NS1_11comp_targetILNS1_3genE9ELNS1_11target_archE1100ELNS1_3gpuE3ELNS1_3repE0EEENS1_30default_config_static_selectorELNS0_4arch9wavefront6targetE1EEEvT1_.has_dyn_sized_stack, 0
	.set _ZN7rocprim17ROCPRIM_400000_NS6detail17trampoline_kernelINS0_14default_configENS1_20scan_config_selectorIN3c104HalfEEEZZNS1_9scan_implILNS1_25lookback_scan_determinismE0ELb0ELb0ES3_PKS6_PS6_S6_ZZZN2at6native31launch_logcumsumexp_cuda_kernelERKNSD_10TensorBaseESH_lENKUlvE_clEvENKUlvE3_clEvEUlS6_S6_E_S6_EEDaPvRmT3_T4_T5_mT6_P12ihipStream_tbENKUlT_T0_E_clISt17integral_constantIbLb0EESY_EEDaST_SU_EUlST_E0_NS1_11comp_targetILNS1_3genE9ELNS1_11target_archE1100ELNS1_3gpuE3ELNS1_3repE0EEENS1_30default_config_static_selectorELNS0_4arch9wavefront6targetE1EEEvT1_.has_recursion, 0
	.set _ZN7rocprim17ROCPRIM_400000_NS6detail17trampoline_kernelINS0_14default_configENS1_20scan_config_selectorIN3c104HalfEEEZZNS1_9scan_implILNS1_25lookback_scan_determinismE0ELb0ELb0ES3_PKS6_PS6_S6_ZZZN2at6native31launch_logcumsumexp_cuda_kernelERKNSD_10TensorBaseESH_lENKUlvE_clEvENKUlvE3_clEvEUlS6_S6_E_S6_EEDaPvRmT3_T4_T5_mT6_P12ihipStream_tbENKUlT_T0_E_clISt17integral_constantIbLb0EESY_EEDaST_SU_EUlST_E0_NS1_11comp_targetILNS1_3genE9ELNS1_11target_archE1100ELNS1_3gpuE3ELNS1_3repE0EEENS1_30default_config_static_selectorELNS0_4arch9wavefront6targetE1EEEvT1_.has_indirect_call, 0
	.section	.AMDGPU.csdata,"",@progbits
; Kernel info:
; codeLenInByte = 0
; TotalNumSgprs: 4
; NumVgprs: 0
; ScratchSize: 0
; MemoryBound: 0
; FloatMode: 240
; IeeeMode: 1
; LDSByteSize: 0 bytes/workgroup (compile time only)
; SGPRBlocks: 0
; VGPRBlocks: 0
; NumSGPRsForWavesPerEU: 4
; NumVGPRsForWavesPerEU: 1
; Occupancy: 10
; WaveLimiterHint : 0
; COMPUTE_PGM_RSRC2:SCRATCH_EN: 0
; COMPUTE_PGM_RSRC2:USER_SGPR: 6
; COMPUTE_PGM_RSRC2:TRAP_HANDLER: 0
; COMPUTE_PGM_RSRC2:TGID_X_EN: 1
; COMPUTE_PGM_RSRC2:TGID_Y_EN: 0
; COMPUTE_PGM_RSRC2:TGID_Z_EN: 0
; COMPUTE_PGM_RSRC2:TIDIG_COMP_CNT: 0
	.section	.text._ZN7rocprim17ROCPRIM_400000_NS6detail17trampoline_kernelINS0_14default_configENS1_20scan_config_selectorIN3c104HalfEEEZZNS1_9scan_implILNS1_25lookback_scan_determinismE0ELb0ELb0ES3_PKS6_PS6_S6_ZZZN2at6native31launch_logcumsumexp_cuda_kernelERKNSD_10TensorBaseESH_lENKUlvE_clEvENKUlvE3_clEvEUlS6_S6_E_S6_EEDaPvRmT3_T4_T5_mT6_P12ihipStream_tbENKUlT_T0_E_clISt17integral_constantIbLb0EESY_EEDaST_SU_EUlST_E0_NS1_11comp_targetILNS1_3genE8ELNS1_11target_archE1030ELNS1_3gpuE2ELNS1_3repE0EEENS1_30default_config_static_selectorELNS0_4arch9wavefront6targetE1EEEvT1_,"axG",@progbits,_ZN7rocprim17ROCPRIM_400000_NS6detail17trampoline_kernelINS0_14default_configENS1_20scan_config_selectorIN3c104HalfEEEZZNS1_9scan_implILNS1_25lookback_scan_determinismE0ELb0ELb0ES3_PKS6_PS6_S6_ZZZN2at6native31launch_logcumsumexp_cuda_kernelERKNSD_10TensorBaseESH_lENKUlvE_clEvENKUlvE3_clEvEUlS6_S6_E_S6_EEDaPvRmT3_T4_T5_mT6_P12ihipStream_tbENKUlT_T0_E_clISt17integral_constantIbLb0EESY_EEDaST_SU_EUlST_E0_NS1_11comp_targetILNS1_3genE8ELNS1_11target_archE1030ELNS1_3gpuE2ELNS1_3repE0EEENS1_30default_config_static_selectorELNS0_4arch9wavefront6targetE1EEEvT1_,comdat
	.globl	_ZN7rocprim17ROCPRIM_400000_NS6detail17trampoline_kernelINS0_14default_configENS1_20scan_config_selectorIN3c104HalfEEEZZNS1_9scan_implILNS1_25lookback_scan_determinismE0ELb0ELb0ES3_PKS6_PS6_S6_ZZZN2at6native31launch_logcumsumexp_cuda_kernelERKNSD_10TensorBaseESH_lENKUlvE_clEvENKUlvE3_clEvEUlS6_S6_E_S6_EEDaPvRmT3_T4_T5_mT6_P12ihipStream_tbENKUlT_T0_E_clISt17integral_constantIbLb0EESY_EEDaST_SU_EUlST_E0_NS1_11comp_targetILNS1_3genE8ELNS1_11target_archE1030ELNS1_3gpuE2ELNS1_3repE0EEENS1_30default_config_static_selectorELNS0_4arch9wavefront6targetE1EEEvT1_ ; -- Begin function _ZN7rocprim17ROCPRIM_400000_NS6detail17trampoline_kernelINS0_14default_configENS1_20scan_config_selectorIN3c104HalfEEEZZNS1_9scan_implILNS1_25lookback_scan_determinismE0ELb0ELb0ES3_PKS6_PS6_S6_ZZZN2at6native31launch_logcumsumexp_cuda_kernelERKNSD_10TensorBaseESH_lENKUlvE_clEvENKUlvE3_clEvEUlS6_S6_E_S6_EEDaPvRmT3_T4_T5_mT6_P12ihipStream_tbENKUlT_T0_E_clISt17integral_constantIbLb0EESY_EEDaST_SU_EUlST_E0_NS1_11comp_targetILNS1_3genE8ELNS1_11target_archE1030ELNS1_3gpuE2ELNS1_3repE0EEENS1_30default_config_static_selectorELNS0_4arch9wavefront6targetE1EEEvT1_
	.p2align	8
	.type	_ZN7rocprim17ROCPRIM_400000_NS6detail17trampoline_kernelINS0_14default_configENS1_20scan_config_selectorIN3c104HalfEEEZZNS1_9scan_implILNS1_25lookback_scan_determinismE0ELb0ELb0ES3_PKS6_PS6_S6_ZZZN2at6native31launch_logcumsumexp_cuda_kernelERKNSD_10TensorBaseESH_lENKUlvE_clEvENKUlvE3_clEvEUlS6_S6_E_S6_EEDaPvRmT3_T4_T5_mT6_P12ihipStream_tbENKUlT_T0_E_clISt17integral_constantIbLb0EESY_EEDaST_SU_EUlST_E0_NS1_11comp_targetILNS1_3genE8ELNS1_11target_archE1030ELNS1_3gpuE2ELNS1_3repE0EEENS1_30default_config_static_selectorELNS0_4arch9wavefront6targetE1EEEvT1_,@function
_ZN7rocprim17ROCPRIM_400000_NS6detail17trampoline_kernelINS0_14default_configENS1_20scan_config_selectorIN3c104HalfEEEZZNS1_9scan_implILNS1_25lookback_scan_determinismE0ELb0ELb0ES3_PKS6_PS6_S6_ZZZN2at6native31launch_logcumsumexp_cuda_kernelERKNSD_10TensorBaseESH_lENKUlvE_clEvENKUlvE3_clEvEUlS6_S6_E_S6_EEDaPvRmT3_T4_T5_mT6_P12ihipStream_tbENKUlT_T0_E_clISt17integral_constantIbLb0EESY_EEDaST_SU_EUlST_E0_NS1_11comp_targetILNS1_3genE8ELNS1_11target_archE1030ELNS1_3gpuE2ELNS1_3repE0EEENS1_30default_config_static_selectorELNS0_4arch9wavefront6targetE1EEEvT1_: ; @_ZN7rocprim17ROCPRIM_400000_NS6detail17trampoline_kernelINS0_14default_configENS1_20scan_config_selectorIN3c104HalfEEEZZNS1_9scan_implILNS1_25lookback_scan_determinismE0ELb0ELb0ES3_PKS6_PS6_S6_ZZZN2at6native31launch_logcumsumexp_cuda_kernelERKNSD_10TensorBaseESH_lENKUlvE_clEvENKUlvE3_clEvEUlS6_S6_E_S6_EEDaPvRmT3_T4_T5_mT6_P12ihipStream_tbENKUlT_T0_E_clISt17integral_constantIbLb0EESY_EEDaST_SU_EUlST_E0_NS1_11comp_targetILNS1_3genE8ELNS1_11target_archE1030ELNS1_3gpuE2ELNS1_3repE0EEENS1_30default_config_static_selectorELNS0_4arch9wavefront6targetE1EEEvT1_
; %bb.0:
	.section	.rodata,"a",@progbits
	.p2align	6, 0x0
	.amdhsa_kernel _ZN7rocprim17ROCPRIM_400000_NS6detail17trampoline_kernelINS0_14default_configENS1_20scan_config_selectorIN3c104HalfEEEZZNS1_9scan_implILNS1_25lookback_scan_determinismE0ELb0ELb0ES3_PKS6_PS6_S6_ZZZN2at6native31launch_logcumsumexp_cuda_kernelERKNSD_10TensorBaseESH_lENKUlvE_clEvENKUlvE3_clEvEUlS6_S6_E_S6_EEDaPvRmT3_T4_T5_mT6_P12ihipStream_tbENKUlT_T0_E_clISt17integral_constantIbLb0EESY_EEDaST_SU_EUlST_E0_NS1_11comp_targetILNS1_3genE8ELNS1_11target_archE1030ELNS1_3gpuE2ELNS1_3repE0EEENS1_30default_config_static_selectorELNS0_4arch9wavefront6targetE1EEEvT1_
		.amdhsa_group_segment_fixed_size 0
		.amdhsa_private_segment_fixed_size 0
		.amdhsa_kernarg_size 32
		.amdhsa_user_sgpr_count 6
		.amdhsa_user_sgpr_private_segment_buffer 1
		.amdhsa_user_sgpr_dispatch_ptr 0
		.amdhsa_user_sgpr_queue_ptr 0
		.amdhsa_user_sgpr_kernarg_segment_ptr 1
		.amdhsa_user_sgpr_dispatch_id 0
		.amdhsa_user_sgpr_flat_scratch_init 0
		.amdhsa_user_sgpr_private_segment_size 0
		.amdhsa_uses_dynamic_stack 0
		.amdhsa_system_sgpr_private_segment_wavefront_offset 0
		.amdhsa_system_sgpr_workgroup_id_x 1
		.amdhsa_system_sgpr_workgroup_id_y 0
		.amdhsa_system_sgpr_workgroup_id_z 0
		.amdhsa_system_sgpr_workgroup_info 0
		.amdhsa_system_vgpr_workitem_id 0
		.amdhsa_next_free_vgpr 1
		.amdhsa_next_free_sgpr 0
		.amdhsa_reserve_vcc 0
		.amdhsa_reserve_flat_scratch 0
		.amdhsa_float_round_mode_32 0
		.amdhsa_float_round_mode_16_64 0
		.amdhsa_float_denorm_mode_32 3
		.amdhsa_float_denorm_mode_16_64 3
		.amdhsa_dx10_clamp 1
		.amdhsa_ieee_mode 1
		.amdhsa_fp16_overflow 0
		.amdhsa_exception_fp_ieee_invalid_op 0
		.amdhsa_exception_fp_denorm_src 0
		.amdhsa_exception_fp_ieee_div_zero 0
		.amdhsa_exception_fp_ieee_overflow 0
		.amdhsa_exception_fp_ieee_underflow 0
		.amdhsa_exception_fp_ieee_inexact 0
		.amdhsa_exception_int_div_zero 0
	.end_amdhsa_kernel
	.section	.text._ZN7rocprim17ROCPRIM_400000_NS6detail17trampoline_kernelINS0_14default_configENS1_20scan_config_selectorIN3c104HalfEEEZZNS1_9scan_implILNS1_25lookback_scan_determinismE0ELb0ELb0ES3_PKS6_PS6_S6_ZZZN2at6native31launch_logcumsumexp_cuda_kernelERKNSD_10TensorBaseESH_lENKUlvE_clEvENKUlvE3_clEvEUlS6_S6_E_S6_EEDaPvRmT3_T4_T5_mT6_P12ihipStream_tbENKUlT_T0_E_clISt17integral_constantIbLb0EESY_EEDaST_SU_EUlST_E0_NS1_11comp_targetILNS1_3genE8ELNS1_11target_archE1030ELNS1_3gpuE2ELNS1_3repE0EEENS1_30default_config_static_selectorELNS0_4arch9wavefront6targetE1EEEvT1_,"axG",@progbits,_ZN7rocprim17ROCPRIM_400000_NS6detail17trampoline_kernelINS0_14default_configENS1_20scan_config_selectorIN3c104HalfEEEZZNS1_9scan_implILNS1_25lookback_scan_determinismE0ELb0ELb0ES3_PKS6_PS6_S6_ZZZN2at6native31launch_logcumsumexp_cuda_kernelERKNSD_10TensorBaseESH_lENKUlvE_clEvENKUlvE3_clEvEUlS6_S6_E_S6_EEDaPvRmT3_T4_T5_mT6_P12ihipStream_tbENKUlT_T0_E_clISt17integral_constantIbLb0EESY_EEDaST_SU_EUlST_E0_NS1_11comp_targetILNS1_3genE8ELNS1_11target_archE1030ELNS1_3gpuE2ELNS1_3repE0EEENS1_30default_config_static_selectorELNS0_4arch9wavefront6targetE1EEEvT1_,comdat
.Lfunc_end376:
	.size	_ZN7rocprim17ROCPRIM_400000_NS6detail17trampoline_kernelINS0_14default_configENS1_20scan_config_selectorIN3c104HalfEEEZZNS1_9scan_implILNS1_25lookback_scan_determinismE0ELb0ELb0ES3_PKS6_PS6_S6_ZZZN2at6native31launch_logcumsumexp_cuda_kernelERKNSD_10TensorBaseESH_lENKUlvE_clEvENKUlvE3_clEvEUlS6_S6_E_S6_EEDaPvRmT3_T4_T5_mT6_P12ihipStream_tbENKUlT_T0_E_clISt17integral_constantIbLb0EESY_EEDaST_SU_EUlST_E0_NS1_11comp_targetILNS1_3genE8ELNS1_11target_archE1030ELNS1_3gpuE2ELNS1_3repE0EEENS1_30default_config_static_selectorELNS0_4arch9wavefront6targetE1EEEvT1_, .Lfunc_end376-_ZN7rocprim17ROCPRIM_400000_NS6detail17trampoline_kernelINS0_14default_configENS1_20scan_config_selectorIN3c104HalfEEEZZNS1_9scan_implILNS1_25lookback_scan_determinismE0ELb0ELb0ES3_PKS6_PS6_S6_ZZZN2at6native31launch_logcumsumexp_cuda_kernelERKNSD_10TensorBaseESH_lENKUlvE_clEvENKUlvE3_clEvEUlS6_S6_E_S6_EEDaPvRmT3_T4_T5_mT6_P12ihipStream_tbENKUlT_T0_E_clISt17integral_constantIbLb0EESY_EEDaST_SU_EUlST_E0_NS1_11comp_targetILNS1_3genE8ELNS1_11target_archE1030ELNS1_3gpuE2ELNS1_3repE0EEENS1_30default_config_static_selectorELNS0_4arch9wavefront6targetE1EEEvT1_
                                        ; -- End function
	.set _ZN7rocprim17ROCPRIM_400000_NS6detail17trampoline_kernelINS0_14default_configENS1_20scan_config_selectorIN3c104HalfEEEZZNS1_9scan_implILNS1_25lookback_scan_determinismE0ELb0ELb0ES3_PKS6_PS6_S6_ZZZN2at6native31launch_logcumsumexp_cuda_kernelERKNSD_10TensorBaseESH_lENKUlvE_clEvENKUlvE3_clEvEUlS6_S6_E_S6_EEDaPvRmT3_T4_T5_mT6_P12ihipStream_tbENKUlT_T0_E_clISt17integral_constantIbLb0EESY_EEDaST_SU_EUlST_E0_NS1_11comp_targetILNS1_3genE8ELNS1_11target_archE1030ELNS1_3gpuE2ELNS1_3repE0EEENS1_30default_config_static_selectorELNS0_4arch9wavefront6targetE1EEEvT1_.num_vgpr, 0
	.set _ZN7rocprim17ROCPRIM_400000_NS6detail17trampoline_kernelINS0_14default_configENS1_20scan_config_selectorIN3c104HalfEEEZZNS1_9scan_implILNS1_25lookback_scan_determinismE0ELb0ELb0ES3_PKS6_PS6_S6_ZZZN2at6native31launch_logcumsumexp_cuda_kernelERKNSD_10TensorBaseESH_lENKUlvE_clEvENKUlvE3_clEvEUlS6_S6_E_S6_EEDaPvRmT3_T4_T5_mT6_P12ihipStream_tbENKUlT_T0_E_clISt17integral_constantIbLb0EESY_EEDaST_SU_EUlST_E0_NS1_11comp_targetILNS1_3genE8ELNS1_11target_archE1030ELNS1_3gpuE2ELNS1_3repE0EEENS1_30default_config_static_selectorELNS0_4arch9wavefront6targetE1EEEvT1_.num_agpr, 0
	.set _ZN7rocprim17ROCPRIM_400000_NS6detail17trampoline_kernelINS0_14default_configENS1_20scan_config_selectorIN3c104HalfEEEZZNS1_9scan_implILNS1_25lookback_scan_determinismE0ELb0ELb0ES3_PKS6_PS6_S6_ZZZN2at6native31launch_logcumsumexp_cuda_kernelERKNSD_10TensorBaseESH_lENKUlvE_clEvENKUlvE3_clEvEUlS6_S6_E_S6_EEDaPvRmT3_T4_T5_mT6_P12ihipStream_tbENKUlT_T0_E_clISt17integral_constantIbLb0EESY_EEDaST_SU_EUlST_E0_NS1_11comp_targetILNS1_3genE8ELNS1_11target_archE1030ELNS1_3gpuE2ELNS1_3repE0EEENS1_30default_config_static_selectorELNS0_4arch9wavefront6targetE1EEEvT1_.numbered_sgpr, 0
	.set _ZN7rocprim17ROCPRIM_400000_NS6detail17trampoline_kernelINS0_14default_configENS1_20scan_config_selectorIN3c104HalfEEEZZNS1_9scan_implILNS1_25lookback_scan_determinismE0ELb0ELb0ES3_PKS6_PS6_S6_ZZZN2at6native31launch_logcumsumexp_cuda_kernelERKNSD_10TensorBaseESH_lENKUlvE_clEvENKUlvE3_clEvEUlS6_S6_E_S6_EEDaPvRmT3_T4_T5_mT6_P12ihipStream_tbENKUlT_T0_E_clISt17integral_constantIbLb0EESY_EEDaST_SU_EUlST_E0_NS1_11comp_targetILNS1_3genE8ELNS1_11target_archE1030ELNS1_3gpuE2ELNS1_3repE0EEENS1_30default_config_static_selectorELNS0_4arch9wavefront6targetE1EEEvT1_.num_named_barrier, 0
	.set _ZN7rocprim17ROCPRIM_400000_NS6detail17trampoline_kernelINS0_14default_configENS1_20scan_config_selectorIN3c104HalfEEEZZNS1_9scan_implILNS1_25lookback_scan_determinismE0ELb0ELb0ES3_PKS6_PS6_S6_ZZZN2at6native31launch_logcumsumexp_cuda_kernelERKNSD_10TensorBaseESH_lENKUlvE_clEvENKUlvE3_clEvEUlS6_S6_E_S6_EEDaPvRmT3_T4_T5_mT6_P12ihipStream_tbENKUlT_T0_E_clISt17integral_constantIbLb0EESY_EEDaST_SU_EUlST_E0_NS1_11comp_targetILNS1_3genE8ELNS1_11target_archE1030ELNS1_3gpuE2ELNS1_3repE0EEENS1_30default_config_static_selectorELNS0_4arch9wavefront6targetE1EEEvT1_.private_seg_size, 0
	.set _ZN7rocprim17ROCPRIM_400000_NS6detail17trampoline_kernelINS0_14default_configENS1_20scan_config_selectorIN3c104HalfEEEZZNS1_9scan_implILNS1_25lookback_scan_determinismE0ELb0ELb0ES3_PKS6_PS6_S6_ZZZN2at6native31launch_logcumsumexp_cuda_kernelERKNSD_10TensorBaseESH_lENKUlvE_clEvENKUlvE3_clEvEUlS6_S6_E_S6_EEDaPvRmT3_T4_T5_mT6_P12ihipStream_tbENKUlT_T0_E_clISt17integral_constantIbLb0EESY_EEDaST_SU_EUlST_E0_NS1_11comp_targetILNS1_3genE8ELNS1_11target_archE1030ELNS1_3gpuE2ELNS1_3repE0EEENS1_30default_config_static_selectorELNS0_4arch9wavefront6targetE1EEEvT1_.uses_vcc, 0
	.set _ZN7rocprim17ROCPRIM_400000_NS6detail17trampoline_kernelINS0_14default_configENS1_20scan_config_selectorIN3c104HalfEEEZZNS1_9scan_implILNS1_25lookback_scan_determinismE0ELb0ELb0ES3_PKS6_PS6_S6_ZZZN2at6native31launch_logcumsumexp_cuda_kernelERKNSD_10TensorBaseESH_lENKUlvE_clEvENKUlvE3_clEvEUlS6_S6_E_S6_EEDaPvRmT3_T4_T5_mT6_P12ihipStream_tbENKUlT_T0_E_clISt17integral_constantIbLb0EESY_EEDaST_SU_EUlST_E0_NS1_11comp_targetILNS1_3genE8ELNS1_11target_archE1030ELNS1_3gpuE2ELNS1_3repE0EEENS1_30default_config_static_selectorELNS0_4arch9wavefront6targetE1EEEvT1_.uses_flat_scratch, 0
	.set _ZN7rocprim17ROCPRIM_400000_NS6detail17trampoline_kernelINS0_14default_configENS1_20scan_config_selectorIN3c104HalfEEEZZNS1_9scan_implILNS1_25lookback_scan_determinismE0ELb0ELb0ES3_PKS6_PS6_S6_ZZZN2at6native31launch_logcumsumexp_cuda_kernelERKNSD_10TensorBaseESH_lENKUlvE_clEvENKUlvE3_clEvEUlS6_S6_E_S6_EEDaPvRmT3_T4_T5_mT6_P12ihipStream_tbENKUlT_T0_E_clISt17integral_constantIbLb0EESY_EEDaST_SU_EUlST_E0_NS1_11comp_targetILNS1_3genE8ELNS1_11target_archE1030ELNS1_3gpuE2ELNS1_3repE0EEENS1_30default_config_static_selectorELNS0_4arch9wavefront6targetE1EEEvT1_.has_dyn_sized_stack, 0
	.set _ZN7rocprim17ROCPRIM_400000_NS6detail17trampoline_kernelINS0_14default_configENS1_20scan_config_selectorIN3c104HalfEEEZZNS1_9scan_implILNS1_25lookback_scan_determinismE0ELb0ELb0ES3_PKS6_PS6_S6_ZZZN2at6native31launch_logcumsumexp_cuda_kernelERKNSD_10TensorBaseESH_lENKUlvE_clEvENKUlvE3_clEvEUlS6_S6_E_S6_EEDaPvRmT3_T4_T5_mT6_P12ihipStream_tbENKUlT_T0_E_clISt17integral_constantIbLb0EESY_EEDaST_SU_EUlST_E0_NS1_11comp_targetILNS1_3genE8ELNS1_11target_archE1030ELNS1_3gpuE2ELNS1_3repE0EEENS1_30default_config_static_selectorELNS0_4arch9wavefront6targetE1EEEvT1_.has_recursion, 0
	.set _ZN7rocprim17ROCPRIM_400000_NS6detail17trampoline_kernelINS0_14default_configENS1_20scan_config_selectorIN3c104HalfEEEZZNS1_9scan_implILNS1_25lookback_scan_determinismE0ELb0ELb0ES3_PKS6_PS6_S6_ZZZN2at6native31launch_logcumsumexp_cuda_kernelERKNSD_10TensorBaseESH_lENKUlvE_clEvENKUlvE3_clEvEUlS6_S6_E_S6_EEDaPvRmT3_T4_T5_mT6_P12ihipStream_tbENKUlT_T0_E_clISt17integral_constantIbLb0EESY_EEDaST_SU_EUlST_E0_NS1_11comp_targetILNS1_3genE8ELNS1_11target_archE1030ELNS1_3gpuE2ELNS1_3repE0EEENS1_30default_config_static_selectorELNS0_4arch9wavefront6targetE1EEEvT1_.has_indirect_call, 0
	.section	.AMDGPU.csdata,"",@progbits
; Kernel info:
; codeLenInByte = 0
; TotalNumSgprs: 4
; NumVgprs: 0
; ScratchSize: 0
; MemoryBound: 0
; FloatMode: 240
; IeeeMode: 1
; LDSByteSize: 0 bytes/workgroup (compile time only)
; SGPRBlocks: 0
; VGPRBlocks: 0
; NumSGPRsForWavesPerEU: 4
; NumVGPRsForWavesPerEU: 1
; Occupancy: 10
; WaveLimiterHint : 0
; COMPUTE_PGM_RSRC2:SCRATCH_EN: 0
; COMPUTE_PGM_RSRC2:USER_SGPR: 6
; COMPUTE_PGM_RSRC2:TRAP_HANDLER: 0
; COMPUTE_PGM_RSRC2:TGID_X_EN: 1
; COMPUTE_PGM_RSRC2:TGID_Y_EN: 0
; COMPUTE_PGM_RSRC2:TGID_Z_EN: 0
; COMPUTE_PGM_RSRC2:TIDIG_COMP_CNT: 0
	.section	.text._ZN7rocprim17ROCPRIM_400000_NS6detail31init_lookback_scan_state_kernelINS1_19lookback_scan_stateIN3c104HalfELb1ELb1EEENS1_16block_id_wrapperIjLb1EEEEEvT_jT0_jPNS9_10value_typeE,"axG",@progbits,_ZN7rocprim17ROCPRIM_400000_NS6detail31init_lookback_scan_state_kernelINS1_19lookback_scan_stateIN3c104HalfELb1ELb1EEENS1_16block_id_wrapperIjLb1EEEEEvT_jT0_jPNS9_10value_typeE,comdat
	.protected	_ZN7rocprim17ROCPRIM_400000_NS6detail31init_lookback_scan_state_kernelINS1_19lookback_scan_stateIN3c104HalfELb1ELb1EEENS1_16block_id_wrapperIjLb1EEEEEvT_jT0_jPNS9_10value_typeE ; -- Begin function _ZN7rocprim17ROCPRIM_400000_NS6detail31init_lookback_scan_state_kernelINS1_19lookback_scan_stateIN3c104HalfELb1ELb1EEENS1_16block_id_wrapperIjLb1EEEEEvT_jT0_jPNS9_10value_typeE
	.globl	_ZN7rocprim17ROCPRIM_400000_NS6detail31init_lookback_scan_state_kernelINS1_19lookback_scan_stateIN3c104HalfELb1ELb1EEENS1_16block_id_wrapperIjLb1EEEEEvT_jT0_jPNS9_10value_typeE
	.p2align	8
	.type	_ZN7rocprim17ROCPRIM_400000_NS6detail31init_lookback_scan_state_kernelINS1_19lookback_scan_stateIN3c104HalfELb1ELb1EEENS1_16block_id_wrapperIjLb1EEEEEvT_jT0_jPNS9_10value_typeE,@function
_ZN7rocprim17ROCPRIM_400000_NS6detail31init_lookback_scan_state_kernelINS1_19lookback_scan_stateIN3c104HalfELb1ELb1EEENS1_16block_id_wrapperIjLb1EEEEEvT_jT0_jPNS9_10value_typeE: ; @_ZN7rocprim17ROCPRIM_400000_NS6detail31init_lookback_scan_state_kernelINS1_19lookback_scan_stateIN3c104HalfELb1ELb1EEENS1_16block_id_wrapperIjLb1EEEEEvT_jT0_jPNS9_10value_typeE
; %bb.0:
	s_load_dword s7, s[4:5], 0x34
	s_load_dwordx2 s[2:3], s[4:5], 0x20
	s_load_dwordx2 s[0:1], s[4:5], 0x0
	s_load_dword s10, s[4:5], 0x8
	s_waitcnt lgkmcnt(0)
	s_and_b32 s7, s7, 0xffff
	s_mul_i32 s6, s6, s7
	s_cmp_eq_u64 s[2:3], 0
	v_add_u32_e32 v0, s6, v0
	s_cbranch_scc1 .LBB377_9
; %bb.1:
	s_load_dword s8, s[4:5], 0x18
	s_mov_b32 s9, 0
	s_waitcnt lgkmcnt(0)
	s_cmp_lt_u32 s8, s10
	s_cselect_b32 s6, s8, 0
	v_cmp_eq_u32_e32 vcc, s6, v0
	s_and_saveexec_b64 s[6:7], vcc
	s_cbranch_execz .LBB377_8
; %bb.2:
	s_add_i32 s8, s8, 64
	s_lshl_b64 s[8:9], s[8:9], 2
	s_add_u32 s8, s0, s8
	s_addc_u32 s9, s1, s9
	v_mov_b32_e32 v1, 0
	global_load_dword v2, v1, s[8:9] glc
	s_waitcnt vmcnt(0)
	v_and_b32_e32 v3, 0xff0000, v2
	v_cmp_ne_u32_e32 vcc, 0, v3
	s_cbranch_vccnz .LBB377_7
; %bb.3:
	s_mov_b32 s11, 1
.LBB377_4:                              ; =>This Loop Header: Depth=1
                                        ;     Child Loop BB377_5 Depth 2
	s_mov_b32 s12, s11
.LBB377_5:                              ;   Parent Loop BB377_4 Depth=1
                                        ; =>  This Inner Loop Header: Depth=2
	s_add_i32 s12, s12, -1
	s_cmp_eq_u32 s12, 0
	s_sleep 1
	s_cbranch_scc0 .LBB377_5
; %bb.6:                                ;   in Loop: Header=BB377_4 Depth=1
	global_load_dword v2, v1, s[8:9] glc
	s_cmp_lt_u32 s11, 32
	s_cselect_b64 s[12:13], -1, 0
	s_cmp_lg_u64 s[12:13], 0
	s_addc_u32 s11, s11, 0
	s_waitcnt vmcnt(0)
	v_and_b32_e32 v3, 0xff0000, v2
	v_cmp_ne_u32_e32 vcc, 0, v3
	s_cbranch_vccz .LBB377_4
.LBB377_7:
	v_mov_b32_e32 v1, 0
	global_store_short v1, v2, s[2:3]
.LBB377_8:
	s_or_b64 exec, exec, s[6:7]
.LBB377_9:
	v_cmp_eq_u32_e32 vcc, 0, v0
	s_and_saveexec_b64 s[2:3], vcc
	s_cbranch_execnz .LBB377_13
; %bb.10:
	s_or_b64 exec, exec, s[2:3]
	v_cmp_gt_u32_e32 vcc, s10, v0
	s_and_saveexec_b64 s[2:3], vcc
	s_cbranch_execnz .LBB377_14
.LBB377_11:
	s_or_b64 exec, exec, s[2:3]
	v_cmp_gt_u32_e32 vcc, 64, v0
	s_and_saveexec_b64 s[2:3], vcc
	s_cbranch_execnz .LBB377_15
.LBB377_12:
	s_endpgm
.LBB377_13:
	s_load_dwordx2 s[4:5], s[4:5], 0x10
	v_mov_b32_e32 v1, 0
	s_waitcnt lgkmcnt(0)
	global_store_dword v1, v1, s[4:5]
	s_or_b64 exec, exec, s[2:3]
	v_cmp_gt_u32_e32 vcc, s10, v0
	s_and_saveexec_b64 s[2:3], vcc
	s_cbranch_execz .LBB377_11
.LBB377_14:
	v_add_u32_e32 v1, 64, v0
	v_mov_b32_e32 v2, 0
	v_lshlrev_b64 v[3:4], 2, v[1:2]
	v_mov_b32_e32 v1, s1
	v_add_co_u32_e32 v3, vcc, s0, v3
	v_addc_co_u32_e32 v4, vcc, v1, v4, vcc
	global_store_dword v[3:4], v2, off
	s_or_b64 exec, exec, s[2:3]
	v_cmp_gt_u32_e32 vcc, 64, v0
	s_and_saveexec_b64 s[2:3], vcc
	s_cbranch_execz .LBB377_12
.LBB377_15:
	v_mov_b32_e32 v1, 0
	v_lshlrev_b64 v[0:1], 2, v[0:1]
	v_mov_b32_e32 v2, s1
	v_add_co_u32_e32 v0, vcc, s0, v0
	v_addc_co_u32_e32 v1, vcc, v2, v1, vcc
	v_mov_b32_e32 v2, 0xff0000
	global_store_dword v[0:1], v2, off
	s_endpgm
	.section	.rodata,"a",@progbits
	.p2align	6, 0x0
	.amdhsa_kernel _ZN7rocprim17ROCPRIM_400000_NS6detail31init_lookback_scan_state_kernelINS1_19lookback_scan_stateIN3c104HalfELb1ELb1EEENS1_16block_id_wrapperIjLb1EEEEEvT_jT0_jPNS9_10value_typeE
		.amdhsa_group_segment_fixed_size 0
		.amdhsa_private_segment_fixed_size 0
		.amdhsa_kernarg_size 296
		.amdhsa_user_sgpr_count 6
		.amdhsa_user_sgpr_private_segment_buffer 1
		.amdhsa_user_sgpr_dispatch_ptr 0
		.amdhsa_user_sgpr_queue_ptr 0
		.amdhsa_user_sgpr_kernarg_segment_ptr 1
		.amdhsa_user_sgpr_dispatch_id 0
		.amdhsa_user_sgpr_flat_scratch_init 0
		.amdhsa_user_sgpr_private_segment_size 0
		.amdhsa_uses_dynamic_stack 0
		.amdhsa_system_sgpr_private_segment_wavefront_offset 0
		.amdhsa_system_sgpr_workgroup_id_x 1
		.amdhsa_system_sgpr_workgroup_id_y 0
		.amdhsa_system_sgpr_workgroup_id_z 0
		.amdhsa_system_sgpr_workgroup_info 0
		.amdhsa_system_vgpr_workitem_id 0
		.amdhsa_next_free_vgpr 5
		.amdhsa_next_free_sgpr 14
		.amdhsa_reserve_vcc 1
		.amdhsa_reserve_flat_scratch 0
		.amdhsa_float_round_mode_32 0
		.amdhsa_float_round_mode_16_64 0
		.amdhsa_float_denorm_mode_32 3
		.amdhsa_float_denorm_mode_16_64 3
		.amdhsa_dx10_clamp 1
		.amdhsa_ieee_mode 1
		.amdhsa_fp16_overflow 0
		.amdhsa_exception_fp_ieee_invalid_op 0
		.amdhsa_exception_fp_denorm_src 0
		.amdhsa_exception_fp_ieee_div_zero 0
		.amdhsa_exception_fp_ieee_overflow 0
		.amdhsa_exception_fp_ieee_underflow 0
		.amdhsa_exception_fp_ieee_inexact 0
		.amdhsa_exception_int_div_zero 0
	.end_amdhsa_kernel
	.section	.text._ZN7rocprim17ROCPRIM_400000_NS6detail31init_lookback_scan_state_kernelINS1_19lookback_scan_stateIN3c104HalfELb1ELb1EEENS1_16block_id_wrapperIjLb1EEEEEvT_jT0_jPNS9_10value_typeE,"axG",@progbits,_ZN7rocprim17ROCPRIM_400000_NS6detail31init_lookback_scan_state_kernelINS1_19lookback_scan_stateIN3c104HalfELb1ELb1EEENS1_16block_id_wrapperIjLb1EEEEEvT_jT0_jPNS9_10value_typeE,comdat
.Lfunc_end377:
	.size	_ZN7rocprim17ROCPRIM_400000_NS6detail31init_lookback_scan_state_kernelINS1_19lookback_scan_stateIN3c104HalfELb1ELb1EEENS1_16block_id_wrapperIjLb1EEEEEvT_jT0_jPNS9_10value_typeE, .Lfunc_end377-_ZN7rocprim17ROCPRIM_400000_NS6detail31init_lookback_scan_state_kernelINS1_19lookback_scan_stateIN3c104HalfELb1ELb1EEENS1_16block_id_wrapperIjLb1EEEEEvT_jT0_jPNS9_10value_typeE
                                        ; -- End function
	.set _ZN7rocprim17ROCPRIM_400000_NS6detail31init_lookback_scan_state_kernelINS1_19lookback_scan_stateIN3c104HalfELb1ELb1EEENS1_16block_id_wrapperIjLb1EEEEEvT_jT0_jPNS9_10value_typeE.num_vgpr, 5
	.set _ZN7rocprim17ROCPRIM_400000_NS6detail31init_lookback_scan_state_kernelINS1_19lookback_scan_stateIN3c104HalfELb1ELb1EEENS1_16block_id_wrapperIjLb1EEEEEvT_jT0_jPNS9_10value_typeE.num_agpr, 0
	.set _ZN7rocprim17ROCPRIM_400000_NS6detail31init_lookback_scan_state_kernelINS1_19lookback_scan_stateIN3c104HalfELb1ELb1EEENS1_16block_id_wrapperIjLb1EEEEEvT_jT0_jPNS9_10value_typeE.numbered_sgpr, 14
	.set _ZN7rocprim17ROCPRIM_400000_NS6detail31init_lookback_scan_state_kernelINS1_19lookback_scan_stateIN3c104HalfELb1ELb1EEENS1_16block_id_wrapperIjLb1EEEEEvT_jT0_jPNS9_10value_typeE.num_named_barrier, 0
	.set _ZN7rocprim17ROCPRIM_400000_NS6detail31init_lookback_scan_state_kernelINS1_19lookback_scan_stateIN3c104HalfELb1ELb1EEENS1_16block_id_wrapperIjLb1EEEEEvT_jT0_jPNS9_10value_typeE.private_seg_size, 0
	.set _ZN7rocprim17ROCPRIM_400000_NS6detail31init_lookback_scan_state_kernelINS1_19lookback_scan_stateIN3c104HalfELb1ELb1EEENS1_16block_id_wrapperIjLb1EEEEEvT_jT0_jPNS9_10value_typeE.uses_vcc, 1
	.set _ZN7rocprim17ROCPRIM_400000_NS6detail31init_lookback_scan_state_kernelINS1_19lookback_scan_stateIN3c104HalfELb1ELb1EEENS1_16block_id_wrapperIjLb1EEEEEvT_jT0_jPNS9_10value_typeE.uses_flat_scratch, 0
	.set _ZN7rocprim17ROCPRIM_400000_NS6detail31init_lookback_scan_state_kernelINS1_19lookback_scan_stateIN3c104HalfELb1ELb1EEENS1_16block_id_wrapperIjLb1EEEEEvT_jT0_jPNS9_10value_typeE.has_dyn_sized_stack, 0
	.set _ZN7rocprim17ROCPRIM_400000_NS6detail31init_lookback_scan_state_kernelINS1_19lookback_scan_stateIN3c104HalfELb1ELb1EEENS1_16block_id_wrapperIjLb1EEEEEvT_jT0_jPNS9_10value_typeE.has_recursion, 0
	.set _ZN7rocprim17ROCPRIM_400000_NS6detail31init_lookback_scan_state_kernelINS1_19lookback_scan_stateIN3c104HalfELb1ELb1EEENS1_16block_id_wrapperIjLb1EEEEEvT_jT0_jPNS9_10value_typeE.has_indirect_call, 0
	.section	.AMDGPU.csdata,"",@progbits
; Kernel info:
; codeLenInByte = 412
; TotalNumSgprs: 18
; NumVgprs: 5
; ScratchSize: 0
; MemoryBound: 0
; FloatMode: 240
; IeeeMode: 1
; LDSByteSize: 0 bytes/workgroup (compile time only)
; SGPRBlocks: 2
; VGPRBlocks: 1
; NumSGPRsForWavesPerEU: 18
; NumVGPRsForWavesPerEU: 5
; Occupancy: 10
; WaveLimiterHint : 0
; COMPUTE_PGM_RSRC2:SCRATCH_EN: 0
; COMPUTE_PGM_RSRC2:USER_SGPR: 6
; COMPUTE_PGM_RSRC2:TRAP_HANDLER: 0
; COMPUTE_PGM_RSRC2:TGID_X_EN: 1
; COMPUTE_PGM_RSRC2:TGID_Y_EN: 0
; COMPUTE_PGM_RSRC2:TGID_Z_EN: 0
; COMPUTE_PGM_RSRC2:TIDIG_COMP_CNT: 0
	.section	.text._ZN7rocprim17ROCPRIM_400000_NS6detail17trampoline_kernelINS0_14default_configENS1_20scan_config_selectorIN3c104HalfEEEZZNS1_9scan_implILNS1_25lookback_scan_determinismE0ELb0ELb0ES3_PKS6_PS6_S6_ZZZN2at6native31launch_logcumsumexp_cuda_kernelERKNSD_10TensorBaseESH_lENKUlvE_clEvENKUlvE3_clEvEUlS6_S6_E_S6_EEDaPvRmT3_T4_T5_mT6_P12ihipStream_tbENKUlT_T0_E_clISt17integral_constantIbLb1EESY_EEDaST_SU_EUlST_E_NS1_11comp_targetILNS1_3genE0ELNS1_11target_archE4294967295ELNS1_3gpuE0ELNS1_3repE0EEENS1_30default_config_static_selectorELNS0_4arch9wavefront6targetE1EEEvT1_,"axG",@progbits,_ZN7rocprim17ROCPRIM_400000_NS6detail17trampoline_kernelINS0_14default_configENS1_20scan_config_selectorIN3c104HalfEEEZZNS1_9scan_implILNS1_25lookback_scan_determinismE0ELb0ELb0ES3_PKS6_PS6_S6_ZZZN2at6native31launch_logcumsumexp_cuda_kernelERKNSD_10TensorBaseESH_lENKUlvE_clEvENKUlvE3_clEvEUlS6_S6_E_S6_EEDaPvRmT3_T4_T5_mT6_P12ihipStream_tbENKUlT_T0_E_clISt17integral_constantIbLb1EESY_EEDaST_SU_EUlST_E_NS1_11comp_targetILNS1_3genE0ELNS1_11target_archE4294967295ELNS1_3gpuE0ELNS1_3repE0EEENS1_30default_config_static_selectorELNS0_4arch9wavefront6targetE1EEEvT1_,comdat
	.globl	_ZN7rocprim17ROCPRIM_400000_NS6detail17trampoline_kernelINS0_14default_configENS1_20scan_config_selectorIN3c104HalfEEEZZNS1_9scan_implILNS1_25lookback_scan_determinismE0ELb0ELb0ES3_PKS6_PS6_S6_ZZZN2at6native31launch_logcumsumexp_cuda_kernelERKNSD_10TensorBaseESH_lENKUlvE_clEvENKUlvE3_clEvEUlS6_S6_E_S6_EEDaPvRmT3_T4_T5_mT6_P12ihipStream_tbENKUlT_T0_E_clISt17integral_constantIbLb1EESY_EEDaST_SU_EUlST_E_NS1_11comp_targetILNS1_3genE0ELNS1_11target_archE4294967295ELNS1_3gpuE0ELNS1_3repE0EEENS1_30default_config_static_selectorELNS0_4arch9wavefront6targetE1EEEvT1_ ; -- Begin function _ZN7rocprim17ROCPRIM_400000_NS6detail17trampoline_kernelINS0_14default_configENS1_20scan_config_selectorIN3c104HalfEEEZZNS1_9scan_implILNS1_25lookback_scan_determinismE0ELb0ELb0ES3_PKS6_PS6_S6_ZZZN2at6native31launch_logcumsumexp_cuda_kernelERKNSD_10TensorBaseESH_lENKUlvE_clEvENKUlvE3_clEvEUlS6_S6_E_S6_EEDaPvRmT3_T4_T5_mT6_P12ihipStream_tbENKUlT_T0_E_clISt17integral_constantIbLb1EESY_EEDaST_SU_EUlST_E_NS1_11comp_targetILNS1_3genE0ELNS1_11target_archE4294967295ELNS1_3gpuE0ELNS1_3repE0EEENS1_30default_config_static_selectorELNS0_4arch9wavefront6targetE1EEEvT1_
	.p2align	8
	.type	_ZN7rocprim17ROCPRIM_400000_NS6detail17trampoline_kernelINS0_14default_configENS1_20scan_config_selectorIN3c104HalfEEEZZNS1_9scan_implILNS1_25lookback_scan_determinismE0ELb0ELb0ES3_PKS6_PS6_S6_ZZZN2at6native31launch_logcumsumexp_cuda_kernelERKNSD_10TensorBaseESH_lENKUlvE_clEvENKUlvE3_clEvEUlS6_S6_E_S6_EEDaPvRmT3_T4_T5_mT6_P12ihipStream_tbENKUlT_T0_E_clISt17integral_constantIbLb1EESY_EEDaST_SU_EUlST_E_NS1_11comp_targetILNS1_3genE0ELNS1_11target_archE4294967295ELNS1_3gpuE0ELNS1_3repE0EEENS1_30default_config_static_selectorELNS0_4arch9wavefront6targetE1EEEvT1_,@function
_ZN7rocprim17ROCPRIM_400000_NS6detail17trampoline_kernelINS0_14default_configENS1_20scan_config_selectorIN3c104HalfEEEZZNS1_9scan_implILNS1_25lookback_scan_determinismE0ELb0ELb0ES3_PKS6_PS6_S6_ZZZN2at6native31launch_logcumsumexp_cuda_kernelERKNSD_10TensorBaseESH_lENKUlvE_clEvENKUlvE3_clEvEUlS6_S6_E_S6_EEDaPvRmT3_T4_T5_mT6_P12ihipStream_tbENKUlT_T0_E_clISt17integral_constantIbLb1EESY_EEDaST_SU_EUlST_E_NS1_11comp_targetILNS1_3genE0ELNS1_11target_archE4294967295ELNS1_3gpuE0ELNS1_3repE0EEENS1_30default_config_static_selectorELNS0_4arch9wavefront6targetE1EEEvT1_: ; @_ZN7rocprim17ROCPRIM_400000_NS6detail17trampoline_kernelINS0_14default_configENS1_20scan_config_selectorIN3c104HalfEEEZZNS1_9scan_implILNS1_25lookback_scan_determinismE0ELb0ELb0ES3_PKS6_PS6_S6_ZZZN2at6native31launch_logcumsumexp_cuda_kernelERKNSD_10TensorBaseESH_lENKUlvE_clEvENKUlvE3_clEvEUlS6_S6_E_S6_EEDaPvRmT3_T4_T5_mT6_P12ihipStream_tbENKUlT_T0_E_clISt17integral_constantIbLb1EESY_EEDaST_SU_EUlST_E_NS1_11comp_targetILNS1_3genE0ELNS1_11target_archE4294967295ELNS1_3gpuE0ELNS1_3repE0EEENS1_30default_config_static_selectorELNS0_4arch9wavefront6targetE1EEEvT1_
; %bb.0:
	.section	.rodata,"a",@progbits
	.p2align	6, 0x0
	.amdhsa_kernel _ZN7rocprim17ROCPRIM_400000_NS6detail17trampoline_kernelINS0_14default_configENS1_20scan_config_selectorIN3c104HalfEEEZZNS1_9scan_implILNS1_25lookback_scan_determinismE0ELb0ELb0ES3_PKS6_PS6_S6_ZZZN2at6native31launch_logcumsumexp_cuda_kernelERKNSD_10TensorBaseESH_lENKUlvE_clEvENKUlvE3_clEvEUlS6_S6_E_S6_EEDaPvRmT3_T4_T5_mT6_P12ihipStream_tbENKUlT_T0_E_clISt17integral_constantIbLb1EESY_EEDaST_SU_EUlST_E_NS1_11comp_targetILNS1_3genE0ELNS1_11target_archE4294967295ELNS1_3gpuE0ELNS1_3repE0EEENS1_30default_config_static_selectorELNS0_4arch9wavefront6targetE1EEEvT1_
		.amdhsa_group_segment_fixed_size 0
		.amdhsa_private_segment_fixed_size 0
		.amdhsa_kernarg_size 96
		.amdhsa_user_sgpr_count 6
		.amdhsa_user_sgpr_private_segment_buffer 1
		.amdhsa_user_sgpr_dispatch_ptr 0
		.amdhsa_user_sgpr_queue_ptr 0
		.amdhsa_user_sgpr_kernarg_segment_ptr 1
		.amdhsa_user_sgpr_dispatch_id 0
		.amdhsa_user_sgpr_flat_scratch_init 0
		.amdhsa_user_sgpr_private_segment_size 0
		.amdhsa_uses_dynamic_stack 0
		.amdhsa_system_sgpr_private_segment_wavefront_offset 0
		.amdhsa_system_sgpr_workgroup_id_x 1
		.amdhsa_system_sgpr_workgroup_id_y 0
		.amdhsa_system_sgpr_workgroup_id_z 0
		.amdhsa_system_sgpr_workgroup_info 0
		.amdhsa_system_vgpr_workitem_id 0
		.amdhsa_next_free_vgpr 1
		.amdhsa_next_free_sgpr 0
		.amdhsa_reserve_vcc 0
		.amdhsa_reserve_flat_scratch 0
		.amdhsa_float_round_mode_32 0
		.amdhsa_float_round_mode_16_64 0
		.amdhsa_float_denorm_mode_32 3
		.amdhsa_float_denorm_mode_16_64 3
		.amdhsa_dx10_clamp 1
		.amdhsa_ieee_mode 1
		.amdhsa_fp16_overflow 0
		.amdhsa_exception_fp_ieee_invalid_op 0
		.amdhsa_exception_fp_denorm_src 0
		.amdhsa_exception_fp_ieee_div_zero 0
		.amdhsa_exception_fp_ieee_overflow 0
		.amdhsa_exception_fp_ieee_underflow 0
		.amdhsa_exception_fp_ieee_inexact 0
		.amdhsa_exception_int_div_zero 0
	.end_amdhsa_kernel
	.section	.text._ZN7rocprim17ROCPRIM_400000_NS6detail17trampoline_kernelINS0_14default_configENS1_20scan_config_selectorIN3c104HalfEEEZZNS1_9scan_implILNS1_25lookback_scan_determinismE0ELb0ELb0ES3_PKS6_PS6_S6_ZZZN2at6native31launch_logcumsumexp_cuda_kernelERKNSD_10TensorBaseESH_lENKUlvE_clEvENKUlvE3_clEvEUlS6_S6_E_S6_EEDaPvRmT3_T4_T5_mT6_P12ihipStream_tbENKUlT_T0_E_clISt17integral_constantIbLb1EESY_EEDaST_SU_EUlST_E_NS1_11comp_targetILNS1_3genE0ELNS1_11target_archE4294967295ELNS1_3gpuE0ELNS1_3repE0EEENS1_30default_config_static_selectorELNS0_4arch9wavefront6targetE1EEEvT1_,"axG",@progbits,_ZN7rocprim17ROCPRIM_400000_NS6detail17trampoline_kernelINS0_14default_configENS1_20scan_config_selectorIN3c104HalfEEEZZNS1_9scan_implILNS1_25lookback_scan_determinismE0ELb0ELb0ES3_PKS6_PS6_S6_ZZZN2at6native31launch_logcumsumexp_cuda_kernelERKNSD_10TensorBaseESH_lENKUlvE_clEvENKUlvE3_clEvEUlS6_S6_E_S6_EEDaPvRmT3_T4_T5_mT6_P12ihipStream_tbENKUlT_T0_E_clISt17integral_constantIbLb1EESY_EEDaST_SU_EUlST_E_NS1_11comp_targetILNS1_3genE0ELNS1_11target_archE4294967295ELNS1_3gpuE0ELNS1_3repE0EEENS1_30default_config_static_selectorELNS0_4arch9wavefront6targetE1EEEvT1_,comdat
.Lfunc_end378:
	.size	_ZN7rocprim17ROCPRIM_400000_NS6detail17trampoline_kernelINS0_14default_configENS1_20scan_config_selectorIN3c104HalfEEEZZNS1_9scan_implILNS1_25lookback_scan_determinismE0ELb0ELb0ES3_PKS6_PS6_S6_ZZZN2at6native31launch_logcumsumexp_cuda_kernelERKNSD_10TensorBaseESH_lENKUlvE_clEvENKUlvE3_clEvEUlS6_S6_E_S6_EEDaPvRmT3_T4_T5_mT6_P12ihipStream_tbENKUlT_T0_E_clISt17integral_constantIbLb1EESY_EEDaST_SU_EUlST_E_NS1_11comp_targetILNS1_3genE0ELNS1_11target_archE4294967295ELNS1_3gpuE0ELNS1_3repE0EEENS1_30default_config_static_selectorELNS0_4arch9wavefront6targetE1EEEvT1_, .Lfunc_end378-_ZN7rocprim17ROCPRIM_400000_NS6detail17trampoline_kernelINS0_14default_configENS1_20scan_config_selectorIN3c104HalfEEEZZNS1_9scan_implILNS1_25lookback_scan_determinismE0ELb0ELb0ES3_PKS6_PS6_S6_ZZZN2at6native31launch_logcumsumexp_cuda_kernelERKNSD_10TensorBaseESH_lENKUlvE_clEvENKUlvE3_clEvEUlS6_S6_E_S6_EEDaPvRmT3_T4_T5_mT6_P12ihipStream_tbENKUlT_T0_E_clISt17integral_constantIbLb1EESY_EEDaST_SU_EUlST_E_NS1_11comp_targetILNS1_3genE0ELNS1_11target_archE4294967295ELNS1_3gpuE0ELNS1_3repE0EEENS1_30default_config_static_selectorELNS0_4arch9wavefront6targetE1EEEvT1_
                                        ; -- End function
	.set _ZN7rocprim17ROCPRIM_400000_NS6detail17trampoline_kernelINS0_14default_configENS1_20scan_config_selectorIN3c104HalfEEEZZNS1_9scan_implILNS1_25lookback_scan_determinismE0ELb0ELb0ES3_PKS6_PS6_S6_ZZZN2at6native31launch_logcumsumexp_cuda_kernelERKNSD_10TensorBaseESH_lENKUlvE_clEvENKUlvE3_clEvEUlS6_S6_E_S6_EEDaPvRmT3_T4_T5_mT6_P12ihipStream_tbENKUlT_T0_E_clISt17integral_constantIbLb1EESY_EEDaST_SU_EUlST_E_NS1_11comp_targetILNS1_3genE0ELNS1_11target_archE4294967295ELNS1_3gpuE0ELNS1_3repE0EEENS1_30default_config_static_selectorELNS0_4arch9wavefront6targetE1EEEvT1_.num_vgpr, 0
	.set _ZN7rocprim17ROCPRIM_400000_NS6detail17trampoline_kernelINS0_14default_configENS1_20scan_config_selectorIN3c104HalfEEEZZNS1_9scan_implILNS1_25lookback_scan_determinismE0ELb0ELb0ES3_PKS6_PS6_S6_ZZZN2at6native31launch_logcumsumexp_cuda_kernelERKNSD_10TensorBaseESH_lENKUlvE_clEvENKUlvE3_clEvEUlS6_S6_E_S6_EEDaPvRmT3_T4_T5_mT6_P12ihipStream_tbENKUlT_T0_E_clISt17integral_constantIbLb1EESY_EEDaST_SU_EUlST_E_NS1_11comp_targetILNS1_3genE0ELNS1_11target_archE4294967295ELNS1_3gpuE0ELNS1_3repE0EEENS1_30default_config_static_selectorELNS0_4arch9wavefront6targetE1EEEvT1_.num_agpr, 0
	.set _ZN7rocprim17ROCPRIM_400000_NS6detail17trampoline_kernelINS0_14default_configENS1_20scan_config_selectorIN3c104HalfEEEZZNS1_9scan_implILNS1_25lookback_scan_determinismE0ELb0ELb0ES3_PKS6_PS6_S6_ZZZN2at6native31launch_logcumsumexp_cuda_kernelERKNSD_10TensorBaseESH_lENKUlvE_clEvENKUlvE3_clEvEUlS6_S6_E_S6_EEDaPvRmT3_T4_T5_mT6_P12ihipStream_tbENKUlT_T0_E_clISt17integral_constantIbLb1EESY_EEDaST_SU_EUlST_E_NS1_11comp_targetILNS1_3genE0ELNS1_11target_archE4294967295ELNS1_3gpuE0ELNS1_3repE0EEENS1_30default_config_static_selectorELNS0_4arch9wavefront6targetE1EEEvT1_.numbered_sgpr, 0
	.set _ZN7rocprim17ROCPRIM_400000_NS6detail17trampoline_kernelINS0_14default_configENS1_20scan_config_selectorIN3c104HalfEEEZZNS1_9scan_implILNS1_25lookback_scan_determinismE0ELb0ELb0ES3_PKS6_PS6_S6_ZZZN2at6native31launch_logcumsumexp_cuda_kernelERKNSD_10TensorBaseESH_lENKUlvE_clEvENKUlvE3_clEvEUlS6_S6_E_S6_EEDaPvRmT3_T4_T5_mT6_P12ihipStream_tbENKUlT_T0_E_clISt17integral_constantIbLb1EESY_EEDaST_SU_EUlST_E_NS1_11comp_targetILNS1_3genE0ELNS1_11target_archE4294967295ELNS1_3gpuE0ELNS1_3repE0EEENS1_30default_config_static_selectorELNS0_4arch9wavefront6targetE1EEEvT1_.num_named_barrier, 0
	.set _ZN7rocprim17ROCPRIM_400000_NS6detail17trampoline_kernelINS0_14default_configENS1_20scan_config_selectorIN3c104HalfEEEZZNS1_9scan_implILNS1_25lookback_scan_determinismE0ELb0ELb0ES3_PKS6_PS6_S6_ZZZN2at6native31launch_logcumsumexp_cuda_kernelERKNSD_10TensorBaseESH_lENKUlvE_clEvENKUlvE3_clEvEUlS6_S6_E_S6_EEDaPvRmT3_T4_T5_mT6_P12ihipStream_tbENKUlT_T0_E_clISt17integral_constantIbLb1EESY_EEDaST_SU_EUlST_E_NS1_11comp_targetILNS1_3genE0ELNS1_11target_archE4294967295ELNS1_3gpuE0ELNS1_3repE0EEENS1_30default_config_static_selectorELNS0_4arch9wavefront6targetE1EEEvT1_.private_seg_size, 0
	.set _ZN7rocprim17ROCPRIM_400000_NS6detail17trampoline_kernelINS0_14default_configENS1_20scan_config_selectorIN3c104HalfEEEZZNS1_9scan_implILNS1_25lookback_scan_determinismE0ELb0ELb0ES3_PKS6_PS6_S6_ZZZN2at6native31launch_logcumsumexp_cuda_kernelERKNSD_10TensorBaseESH_lENKUlvE_clEvENKUlvE3_clEvEUlS6_S6_E_S6_EEDaPvRmT3_T4_T5_mT6_P12ihipStream_tbENKUlT_T0_E_clISt17integral_constantIbLb1EESY_EEDaST_SU_EUlST_E_NS1_11comp_targetILNS1_3genE0ELNS1_11target_archE4294967295ELNS1_3gpuE0ELNS1_3repE0EEENS1_30default_config_static_selectorELNS0_4arch9wavefront6targetE1EEEvT1_.uses_vcc, 0
	.set _ZN7rocprim17ROCPRIM_400000_NS6detail17trampoline_kernelINS0_14default_configENS1_20scan_config_selectorIN3c104HalfEEEZZNS1_9scan_implILNS1_25lookback_scan_determinismE0ELb0ELb0ES3_PKS6_PS6_S6_ZZZN2at6native31launch_logcumsumexp_cuda_kernelERKNSD_10TensorBaseESH_lENKUlvE_clEvENKUlvE3_clEvEUlS6_S6_E_S6_EEDaPvRmT3_T4_T5_mT6_P12ihipStream_tbENKUlT_T0_E_clISt17integral_constantIbLb1EESY_EEDaST_SU_EUlST_E_NS1_11comp_targetILNS1_3genE0ELNS1_11target_archE4294967295ELNS1_3gpuE0ELNS1_3repE0EEENS1_30default_config_static_selectorELNS0_4arch9wavefront6targetE1EEEvT1_.uses_flat_scratch, 0
	.set _ZN7rocprim17ROCPRIM_400000_NS6detail17trampoline_kernelINS0_14default_configENS1_20scan_config_selectorIN3c104HalfEEEZZNS1_9scan_implILNS1_25lookback_scan_determinismE0ELb0ELb0ES3_PKS6_PS6_S6_ZZZN2at6native31launch_logcumsumexp_cuda_kernelERKNSD_10TensorBaseESH_lENKUlvE_clEvENKUlvE3_clEvEUlS6_S6_E_S6_EEDaPvRmT3_T4_T5_mT6_P12ihipStream_tbENKUlT_T0_E_clISt17integral_constantIbLb1EESY_EEDaST_SU_EUlST_E_NS1_11comp_targetILNS1_3genE0ELNS1_11target_archE4294967295ELNS1_3gpuE0ELNS1_3repE0EEENS1_30default_config_static_selectorELNS0_4arch9wavefront6targetE1EEEvT1_.has_dyn_sized_stack, 0
	.set _ZN7rocprim17ROCPRIM_400000_NS6detail17trampoline_kernelINS0_14default_configENS1_20scan_config_selectorIN3c104HalfEEEZZNS1_9scan_implILNS1_25lookback_scan_determinismE0ELb0ELb0ES3_PKS6_PS6_S6_ZZZN2at6native31launch_logcumsumexp_cuda_kernelERKNSD_10TensorBaseESH_lENKUlvE_clEvENKUlvE3_clEvEUlS6_S6_E_S6_EEDaPvRmT3_T4_T5_mT6_P12ihipStream_tbENKUlT_T0_E_clISt17integral_constantIbLb1EESY_EEDaST_SU_EUlST_E_NS1_11comp_targetILNS1_3genE0ELNS1_11target_archE4294967295ELNS1_3gpuE0ELNS1_3repE0EEENS1_30default_config_static_selectorELNS0_4arch9wavefront6targetE1EEEvT1_.has_recursion, 0
	.set _ZN7rocprim17ROCPRIM_400000_NS6detail17trampoline_kernelINS0_14default_configENS1_20scan_config_selectorIN3c104HalfEEEZZNS1_9scan_implILNS1_25lookback_scan_determinismE0ELb0ELb0ES3_PKS6_PS6_S6_ZZZN2at6native31launch_logcumsumexp_cuda_kernelERKNSD_10TensorBaseESH_lENKUlvE_clEvENKUlvE3_clEvEUlS6_S6_E_S6_EEDaPvRmT3_T4_T5_mT6_P12ihipStream_tbENKUlT_T0_E_clISt17integral_constantIbLb1EESY_EEDaST_SU_EUlST_E_NS1_11comp_targetILNS1_3genE0ELNS1_11target_archE4294967295ELNS1_3gpuE0ELNS1_3repE0EEENS1_30default_config_static_selectorELNS0_4arch9wavefront6targetE1EEEvT1_.has_indirect_call, 0
	.section	.AMDGPU.csdata,"",@progbits
; Kernel info:
; codeLenInByte = 0
; TotalNumSgprs: 4
; NumVgprs: 0
; ScratchSize: 0
; MemoryBound: 0
; FloatMode: 240
; IeeeMode: 1
; LDSByteSize: 0 bytes/workgroup (compile time only)
; SGPRBlocks: 0
; VGPRBlocks: 0
; NumSGPRsForWavesPerEU: 4
; NumVGPRsForWavesPerEU: 1
; Occupancy: 10
; WaveLimiterHint : 0
; COMPUTE_PGM_RSRC2:SCRATCH_EN: 0
; COMPUTE_PGM_RSRC2:USER_SGPR: 6
; COMPUTE_PGM_RSRC2:TRAP_HANDLER: 0
; COMPUTE_PGM_RSRC2:TGID_X_EN: 1
; COMPUTE_PGM_RSRC2:TGID_Y_EN: 0
; COMPUTE_PGM_RSRC2:TGID_Z_EN: 0
; COMPUTE_PGM_RSRC2:TIDIG_COMP_CNT: 0
	.section	.text._ZN7rocprim17ROCPRIM_400000_NS6detail17trampoline_kernelINS0_14default_configENS1_20scan_config_selectorIN3c104HalfEEEZZNS1_9scan_implILNS1_25lookback_scan_determinismE0ELb0ELb0ES3_PKS6_PS6_S6_ZZZN2at6native31launch_logcumsumexp_cuda_kernelERKNSD_10TensorBaseESH_lENKUlvE_clEvENKUlvE3_clEvEUlS6_S6_E_S6_EEDaPvRmT3_T4_T5_mT6_P12ihipStream_tbENKUlT_T0_E_clISt17integral_constantIbLb1EESY_EEDaST_SU_EUlST_E_NS1_11comp_targetILNS1_3genE5ELNS1_11target_archE942ELNS1_3gpuE9ELNS1_3repE0EEENS1_30default_config_static_selectorELNS0_4arch9wavefront6targetE1EEEvT1_,"axG",@progbits,_ZN7rocprim17ROCPRIM_400000_NS6detail17trampoline_kernelINS0_14default_configENS1_20scan_config_selectorIN3c104HalfEEEZZNS1_9scan_implILNS1_25lookback_scan_determinismE0ELb0ELb0ES3_PKS6_PS6_S6_ZZZN2at6native31launch_logcumsumexp_cuda_kernelERKNSD_10TensorBaseESH_lENKUlvE_clEvENKUlvE3_clEvEUlS6_S6_E_S6_EEDaPvRmT3_T4_T5_mT6_P12ihipStream_tbENKUlT_T0_E_clISt17integral_constantIbLb1EESY_EEDaST_SU_EUlST_E_NS1_11comp_targetILNS1_3genE5ELNS1_11target_archE942ELNS1_3gpuE9ELNS1_3repE0EEENS1_30default_config_static_selectorELNS0_4arch9wavefront6targetE1EEEvT1_,comdat
	.globl	_ZN7rocprim17ROCPRIM_400000_NS6detail17trampoline_kernelINS0_14default_configENS1_20scan_config_selectorIN3c104HalfEEEZZNS1_9scan_implILNS1_25lookback_scan_determinismE0ELb0ELb0ES3_PKS6_PS6_S6_ZZZN2at6native31launch_logcumsumexp_cuda_kernelERKNSD_10TensorBaseESH_lENKUlvE_clEvENKUlvE3_clEvEUlS6_S6_E_S6_EEDaPvRmT3_T4_T5_mT6_P12ihipStream_tbENKUlT_T0_E_clISt17integral_constantIbLb1EESY_EEDaST_SU_EUlST_E_NS1_11comp_targetILNS1_3genE5ELNS1_11target_archE942ELNS1_3gpuE9ELNS1_3repE0EEENS1_30default_config_static_selectorELNS0_4arch9wavefront6targetE1EEEvT1_ ; -- Begin function _ZN7rocprim17ROCPRIM_400000_NS6detail17trampoline_kernelINS0_14default_configENS1_20scan_config_selectorIN3c104HalfEEEZZNS1_9scan_implILNS1_25lookback_scan_determinismE0ELb0ELb0ES3_PKS6_PS6_S6_ZZZN2at6native31launch_logcumsumexp_cuda_kernelERKNSD_10TensorBaseESH_lENKUlvE_clEvENKUlvE3_clEvEUlS6_S6_E_S6_EEDaPvRmT3_T4_T5_mT6_P12ihipStream_tbENKUlT_T0_E_clISt17integral_constantIbLb1EESY_EEDaST_SU_EUlST_E_NS1_11comp_targetILNS1_3genE5ELNS1_11target_archE942ELNS1_3gpuE9ELNS1_3repE0EEENS1_30default_config_static_selectorELNS0_4arch9wavefront6targetE1EEEvT1_
	.p2align	8
	.type	_ZN7rocprim17ROCPRIM_400000_NS6detail17trampoline_kernelINS0_14default_configENS1_20scan_config_selectorIN3c104HalfEEEZZNS1_9scan_implILNS1_25lookback_scan_determinismE0ELb0ELb0ES3_PKS6_PS6_S6_ZZZN2at6native31launch_logcumsumexp_cuda_kernelERKNSD_10TensorBaseESH_lENKUlvE_clEvENKUlvE3_clEvEUlS6_S6_E_S6_EEDaPvRmT3_T4_T5_mT6_P12ihipStream_tbENKUlT_T0_E_clISt17integral_constantIbLb1EESY_EEDaST_SU_EUlST_E_NS1_11comp_targetILNS1_3genE5ELNS1_11target_archE942ELNS1_3gpuE9ELNS1_3repE0EEENS1_30default_config_static_selectorELNS0_4arch9wavefront6targetE1EEEvT1_,@function
_ZN7rocprim17ROCPRIM_400000_NS6detail17trampoline_kernelINS0_14default_configENS1_20scan_config_selectorIN3c104HalfEEEZZNS1_9scan_implILNS1_25lookback_scan_determinismE0ELb0ELb0ES3_PKS6_PS6_S6_ZZZN2at6native31launch_logcumsumexp_cuda_kernelERKNSD_10TensorBaseESH_lENKUlvE_clEvENKUlvE3_clEvEUlS6_S6_E_S6_EEDaPvRmT3_T4_T5_mT6_P12ihipStream_tbENKUlT_T0_E_clISt17integral_constantIbLb1EESY_EEDaST_SU_EUlST_E_NS1_11comp_targetILNS1_3genE5ELNS1_11target_archE942ELNS1_3gpuE9ELNS1_3repE0EEENS1_30default_config_static_selectorELNS0_4arch9wavefront6targetE1EEEvT1_: ; @_ZN7rocprim17ROCPRIM_400000_NS6detail17trampoline_kernelINS0_14default_configENS1_20scan_config_selectorIN3c104HalfEEEZZNS1_9scan_implILNS1_25lookback_scan_determinismE0ELb0ELb0ES3_PKS6_PS6_S6_ZZZN2at6native31launch_logcumsumexp_cuda_kernelERKNSD_10TensorBaseESH_lENKUlvE_clEvENKUlvE3_clEvEUlS6_S6_E_S6_EEDaPvRmT3_T4_T5_mT6_P12ihipStream_tbENKUlT_T0_E_clISt17integral_constantIbLb1EESY_EEDaST_SU_EUlST_E_NS1_11comp_targetILNS1_3genE5ELNS1_11target_archE942ELNS1_3gpuE9ELNS1_3repE0EEENS1_30default_config_static_selectorELNS0_4arch9wavefront6targetE1EEEvT1_
; %bb.0:
	.section	.rodata,"a",@progbits
	.p2align	6, 0x0
	.amdhsa_kernel _ZN7rocprim17ROCPRIM_400000_NS6detail17trampoline_kernelINS0_14default_configENS1_20scan_config_selectorIN3c104HalfEEEZZNS1_9scan_implILNS1_25lookback_scan_determinismE0ELb0ELb0ES3_PKS6_PS6_S6_ZZZN2at6native31launch_logcumsumexp_cuda_kernelERKNSD_10TensorBaseESH_lENKUlvE_clEvENKUlvE3_clEvEUlS6_S6_E_S6_EEDaPvRmT3_T4_T5_mT6_P12ihipStream_tbENKUlT_T0_E_clISt17integral_constantIbLb1EESY_EEDaST_SU_EUlST_E_NS1_11comp_targetILNS1_3genE5ELNS1_11target_archE942ELNS1_3gpuE9ELNS1_3repE0EEENS1_30default_config_static_selectorELNS0_4arch9wavefront6targetE1EEEvT1_
		.amdhsa_group_segment_fixed_size 0
		.amdhsa_private_segment_fixed_size 0
		.amdhsa_kernarg_size 96
		.amdhsa_user_sgpr_count 6
		.amdhsa_user_sgpr_private_segment_buffer 1
		.amdhsa_user_sgpr_dispatch_ptr 0
		.amdhsa_user_sgpr_queue_ptr 0
		.amdhsa_user_sgpr_kernarg_segment_ptr 1
		.amdhsa_user_sgpr_dispatch_id 0
		.amdhsa_user_sgpr_flat_scratch_init 0
		.amdhsa_user_sgpr_private_segment_size 0
		.amdhsa_uses_dynamic_stack 0
		.amdhsa_system_sgpr_private_segment_wavefront_offset 0
		.amdhsa_system_sgpr_workgroup_id_x 1
		.amdhsa_system_sgpr_workgroup_id_y 0
		.amdhsa_system_sgpr_workgroup_id_z 0
		.amdhsa_system_sgpr_workgroup_info 0
		.amdhsa_system_vgpr_workitem_id 0
		.amdhsa_next_free_vgpr 1
		.amdhsa_next_free_sgpr 0
		.amdhsa_reserve_vcc 0
		.amdhsa_reserve_flat_scratch 0
		.amdhsa_float_round_mode_32 0
		.amdhsa_float_round_mode_16_64 0
		.amdhsa_float_denorm_mode_32 3
		.amdhsa_float_denorm_mode_16_64 3
		.amdhsa_dx10_clamp 1
		.amdhsa_ieee_mode 1
		.amdhsa_fp16_overflow 0
		.amdhsa_exception_fp_ieee_invalid_op 0
		.amdhsa_exception_fp_denorm_src 0
		.amdhsa_exception_fp_ieee_div_zero 0
		.amdhsa_exception_fp_ieee_overflow 0
		.amdhsa_exception_fp_ieee_underflow 0
		.amdhsa_exception_fp_ieee_inexact 0
		.amdhsa_exception_int_div_zero 0
	.end_amdhsa_kernel
	.section	.text._ZN7rocprim17ROCPRIM_400000_NS6detail17trampoline_kernelINS0_14default_configENS1_20scan_config_selectorIN3c104HalfEEEZZNS1_9scan_implILNS1_25lookback_scan_determinismE0ELb0ELb0ES3_PKS6_PS6_S6_ZZZN2at6native31launch_logcumsumexp_cuda_kernelERKNSD_10TensorBaseESH_lENKUlvE_clEvENKUlvE3_clEvEUlS6_S6_E_S6_EEDaPvRmT3_T4_T5_mT6_P12ihipStream_tbENKUlT_T0_E_clISt17integral_constantIbLb1EESY_EEDaST_SU_EUlST_E_NS1_11comp_targetILNS1_3genE5ELNS1_11target_archE942ELNS1_3gpuE9ELNS1_3repE0EEENS1_30default_config_static_selectorELNS0_4arch9wavefront6targetE1EEEvT1_,"axG",@progbits,_ZN7rocprim17ROCPRIM_400000_NS6detail17trampoline_kernelINS0_14default_configENS1_20scan_config_selectorIN3c104HalfEEEZZNS1_9scan_implILNS1_25lookback_scan_determinismE0ELb0ELb0ES3_PKS6_PS6_S6_ZZZN2at6native31launch_logcumsumexp_cuda_kernelERKNSD_10TensorBaseESH_lENKUlvE_clEvENKUlvE3_clEvEUlS6_S6_E_S6_EEDaPvRmT3_T4_T5_mT6_P12ihipStream_tbENKUlT_T0_E_clISt17integral_constantIbLb1EESY_EEDaST_SU_EUlST_E_NS1_11comp_targetILNS1_3genE5ELNS1_11target_archE942ELNS1_3gpuE9ELNS1_3repE0EEENS1_30default_config_static_selectorELNS0_4arch9wavefront6targetE1EEEvT1_,comdat
.Lfunc_end379:
	.size	_ZN7rocprim17ROCPRIM_400000_NS6detail17trampoline_kernelINS0_14default_configENS1_20scan_config_selectorIN3c104HalfEEEZZNS1_9scan_implILNS1_25lookback_scan_determinismE0ELb0ELb0ES3_PKS6_PS6_S6_ZZZN2at6native31launch_logcumsumexp_cuda_kernelERKNSD_10TensorBaseESH_lENKUlvE_clEvENKUlvE3_clEvEUlS6_S6_E_S6_EEDaPvRmT3_T4_T5_mT6_P12ihipStream_tbENKUlT_T0_E_clISt17integral_constantIbLb1EESY_EEDaST_SU_EUlST_E_NS1_11comp_targetILNS1_3genE5ELNS1_11target_archE942ELNS1_3gpuE9ELNS1_3repE0EEENS1_30default_config_static_selectorELNS0_4arch9wavefront6targetE1EEEvT1_, .Lfunc_end379-_ZN7rocprim17ROCPRIM_400000_NS6detail17trampoline_kernelINS0_14default_configENS1_20scan_config_selectorIN3c104HalfEEEZZNS1_9scan_implILNS1_25lookback_scan_determinismE0ELb0ELb0ES3_PKS6_PS6_S6_ZZZN2at6native31launch_logcumsumexp_cuda_kernelERKNSD_10TensorBaseESH_lENKUlvE_clEvENKUlvE3_clEvEUlS6_S6_E_S6_EEDaPvRmT3_T4_T5_mT6_P12ihipStream_tbENKUlT_T0_E_clISt17integral_constantIbLb1EESY_EEDaST_SU_EUlST_E_NS1_11comp_targetILNS1_3genE5ELNS1_11target_archE942ELNS1_3gpuE9ELNS1_3repE0EEENS1_30default_config_static_selectorELNS0_4arch9wavefront6targetE1EEEvT1_
                                        ; -- End function
	.set _ZN7rocprim17ROCPRIM_400000_NS6detail17trampoline_kernelINS0_14default_configENS1_20scan_config_selectorIN3c104HalfEEEZZNS1_9scan_implILNS1_25lookback_scan_determinismE0ELb0ELb0ES3_PKS6_PS6_S6_ZZZN2at6native31launch_logcumsumexp_cuda_kernelERKNSD_10TensorBaseESH_lENKUlvE_clEvENKUlvE3_clEvEUlS6_S6_E_S6_EEDaPvRmT3_T4_T5_mT6_P12ihipStream_tbENKUlT_T0_E_clISt17integral_constantIbLb1EESY_EEDaST_SU_EUlST_E_NS1_11comp_targetILNS1_3genE5ELNS1_11target_archE942ELNS1_3gpuE9ELNS1_3repE0EEENS1_30default_config_static_selectorELNS0_4arch9wavefront6targetE1EEEvT1_.num_vgpr, 0
	.set _ZN7rocprim17ROCPRIM_400000_NS6detail17trampoline_kernelINS0_14default_configENS1_20scan_config_selectorIN3c104HalfEEEZZNS1_9scan_implILNS1_25lookback_scan_determinismE0ELb0ELb0ES3_PKS6_PS6_S6_ZZZN2at6native31launch_logcumsumexp_cuda_kernelERKNSD_10TensorBaseESH_lENKUlvE_clEvENKUlvE3_clEvEUlS6_S6_E_S6_EEDaPvRmT3_T4_T5_mT6_P12ihipStream_tbENKUlT_T0_E_clISt17integral_constantIbLb1EESY_EEDaST_SU_EUlST_E_NS1_11comp_targetILNS1_3genE5ELNS1_11target_archE942ELNS1_3gpuE9ELNS1_3repE0EEENS1_30default_config_static_selectorELNS0_4arch9wavefront6targetE1EEEvT1_.num_agpr, 0
	.set _ZN7rocprim17ROCPRIM_400000_NS6detail17trampoline_kernelINS0_14default_configENS1_20scan_config_selectorIN3c104HalfEEEZZNS1_9scan_implILNS1_25lookback_scan_determinismE0ELb0ELb0ES3_PKS6_PS6_S6_ZZZN2at6native31launch_logcumsumexp_cuda_kernelERKNSD_10TensorBaseESH_lENKUlvE_clEvENKUlvE3_clEvEUlS6_S6_E_S6_EEDaPvRmT3_T4_T5_mT6_P12ihipStream_tbENKUlT_T0_E_clISt17integral_constantIbLb1EESY_EEDaST_SU_EUlST_E_NS1_11comp_targetILNS1_3genE5ELNS1_11target_archE942ELNS1_3gpuE9ELNS1_3repE0EEENS1_30default_config_static_selectorELNS0_4arch9wavefront6targetE1EEEvT1_.numbered_sgpr, 0
	.set _ZN7rocprim17ROCPRIM_400000_NS6detail17trampoline_kernelINS0_14default_configENS1_20scan_config_selectorIN3c104HalfEEEZZNS1_9scan_implILNS1_25lookback_scan_determinismE0ELb0ELb0ES3_PKS6_PS6_S6_ZZZN2at6native31launch_logcumsumexp_cuda_kernelERKNSD_10TensorBaseESH_lENKUlvE_clEvENKUlvE3_clEvEUlS6_S6_E_S6_EEDaPvRmT3_T4_T5_mT6_P12ihipStream_tbENKUlT_T0_E_clISt17integral_constantIbLb1EESY_EEDaST_SU_EUlST_E_NS1_11comp_targetILNS1_3genE5ELNS1_11target_archE942ELNS1_3gpuE9ELNS1_3repE0EEENS1_30default_config_static_selectorELNS0_4arch9wavefront6targetE1EEEvT1_.num_named_barrier, 0
	.set _ZN7rocprim17ROCPRIM_400000_NS6detail17trampoline_kernelINS0_14default_configENS1_20scan_config_selectorIN3c104HalfEEEZZNS1_9scan_implILNS1_25lookback_scan_determinismE0ELb0ELb0ES3_PKS6_PS6_S6_ZZZN2at6native31launch_logcumsumexp_cuda_kernelERKNSD_10TensorBaseESH_lENKUlvE_clEvENKUlvE3_clEvEUlS6_S6_E_S6_EEDaPvRmT3_T4_T5_mT6_P12ihipStream_tbENKUlT_T0_E_clISt17integral_constantIbLb1EESY_EEDaST_SU_EUlST_E_NS1_11comp_targetILNS1_3genE5ELNS1_11target_archE942ELNS1_3gpuE9ELNS1_3repE0EEENS1_30default_config_static_selectorELNS0_4arch9wavefront6targetE1EEEvT1_.private_seg_size, 0
	.set _ZN7rocprim17ROCPRIM_400000_NS6detail17trampoline_kernelINS0_14default_configENS1_20scan_config_selectorIN3c104HalfEEEZZNS1_9scan_implILNS1_25lookback_scan_determinismE0ELb0ELb0ES3_PKS6_PS6_S6_ZZZN2at6native31launch_logcumsumexp_cuda_kernelERKNSD_10TensorBaseESH_lENKUlvE_clEvENKUlvE3_clEvEUlS6_S6_E_S6_EEDaPvRmT3_T4_T5_mT6_P12ihipStream_tbENKUlT_T0_E_clISt17integral_constantIbLb1EESY_EEDaST_SU_EUlST_E_NS1_11comp_targetILNS1_3genE5ELNS1_11target_archE942ELNS1_3gpuE9ELNS1_3repE0EEENS1_30default_config_static_selectorELNS0_4arch9wavefront6targetE1EEEvT1_.uses_vcc, 0
	.set _ZN7rocprim17ROCPRIM_400000_NS6detail17trampoline_kernelINS0_14default_configENS1_20scan_config_selectorIN3c104HalfEEEZZNS1_9scan_implILNS1_25lookback_scan_determinismE0ELb0ELb0ES3_PKS6_PS6_S6_ZZZN2at6native31launch_logcumsumexp_cuda_kernelERKNSD_10TensorBaseESH_lENKUlvE_clEvENKUlvE3_clEvEUlS6_S6_E_S6_EEDaPvRmT3_T4_T5_mT6_P12ihipStream_tbENKUlT_T0_E_clISt17integral_constantIbLb1EESY_EEDaST_SU_EUlST_E_NS1_11comp_targetILNS1_3genE5ELNS1_11target_archE942ELNS1_3gpuE9ELNS1_3repE0EEENS1_30default_config_static_selectorELNS0_4arch9wavefront6targetE1EEEvT1_.uses_flat_scratch, 0
	.set _ZN7rocprim17ROCPRIM_400000_NS6detail17trampoline_kernelINS0_14default_configENS1_20scan_config_selectorIN3c104HalfEEEZZNS1_9scan_implILNS1_25lookback_scan_determinismE0ELb0ELb0ES3_PKS6_PS6_S6_ZZZN2at6native31launch_logcumsumexp_cuda_kernelERKNSD_10TensorBaseESH_lENKUlvE_clEvENKUlvE3_clEvEUlS6_S6_E_S6_EEDaPvRmT3_T4_T5_mT6_P12ihipStream_tbENKUlT_T0_E_clISt17integral_constantIbLb1EESY_EEDaST_SU_EUlST_E_NS1_11comp_targetILNS1_3genE5ELNS1_11target_archE942ELNS1_3gpuE9ELNS1_3repE0EEENS1_30default_config_static_selectorELNS0_4arch9wavefront6targetE1EEEvT1_.has_dyn_sized_stack, 0
	.set _ZN7rocprim17ROCPRIM_400000_NS6detail17trampoline_kernelINS0_14default_configENS1_20scan_config_selectorIN3c104HalfEEEZZNS1_9scan_implILNS1_25lookback_scan_determinismE0ELb0ELb0ES3_PKS6_PS6_S6_ZZZN2at6native31launch_logcumsumexp_cuda_kernelERKNSD_10TensorBaseESH_lENKUlvE_clEvENKUlvE3_clEvEUlS6_S6_E_S6_EEDaPvRmT3_T4_T5_mT6_P12ihipStream_tbENKUlT_T0_E_clISt17integral_constantIbLb1EESY_EEDaST_SU_EUlST_E_NS1_11comp_targetILNS1_3genE5ELNS1_11target_archE942ELNS1_3gpuE9ELNS1_3repE0EEENS1_30default_config_static_selectorELNS0_4arch9wavefront6targetE1EEEvT1_.has_recursion, 0
	.set _ZN7rocprim17ROCPRIM_400000_NS6detail17trampoline_kernelINS0_14default_configENS1_20scan_config_selectorIN3c104HalfEEEZZNS1_9scan_implILNS1_25lookback_scan_determinismE0ELb0ELb0ES3_PKS6_PS6_S6_ZZZN2at6native31launch_logcumsumexp_cuda_kernelERKNSD_10TensorBaseESH_lENKUlvE_clEvENKUlvE3_clEvEUlS6_S6_E_S6_EEDaPvRmT3_T4_T5_mT6_P12ihipStream_tbENKUlT_T0_E_clISt17integral_constantIbLb1EESY_EEDaST_SU_EUlST_E_NS1_11comp_targetILNS1_3genE5ELNS1_11target_archE942ELNS1_3gpuE9ELNS1_3repE0EEENS1_30default_config_static_selectorELNS0_4arch9wavefront6targetE1EEEvT1_.has_indirect_call, 0
	.section	.AMDGPU.csdata,"",@progbits
; Kernel info:
; codeLenInByte = 0
; TotalNumSgprs: 4
; NumVgprs: 0
; ScratchSize: 0
; MemoryBound: 0
; FloatMode: 240
; IeeeMode: 1
; LDSByteSize: 0 bytes/workgroup (compile time only)
; SGPRBlocks: 0
; VGPRBlocks: 0
; NumSGPRsForWavesPerEU: 4
; NumVGPRsForWavesPerEU: 1
; Occupancy: 10
; WaveLimiterHint : 0
; COMPUTE_PGM_RSRC2:SCRATCH_EN: 0
; COMPUTE_PGM_RSRC2:USER_SGPR: 6
; COMPUTE_PGM_RSRC2:TRAP_HANDLER: 0
; COMPUTE_PGM_RSRC2:TGID_X_EN: 1
; COMPUTE_PGM_RSRC2:TGID_Y_EN: 0
; COMPUTE_PGM_RSRC2:TGID_Z_EN: 0
; COMPUTE_PGM_RSRC2:TIDIG_COMP_CNT: 0
	.section	.text._ZN7rocprim17ROCPRIM_400000_NS6detail17trampoline_kernelINS0_14default_configENS1_20scan_config_selectorIN3c104HalfEEEZZNS1_9scan_implILNS1_25lookback_scan_determinismE0ELb0ELb0ES3_PKS6_PS6_S6_ZZZN2at6native31launch_logcumsumexp_cuda_kernelERKNSD_10TensorBaseESH_lENKUlvE_clEvENKUlvE3_clEvEUlS6_S6_E_S6_EEDaPvRmT3_T4_T5_mT6_P12ihipStream_tbENKUlT_T0_E_clISt17integral_constantIbLb1EESY_EEDaST_SU_EUlST_E_NS1_11comp_targetILNS1_3genE4ELNS1_11target_archE910ELNS1_3gpuE8ELNS1_3repE0EEENS1_30default_config_static_selectorELNS0_4arch9wavefront6targetE1EEEvT1_,"axG",@progbits,_ZN7rocprim17ROCPRIM_400000_NS6detail17trampoline_kernelINS0_14default_configENS1_20scan_config_selectorIN3c104HalfEEEZZNS1_9scan_implILNS1_25lookback_scan_determinismE0ELb0ELb0ES3_PKS6_PS6_S6_ZZZN2at6native31launch_logcumsumexp_cuda_kernelERKNSD_10TensorBaseESH_lENKUlvE_clEvENKUlvE3_clEvEUlS6_S6_E_S6_EEDaPvRmT3_T4_T5_mT6_P12ihipStream_tbENKUlT_T0_E_clISt17integral_constantIbLb1EESY_EEDaST_SU_EUlST_E_NS1_11comp_targetILNS1_3genE4ELNS1_11target_archE910ELNS1_3gpuE8ELNS1_3repE0EEENS1_30default_config_static_selectorELNS0_4arch9wavefront6targetE1EEEvT1_,comdat
	.globl	_ZN7rocprim17ROCPRIM_400000_NS6detail17trampoline_kernelINS0_14default_configENS1_20scan_config_selectorIN3c104HalfEEEZZNS1_9scan_implILNS1_25lookback_scan_determinismE0ELb0ELb0ES3_PKS6_PS6_S6_ZZZN2at6native31launch_logcumsumexp_cuda_kernelERKNSD_10TensorBaseESH_lENKUlvE_clEvENKUlvE3_clEvEUlS6_S6_E_S6_EEDaPvRmT3_T4_T5_mT6_P12ihipStream_tbENKUlT_T0_E_clISt17integral_constantIbLb1EESY_EEDaST_SU_EUlST_E_NS1_11comp_targetILNS1_3genE4ELNS1_11target_archE910ELNS1_3gpuE8ELNS1_3repE0EEENS1_30default_config_static_selectorELNS0_4arch9wavefront6targetE1EEEvT1_ ; -- Begin function _ZN7rocprim17ROCPRIM_400000_NS6detail17trampoline_kernelINS0_14default_configENS1_20scan_config_selectorIN3c104HalfEEEZZNS1_9scan_implILNS1_25lookback_scan_determinismE0ELb0ELb0ES3_PKS6_PS6_S6_ZZZN2at6native31launch_logcumsumexp_cuda_kernelERKNSD_10TensorBaseESH_lENKUlvE_clEvENKUlvE3_clEvEUlS6_S6_E_S6_EEDaPvRmT3_T4_T5_mT6_P12ihipStream_tbENKUlT_T0_E_clISt17integral_constantIbLb1EESY_EEDaST_SU_EUlST_E_NS1_11comp_targetILNS1_3genE4ELNS1_11target_archE910ELNS1_3gpuE8ELNS1_3repE0EEENS1_30default_config_static_selectorELNS0_4arch9wavefront6targetE1EEEvT1_
	.p2align	8
	.type	_ZN7rocprim17ROCPRIM_400000_NS6detail17trampoline_kernelINS0_14default_configENS1_20scan_config_selectorIN3c104HalfEEEZZNS1_9scan_implILNS1_25lookback_scan_determinismE0ELb0ELb0ES3_PKS6_PS6_S6_ZZZN2at6native31launch_logcumsumexp_cuda_kernelERKNSD_10TensorBaseESH_lENKUlvE_clEvENKUlvE3_clEvEUlS6_S6_E_S6_EEDaPvRmT3_T4_T5_mT6_P12ihipStream_tbENKUlT_T0_E_clISt17integral_constantIbLb1EESY_EEDaST_SU_EUlST_E_NS1_11comp_targetILNS1_3genE4ELNS1_11target_archE910ELNS1_3gpuE8ELNS1_3repE0EEENS1_30default_config_static_selectorELNS0_4arch9wavefront6targetE1EEEvT1_,@function
_ZN7rocprim17ROCPRIM_400000_NS6detail17trampoline_kernelINS0_14default_configENS1_20scan_config_selectorIN3c104HalfEEEZZNS1_9scan_implILNS1_25lookback_scan_determinismE0ELb0ELb0ES3_PKS6_PS6_S6_ZZZN2at6native31launch_logcumsumexp_cuda_kernelERKNSD_10TensorBaseESH_lENKUlvE_clEvENKUlvE3_clEvEUlS6_S6_E_S6_EEDaPvRmT3_T4_T5_mT6_P12ihipStream_tbENKUlT_T0_E_clISt17integral_constantIbLb1EESY_EEDaST_SU_EUlST_E_NS1_11comp_targetILNS1_3genE4ELNS1_11target_archE910ELNS1_3gpuE8ELNS1_3repE0EEENS1_30default_config_static_selectorELNS0_4arch9wavefront6targetE1EEEvT1_: ; @_ZN7rocprim17ROCPRIM_400000_NS6detail17trampoline_kernelINS0_14default_configENS1_20scan_config_selectorIN3c104HalfEEEZZNS1_9scan_implILNS1_25lookback_scan_determinismE0ELb0ELb0ES3_PKS6_PS6_S6_ZZZN2at6native31launch_logcumsumexp_cuda_kernelERKNSD_10TensorBaseESH_lENKUlvE_clEvENKUlvE3_clEvEUlS6_S6_E_S6_EEDaPvRmT3_T4_T5_mT6_P12ihipStream_tbENKUlT_T0_E_clISt17integral_constantIbLb1EESY_EEDaST_SU_EUlST_E_NS1_11comp_targetILNS1_3genE4ELNS1_11target_archE910ELNS1_3gpuE8ELNS1_3repE0EEENS1_30default_config_static_selectorELNS0_4arch9wavefront6targetE1EEEvT1_
; %bb.0:
	.section	.rodata,"a",@progbits
	.p2align	6, 0x0
	.amdhsa_kernel _ZN7rocprim17ROCPRIM_400000_NS6detail17trampoline_kernelINS0_14default_configENS1_20scan_config_selectorIN3c104HalfEEEZZNS1_9scan_implILNS1_25lookback_scan_determinismE0ELb0ELb0ES3_PKS6_PS6_S6_ZZZN2at6native31launch_logcumsumexp_cuda_kernelERKNSD_10TensorBaseESH_lENKUlvE_clEvENKUlvE3_clEvEUlS6_S6_E_S6_EEDaPvRmT3_T4_T5_mT6_P12ihipStream_tbENKUlT_T0_E_clISt17integral_constantIbLb1EESY_EEDaST_SU_EUlST_E_NS1_11comp_targetILNS1_3genE4ELNS1_11target_archE910ELNS1_3gpuE8ELNS1_3repE0EEENS1_30default_config_static_selectorELNS0_4arch9wavefront6targetE1EEEvT1_
		.amdhsa_group_segment_fixed_size 0
		.amdhsa_private_segment_fixed_size 0
		.amdhsa_kernarg_size 96
		.amdhsa_user_sgpr_count 6
		.amdhsa_user_sgpr_private_segment_buffer 1
		.amdhsa_user_sgpr_dispatch_ptr 0
		.amdhsa_user_sgpr_queue_ptr 0
		.amdhsa_user_sgpr_kernarg_segment_ptr 1
		.amdhsa_user_sgpr_dispatch_id 0
		.amdhsa_user_sgpr_flat_scratch_init 0
		.amdhsa_user_sgpr_private_segment_size 0
		.amdhsa_uses_dynamic_stack 0
		.amdhsa_system_sgpr_private_segment_wavefront_offset 0
		.amdhsa_system_sgpr_workgroup_id_x 1
		.amdhsa_system_sgpr_workgroup_id_y 0
		.amdhsa_system_sgpr_workgroup_id_z 0
		.amdhsa_system_sgpr_workgroup_info 0
		.amdhsa_system_vgpr_workitem_id 0
		.amdhsa_next_free_vgpr 1
		.amdhsa_next_free_sgpr 0
		.amdhsa_reserve_vcc 0
		.amdhsa_reserve_flat_scratch 0
		.amdhsa_float_round_mode_32 0
		.amdhsa_float_round_mode_16_64 0
		.amdhsa_float_denorm_mode_32 3
		.amdhsa_float_denorm_mode_16_64 3
		.amdhsa_dx10_clamp 1
		.amdhsa_ieee_mode 1
		.amdhsa_fp16_overflow 0
		.amdhsa_exception_fp_ieee_invalid_op 0
		.amdhsa_exception_fp_denorm_src 0
		.amdhsa_exception_fp_ieee_div_zero 0
		.amdhsa_exception_fp_ieee_overflow 0
		.amdhsa_exception_fp_ieee_underflow 0
		.amdhsa_exception_fp_ieee_inexact 0
		.amdhsa_exception_int_div_zero 0
	.end_amdhsa_kernel
	.section	.text._ZN7rocprim17ROCPRIM_400000_NS6detail17trampoline_kernelINS0_14default_configENS1_20scan_config_selectorIN3c104HalfEEEZZNS1_9scan_implILNS1_25lookback_scan_determinismE0ELb0ELb0ES3_PKS6_PS6_S6_ZZZN2at6native31launch_logcumsumexp_cuda_kernelERKNSD_10TensorBaseESH_lENKUlvE_clEvENKUlvE3_clEvEUlS6_S6_E_S6_EEDaPvRmT3_T4_T5_mT6_P12ihipStream_tbENKUlT_T0_E_clISt17integral_constantIbLb1EESY_EEDaST_SU_EUlST_E_NS1_11comp_targetILNS1_3genE4ELNS1_11target_archE910ELNS1_3gpuE8ELNS1_3repE0EEENS1_30default_config_static_selectorELNS0_4arch9wavefront6targetE1EEEvT1_,"axG",@progbits,_ZN7rocprim17ROCPRIM_400000_NS6detail17trampoline_kernelINS0_14default_configENS1_20scan_config_selectorIN3c104HalfEEEZZNS1_9scan_implILNS1_25lookback_scan_determinismE0ELb0ELb0ES3_PKS6_PS6_S6_ZZZN2at6native31launch_logcumsumexp_cuda_kernelERKNSD_10TensorBaseESH_lENKUlvE_clEvENKUlvE3_clEvEUlS6_S6_E_S6_EEDaPvRmT3_T4_T5_mT6_P12ihipStream_tbENKUlT_T0_E_clISt17integral_constantIbLb1EESY_EEDaST_SU_EUlST_E_NS1_11comp_targetILNS1_3genE4ELNS1_11target_archE910ELNS1_3gpuE8ELNS1_3repE0EEENS1_30default_config_static_selectorELNS0_4arch9wavefront6targetE1EEEvT1_,comdat
.Lfunc_end380:
	.size	_ZN7rocprim17ROCPRIM_400000_NS6detail17trampoline_kernelINS0_14default_configENS1_20scan_config_selectorIN3c104HalfEEEZZNS1_9scan_implILNS1_25lookback_scan_determinismE0ELb0ELb0ES3_PKS6_PS6_S6_ZZZN2at6native31launch_logcumsumexp_cuda_kernelERKNSD_10TensorBaseESH_lENKUlvE_clEvENKUlvE3_clEvEUlS6_S6_E_S6_EEDaPvRmT3_T4_T5_mT6_P12ihipStream_tbENKUlT_T0_E_clISt17integral_constantIbLb1EESY_EEDaST_SU_EUlST_E_NS1_11comp_targetILNS1_3genE4ELNS1_11target_archE910ELNS1_3gpuE8ELNS1_3repE0EEENS1_30default_config_static_selectorELNS0_4arch9wavefront6targetE1EEEvT1_, .Lfunc_end380-_ZN7rocprim17ROCPRIM_400000_NS6detail17trampoline_kernelINS0_14default_configENS1_20scan_config_selectorIN3c104HalfEEEZZNS1_9scan_implILNS1_25lookback_scan_determinismE0ELb0ELb0ES3_PKS6_PS6_S6_ZZZN2at6native31launch_logcumsumexp_cuda_kernelERKNSD_10TensorBaseESH_lENKUlvE_clEvENKUlvE3_clEvEUlS6_S6_E_S6_EEDaPvRmT3_T4_T5_mT6_P12ihipStream_tbENKUlT_T0_E_clISt17integral_constantIbLb1EESY_EEDaST_SU_EUlST_E_NS1_11comp_targetILNS1_3genE4ELNS1_11target_archE910ELNS1_3gpuE8ELNS1_3repE0EEENS1_30default_config_static_selectorELNS0_4arch9wavefront6targetE1EEEvT1_
                                        ; -- End function
	.set _ZN7rocprim17ROCPRIM_400000_NS6detail17trampoline_kernelINS0_14default_configENS1_20scan_config_selectorIN3c104HalfEEEZZNS1_9scan_implILNS1_25lookback_scan_determinismE0ELb0ELb0ES3_PKS6_PS6_S6_ZZZN2at6native31launch_logcumsumexp_cuda_kernelERKNSD_10TensorBaseESH_lENKUlvE_clEvENKUlvE3_clEvEUlS6_S6_E_S6_EEDaPvRmT3_T4_T5_mT6_P12ihipStream_tbENKUlT_T0_E_clISt17integral_constantIbLb1EESY_EEDaST_SU_EUlST_E_NS1_11comp_targetILNS1_3genE4ELNS1_11target_archE910ELNS1_3gpuE8ELNS1_3repE0EEENS1_30default_config_static_selectorELNS0_4arch9wavefront6targetE1EEEvT1_.num_vgpr, 0
	.set _ZN7rocprim17ROCPRIM_400000_NS6detail17trampoline_kernelINS0_14default_configENS1_20scan_config_selectorIN3c104HalfEEEZZNS1_9scan_implILNS1_25lookback_scan_determinismE0ELb0ELb0ES3_PKS6_PS6_S6_ZZZN2at6native31launch_logcumsumexp_cuda_kernelERKNSD_10TensorBaseESH_lENKUlvE_clEvENKUlvE3_clEvEUlS6_S6_E_S6_EEDaPvRmT3_T4_T5_mT6_P12ihipStream_tbENKUlT_T0_E_clISt17integral_constantIbLb1EESY_EEDaST_SU_EUlST_E_NS1_11comp_targetILNS1_3genE4ELNS1_11target_archE910ELNS1_3gpuE8ELNS1_3repE0EEENS1_30default_config_static_selectorELNS0_4arch9wavefront6targetE1EEEvT1_.num_agpr, 0
	.set _ZN7rocprim17ROCPRIM_400000_NS6detail17trampoline_kernelINS0_14default_configENS1_20scan_config_selectorIN3c104HalfEEEZZNS1_9scan_implILNS1_25lookback_scan_determinismE0ELb0ELb0ES3_PKS6_PS6_S6_ZZZN2at6native31launch_logcumsumexp_cuda_kernelERKNSD_10TensorBaseESH_lENKUlvE_clEvENKUlvE3_clEvEUlS6_S6_E_S6_EEDaPvRmT3_T4_T5_mT6_P12ihipStream_tbENKUlT_T0_E_clISt17integral_constantIbLb1EESY_EEDaST_SU_EUlST_E_NS1_11comp_targetILNS1_3genE4ELNS1_11target_archE910ELNS1_3gpuE8ELNS1_3repE0EEENS1_30default_config_static_selectorELNS0_4arch9wavefront6targetE1EEEvT1_.numbered_sgpr, 0
	.set _ZN7rocprim17ROCPRIM_400000_NS6detail17trampoline_kernelINS0_14default_configENS1_20scan_config_selectorIN3c104HalfEEEZZNS1_9scan_implILNS1_25lookback_scan_determinismE0ELb0ELb0ES3_PKS6_PS6_S6_ZZZN2at6native31launch_logcumsumexp_cuda_kernelERKNSD_10TensorBaseESH_lENKUlvE_clEvENKUlvE3_clEvEUlS6_S6_E_S6_EEDaPvRmT3_T4_T5_mT6_P12ihipStream_tbENKUlT_T0_E_clISt17integral_constantIbLb1EESY_EEDaST_SU_EUlST_E_NS1_11comp_targetILNS1_3genE4ELNS1_11target_archE910ELNS1_3gpuE8ELNS1_3repE0EEENS1_30default_config_static_selectorELNS0_4arch9wavefront6targetE1EEEvT1_.num_named_barrier, 0
	.set _ZN7rocprim17ROCPRIM_400000_NS6detail17trampoline_kernelINS0_14default_configENS1_20scan_config_selectorIN3c104HalfEEEZZNS1_9scan_implILNS1_25lookback_scan_determinismE0ELb0ELb0ES3_PKS6_PS6_S6_ZZZN2at6native31launch_logcumsumexp_cuda_kernelERKNSD_10TensorBaseESH_lENKUlvE_clEvENKUlvE3_clEvEUlS6_S6_E_S6_EEDaPvRmT3_T4_T5_mT6_P12ihipStream_tbENKUlT_T0_E_clISt17integral_constantIbLb1EESY_EEDaST_SU_EUlST_E_NS1_11comp_targetILNS1_3genE4ELNS1_11target_archE910ELNS1_3gpuE8ELNS1_3repE0EEENS1_30default_config_static_selectorELNS0_4arch9wavefront6targetE1EEEvT1_.private_seg_size, 0
	.set _ZN7rocprim17ROCPRIM_400000_NS6detail17trampoline_kernelINS0_14default_configENS1_20scan_config_selectorIN3c104HalfEEEZZNS1_9scan_implILNS1_25lookback_scan_determinismE0ELb0ELb0ES3_PKS6_PS6_S6_ZZZN2at6native31launch_logcumsumexp_cuda_kernelERKNSD_10TensorBaseESH_lENKUlvE_clEvENKUlvE3_clEvEUlS6_S6_E_S6_EEDaPvRmT3_T4_T5_mT6_P12ihipStream_tbENKUlT_T0_E_clISt17integral_constantIbLb1EESY_EEDaST_SU_EUlST_E_NS1_11comp_targetILNS1_3genE4ELNS1_11target_archE910ELNS1_3gpuE8ELNS1_3repE0EEENS1_30default_config_static_selectorELNS0_4arch9wavefront6targetE1EEEvT1_.uses_vcc, 0
	.set _ZN7rocprim17ROCPRIM_400000_NS6detail17trampoline_kernelINS0_14default_configENS1_20scan_config_selectorIN3c104HalfEEEZZNS1_9scan_implILNS1_25lookback_scan_determinismE0ELb0ELb0ES3_PKS6_PS6_S6_ZZZN2at6native31launch_logcumsumexp_cuda_kernelERKNSD_10TensorBaseESH_lENKUlvE_clEvENKUlvE3_clEvEUlS6_S6_E_S6_EEDaPvRmT3_T4_T5_mT6_P12ihipStream_tbENKUlT_T0_E_clISt17integral_constantIbLb1EESY_EEDaST_SU_EUlST_E_NS1_11comp_targetILNS1_3genE4ELNS1_11target_archE910ELNS1_3gpuE8ELNS1_3repE0EEENS1_30default_config_static_selectorELNS0_4arch9wavefront6targetE1EEEvT1_.uses_flat_scratch, 0
	.set _ZN7rocprim17ROCPRIM_400000_NS6detail17trampoline_kernelINS0_14default_configENS1_20scan_config_selectorIN3c104HalfEEEZZNS1_9scan_implILNS1_25lookback_scan_determinismE0ELb0ELb0ES3_PKS6_PS6_S6_ZZZN2at6native31launch_logcumsumexp_cuda_kernelERKNSD_10TensorBaseESH_lENKUlvE_clEvENKUlvE3_clEvEUlS6_S6_E_S6_EEDaPvRmT3_T4_T5_mT6_P12ihipStream_tbENKUlT_T0_E_clISt17integral_constantIbLb1EESY_EEDaST_SU_EUlST_E_NS1_11comp_targetILNS1_3genE4ELNS1_11target_archE910ELNS1_3gpuE8ELNS1_3repE0EEENS1_30default_config_static_selectorELNS0_4arch9wavefront6targetE1EEEvT1_.has_dyn_sized_stack, 0
	.set _ZN7rocprim17ROCPRIM_400000_NS6detail17trampoline_kernelINS0_14default_configENS1_20scan_config_selectorIN3c104HalfEEEZZNS1_9scan_implILNS1_25lookback_scan_determinismE0ELb0ELb0ES3_PKS6_PS6_S6_ZZZN2at6native31launch_logcumsumexp_cuda_kernelERKNSD_10TensorBaseESH_lENKUlvE_clEvENKUlvE3_clEvEUlS6_S6_E_S6_EEDaPvRmT3_T4_T5_mT6_P12ihipStream_tbENKUlT_T0_E_clISt17integral_constantIbLb1EESY_EEDaST_SU_EUlST_E_NS1_11comp_targetILNS1_3genE4ELNS1_11target_archE910ELNS1_3gpuE8ELNS1_3repE0EEENS1_30default_config_static_selectorELNS0_4arch9wavefront6targetE1EEEvT1_.has_recursion, 0
	.set _ZN7rocprim17ROCPRIM_400000_NS6detail17trampoline_kernelINS0_14default_configENS1_20scan_config_selectorIN3c104HalfEEEZZNS1_9scan_implILNS1_25lookback_scan_determinismE0ELb0ELb0ES3_PKS6_PS6_S6_ZZZN2at6native31launch_logcumsumexp_cuda_kernelERKNSD_10TensorBaseESH_lENKUlvE_clEvENKUlvE3_clEvEUlS6_S6_E_S6_EEDaPvRmT3_T4_T5_mT6_P12ihipStream_tbENKUlT_T0_E_clISt17integral_constantIbLb1EESY_EEDaST_SU_EUlST_E_NS1_11comp_targetILNS1_3genE4ELNS1_11target_archE910ELNS1_3gpuE8ELNS1_3repE0EEENS1_30default_config_static_selectorELNS0_4arch9wavefront6targetE1EEEvT1_.has_indirect_call, 0
	.section	.AMDGPU.csdata,"",@progbits
; Kernel info:
; codeLenInByte = 0
; TotalNumSgprs: 4
; NumVgprs: 0
; ScratchSize: 0
; MemoryBound: 0
; FloatMode: 240
; IeeeMode: 1
; LDSByteSize: 0 bytes/workgroup (compile time only)
; SGPRBlocks: 0
; VGPRBlocks: 0
; NumSGPRsForWavesPerEU: 4
; NumVGPRsForWavesPerEU: 1
; Occupancy: 10
; WaveLimiterHint : 0
; COMPUTE_PGM_RSRC2:SCRATCH_EN: 0
; COMPUTE_PGM_RSRC2:USER_SGPR: 6
; COMPUTE_PGM_RSRC2:TRAP_HANDLER: 0
; COMPUTE_PGM_RSRC2:TGID_X_EN: 1
; COMPUTE_PGM_RSRC2:TGID_Y_EN: 0
; COMPUTE_PGM_RSRC2:TGID_Z_EN: 0
; COMPUTE_PGM_RSRC2:TIDIG_COMP_CNT: 0
	.section	.text._ZN7rocprim17ROCPRIM_400000_NS6detail17trampoline_kernelINS0_14default_configENS1_20scan_config_selectorIN3c104HalfEEEZZNS1_9scan_implILNS1_25lookback_scan_determinismE0ELb0ELb0ES3_PKS6_PS6_S6_ZZZN2at6native31launch_logcumsumexp_cuda_kernelERKNSD_10TensorBaseESH_lENKUlvE_clEvENKUlvE3_clEvEUlS6_S6_E_S6_EEDaPvRmT3_T4_T5_mT6_P12ihipStream_tbENKUlT_T0_E_clISt17integral_constantIbLb1EESY_EEDaST_SU_EUlST_E_NS1_11comp_targetILNS1_3genE3ELNS1_11target_archE908ELNS1_3gpuE7ELNS1_3repE0EEENS1_30default_config_static_selectorELNS0_4arch9wavefront6targetE1EEEvT1_,"axG",@progbits,_ZN7rocprim17ROCPRIM_400000_NS6detail17trampoline_kernelINS0_14default_configENS1_20scan_config_selectorIN3c104HalfEEEZZNS1_9scan_implILNS1_25lookback_scan_determinismE0ELb0ELb0ES3_PKS6_PS6_S6_ZZZN2at6native31launch_logcumsumexp_cuda_kernelERKNSD_10TensorBaseESH_lENKUlvE_clEvENKUlvE3_clEvEUlS6_S6_E_S6_EEDaPvRmT3_T4_T5_mT6_P12ihipStream_tbENKUlT_T0_E_clISt17integral_constantIbLb1EESY_EEDaST_SU_EUlST_E_NS1_11comp_targetILNS1_3genE3ELNS1_11target_archE908ELNS1_3gpuE7ELNS1_3repE0EEENS1_30default_config_static_selectorELNS0_4arch9wavefront6targetE1EEEvT1_,comdat
	.globl	_ZN7rocprim17ROCPRIM_400000_NS6detail17trampoline_kernelINS0_14default_configENS1_20scan_config_selectorIN3c104HalfEEEZZNS1_9scan_implILNS1_25lookback_scan_determinismE0ELb0ELb0ES3_PKS6_PS6_S6_ZZZN2at6native31launch_logcumsumexp_cuda_kernelERKNSD_10TensorBaseESH_lENKUlvE_clEvENKUlvE3_clEvEUlS6_S6_E_S6_EEDaPvRmT3_T4_T5_mT6_P12ihipStream_tbENKUlT_T0_E_clISt17integral_constantIbLb1EESY_EEDaST_SU_EUlST_E_NS1_11comp_targetILNS1_3genE3ELNS1_11target_archE908ELNS1_3gpuE7ELNS1_3repE0EEENS1_30default_config_static_selectorELNS0_4arch9wavefront6targetE1EEEvT1_ ; -- Begin function _ZN7rocprim17ROCPRIM_400000_NS6detail17trampoline_kernelINS0_14default_configENS1_20scan_config_selectorIN3c104HalfEEEZZNS1_9scan_implILNS1_25lookback_scan_determinismE0ELb0ELb0ES3_PKS6_PS6_S6_ZZZN2at6native31launch_logcumsumexp_cuda_kernelERKNSD_10TensorBaseESH_lENKUlvE_clEvENKUlvE3_clEvEUlS6_S6_E_S6_EEDaPvRmT3_T4_T5_mT6_P12ihipStream_tbENKUlT_T0_E_clISt17integral_constantIbLb1EESY_EEDaST_SU_EUlST_E_NS1_11comp_targetILNS1_3genE3ELNS1_11target_archE908ELNS1_3gpuE7ELNS1_3repE0EEENS1_30default_config_static_selectorELNS0_4arch9wavefront6targetE1EEEvT1_
	.p2align	8
	.type	_ZN7rocprim17ROCPRIM_400000_NS6detail17trampoline_kernelINS0_14default_configENS1_20scan_config_selectorIN3c104HalfEEEZZNS1_9scan_implILNS1_25lookback_scan_determinismE0ELb0ELb0ES3_PKS6_PS6_S6_ZZZN2at6native31launch_logcumsumexp_cuda_kernelERKNSD_10TensorBaseESH_lENKUlvE_clEvENKUlvE3_clEvEUlS6_S6_E_S6_EEDaPvRmT3_T4_T5_mT6_P12ihipStream_tbENKUlT_T0_E_clISt17integral_constantIbLb1EESY_EEDaST_SU_EUlST_E_NS1_11comp_targetILNS1_3genE3ELNS1_11target_archE908ELNS1_3gpuE7ELNS1_3repE0EEENS1_30default_config_static_selectorELNS0_4arch9wavefront6targetE1EEEvT1_,@function
_ZN7rocprim17ROCPRIM_400000_NS6detail17trampoline_kernelINS0_14default_configENS1_20scan_config_selectorIN3c104HalfEEEZZNS1_9scan_implILNS1_25lookback_scan_determinismE0ELb0ELb0ES3_PKS6_PS6_S6_ZZZN2at6native31launch_logcumsumexp_cuda_kernelERKNSD_10TensorBaseESH_lENKUlvE_clEvENKUlvE3_clEvEUlS6_S6_E_S6_EEDaPvRmT3_T4_T5_mT6_P12ihipStream_tbENKUlT_T0_E_clISt17integral_constantIbLb1EESY_EEDaST_SU_EUlST_E_NS1_11comp_targetILNS1_3genE3ELNS1_11target_archE908ELNS1_3gpuE7ELNS1_3repE0EEENS1_30default_config_static_selectorELNS0_4arch9wavefront6targetE1EEEvT1_: ; @_ZN7rocprim17ROCPRIM_400000_NS6detail17trampoline_kernelINS0_14default_configENS1_20scan_config_selectorIN3c104HalfEEEZZNS1_9scan_implILNS1_25lookback_scan_determinismE0ELb0ELb0ES3_PKS6_PS6_S6_ZZZN2at6native31launch_logcumsumexp_cuda_kernelERKNSD_10TensorBaseESH_lENKUlvE_clEvENKUlvE3_clEvEUlS6_S6_E_S6_EEDaPvRmT3_T4_T5_mT6_P12ihipStream_tbENKUlT_T0_E_clISt17integral_constantIbLb1EESY_EEDaST_SU_EUlST_E_NS1_11comp_targetILNS1_3genE3ELNS1_11target_archE908ELNS1_3gpuE7ELNS1_3repE0EEENS1_30default_config_static_selectorELNS0_4arch9wavefront6targetE1EEEvT1_
; %bb.0:
	.section	.rodata,"a",@progbits
	.p2align	6, 0x0
	.amdhsa_kernel _ZN7rocprim17ROCPRIM_400000_NS6detail17trampoline_kernelINS0_14default_configENS1_20scan_config_selectorIN3c104HalfEEEZZNS1_9scan_implILNS1_25lookback_scan_determinismE0ELb0ELb0ES3_PKS6_PS6_S6_ZZZN2at6native31launch_logcumsumexp_cuda_kernelERKNSD_10TensorBaseESH_lENKUlvE_clEvENKUlvE3_clEvEUlS6_S6_E_S6_EEDaPvRmT3_T4_T5_mT6_P12ihipStream_tbENKUlT_T0_E_clISt17integral_constantIbLb1EESY_EEDaST_SU_EUlST_E_NS1_11comp_targetILNS1_3genE3ELNS1_11target_archE908ELNS1_3gpuE7ELNS1_3repE0EEENS1_30default_config_static_selectorELNS0_4arch9wavefront6targetE1EEEvT1_
		.amdhsa_group_segment_fixed_size 0
		.amdhsa_private_segment_fixed_size 0
		.amdhsa_kernarg_size 96
		.amdhsa_user_sgpr_count 6
		.amdhsa_user_sgpr_private_segment_buffer 1
		.amdhsa_user_sgpr_dispatch_ptr 0
		.amdhsa_user_sgpr_queue_ptr 0
		.amdhsa_user_sgpr_kernarg_segment_ptr 1
		.amdhsa_user_sgpr_dispatch_id 0
		.amdhsa_user_sgpr_flat_scratch_init 0
		.amdhsa_user_sgpr_private_segment_size 0
		.amdhsa_uses_dynamic_stack 0
		.amdhsa_system_sgpr_private_segment_wavefront_offset 0
		.amdhsa_system_sgpr_workgroup_id_x 1
		.amdhsa_system_sgpr_workgroup_id_y 0
		.amdhsa_system_sgpr_workgroup_id_z 0
		.amdhsa_system_sgpr_workgroup_info 0
		.amdhsa_system_vgpr_workitem_id 0
		.amdhsa_next_free_vgpr 1
		.amdhsa_next_free_sgpr 0
		.amdhsa_reserve_vcc 0
		.amdhsa_reserve_flat_scratch 0
		.amdhsa_float_round_mode_32 0
		.amdhsa_float_round_mode_16_64 0
		.amdhsa_float_denorm_mode_32 3
		.amdhsa_float_denorm_mode_16_64 3
		.amdhsa_dx10_clamp 1
		.amdhsa_ieee_mode 1
		.amdhsa_fp16_overflow 0
		.amdhsa_exception_fp_ieee_invalid_op 0
		.amdhsa_exception_fp_denorm_src 0
		.amdhsa_exception_fp_ieee_div_zero 0
		.amdhsa_exception_fp_ieee_overflow 0
		.amdhsa_exception_fp_ieee_underflow 0
		.amdhsa_exception_fp_ieee_inexact 0
		.amdhsa_exception_int_div_zero 0
	.end_amdhsa_kernel
	.section	.text._ZN7rocprim17ROCPRIM_400000_NS6detail17trampoline_kernelINS0_14default_configENS1_20scan_config_selectorIN3c104HalfEEEZZNS1_9scan_implILNS1_25lookback_scan_determinismE0ELb0ELb0ES3_PKS6_PS6_S6_ZZZN2at6native31launch_logcumsumexp_cuda_kernelERKNSD_10TensorBaseESH_lENKUlvE_clEvENKUlvE3_clEvEUlS6_S6_E_S6_EEDaPvRmT3_T4_T5_mT6_P12ihipStream_tbENKUlT_T0_E_clISt17integral_constantIbLb1EESY_EEDaST_SU_EUlST_E_NS1_11comp_targetILNS1_3genE3ELNS1_11target_archE908ELNS1_3gpuE7ELNS1_3repE0EEENS1_30default_config_static_selectorELNS0_4arch9wavefront6targetE1EEEvT1_,"axG",@progbits,_ZN7rocprim17ROCPRIM_400000_NS6detail17trampoline_kernelINS0_14default_configENS1_20scan_config_selectorIN3c104HalfEEEZZNS1_9scan_implILNS1_25lookback_scan_determinismE0ELb0ELb0ES3_PKS6_PS6_S6_ZZZN2at6native31launch_logcumsumexp_cuda_kernelERKNSD_10TensorBaseESH_lENKUlvE_clEvENKUlvE3_clEvEUlS6_S6_E_S6_EEDaPvRmT3_T4_T5_mT6_P12ihipStream_tbENKUlT_T0_E_clISt17integral_constantIbLb1EESY_EEDaST_SU_EUlST_E_NS1_11comp_targetILNS1_3genE3ELNS1_11target_archE908ELNS1_3gpuE7ELNS1_3repE0EEENS1_30default_config_static_selectorELNS0_4arch9wavefront6targetE1EEEvT1_,comdat
.Lfunc_end381:
	.size	_ZN7rocprim17ROCPRIM_400000_NS6detail17trampoline_kernelINS0_14default_configENS1_20scan_config_selectorIN3c104HalfEEEZZNS1_9scan_implILNS1_25lookback_scan_determinismE0ELb0ELb0ES3_PKS6_PS6_S6_ZZZN2at6native31launch_logcumsumexp_cuda_kernelERKNSD_10TensorBaseESH_lENKUlvE_clEvENKUlvE3_clEvEUlS6_S6_E_S6_EEDaPvRmT3_T4_T5_mT6_P12ihipStream_tbENKUlT_T0_E_clISt17integral_constantIbLb1EESY_EEDaST_SU_EUlST_E_NS1_11comp_targetILNS1_3genE3ELNS1_11target_archE908ELNS1_3gpuE7ELNS1_3repE0EEENS1_30default_config_static_selectorELNS0_4arch9wavefront6targetE1EEEvT1_, .Lfunc_end381-_ZN7rocprim17ROCPRIM_400000_NS6detail17trampoline_kernelINS0_14default_configENS1_20scan_config_selectorIN3c104HalfEEEZZNS1_9scan_implILNS1_25lookback_scan_determinismE0ELb0ELb0ES3_PKS6_PS6_S6_ZZZN2at6native31launch_logcumsumexp_cuda_kernelERKNSD_10TensorBaseESH_lENKUlvE_clEvENKUlvE3_clEvEUlS6_S6_E_S6_EEDaPvRmT3_T4_T5_mT6_P12ihipStream_tbENKUlT_T0_E_clISt17integral_constantIbLb1EESY_EEDaST_SU_EUlST_E_NS1_11comp_targetILNS1_3genE3ELNS1_11target_archE908ELNS1_3gpuE7ELNS1_3repE0EEENS1_30default_config_static_selectorELNS0_4arch9wavefront6targetE1EEEvT1_
                                        ; -- End function
	.set _ZN7rocprim17ROCPRIM_400000_NS6detail17trampoline_kernelINS0_14default_configENS1_20scan_config_selectorIN3c104HalfEEEZZNS1_9scan_implILNS1_25lookback_scan_determinismE0ELb0ELb0ES3_PKS6_PS6_S6_ZZZN2at6native31launch_logcumsumexp_cuda_kernelERKNSD_10TensorBaseESH_lENKUlvE_clEvENKUlvE3_clEvEUlS6_S6_E_S6_EEDaPvRmT3_T4_T5_mT6_P12ihipStream_tbENKUlT_T0_E_clISt17integral_constantIbLb1EESY_EEDaST_SU_EUlST_E_NS1_11comp_targetILNS1_3genE3ELNS1_11target_archE908ELNS1_3gpuE7ELNS1_3repE0EEENS1_30default_config_static_selectorELNS0_4arch9wavefront6targetE1EEEvT1_.num_vgpr, 0
	.set _ZN7rocprim17ROCPRIM_400000_NS6detail17trampoline_kernelINS0_14default_configENS1_20scan_config_selectorIN3c104HalfEEEZZNS1_9scan_implILNS1_25lookback_scan_determinismE0ELb0ELb0ES3_PKS6_PS6_S6_ZZZN2at6native31launch_logcumsumexp_cuda_kernelERKNSD_10TensorBaseESH_lENKUlvE_clEvENKUlvE3_clEvEUlS6_S6_E_S6_EEDaPvRmT3_T4_T5_mT6_P12ihipStream_tbENKUlT_T0_E_clISt17integral_constantIbLb1EESY_EEDaST_SU_EUlST_E_NS1_11comp_targetILNS1_3genE3ELNS1_11target_archE908ELNS1_3gpuE7ELNS1_3repE0EEENS1_30default_config_static_selectorELNS0_4arch9wavefront6targetE1EEEvT1_.num_agpr, 0
	.set _ZN7rocprim17ROCPRIM_400000_NS6detail17trampoline_kernelINS0_14default_configENS1_20scan_config_selectorIN3c104HalfEEEZZNS1_9scan_implILNS1_25lookback_scan_determinismE0ELb0ELb0ES3_PKS6_PS6_S6_ZZZN2at6native31launch_logcumsumexp_cuda_kernelERKNSD_10TensorBaseESH_lENKUlvE_clEvENKUlvE3_clEvEUlS6_S6_E_S6_EEDaPvRmT3_T4_T5_mT6_P12ihipStream_tbENKUlT_T0_E_clISt17integral_constantIbLb1EESY_EEDaST_SU_EUlST_E_NS1_11comp_targetILNS1_3genE3ELNS1_11target_archE908ELNS1_3gpuE7ELNS1_3repE0EEENS1_30default_config_static_selectorELNS0_4arch9wavefront6targetE1EEEvT1_.numbered_sgpr, 0
	.set _ZN7rocprim17ROCPRIM_400000_NS6detail17trampoline_kernelINS0_14default_configENS1_20scan_config_selectorIN3c104HalfEEEZZNS1_9scan_implILNS1_25lookback_scan_determinismE0ELb0ELb0ES3_PKS6_PS6_S6_ZZZN2at6native31launch_logcumsumexp_cuda_kernelERKNSD_10TensorBaseESH_lENKUlvE_clEvENKUlvE3_clEvEUlS6_S6_E_S6_EEDaPvRmT3_T4_T5_mT6_P12ihipStream_tbENKUlT_T0_E_clISt17integral_constantIbLb1EESY_EEDaST_SU_EUlST_E_NS1_11comp_targetILNS1_3genE3ELNS1_11target_archE908ELNS1_3gpuE7ELNS1_3repE0EEENS1_30default_config_static_selectorELNS0_4arch9wavefront6targetE1EEEvT1_.num_named_barrier, 0
	.set _ZN7rocprim17ROCPRIM_400000_NS6detail17trampoline_kernelINS0_14default_configENS1_20scan_config_selectorIN3c104HalfEEEZZNS1_9scan_implILNS1_25lookback_scan_determinismE0ELb0ELb0ES3_PKS6_PS6_S6_ZZZN2at6native31launch_logcumsumexp_cuda_kernelERKNSD_10TensorBaseESH_lENKUlvE_clEvENKUlvE3_clEvEUlS6_S6_E_S6_EEDaPvRmT3_T4_T5_mT6_P12ihipStream_tbENKUlT_T0_E_clISt17integral_constantIbLb1EESY_EEDaST_SU_EUlST_E_NS1_11comp_targetILNS1_3genE3ELNS1_11target_archE908ELNS1_3gpuE7ELNS1_3repE0EEENS1_30default_config_static_selectorELNS0_4arch9wavefront6targetE1EEEvT1_.private_seg_size, 0
	.set _ZN7rocprim17ROCPRIM_400000_NS6detail17trampoline_kernelINS0_14default_configENS1_20scan_config_selectorIN3c104HalfEEEZZNS1_9scan_implILNS1_25lookback_scan_determinismE0ELb0ELb0ES3_PKS6_PS6_S6_ZZZN2at6native31launch_logcumsumexp_cuda_kernelERKNSD_10TensorBaseESH_lENKUlvE_clEvENKUlvE3_clEvEUlS6_S6_E_S6_EEDaPvRmT3_T4_T5_mT6_P12ihipStream_tbENKUlT_T0_E_clISt17integral_constantIbLb1EESY_EEDaST_SU_EUlST_E_NS1_11comp_targetILNS1_3genE3ELNS1_11target_archE908ELNS1_3gpuE7ELNS1_3repE0EEENS1_30default_config_static_selectorELNS0_4arch9wavefront6targetE1EEEvT1_.uses_vcc, 0
	.set _ZN7rocprim17ROCPRIM_400000_NS6detail17trampoline_kernelINS0_14default_configENS1_20scan_config_selectorIN3c104HalfEEEZZNS1_9scan_implILNS1_25lookback_scan_determinismE0ELb0ELb0ES3_PKS6_PS6_S6_ZZZN2at6native31launch_logcumsumexp_cuda_kernelERKNSD_10TensorBaseESH_lENKUlvE_clEvENKUlvE3_clEvEUlS6_S6_E_S6_EEDaPvRmT3_T4_T5_mT6_P12ihipStream_tbENKUlT_T0_E_clISt17integral_constantIbLb1EESY_EEDaST_SU_EUlST_E_NS1_11comp_targetILNS1_3genE3ELNS1_11target_archE908ELNS1_3gpuE7ELNS1_3repE0EEENS1_30default_config_static_selectorELNS0_4arch9wavefront6targetE1EEEvT1_.uses_flat_scratch, 0
	.set _ZN7rocprim17ROCPRIM_400000_NS6detail17trampoline_kernelINS0_14default_configENS1_20scan_config_selectorIN3c104HalfEEEZZNS1_9scan_implILNS1_25lookback_scan_determinismE0ELb0ELb0ES3_PKS6_PS6_S6_ZZZN2at6native31launch_logcumsumexp_cuda_kernelERKNSD_10TensorBaseESH_lENKUlvE_clEvENKUlvE3_clEvEUlS6_S6_E_S6_EEDaPvRmT3_T4_T5_mT6_P12ihipStream_tbENKUlT_T0_E_clISt17integral_constantIbLb1EESY_EEDaST_SU_EUlST_E_NS1_11comp_targetILNS1_3genE3ELNS1_11target_archE908ELNS1_3gpuE7ELNS1_3repE0EEENS1_30default_config_static_selectorELNS0_4arch9wavefront6targetE1EEEvT1_.has_dyn_sized_stack, 0
	.set _ZN7rocprim17ROCPRIM_400000_NS6detail17trampoline_kernelINS0_14default_configENS1_20scan_config_selectorIN3c104HalfEEEZZNS1_9scan_implILNS1_25lookback_scan_determinismE0ELb0ELb0ES3_PKS6_PS6_S6_ZZZN2at6native31launch_logcumsumexp_cuda_kernelERKNSD_10TensorBaseESH_lENKUlvE_clEvENKUlvE3_clEvEUlS6_S6_E_S6_EEDaPvRmT3_T4_T5_mT6_P12ihipStream_tbENKUlT_T0_E_clISt17integral_constantIbLb1EESY_EEDaST_SU_EUlST_E_NS1_11comp_targetILNS1_3genE3ELNS1_11target_archE908ELNS1_3gpuE7ELNS1_3repE0EEENS1_30default_config_static_selectorELNS0_4arch9wavefront6targetE1EEEvT1_.has_recursion, 0
	.set _ZN7rocprim17ROCPRIM_400000_NS6detail17trampoline_kernelINS0_14default_configENS1_20scan_config_selectorIN3c104HalfEEEZZNS1_9scan_implILNS1_25lookback_scan_determinismE0ELb0ELb0ES3_PKS6_PS6_S6_ZZZN2at6native31launch_logcumsumexp_cuda_kernelERKNSD_10TensorBaseESH_lENKUlvE_clEvENKUlvE3_clEvEUlS6_S6_E_S6_EEDaPvRmT3_T4_T5_mT6_P12ihipStream_tbENKUlT_T0_E_clISt17integral_constantIbLb1EESY_EEDaST_SU_EUlST_E_NS1_11comp_targetILNS1_3genE3ELNS1_11target_archE908ELNS1_3gpuE7ELNS1_3repE0EEENS1_30default_config_static_selectorELNS0_4arch9wavefront6targetE1EEEvT1_.has_indirect_call, 0
	.section	.AMDGPU.csdata,"",@progbits
; Kernel info:
; codeLenInByte = 0
; TotalNumSgprs: 4
; NumVgprs: 0
; ScratchSize: 0
; MemoryBound: 0
; FloatMode: 240
; IeeeMode: 1
; LDSByteSize: 0 bytes/workgroup (compile time only)
; SGPRBlocks: 0
; VGPRBlocks: 0
; NumSGPRsForWavesPerEU: 4
; NumVGPRsForWavesPerEU: 1
; Occupancy: 10
; WaveLimiterHint : 0
; COMPUTE_PGM_RSRC2:SCRATCH_EN: 0
; COMPUTE_PGM_RSRC2:USER_SGPR: 6
; COMPUTE_PGM_RSRC2:TRAP_HANDLER: 0
; COMPUTE_PGM_RSRC2:TGID_X_EN: 1
; COMPUTE_PGM_RSRC2:TGID_Y_EN: 0
; COMPUTE_PGM_RSRC2:TGID_Z_EN: 0
; COMPUTE_PGM_RSRC2:TIDIG_COMP_CNT: 0
	.section	.text._ZN7rocprim17ROCPRIM_400000_NS6detail17trampoline_kernelINS0_14default_configENS1_20scan_config_selectorIN3c104HalfEEEZZNS1_9scan_implILNS1_25lookback_scan_determinismE0ELb0ELb0ES3_PKS6_PS6_S6_ZZZN2at6native31launch_logcumsumexp_cuda_kernelERKNSD_10TensorBaseESH_lENKUlvE_clEvENKUlvE3_clEvEUlS6_S6_E_S6_EEDaPvRmT3_T4_T5_mT6_P12ihipStream_tbENKUlT_T0_E_clISt17integral_constantIbLb1EESY_EEDaST_SU_EUlST_E_NS1_11comp_targetILNS1_3genE2ELNS1_11target_archE906ELNS1_3gpuE6ELNS1_3repE0EEENS1_30default_config_static_selectorELNS0_4arch9wavefront6targetE1EEEvT1_,"axG",@progbits,_ZN7rocprim17ROCPRIM_400000_NS6detail17trampoline_kernelINS0_14default_configENS1_20scan_config_selectorIN3c104HalfEEEZZNS1_9scan_implILNS1_25lookback_scan_determinismE0ELb0ELb0ES3_PKS6_PS6_S6_ZZZN2at6native31launch_logcumsumexp_cuda_kernelERKNSD_10TensorBaseESH_lENKUlvE_clEvENKUlvE3_clEvEUlS6_S6_E_S6_EEDaPvRmT3_T4_T5_mT6_P12ihipStream_tbENKUlT_T0_E_clISt17integral_constantIbLb1EESY_EEDaST_SU_EUlST_E_NS1_11comp_targetILNS1_3genE2ELNS1_11target_archE906ELNS1_3gpuE6ELNS1_3repE0EEENS1_30default_config_static_selectorELNS0_4arch9wavefront6targetE1EEEvT1_,comdat
	.globl	_ZN7rocprim17ROCPRIM_400000_NS6detail17trampoline_kernelINS0_14default_configENS1_20scan_config_selectorIN3c104HalfEEEZZNS1_9scan_implILNS1_25lookback_scan_determinismE0ELb0ELb0ES3_PKS6_PS6_S6_ZZZN2at6native31launch_logcumsumexp_cuda_kernelERKNSD_10TensorBaseESH_lENKUlvE_clEvENKUlvE3_clEvEUlS6_S6_E_S6_EEDaPvRmT3_T4_T5_mT6_P12ihipStream_tbENKUlT_T0_E_clISt17integral_constantIbLb1EESY_EEDaST_SU_EUlST_E_NS1_11comp_targetILNS1_3genE2ELNS1_11target_archE906ELNS1_3gpuE6ELNS1_3repE0EEENS1_30default_config_static_selectorELNS0_4arch9wavefront6targetE1EEEvT1_ ; -- Begin function _ZN7rocprim17ROCPRIM_400000_NS6detail17trampoline_kernelINS0_14default_configENS1_20scan_config_selectorIN3c104HalfEEEZZNS1_9scan_implILNS1_25lookback_scan_determinismE0ELb0ELb0ES3_PKS6_PS6_S6_ZZZN2at6native31launch_logcumsumexp_cuda_kernelERKNSD_10TensorBaseESH_lENKUlvE_clEvENKUlvE3_clEvEUlS6_S6_E_S6_EEDaPvRmT3_T4_T5_mT6_P12ihipStream_tbENKUlT_T0_E_clISt17integral_constantIbLb1EESY_EEDaST_SU_EUlST_E_NS1_11comp_targetILNS1_3genE2ELNS1_11target_archE906ELNS1_3gpuE6ELNS1_3repE0EEENS1_30default_config_static_selectorELNS0_4arch9wavefront6targetE1EEEvT1_
	.p2align	8
	.type	_ZN7rocprim17ROCPRIM_400000_NS6detail17trampoline_kernelINS0_14default_configENS1_20scan_config_selectorIN3c104HalfEEEZZNS1_9scan_implILNS1_25lookback_scan_determinismE0ELb0ELb0ES3_PKS6_PS6_S6_ZZZN2at6native31launch_logcumsumexp_cuda_kernelERKNSD_10TensorBaseESH_lENKUlvE_clEvENKUlvE3_clEvEUlS6_S6_E_S6_EEDaPvRmT3_T4_T5_mT6_P12ihipStream_tbENKUlT_T0_E_clISt17integral_constantIbLb1EESY_EEDaST_SU_EUlST_E_NS1_11comp_targetILNS1_3genE2ELNS1_11target_archE906ELNS1_3gpuE6ELNS1_3repE0EEENS1_30default_config_static_selectorELNS0_4arch9wavefront6targetE1EEEvT1_,@function
_ZN7rocprim17ROCPRIM_400000_NS6detail17trampoline_kernelINS0_14default_configENS1_20scan_config_selectorIN3c104HalfEEEZZNS1_9scan_implILNS1_25lookback_scan_determinismE0ELb0ELb0ES3_PKS6_PS6_S6_ZZZN2at6native31launch_logcumsumexp_cuda_kernelERKNSD_10TensorBaseESH_lENKUlvE_clEvENKUlvE3_clEvEUlS6_S6_E_S6_EEDaPvRmT3_T4_T5_mT6_P12ihipStream_tbENKUlT_T0_E_clISt17integral_constantIbLb1EESY_EEDaST_SU_EUlST_E_NS1_11comp_targetILNS1_3genE2ELNS1_11target_archE906ELNS1_3gpuE6ELNS1_3repE0EEENS1_30default_config_static_selectorELNS0_4arch9wavefront6targetE1EEEvT1_: ; @_ZN7rocprim17ROCPRIM_400000_NS6detail17trampoline_kernelINS0_14default_configENS1_20scan_config_selectorIN3c104HalfEEEZZNS1_9scan_implILNS1_25lookback_scan_determinismE0ELb0ELb0ES3_PKS6_PS6_S6_ZZZN2at6native31launch_logcumsumexp_cuda_kernelERKNSD_10TensorBaseESH_lENKUlvE_clEvENKUlvE3_clEvEUlS6_S6_E_S6_EEDaPvRmT3_T4_T5_mT6_P12ihipStream_tbENKUlT_T0_E_clISt17integral_constantIbLb1EESY_EEDaST_SU_EUlST_E_NS1_11comp_targetILNS1_3genE2ELNS1_11target_archE906ELNS1_3gpuE6ELNS1_3repE0EEENS1_30default_config_static_selectorELNS0_4arch9wavefront6targetE1EEEvT1_
; %bb.0:
	s_endpgm
	.section	.rodata,"a",@progbits
	.p2align	6, 0x0
	.amdhsa_kernel _ZN7rocprim17ROCPRIM_400000_NS6detail17trampoline_kernelINS0_14default_configENS1_20scan_config_selectorIN3c104HalfEEEZZNS1_9scan_implILNS1_25lookback_scan_determinismE0ELb0ELb0ES3_PKS6_PS6_S6_ZZZN2at6native31launch_logcumsumexp_cuda_kernelERKNSD_10TensorBaseESH_lENKUlvE_clEvENKUlvE3_clEvEUlS6_S6_E_S6_EEDaPvRmT3_T4_T5_mT6_P12ihipStream_tbENKUlT_T0_E_clISt17integral_constantIbLb1EESY_EEDaST_SU_EUlST_E_NS1_11comp_targetILNS1_3genE2ELNS1_11target_archE906ELNS1_3gpuE6ELNS1_3repE0EEENS1_30default_config_static_selectorELNS0_4arch9wavefront6targetE1EEEvT1_
		.amdhsa_group_segment_fixed_size 0
		.amdhsa_private_segment_fixed_size 0
		.amdhsa_kernarg_size 96
		.amdhsa_user_sgpr_count 6
		.amdhsa_user_sgpr_private_segment_buffer 1
		.amdhsa_user_sgpr_dispatch_ptr 0
		.amdhsa_user_sgpr_queue_ptr 0
		.amdhsa_user_sgpr_kernarg_segment_ptr 1
		.amdhsa_user_sgpr_dispatch_id 0
		.amdhsa_user_sgpr_flat_scratch_init 0
		.amdhsa_user_sgpr_private_segment_size 0
		.amdhsa_uses_dynamic_stack 0
		.amdhsa_system_sgpr_private_segment_wavefront_offset 0
		.amdhsa_system_sgpr_workgroup_id_x 1
		.amdhsa_system_sgpr_workgroup_id_y 0
		.amdhsa_system_sgpr_workgroup_id_z 0
		.amdhsa_system_sgpr_workgroup_info 0
		.amdhsa_system_vgpr_workitem_id 0
		.amdhsa_next_free_vgpr 1
		.amdhsa_next_free_sgpr 0
		.amdhsa_reserve_vcc 0
		.amdhsa_reserve_flat_scratch 0
		.amdhsa_float_round_mode_32 0
		.amdhsa_float_round_mode_16_64 0
		.amdhsa_float_denorm_mode_32 3
		.amdhsa_float_denorm_mode_16_64 3
		.amdhsa_dx10_clamp 1
		.amdhsa_ieee_mode 1
		.amdhsa_fp16_overflow 0
		.amdhsa_exception_fp_ieee_invalid_op 0
		.amdhsa_exception_fp_denorm_src 0
		.amdhsa_exception_fp_ieee_div_zero 0
		.amdhsa_exception_fp_ieee_overflow 0
		.amdhsa_exception_fp_ieee_underflow 0
		.amdhsa_exception_fp_ieee_inexact 0
		.amdhsa_exception_int_div_zero 0
	.end_amdhsa_kernel
	.section	.text._ZN7rocprim17ROCPRIM_400000_NS6detail17trampoline_kernelINS0_14default_configENS1_20scan_config_selectorIN3c104HalfEEEZZNS1_9scan_implILNS1_25lookback_scan_determinismE0ELb0ELb0ES3_PKS6_PS6_S6_ZZZN2at6native31launch_logcumsumexp_cuda_kernelERKNSD_10TensorBaseESH_lENKUlvE_clEvENKUlvE3_clEvEUlS6_S6_E_S6_EEDaPvRmT3_T4_T5_mT6_P12ihipStream_tbENKUlT_T0_E_clISt17integral_constantIbLb1EESY_EEDaST_SU_EUlST_E_NS1_11comp_targetILNS1_3genE2ELNS1_11target_archE906ELNS1_3gpuE6ELNS1_3repE0EEENS1_30default_config_static_selectorELNS0_4arch9wavefront6targetE1EEEvT1_,"axG",@progbits,_ZN7rocprim17ROCPRIM_400000_NS6detail17trampoline_kernelINS0_14default_configENS1_20scan_config_selectorIN3c104HalfEEEZZNS1_9scan_implILNS1_25lookback_scan_determinismE0ELb0ELb0ES3_PKS6_PS6_S6_ZZZN2at6native31launch_logcumsumexp_cuda_kernelERKNSD_10TensorBaseESH_lENKUlvE_clEvENKUlvE3_clEvEUlS6_S6_E_S6_EEDaPvRmT3_T4_T5_mT6_P12ihipStream_tbENKUlT_T0_E_clISt17integral_constantIbLb1EESY_EEDaST_SU_EUlST_E_NS1_11comp_targetILNS1_3genE2ELNS1_11target_archE906ELNS1_3gpuE6ELNS1_3repE0EEENS1_30default_config_static_selectorELNS0_4arch9wavefront6targetE1EEEvT1_,comdat
.Lfunc_end382:
	.size	_ZN7rocprim17ROCPRIM_400000_NS6detail17trampoline_kernelINS0_14default_configENS1_20scan_config_selectorIN3c104HalfEEEZZNS1_9scan_implILNS1_25lookback_scan_determinismE0ELb0ELb0ES3_PKS6_PS6_S6_ZZZN2at6native31launch_logcumsumexp_cuda_kernelERKNSD_10TensorBaseESH_lENKUlvE_clEvENKUlvE3_clEvEUlS6_S6_E_S6_EEDaPvRmT3_T4_T5_mT6_P12ihipStream_tbENKUlT_T0_E_clISt17integral_constantIbLb1EESY_EEDaST_SU_EUlST_E_NS1_11comp_targetILNS1_3genE2ELNS1_11target_archE906ELNS1_3gpuE6ELNS1_3repE0EEENS1_30default_config_static_selectorELNS0_4arch9wavefront6targetE1EEEvT1_, .Lfunc_end382-_ZN7rocprim17ROCPRIM_400000_NS6detail17trampoline_kernelINS0_14default_configENS1_20scan_config_selectorIN3c104HalfEEEZZNS1_9scan_implILNS1_25lookback_scan_determinismE0ELb0ELb0ES3_PKS6_PS6_S6_ZZZN2at6native31launch_logcumsumexp_cuda_kernelERKNSD_10TensorBaseESH_lENKUlvE_clEvENKUlvE3_clEvEUlS6_S6_E_S6_EEDaPvRmT3_T4_T5_mT6_P12ihipStream_tbENKUlT_T0_E_clISt17integral_constantIbLb1EESY_EEDaST_SU_EUlST_E_NS1_11comp_targetILNS1_3genE2ELNS1_11target_archE906ELNS1_3gpuE6ELNS1_3repE0EEENS1_30default_config_static_selectorELNS0_4arch9wavefront6targetE1EEEvT1_
                                        ; -- End function
	.set _ZN7rocprim17ROCPRIM_400000_NS6detail17trampoline_kernelINS0_14default_configENS1_20scan_config_selectorIN3c104HalfEEEZZNS1_9scan_implILNS1_25lookback_scan_determinismE0ELb0ELb0ES3_PKS6_PS6_S6_ZZZN2at6native31launch_logcumsumexp_cuda_kernelERKNSD_10TensorBaseESH_lENKUlvE_clEvENKUlvE3_clEvEUlS6_S6_E_S6_EEDaPvRmT3_T4_T5_mT6_P12ihipStream_tbENKUlT_T0_E_clISt17integral_constantIbLb1EESY_EEDaST_SU_EUlST_E_NS1_11comp_targetILNS1_3genE2ELNS1_11target_archE906ELNS1_3gpuE6ELNS1_3repE0EEENS1_30default_config_static_selectorELNS0_4arch9wavefront6targetE1EEEvT1_.num_vgpr, 0
	.set _ZN7rocprim17ROCPRIM_400000_NS6detail17trampoline_kernelINS0_14default_configENS1_20scan_config_selectorIN3c104HalfEEEZZNS1_9scan_implILNS1_25lookback_scan_determinismE0ELb0ELb0ES3_PKS6_PS6_S6_ZZZN2at6native31launch_logcumsumexp_cuda_kernelERKNSD_10TensorBaseESH_lENKUlvE_clEvENKUlvE3_clEvEUlS6_S6_E_S6_EEDaPvRmT3_T4_T5_mT6_P12ihipStream_tbENKUlT_T0_E_clISt17integral_constantIbLb1EESY_EEDaST_SU_EUlST_E_NS1_11comp_targetILNS1_3genE2ELNS1_11target_archE906ELNS1_3gpuE6ELNS1_3repE0EEENS1_30default_config_static_selectorELNS0_4arch9wavefront6targetE1EEEvT1_.num_agpr, 0
	.set _ZN7rocprim17ROCPRIM_400000_NS6detail17trampoline_kernelINS0_14default_configENS1_20scan_config_selectorIN3c104HalfEEEZZNS1_9scan_implILNS1_25lookback_scan_determinismE0ELb0ELb0ES3_PKS6_PS6_S6_ZZZN2at6native31launch_logcumsumexp_cuda_kernelERKNSD_10TensorBaseESH_lENKUlvE_clEvENKUlvE3_clEvEUlS6_S6_E_S6_EEDaPvRmT3_T4_T5_mT6_P12ihipStream_tbENKUlT_T0_E_clISt17integral_constantIbLb1EESY_EEDaST_SU_EUlST_E_NS1_11comp_targetILNS1_3genE2ELNS1_11target_archE906ELNS1_3gpuE6ELNS1_3repE0EEENS1_30default_config_static_selectorELNS0_4arch9wavefront6targetE1EEEvT1_.numbered_sgpr, 0
	.set _ZN7rocprim17ROCPRIM_400000_NS6detail17trampoline_kernelINS0_14default_configENS1_20scan_config_selectorIN3c104HalfEEEZZNS1_9scan_implILNS1_25lookback_scan_determinismE0ELb0ELb0ES3_PKS6_PS6_S6_ZZZN2at6native31launch_logcumsumexp_cuda_kernelERKNSD_10TensorBaseESH_lENKUlvE_clEvENKUlvE3_clEvEUlS6_S6_E_S6_EEDaPvRmT3_T4_T5_mT6_P12ihipStream_tbENKUlT_T0_E_clISt17integral_constantIbLb1EESY_EEDaST_SU_EUlST_E_NS1_11comp_targetILNS1_3genE2ELNS1_11target_archE906ELNS1_3gpuE6ELNS1_3repE0EEENS1_30default_config_static_selectorELNS0_4arch9wavefront6targetE1EEEvT1_.num_named_barrier, 0
	.set _ZN7rocprim17ROCPRIM_400000_NS6detail17trampoline_kernelINS0_14default_configENS1_20scan_config_selectorIN3c104HalfEEEZZNS1_9scan_implILNS1_25lookback_scan_determinismE0ELb0ELb0ES3_PKS6_PS6_S6_ZZZN2at6native31launch_logcumsumexp_cuda_kernelERKNSD_10TensorBaseESH_lENKUlvE_clEvENKUlvE3_clEvEUlS6_S6_E_S6_EEDaPvRmT3_T4_T5_mT6_P12ihipStream_tbENKUlT_T0_E_clISt17integral_constantIbLb1EESY_EEDaST_SU_EUlST_E_NS1_11comp_targetILNS1_3genE2ELNS1_11target_archE906ELNS1_3gpuE6ELNS1_3repE0EEENS1_30default_config_static_selectorELNS0_4arch9wavefront6targetE1EEEvT1_.private_seg_size, 0
	.set _ZN7rocprim17ROCPRIM_400000_NS6detail17trampoline_kernelINS0_14default_configENS1_20scan_config_selectorIN3c104HalfEEEZZNS1_9scan_implILNS1_25lookback_scan_determinismE0ELb0ELb0ES3_PKS6_PS6_S6_ZZZN2at6native31launch_logcumsumexp_cuda_kernelERKNSD_10TensorBaseESH_lENKUlvE_clEvENKUlvE3_clEvEUlS6_S6_E_S6_EEDaPvRmT3_T4_T5_mT6_P12ihipStream_tbENKUlT_T0_E_clISt17integral_constantIbLb1EESY_EEDaST_SU_EUlST_E_NS1_11comp_targetILNS1_3genE2ELNS1_11target_archE906ELNS1_3gpuE6ELNS1_3repE0EEENS1_30default_config_static_selectorELNS0_4arch9wavefront6targetE1EEEvT1_.uses_vcc, 0
	.set _ZN7rocprim17ROCPRIM_400000_NS6detail17trampoline_kernelINS0_14default_configENS1_20scan_config_selectorIN3c104HalfEEEZZNS1_9scan_implILNS1_25lookback_scan_determinismE0ELb0ELb0ES3_PKS6_PS6_S6_ZZZN2at6native31launch_logcumsumexp_cuda_kernelERKNSD_10TensorBaseESH_lENKUlvE_clEvENKUlvE3_clEvEUlS6_S6_E_S6_EEDaPvRmT3_T4_T5_mT6_P12ihipStream_tbENKUlT_T0_E_clISt17integral_constantIbLb1EESY_EEDaST_SU_EUlST_E_NS1_11comp_targetILNS1_3genE2ELNS1_11target_archE906ELNS1_3gpuE6ELNS1_3repE0EEENS1_30default_config_static_selectorELNS0_4arch9wavefront6targetE1EEEvT1_.uses_flat_scratch, 0
	.set _ZN7rocprim17ROCPRIM_400000_NS6detail17trampoline_kernelINS0_14default_configENS1_20scan_config_selectorIN3c104HalfEEEZZNS1_9scan_implILNS1_25lookback_scan_determinismE0ELb0ELb0ES3_PKS6_PS6_S6_ZZZN2at6native31launch_logcumsumexp_cuda_kernelERKNSD_10TensorBaseESH_lENKUlvE_clEvENKUlvE3_clEvEUlS6_S6_E_S6_EEDaPvRmT3_T4_T5_mT6_P12ihipStream_tbENKUlT_T0_E_clISt17integral_constantIbLb1EESY_EEDaST_SU_EUlST_E_NS1_11comp_targetILNS1_3genE2ELNS1_11target_archE906ELNS1_3gpuE6ELNS1_3repE0EEENS1_30default_config_static_selectorELNS0_4arch9wavefront6targetE1EEEvT1_.has_dyn_sized_stack, 0
	.set _ZN7rocprim17ROCPRIM_400000_NS6detail17trampoline_kernelINS0_14default_configENS1_20scan_config_selectorIN3c104HalfEEEZZNS1_9scan_implILNS1_25lookback_scan_determinismE0ELb0ELb0ES3_PKS6_PS6_S6_ZZZN2at6native31launch_logcumsumexp_cuda_kernelERKNSD_10TensorBaseESH_lENKUlvE_clEvENKUlvE3_clEvEUlS6_S6_E_S6_EEDaPvRmT3_T4_T5_mT6_P12ihipStream_tbENKUlT_T0_E_clISt17integral_constantIbLb1EESY_EEDaST_SU_EUlST_E_NS1_11comp_targetILNS1_3genE2ELNS1_11target_archE906ELNS1_3gpuE6ELNS1_3repE0EEENS1_30default_config_static_selectorELNS0_4arch9wavefront6targetE1EEEvT1_.has_recursion, 0
	.set _ZN7rocprim17ROCPRIM_400000_NS6detail17trampoline_kernelINS0_14default_configENS1_20scan_config_selectorIN3c104HalfEEEZZNS1_9scan_implILNS1_25lookback_scan_determinismE0ELb0ELb0ES3_PKS6_PS6_S6_ZZZN2at6native31launch_logcumsumexp_cuda_kernelERKNSD_10TensorBaseESH_lENKUlvE_clEvENKUlvE3_clEvEUlS6_S6_E_S6_EEDaPvRmT3_T4_T5_mT6_P12ihipStream_tbENKUlT_T0_E_clISt17integral_constantIbLb1EESY_EEDaST_SU_EUlST_E_NS1_11comp_targetILNS1_3genE2ELNS1_11target_archE906ELNS1_3gpuE6ELNS1_3repE0EEENS1_30default_config_static_selectorELNS0_4arch9wavefront6targetE1EEEvT1_.has_indirect_call, 0
	.section	.AMDGPU.csdata,"",@progbits
; Kernel info:
; codeLenInByte = 4
; TotalNumSgprs: 4
; NumVgprs: 0
; ScratchSize: 0
; MemoryBound: 0
; FloatMode: 240
; IeeeMode: 1
; LDSByteSize: 0 bytes/workgroup (compile time only)
; SGPRBlocks: 0
; VGPRBlocks: 0
; NumSGPRsForWavesPerEU: 4
; NumVGPRsForWavesPerEU: 1
; Occupancy: 10
; WaveLimiterHint : 0
; COMPUTE_PGM_RSRC2:SCRATCH_EN: 0
; COMPUTE_PGM_RSRC2:USER_SGPR: 6
; COMPUTE_PGM_RSRC2:TRAP_HANDLER: 0
; COMPUTE_PGM_RSRC2:TGID_X_EN: 1
; COMPUTE_PGM_RSRC2:TGID_Y_EN: 0
; COMPUTE_PGM_RSRC2:TGID_Z_EN: 0
; COMPUTE_PGM_RSRC2:TIDIG_COMP_CNT: 0
	.section	.text._ZN7rocprim17ROCPRIM_400000_NS6detail17trampoline_kernelINS0_14default_configENS1_20scan_config_selectorIN3c104HalfEEEZZNS1_9scan_implILNS1_25lookback_scan_determinismE0ELb0ELb0ES3_PKS6_PS6_S6_ZZZN2at6native31launch_logcumsumexp_cuda_kernelERKNSD_10TensorBaseESH_lENKUlvE_clEvENKUlvE3_clEvEUlS6_S6_E_S6_EEDaPvRmT3_T4_T5_mT6_P12ihipStream_tbENKUlT_T0_E_clISt17integral_constantIbLb1EESY_EEDaST_SU_EUlST_E_NS1_11comp_targetILNS1_3genE10ELNS1_11target_archE1201ELNS1_3gpuE5ELNS1_3repE0EEENS1_30default_config_static_selectorELNS0_4arch9wavefront6targetE1EEEvT1_,"axG",@progbits,_ZN7rocprim17ROCPRIM_400000_NS6detail17trampoline_kernelINS0_14default_configENS1_20scan_config_selectorIN3c104HalfEEEZZNS1_9scan_implILNS1_25lookback_scan_determinismE0ELb0ELb0ES3_PKS6_PS6_S6_ZZZN2at6native31launch_logcumsumexp_cuda_kernelERKNSD_10TensorBaseESH_lENKUlvE_clEvENKUlvE3_clEvEUlS6_S6_E_S6_EEDaPvRmT3_T4_T5_mT6_P12ihipStream_tbENKUlT_T0_E_clISt17integral_constantIbLb1EESY_EEDaST_SU_EUlST_E_NS1_11comp_targetILNS1_3genE10ELNS1_11target_archE1201ELNS1_3gpuE5ELNS1_3repE0EEENS1_30default_config_static_selectorELNS0_4arch9wavefront6targetE1EEEvT1_,comdat
	.globl	_ZN7rocprim17ROCPRIM_400000_NS6detail17trampoline_kernelINS0_14default_configENS1_20scan_config_selectorIN3c104HalfEEEZZNS1_9scan_implILNS1_25lookback_scan_determinismE0ELb0ELb0ES3_PKS6_PS6_S6_ZZZN2at6native31launch_logcumsumexp_cuda_kernelERKNSD_10TensorBaseESH_lENKUlvE_clEvENKUlvE3_clEvEUlS6_S6_E_S6_EEDaPvRmT3_T4_T5_mT6_P12ihipStream_tbENKUlT_T0_E_clISt17integral_constantIbLb1EESY_EEDaST_SU_EUlST_E_NS1_11comp_targetILNS1_3genE10ELNS1_11target_archE1201ELNS1_3gpuE5ELNS1_3repE0EEENS1_30default_config_static_selectorELNS0_4arch9wavefront6targetE1EEEvT1_ ; -- Begin function _ZN7rocprim17ROCPRIM_400000_NS6detail17trampoline_kernelINS0_14default_configENS1_20scan_config_selectorIN3c104HalfEEEZZNS1_9scan_implILNS1_25lookback_scan_determinismE0ELb0ELb0ES3_PKS6_PS6_S6_ZZZN2at6native31launch_logcumsumexp_cuda_kernelERKNSD_10TensorBaseESH_lENKUlvE_clEvENKUlvE3_clEvEUlS6_S6_E_S6_EEDaPvRmT3_T4_T5_mT6_P12ihipStream_tbENKUlT_T0_E_clISt17integral_constantIbLb1EESY_EEDaST_SU_EUlST_E_NS1_11comp_targetILNS1_3genE10ELNS1_11target_archE1201ELNS1_3gpuE5ELNS1_3repE0EEENS1_30default_config_static_selectorELNS0_4arch9wavefront6targetE1EEEvT1_
	.p2align	8
	.type	_ZN7rocprim17ROCPRIM_400000_NS6detail17trampoline_kernelINS0_14default_configENS1_20scan_config_selectorIN3c104HalfEEEZZNS1_9scan_implILNS1_25lookback_scan_determinismE0ELb0ELb0ES3_PKS6_PS6_S6_ZZZN2at6native31launch_logcumsumexp_cuda_kernelERKNSD_10TensorBaseESH_lENKUlvE_clEvENKUlvE3_clEvEUlS6_S6_E_S6_EEDaPvRmT3_T4_T5_mT6_P12ihipStream_tbENKUlT_T0_E_clISt17integral_constantIbLb1EESY_EEDaST_SU_EUlST_E_NS1_11comp_targetILNS1_3genE10ELNS1_11target_archE1201ELNS1_3gpuE5ELNS1_3repE0EEENS1_30default_config_static_selectorELNS0_4arch9wavefront6targetE1EEEvT1_,@function
_ZN7rocprim17ROCPRIM_400000_NS6detail17trampoline_kernelINS0_14default_configENS1_20scan_config_selectorIN3c104HalfEEEZZNS1_9scan_implILNS1_25lookback_scan_determinismE0ELb0ELb0ES3_PKS6_PS6_S6_ZZZN2at6native31launch_logcumsumexp_cuda_kernelERKNSD_10TensorBaseESH_lENKUlvE_clEvENKUlvE3_clEvEUlS6_S6_E_S6_EEDaPvRmT3_T4_T5_mT6_P12ihipStream_tbENKUlT_T0_E_clISt17integral_constantIbLb1EESY_EEDaST_SU_EUlST_E_NS1_11comp_targetILNS1_3genE10ELNS1_11target_archE1201ELNS1_3gpuE5ELNS1_3repE0EEENS1_30default_config_static_selectorELNS0_4arch9wavefront6targetE1EEEvT1_: ; @_ZN7rocprim17ROCPRIM_400000_NS6detail17trampoline_kernelINS0_14default_configENS1_20scan_config_selectorIN3c104HalfEEEZZNS1_9scan_implILNS1_25lookback_scan_determinismE0ELb0ELb0ES3_PKS6_PS6_S6_ZZZN2at6native31launch_logcumsumexp_cuda_kernelERKNSD_10TensorBaseESH_lENKUlvE_clEvENKUlvE3_clEvEUlS6_S6_E_S6_EEDaPvRmT3_T4_T5_mT6_P12ihipStream_tbENKUlT_T0_E_clISt17integral_constantIbLb1EESY_EEDaST_SU_EUlST_E_NS1_11comp_targetILNS1_3genE10ELNS1_11target_archE1201ELNS1_3gpuE5ELNS1_3repE0EEENS1_30default_config_static_selectorELNS0_4arch9wavefront6targetE1EEEvT1_
; %bb.0:
	.section	.rodata,"a",@progbits
	.p2align	6, 0x0
	.amdhsa_kernel _ZN7rocprim17ROCPRIM_400000_NS6detail17trampoline_kernelINS0_14default_configENS1_20scan_config_selectorIN3c104HalfEEEZZNS1_9scan_implILNS1_25lookback_scan_determinismE0ELb0ELb0ES3_PKS6_PS6_S6_ZZZN2at6native31launch_logcumsumexp_cuda_kernelERKNSD_10TensorBaseESH_lENKUlvE_clEvENKUlvE3_clEvEUlS6_S6_E_S6_EEDaPvRmT3_T4_T5_mT6_P12ihipStream_tbENKUlT_T0_E_clISt17integral_constantIbLb1EESY_EEDaST_SU_EUlST_E_NS1_11comp_targetILNS1_3genE10ELNS1_11target_archE1201ELNS1_3gpuE5ELNS1_3repE0EEENS1_30default_config_static_selectorELNS0_4arch9wavefront6targetE1EEEvT1_
		.amdhsa_group_segment_fixed_size 0
		.amdhsa_private_segment_fixed_size 0
		.amdhsa_kernarg_size 96
		.amdhsa_user_sgpr_count 6
		.amdhsa_user_sgpr_private_segment_buffer 1
		.amdhsa_user_sgpr_dispatch_ptr 0
		.amdhsa_user_sgpr_queue_ptr 0
		.amdhsa_user_sgpr_kernarg_segment_ptr 1
		.amdhsa_user_sgpr_dispatch_id 0
		.amdhsa_user_sgpr_flat_scratch_init 0
		.amdhsa_user_sgpr_private_segment_size 0
		.amdhsa_uses_dynamic_stack 0
		.amdhsa_system_sgpr_private_segment_wavefront_offset 0
		.amdhsa_system_sgpr_workgroup_id_x 1
		.amdhsa_system_sgpr_workgroup_id_y 0
		.amdhsa_system_sgpr_workgroup_id_z 0
		.amdhsa_system_sgpr_workgroup_info 0
		.amdhsa_system_vgpr_workitem_id 0
		.amdhsa_next_free_vgpr 1
		.amdhsa_next_free_sgpr 0
		.amdhsa_reserve_vcc 0
		.amdhsa_reserve_flat_scratch 0
		.amdhsa_float_round_mode_32 0
		.amdhsa_float_round_mode_16_64 0
		.amdhsa_float_denorm_mode_32 3
		.amdhsa_float_denorm_mode_16_64 3
		.amdhsa_dx10_clamp 1
		.amdhsa_ieee_mode 1
		.amdhsa_fp16_overflow 0
		.amdhsa_exception_fp_ieee_invalid_op 0
		.amdhsa_exception_fp_denorm_src 0
		.amdhsa_exception_fp_ieee_div_zero 0
		.amdhsa_exception_fp_ieee_overflow 0
		.amdhsa_exception_fp_ieee_underflow 0
		.amdhsa_exception_fp_ieee_inexact 0
		.amdhsa_exception_int_div_zero 0
	.end_amdhsa_kernel
	.section	.text._ZN7rocprim17ROCPRIM_400000_NS6detail17trampoline_kernelINS0_14default_configENS1_20scan_config_selectorIN3c104HalfEEEZZNS1_9scan_implILNS1_25lookback_scan_determinismE0ELb0ELb0ES3_PKS6_PS6_S6_ZZZN2at6native31launch_logcumsumexp_cuda_kernelERKNSD_10TensorBaseESH_lENKUlvE_clEvENKUlvE3_clEvEUlS6_S6_E_S6_EEDaPvRmT3_T4_T5_mT6_P12ihipStream_tbENKUlT_T0_E_clISt17integral_constantIbLb1EESY_EEDaST_SU_EUlST_E_NS1_11comp_targetILNS1_3genE10ELNS1_11target_archE1201ELNS1_3gpuE5ELNS1_3repE0EEENS1_30default_config_static_selectorELNS0_4arch9wavefront6targetE1EEEvT1_,"axG",@progbits,_ZN7rocprim17ROCPRIM_400000_NS6detail17trampoline_kernelINS0_14default_configENS1_20scan_config_selectorIN3c104HalfEEEZZNS1_9scan_implILNS1_25lookback_scan_determinismE0ELb0ELb0ES3_PKS6_PS6_S6_ZZZN2at6native31launch_logcumsumexp_cuda_kernelERKNSD_10TensorBaseESH_lENKUlvE_clEvENKUlvE3_clEvEUlS6_S6_E_S6_EEDaPvRmT3_T4_T5_mT6_P12ihipStream_tbENKUlT_T0_E_clISt17integral_constantIbLb1EESY_EEDaST_SU_EUlST_E_NS1_11comp_targetILNS1_3genE10ELNS1_11target_archE1201ELNS1_3gpuE5ELNS1_3repE0EEENS1_30default_config_static_selectorELNS0_4arch9wavefront6targetE1EEEvT1_,comdat
.Lfunc_end383:
	.size	_ZN7rocprim17ROCPRIM_400000_NS6detail17trampoline_kernelINS0_14default_configENS1_20scan_config_selectorIN3c104HalfEEEZZNS1_9scan_implILNS1_25lookback_scan_determinismE0ELb0ELb0ES3_PKS6_PS6_S6_ZZZN2at6native31launch_logcumsumexp_cuda_kernelERKNSD_10TensorBaseESH_lENKUlvE_clEvENKUlvE3_clEvEUlS6_S6_E_S6_EEDaPvRmT3_T4_T5_mT6_P12ihipStream_tbENKUlT_T0_E_clISt17integral_constantIbLb1EESY_EEDaST_SU_EUlST_E_NS1_11comp_targetILNS1_3genE10ELNS1_11target_archE1201ELNS1_3gpuE5ELNS1_3repE0EEENS1_30default_config_static_selectorELNS0_4arch9wavefront6targetE1EEEvT1_, .Lfunc_end383-_ZN7rocprim17ROCPRIM_400000_NS6detail17trampoline_kernelINS0_14default_configENS1_20scan_config_selectorIN3c104HalfEEEZZNS1_9scan_implILNS1_25lookback_scan_determinismE0ELb0ELb0ES3_PKS6_PS6_S6_ZZZN2at6native31launch_logcumsumexp_cuda_kernelERKNSD_10TensorBaseESH_lENKUlvE_clEvENKUlvE3_clEvEUlS6_S6_E_S6_EEDaPvRmT3_T4_T5_mT6_P12ihipStream_tbENKUlT_T0_E_clISt17integral_constantIbLb1EESY_EEDaST_SU_EUlST_E_NS1_11comp_targetILNS1_3genE10ELNS1_11target_archE1201ELNS1_3gpuE5ELNS1_3repE0EEENS1_30default_config_static_selectorELNS0_4arch9wavefront6targetE1EEEvT1_
                                        ; -- End function
	.set _ZN7rocprim17ROCPRIM_400000_NS6detail17trampoline_kernelINS0_14default_configENS1_20scan_config_selectorIN3c104HalfEEEZZNS1_9scan_implILNS1_25lookback_scan_determinismE0ELb0ELb0ES3_PKS6_PS6_S6_ZZZN2at6native31launch_logcumsumexp_cuda_kernelERKNSD_10TensorBaseESH_lENKUlvE_clEvENKUlvE3_clEvEUlS6_S6_E_S6_EEDaPvRmT3_T4_T5_mT6_P12ihipStream_tbENKUlT_T0_E_clISt17integral_constantIbLb1EESY_EEDaST_SU_EUlST_E_NS1_11comp_targetILNS1_3genE10ELNS1_11target_archE1201ELNS1_3gpuE5ELNS1_3repE0EEENS1_30default_config_static_selectorELNS0_4arch9wavefront6targetE1EEEvT1_.num_vgpr, 0
	.set _ZN7rocprim17ROCPRIM_400000_NS6detail17trampoline_kernelINS0_14default_configENS1_20scan_config_selectorIN3c104HalfEEEZZNS1_9scan_implILNS1_25lookback_scan_determinismE0ELb0ELb0ES3_PKS6_PS6_S6_ZZZN2at6native31launch_logcumsumexp_cuda_kernelERKNSD_10TensorBaseESH_lENKUlvE_clEvENKUlvE3_clEvEUlS6_S6_E_S6_EEDaPvRmT3_T4_T5_mT6_P12ihipStream_tbENKUlT_T0_E_clISt17integral_constantIbLb1EESY_EEDaST_SU_EUlST_E_NS1_11comp_targetILNS1_3genE10ELNS1_11target_archE1201ELNS1_3gpuE5ELNS1_3repE0EEENS1_30default_config_static_selectorELNS0_4arch9wavefront6targetE1EEEvT1_.num_agpr, 0
	.set _ZN7rocprim17ROCPRIM_400000_NS6detail17trampoline_kernelINS0_14default_configENS1_20scan_config_selectorIN3c104HalfEEEZZNS1_9scan_implILNS1_25lookback_scan_determinismE0ELb0ELb0ES3_PKS6_PS6_S6_ZZZN2at6native31launch_logcumsumexp_cuda_kernelERKNSD_10TensorBaseESH_lENKUlvE_clEvENKUlvE3_clEvEUlS6_S6_E_S6_EEDaPvRmT3_T4_T5_mT6_P12ihipStream_tbENKUlT_T0_E_clISt17integral_constantIbLb1EESY_EEDaST_SU_EUlST_E_NS1_11comp_targetILNS1_3genE10ELNS1_11target_archE1201ELNS1_3gpuE5ELNS1_3repE0EEENS1_30default_config_static_selectorELNS0_4arch9wavefront6targetE1EEEvT1_.numbered_sgpr, 0
	.set _ZN7rocprim17ROCPRIM_400000_NS6detail17trampoline_kernelINS0_14default_configENS1_20scan_config_selectorIN3c104HalfEEEZZNS1_9scan_implILNS1_25lookback_scan_determinismE0ELb0ELb0ES3_PKS6_PS6_S6_ZZZN2at6native31launch_logcumsumexp_cuda_kernelERKNSD_10TensorBaseESH_lENKUlvE_clEvENKUlvE3_clEvEUlS6_S6_E_S6_EEDaPvRmT3_T4_T5_mT6_P12ihipStream_tbENKUlT_T0_E_clISt17integral_constantIbLb1EESY_EEDaST_SU_EUlST_E_NS1_11comp_targetILNS1_3genE10ELNS1_11target_archE1201ELNS1_3gpuE5ELNS1_3repE0EEENS1_30default_config_static_selectorELNS0_4arch9wavefront6targetE1EEEvT1_.num_named_barrier, 0
	.set _ZN7rocprim17ROCPRIM_400000_NS6detail17trampoline_kernelINS0_14default_configENS1_20scan_config_selectorIN3c104HalfEEEZZNS1_9scan_implILNS1_25lookback_scan_determinismE0ELb0ELb0ES3_PKS6_PS6_S6_ZZZN2at6native31launch_logcumsumexp_cuda_kernelERKNSD_10TensorBaseESH_lENKUlvE_clEvENKUlvE3_clEvEUlS6_S6_E_S6_EEDaPvRmT3_T4_T5_mT6_P12ihipStream_tbENKUlT_T0_E_clISt17integral_constantIbLb1EESY_EEDaST_SU_EUlST_E_NS1_11comp_targetILNS1_3genE10ELNS1_11target_archE1201ELNS1_3gpuE5ELNS1_3repE0EEENS1_30default_config_static_selectorELNS0_4arch9wavefront6targetE1EEEvT1_.private_seg_size, 0
	.set _ZN7rocprim17ROCPRIM_400000_NS6detail17trampoline_kernelINS0_14default_configENS1_20scan_config_selectorIN3c104HalfEEEZZNS1_9scan_implILNS1_25lookback_scan_determinismE0ELb0ELb0ES3_PKS6_PS6_S6_ZZZN2at6native31launch_logcumsumexp_cuda_kernelERKNSD_10TensorBaseESH_lENKUlvE_clEvENKUlvE3_clEvEUlS6_S6_E_S6_EEDaPvRmT3_T4_T5_mT6_P12ihipStream_tbENKUlT_T0_E_clISt17integral_constantIbLb1EESY_EEDaST_SU_EUlST_E_NS1_11comp_targetILNS1_3genE10ELNS1_11target_archE1201ELNS1_3gpuE5ELNS1_3repE0EEENS1_30default_config_static_selectorELNS0_4arch9wavefront6targetE1EEEvT1_.uses_vcc, 0
	.set _ZN7rocprim17ROCPRIM_400000_NS6detail17trampoline_kernelINS0_14default_configENS1_20scan_config_selectorIN3c104HalfEEEZZNS1_9scan_implILNS1_25lookback_scan_determinismE0ELb0ELb0ES3_PKS6_PS6_S6_ZZZN2at6native31launch_logcumsumexp_cuda_kernelERKNSD_10TensorBaseESH_lENKUlvE_clEvENKUlvE3_clEvEUlS6_S6_E_S6_EEDaPvRmT3_T4_T5_mT6_P12ihipStream_tbENKUlT_T0_E_clISt17integral_constantIbLb1EESY_EEDaST_SU_EUlST_E_NS1_11comp_targetILNS1_3genE10ELNS1_11target_archE1201ELNS1_3gpuE5ELNS1_3repE0EEENS1_30default_config_static_selectorELNS0_4arch9wavefront6targetE1EEEvT1_.uses_flat_scratch, 0
	.set _ZN7rocprim17ROCPRIM_400000_NS6detail17trampoline_kernelINS0_14default_configENS1_20scan_config_selectorIN3c104HalfEEEZZNS1_9scan_implILNS1_25lookback_scan_determinismE0ELb0ELb0ES3_PKS6_PS6_S6_ZZZN2at6native31launch_logcumsumexp_cuda_kernelERKNSD_10TensorBaseESH_lENKUlvE_clEvENKUlvE3_clEvEUlS6_S6_E_S6_EEDaPvRmT3_T4_T5_mT6_P12ihipStream_tbENKUlT_T0_E_clISt17integral_constantIbLb1EESY_EEDaST_SU_EUlST_E_NS1_11comp_targetILNS1_3genE10ELNS1_11target_archE1201ELNS1_3gpuE5ELNS1_3repE0EEENS1_30default_config_static_selectorELNS0_4arch9wavefront6targetE1EEEvT1_.has_dyn_sized_stack, 0
	.set _ZN7rocprim17ROCPRIM_400000_NS6detail17trampoline_kernelINS0_14default_configENS1_20scan_config_selectorIN3c104HalfEEEZZNS1_9scan_implILNS1_25lookback_scan_determinismE0ELb0ELb0ES3_PKS6_PS6_S6_ZZZN2at6native31launch_logcumsumexp_cuda_kernelERKNSD_10TensorBaseESH_lENKUlvE_clEvENKUlvE3_clEvEUlS6_S6_E_S6_EEDaPvRmT3_T4_T5_mT6_P12ihipStream_tbENKUlT_T0_E_clISt17integral_constantIbLb1EESY_EEDaST_SU_EUlST_E_NS1_11comp_targetILNS1_3genE10ELNS1_11target_archE1201ELNS1_3gpuE5ELNS1_3repE0EEENS1_30default_config_static_selectorELNS0_4arch9wavefront6targetE1EEEvT1_.has_recursion, 0
	.set _ZN7rocprim17ROCPRIM_400000_NS6detail17trampoline_kernelINS0_14default_configENS1_20scan_config_selectorIN3c104HalfEEEZZNS1_9scan_implILNS1_25lookback_scan_determinismE0ELb0ELb0ES3_PKS6_PS6_S6_ZZZN2at6native31launch_logcumsumexp_cuda_kernelERKNSD_10TensorBaseESH_lENKUlvE_clEvENKUlvE3_clEvEUlS6_S6_E_S6_EEDaPvRmT3_T4_T5_mT6_P12ihipStream_tbENKUlT_T0_E_clISt17integral_constantIbLb1EESY_EEDaST_SU_EUlST_E_NS1_11comp_targetILNS1_3genE10ELNS1_11target_archE1201ELNS1_3gpuE5ELNS1_3repE0EEENS1_30default_config_static_selectorELNS0_4arch9wavefront6targetE1EEEvT1_.has_indirect_call, 0
	.section	.AMDGPU.csdata,"",@progbits
; Kernel info:
; codeLenInByte = 0
; TotalNumSgprs: 4
; NumVgprs: 0
; ScratchSize: 0
; MemoryBound: 0
; FloatMode: 240
; IeeeMode: 1
; LDSByteSize: 0 bytes/workgroup (compile time only)
; SGPRBlocks: 0
; VGPRBlocks: 0
; NumSGPRsForWavesPerEU: 4
; NumVGPRsForWavesPerEU: 1
; Occupancy: 10
; WaveLimiterHint : 0
; COMPUTE_PGM_RSRC2:SCRATCH_EN: 0
; COMPUTE_PGM_RSRC2:USER_SGPR: 6
; COMPUTE_PGM_RSRC2:TRAP_HANDLER: 0
; COMPUTE_PGM_RSRC2:TGID_X_EN: 1
; COMPUTE_PGM_RSRC2:TGID_Y_EN: 0
; COMPUTE_PGM_RSRC2:TGID_Z_EN: 0
; COMPUTE_PGM_RSRC2:TIDIG_COMP_CNT: 0
	.section	.text._ZN7rocprim17ROCPRIM_400000_NS6detail17trampoline_kernelINS0_14default_configENS1_20scan_config_selectorIN3c104HalfEEEZZNS1_9scan_implILNS1_25lookback_scan_determinismE0ELb0ELb0ES3_PKS6_PS6_S6_ZZZN2at6native31launch_logcumsumexp_cuda_kernelERKNSD_10TensorBaseESH_lENKUlvE_clEvENKUlvE3_clEvEUlS6_S6_E_S6_EEDaPvRmT3_T4_T5_mT6_P12ihipStream_tbENKUlT_T0_E_clISt17integral_constantIbLb1EESY_EEDaST_SU_EUlST_E_NS1_11comp_targetILNS1_3genE10ELNS1_11target_archE1200ELNS1_3gpuE4ELNS1_3repE0EEENS1_30default_config_static_selectorELNS0_4arch9wavefront6targetE1EEEvT1_,"axG",@progbits,_ZN7rocprim17ROCPRIM_400000_NS6detail17trampoline_kernelINS0_14default_configENS1_20scan_config_selectorIN3c104HalfEEEZZNS1_9scan_implILNS1_25lookback_scan_determinismE0ELb0ELb0ES3_PKS6_PS6_S6_ZZZN2at6native31launch_logcumsumexp_cuda_kernelERKNSD_10TensorBaseESH_lENKUlvE_clEvENKUlvE3_clEvEUlS6_S6_E_S6_EEDaPvRmT3_T4_T5_mT6_P12ihipStream_tbENKUlT_T0_E_clISt17integral_constantIbLb1EESY_EEDaST_SU_EUlST_E_NS1_11comp_targetILNS1_3genE10ELNS1_11target_archE1200ELNS1_3gpuE4ELNS1_3repE0EEENS1_30default_config_static_selectorELNS0_4arch9wavefront6targetE1EEEvT1_,comdat
	.globl	_ZN7rocprim17ROCPRIM_400000_NS6detail17trampoline_kernelINS0_14default_configENS1_20scan_config_selectorIN3c104HalfEEEZZNS1_9scan_implILNS1_25lookback_scan_determinismE0ELb0ELb0ES3_PKS6_PS6_S6_ZZZN2at6native31launch_logcumsumexp_cuda_kernelERKNSD_10TensorBaseESH_lENKUlvE_clEvENKUlvE3_clEvEUlS6_S6_E_S6_EEDaPvRmT3_T4_T5_mT6_P12ihipStream_tbENKUlT_T0_E_clISt17integral_constantIbLb1EESY_EEDaST_SU_EUlST_E_NS1_11comp_targetILNS1_3genE10ELNS1_11target_archE1200ELNS1_3gpuE4ELNS1_3repE0EEENS1_30default_config_static_selectorELNS0_4arch9wavefront6targetE1EEEvT1_ ; -- Begin function _ZN7rocprim17ROCPRIM_400000_NS6detail17trampoline_kernelINS0_14default_configENS1_20scan_config_selectorIN3c104HalfEEEZZNS1_9scan_implILNS1_25lookback_scan_determinismE0ELb0ELb0ES3_PKS6_PS6_S6_ZZZN2at6native31launch_logcumsumexp_cuda_kernelERKNSD_10TensorBaseESH_lENKUlvE_clEvENKUlvE3_clEvEUlS6_S6_E_S6_EEDaPvRmT3_T4_T5_mT6_P12ihipStream_tbENKUlT_T0_E_clISt17integral_constantIbLb1EESY_EEDaST_SU_EUlST_E_NS1_11comp_targetILNS1_3genE10ELNS1_11target_archE1200ELNS1_3gpuE4ELNS1_3repE0EEENS1_30default_config_static_selectorELNS0_4arch9wavefront6targetE1EEEvT1_
	.p2align	8
	.type	_ZN7rocprim17ROCPRIM_400000_NS6detail17trampoline_kernelINS0_14default_configENS1_20scan_config_selectorIN3c104HalfEEEZZNS1_9scan_implILNS1_25lookback_scan_determinismE0ELb0ELb0ES3_PKS6_PS6_S6_ZZZN2at6native31launch_logcumsumexp_cuda_kernelERKNSD_10TensorBaseESH_lENKUlvE_clEvENKUlvE3_clEvEUlS6_S6_E_S6_EEDaPvRmT3_T4_T5_mT6_P12ihipStream_tbENKUlT_T0_E_clISt17integral_constantIbLb1EESY_EEDaST_SU_EUlST_E_NS1_11comp_targetILNS1_3genE10ELNS1_11target_archE1200ELNS1_3gpuE4ELNS1_3repE0EEENS1_30default_config_static_selectorELNS0_4arch9wavefront6targetE1EEEvT1_,@function
_ZN7rocprim17ROCPRIM_400000_NS6detail17trampoline_kernelINS0_14default_configENS1_20scan_config_selectorIN3c104HalfEEEZZNS1_9scan_implILNS1_25lookback_scan_determinismE0ELb0ELb0ES3_PKS6_PS6_S6_ZZZN2at6native31launch_logcumsumexp_cuda_kernelERKNSD_10TensorBaseESH_lENKUlvE_clEvENKUlvE3_clEvEUlS6_S6_E_S6_EEDaPvRmT3_T4_T5_mT6_P12ihipStream_tbENKUlT_T0_E_clISt17integral_constantIbLb1EESY_EEDaST_SU_EUlST_E_NS1_11comp_targetILNS1_3genE10ELNS1_11target_archE1200ELNS1_3gpuE4ELNS1_3repE0EEENS1_30default_config_static_selectorELNS0_4arch9wavefront6targetE1EEEvT1_: ; @_ZN7rocprim17ROCPRIM_400000_NS6detail17trampoline_kernelINS0_14default_configENS1_20scan_config_selectorIN3c104HalfEEEZZNS1_9scan_implILNS1_25lookback_scan_determinismE0ELb0ELb0ES3_PKS6_PS6_S6_ZZZN2at6native31launch_logcumsumexp_cuda_kernelERKNSD_10TensorBaseESH_lENKUlvE_clEvENKUlvE3_clEvEUlS6_S6_E_S6_EEDaPvRmT3_T4_T5_mT6_P12ihipStream_tbENKUlT_T0_E_clISt17integral_constantIbLb1EESY_EEDaST_SU_EUlST_E_NS1_11comp_targetILNS1_3genE10ELNS1_11target_archE1200ELNS1_3gpuE4ELNS1_3repE0EEENS1_30default_config_static_selectorELNS0_4arch9wavefront6targetE1EEEvT1_
; %bb.0:
	.section	.rodata,"a",@progbits
	.p2align	6, 0x0
	.amdhsa_kernel _ZN7rocprim17ROCPRIM_400000_NS6detail17trampoline_kernelINS0_14default_configENS1_20scan_config_selectorIN3c104HalfEEEZZNS1_9scan_implILNS1_25lookback_scan_determinismE0ELb0ELb0ES3_PKS6_PS6_S6_ZZZN2at6native31launch_logcumsumexp_cuda_kernelERKNSD_10TensorBaseESH_lENKUlvE_clEvENKUlvE3_clEvEUlS6_S6_E_S6_EEDaPvRmT3_T4_T5_mT6_P12ihipStream_tbENKUlT_T0_E_clISt17integral_constantIbLb1EESY_EEDaST_SU_EUlST_E_NS1_11comp_targetILNS1_3genE10ELNS1_11target_archE1200ELNS1_3gpuE4ELNS1_3repE0EEENS1_30default_config_static_selectorELNS0_4arch9wavefront6targetE1EEEvT1_
		.amdhsa_group_segment_fixed_size 0
		.amdhsa_private_segment_fixed_size 0
		.amdhsa_kernarg_size 96
		.amdhsa_user_sgpr_count 6
		.amdhsa_user_sgpr_private_segment_buffer 1
		.amdhsa_user_sgpr_dispatch_ptr 0
		.amdhsa_user_sgpr_queue_ptr 0
		.amdhsa_user_sgpr_kernarg_segment_ptr 1
		.amdhsa_user_sgpr_dispatch_id 0
		.amdhsa_user_sgpr_flat_scratch_init 0
		.amdhsa_user_sgpr_private_segment_size 0
		.amdhsa_uses_dynamic_stack 0
		.amdhsa_system_sgpr_private_segment_wavefront_offset 0
		.amdhsa_system_sgpr_workgroup_id_x 1
		.amdhsa_system_sgpr_workgroup_id_y 0
		.amdhsa_system_sgpr_workgroup_id_z 0
		.amdhsa_system_sgpr_workgroup_info 0
		.amdhsa_system_vgpr_workitem_id 0
		.amdhsa_next_free_vgpr 1
		.amdhsa_next_free_sgpr 0
		.amdhsa_reserve_vcc 0
		.amdhsa_reserve_flat_scratch 0
		.amdhsa_float_round_mode_32 0
		.amdhsa_float_round_mode_16_64 0
		.amdhsa_float_denorm_mode_32 3
		.amdhsa_float_denorm_mode_16_64 3
		.amdhsa_dx10_clamp 1
		.amdhsa_ieee_mode 1
		.amdhsa_fp16_overflow 0
		.amdhsa_exception_fp_ieee_invalid_op 0
		.amdhsa_exception_fp_denorm_src 0
		.amdhsa_exception_fp_ieee_div_zero 0
		.amdhsa_exception_fp_ieee_overflow 0
		.amdhsa_exception_fp_ieee_underflow 0
		.amdhsa_exception_fp_ieee_inexact 0
		.amdhsa_exception_int_div_zero 0
	.end_amdhsa_kernel
	.section	.text._ZN7rocprim17ROCPRIM_400000_NS6detail17trampoline_kernelINS0_14default_configENS1_20scan_config_selectorIN3c104HalfEEEZZNS1_9scan_implILNS1_25lookback_scan_determinismE0ELb0ELb0ES3_PKS6_PS6_S6_ZZZN2at6native31launch_logcumsumexp_cuda_kernelERKNSD_10TensorBaseESH_lENKUlvE_clEvENKUlvE3_clEvEUlS6_S6_E_S6_EEDaPvRmT3_T4_T5_mT6_P12ihipStream_tbENKUlT_T0_E_clISt17integral_constantIbLb1EESY_EEDaST_SU_EUlST_E_NS1_11comp_targetILNS1_3genE10ELNS1_11target_archE1200ELNS1_3gpuE4ELNS1_3repE0EEENS1_30default_config_static_selectorELNS0_4arch9wavefront6targetE1EEEvT1_,"axG",@progbits,_ZN7rocprim17ROCPRIM_400000_NS6detail17trampoline_kernelINS0_14default_configENS1_20scan_config_selectorIN3c104HalfEEEZZNS1_9scan_implILNS1_25lookback_scan_determinismE0ELb0ELb0ES3_PKS6_PS6_S6_ZZZN2at6native31launch_logcumsumexp_cuda_kernelERKNSD_10TensorBaseESH_lENKUlvE_clEvENKUlvE3_clEvEUlS6_S6_E_S6_EEDaPvRmT3_T4_T5_mT6_P12ihipStream_tbENKUlT_T0_E_clISt17integral_constantIbLb1EESY_EEDaST_SU_EUlST_E_NS1_11comp_targetILNS1_3genE10ELNS1_11target_archE1200ELNS1_3gpuE4ELNS1_3repE0EEENS1_30default_config_static_selectorELNS0_4arch9wavefront6targetE1EEEvT1_,comdat
.Lfunc_end384:
	.size	_ZN7rocprim17ROCPRIM_400000_NS6detail17trampoline_kernelINS0_14default_configENS1_20scan_config_selectorIN3c104HalfEEEZZNS1_9scan_implILNS1_25lookback_scan_determinismE0ELb0ELb0ES3_PKS6_PS6_S6_ZZZN2at6native31launch_logcumsumexp_cuda_kernelERKNSD_10TensorBaseESH_lENKUlvE_clEvENKUlvE3_clEvEUlS6_S6_E_S6_EEDaPvRmT3_T4_T5_mT6_P12ihipStream_tbENKUlT_T0_E_clISt17integral_constantIbLb1EESY_EEDaST_SU_EUlST_E_NS1_11comp_targetILNS1_3genE10ELNS1_11target_archE1200ELNS1_3gpuE4ELNS1_3repE0EEENS1_30default_config_static_selectorELNS0_4arch9wavefront6targetE1EEEvT1_, .Lfunc_end384-_ZN7rocprim17ROCPRIM_400000_NS6detail17trampoline_kernelINS0_14default_configENS1_20scan_config_selectorIN3c104HalfEEEZZNS1_9scan_implILNS1_25lookback_scan_determinismE0ELb0ELb0ES3_PKS6_PS6_S6_ZZZN2at6native31launch_logcumsumexp_cuda_kernelERKNSD_10TensorBaseESH_lENKUlvE_clEvENKUlvE3_clEvEUlS6_S6_E_S6_EEDaPvRmT3_T4_T5_mT6_P12ihipStream_tbENKUlT_T0_E_clISt17integral_constantIbLb1EESY_EEDaST_SU_EUlST_E_NS1_11comp_targetILNS1_3genE10ELNS1_11target_archE1200ELNS1_3gpuE4ELNS1_3repE0EEENS1_30default_config_static_selectorELNS0_4arch9wavefront6targetE1EEEvT1_
                                        ; -- End function
	.set _ZN7rocprim17ROCPRIM_400000_NS6detail17trampoline_kernelINS0_14default_configENS1_20scan_config_selectorIN3c104HalfEEEZZNS1_9scan_implILNS1_25lookback_scan_determinismE0ELb0ELb0ES3_PKS6_PS6_S6_ZZZN2at6native31launch_logcumsumexp_cuda_kernelERKNSD_10TensorBaseESH_lENKUlvE_clEvENKUlvE3_clEvEUlS6_S6_E_S6_EEDaPvRmT3_T4_T5_mT6_P12ihipStream_tbENKUlT_T0_E_clISt17integral_constantIbLb1EESY_EEDaST_SU_EUlST_E_NS1_11comp_targetILNS1_3genE10ELNS1_11target_archE1200ELNS1_3gpuE4ELNS1_3repE0EEENS1_30default_config_static_selectorELNS0_4arch9wavefront6targetE1EEEvT1_.num_vgpr, 0
	.set _ZN7rocprim17ROCPRIM_400000_NS6detail17trampoline_kernelINS0_14default_configENS1_20scan_config_selectorIN3c104HalfEEEZZNS1_9scan_implILNS1_25lookback_scan_determinismE0ELb0ELb0ES3_PKS6_PS6_S6_ZZZN2at6native31launch_logcumsumexp_cuda_kernelERKNSD_10TensorBaseESH_lENKUlvE_clEvENKUlvE3_clEvEUlS6_S6_E_S6_EEDaPvRmT3_T4_T5_mT6_P12ihipStream_tbENKUlT_T0_E_clISt17integral_constantIbLb1EESY_EEDaST_SU_EUlST_E_NS1_11comp_targetILNS1_3genE10ELNS1_11target_archE1200ELNS1_3gpuE4ELNS1_3repE0EEENS1_30default_config_static_selectorELNS0_4arch9wavefront6targetE1EEEvT1_.num_agpr, 0
	.set _ZN7rocprim17ROCPRIM_400000_NS6detail17trampoline_kernelINS0_14default_configENS1_20scan_config_selectorIN3c104HalfEEEZZNS1_9scan_implILNS1_25lookback_scan_determinismE0ELb0ELb0ES3_PKS6_PS6_S6_ZZZN2at6native31launch_logcumsumexp_cuda_kernelERKNSD_10TensorBaseESH_lENKUlvE_clEvENKUlvE3_clEvEUlS6_S6_E_S6_EEDaPvRmT3_T4_T5_mT6_P12ihipStream_tbENKUlT_T0_E_clISt17integral_constantIbLb1EESY_EEDaST_SU_EUlST_E_NS1_11comp_targetILNS1_3genE10ELNS1_11target_archE1200ELNS1_3gpuE4ELNS1_3repE0EEENS1_30default_config_static_selectorELNS0_4arch9wavefront6targetE1EEEvT1_.numbered_sgpr, 0
	.set _ZN7rocprim17ROCPRIM_400000_NS6detail17trampoline_kernelINS0_14default_configENS1_20scan_config_selectorIN3c104HalfEEEZZNS1_9scan_implILNS1_25lookback_scan_determinismE0ELb0ELb0ES3_PKS6_PS6_S6_ZZZN2at6native31launch_logcumsumexp_cuda_kernelERKNSD_10TensorBaseESH_lENKUlvE_clEvENKUlvE3_clEvEUlS6_S6_E_S6_EEDaPvRmT3_T4_T5_mT6_P12ihipStream_tbENKUlT_T0_E_clISt17integral_constantIbLb1EESY_EEDaST_SU_EUlST_E_NS1_11comp_targetILNS1_3genE10ELNS1_11target_archE1200ELNS1_3gpuE4ELNS1_3repE0EEENS1_30default_config_static_selectorELNS0_4arch9wavefront6targetE1EEEvT1_.num_named_barrier, 0
	.set _ZN7rocprim17ROCPRIM_400000_NS6detail17trampoline_kernelINS0_14default_configENS1_20scan_config_selectorIN3c104HalfEEEZZNS1_9scan_implILNS1_25lookback_scan_determinismE0ELb0ELb0ES3_PKS6_PS6_S6_ZZZN2at6native31launch_logcumsumexp_cuda_kernelERKNSD_10TensorBaseESH_lENKUlvE_clEvENKUlvE3_clEvEUlS6_S6_E_S6_EEDaPvRmT3_T4_T5_mT6_P12ihipStream_tbENKUlT_T0_E_clISt17integral_constantIbLb1EESY_EEDaST_SU_EUlST_E_NS1_11comp_targetILNS1_3genE10ELNS1_11target_archE1200ELNS1_3gpuE4ELNS1_3repE0EEENS1_30default_config_static_selectorELNS0_4arch9wavefront6targetE1EEEvT1_.private_seg_size, 0
	.set _ZN7rocprim17ROCPRIM_400000_NS6detail17trampoline_kernelINS0_14default_configENS1_20scan_config_selectorIN3c104HalfEEEZZNS1_9scan_implILNS1_25lookback_scan_determinismE0ELb0ELb0ES3_PKS6_PS6_S6_ZZZN2at6native31launch_logcumsumexp_cuda_kernelERKNSD_10TensorBaseESH_lENKUlvE_clEvENKUlvE3_clEvEUlS6_S6_E_S6_EEDaPvRmT3_T4_T5_mT6_P12ihipStream_tbENKUlT_T0_E_clISt17integral_constantIbLb1EESY_EEDaST_SU_EUlST_E_NS1_11comp_targetILNS1_3genE10ELNS1_11target_archE1200ELNS1_3gpuE4ELNS1_3repE0EEENS1_30default_config_static_selectorELNS0_4arch9wavefront6targetE1EEEvT1_.uses_vcc, 0
	.set _ZN7rocprim17ROCPRIM_400000_NS6detail17trampoline_kernelINS0_14default_configENS1_20scan_config_selectorIN3c104HalfEEEZZNS1_9scan_implILNS1_25lookback_scan_determinismE0ELb0ELb0ES3_PKS6_PS6_S6_ZZZN2at6native31launch_logcumsumexp_cuda_kernelERKNSD_10TensorBaseESH_lENKUlvE_clEvENKUlvE3_clEvEUlS6_S6_E_S6_EEDaPvRmT3_T4_T5_mT6_P12ihipStream_tbENKUlT_T0_E_clISt17integral_constantIbLb1EESY_EEDaST_SU_EUlST_E_NS1_11comp_targetILNS1_3genE10ELNS1_11target_archE1200ELNS1_3gpuE4ELNS1_3repE0EEENS1_30default_config_static_selectorELNS0_4arch9wavefront6targetE1EEEvT1_.uses_flat_scratch, 0
	.set _ZN7rocprim17ROCPRIM_400000_NS6detail17trampoline_kernelINS0_14default_configENS1_20scan_config_selectorIN3c104HalfEEEZZNS1_9scan_implILNS1_25lookback_scan_determinismE0ELb0ELb0ES3_PKS6_PS6_S6_ZZZN2at6native31launch_logcumsumexp_cuda_kernelERKNSD_10TensorBaseESH_lENKUlvE_clEvENKUlvE3_clEvEUlS6_S6_E_S6_EEDaPvRmT3_T4_T5_mT6_P12ihipStream_tbENKUlT_T0_E_clISt17integral_constantIbLb1EESY_EEDaST_SU_EUlST_E_NS1_11comp_targetILNS1_3genE10ELNS1_11target_archE1200ELNS1_3gpuE4ELNS1_3repE0EEENS1_30default_config_static_selectorELNS0_4arch9wavefront6targetE1EEEvT1_.has_dyn_sized_stack, 0
	.set _ZN7rocprim17ROCPRIM_400000_NS6detail17trampoline_kernelINS0_14default_configENS1_20scan_config_selectorIN3c104HalfEEEZZNS1_9scan_implILNS1_25lookback_scan_determinismE0ELb0ELb0ES3_PKS6_PS6_S6_ZZZN2at6native31launch_logcumsumexp_cuda_kernelERKNSD_10TensorBaseESH_lENKUlvE_clEvENKUlvE3_clEvEUlS6_S6_E_S6_EEDaPvRmT3_T4_T5_mT6_P12ihipStream_tbENKUlT_T0_E_clISt17integral_constantIbLb1EESY_EEDaST_SU_EUlST_E_NS1_11comp_targetILNS1_3genE10ELNS1_11target_archE1200ELNS1_3gpuE4ELNS1_3repE0EEENS1_30default_config_static_selectorELNS0_4arch9wavefront6targetE1EEEvT1_.has_recursion, 0
	.set _ZN7rocprim17ROCPRIM_400000_NS6detail17trampoline_kernelINS0_14default_configENS1_20scan_config_selectorIN3c104HalfEEEZZNS1_9scan_implILNS1_25lookback_scan_determinismE0ELb0ELb0ES3_PKS6_PS6_S6_ZZZN2at6native31launch_logcumsumexp_cuda_kernelERKNSD_10TensorBaseESH_lENKUlvE_clEvENKUlvE3_clEvEUlS6_S6_E_S6_EEDaPvRmT3_T4_T5_mT6_P12ihipStream_tbENKUlT_T0_E_clISt17integral_constantIbLb1EESY_EEDaST_SU_EUlST_E_NS1_11comp_targetILNS1_3genE10ELNS1_11target_archE1200ELNS1_3gpuE4ELNS1_3repE0EEENS1_30default_config_static_selectorELNS0_4arch9wavefront6targetE1EEEvT1_.has_indirect_call, 0
	.section	.AMDGPU.csdata,"",@progbits
; Kernel info:
; codeLenInByte = 0
; TotalNumSgprs: 4
; NumVgprs: 0
; ScratchSize: 0
; MemoryBound: 0
; FloatMode: 240
; IeeeMode: 1
; LDSByteSize: 0 bytes/workgroup (compile time only)
; SGPRBlocks: 0
; VGPRBlocks: 0
; NumSGPRsForWavesPerEU: 4
; NumVGPRsForWavesPerEU: 1
; Occupancy: 10
; WaveLimiterHint : 0
; COMPUTE_PGM_RSRC2:SCRATCH_EN: 0
; COMPUTE_PGM_RSRC2:USER_SGPR: 6
; COMPUTE_PGM_RSRC2:TRAP_HANDLER: 0
; COMPUTE_PGM_RSRC2:TGID_X_EN: 1
; COMPUTE_PGM_RSRC2:TGID_Y_EN: 0
; COMPUTE_PGM_RSRC2:TGID_Z_EN: 0
; COMPUTE_PGM_RSRC2:TIDIG_COMP_CNT: 0
	.section	.text._ZN7rocprim17ROCPRIM_400000_NS6detail17trampoline_kernelINS0_14default_configENS1_20scan_config_selectorIN3c104HalfEEEZZNS1_9scan_implILNS1_25lookback_scan_determinismE0ELb0ELb0ES3_PKS6_PS6_S6_ZZZN2at6native31launch_logcumsumexp_cuda_kernelERKNSD_10TensorBaseESH_lENKUlvE_clEvENKUlvE3_clEvEUlS6_S6_E_S6_EEDaPvRmT3_T4_T5_mT6_P12ihipStream_tbENKUlT_T0_E_clISt17integral_constantIbLb1EESY_EEDaST_SU_EUlST_E_NS1_11comp_targetILNS1_3genE9ELNS1_11target_archE1100ELNS1_3gpuE3ELNS1_3repE0EEENS1_30default_config_static_selectorELNS0_4arch9wavefront6targetE1EEEvT1_,"axG",@progbits,_ZN7rocprim17ROCPRIM_400000_NS6detail17trampoline_kernelINS0_14default_configENS1_20scan_config_selectorIN3c104HalfEEEZZNS1_9scan_implILNS1_25lookback_scan_determinismE0ELb0ELb0ES3_PKS6_PS6_S6_ZZZN2at6native31launch_logcumsumexp_cuda_kernelERKNSD_10TensorBaseESH_lENKUlvE_clEvENKUlvE3_clEvEUlS6_S6_E_S6_EEDaPvRmT3_T4_T5_mT6_P12ihipStream_tbENKUlT_T0_E_clISt17integral_constantIbLb1EESY_EEDaST_SU_EUlST_E_NS1_11comp_targetILNS1_3genE9ELNS1_11target_archE1100ELNS1_3gpuE3ELNS1_3repE0EEENS1_30default_config_static_selectorELNS0_4arch9wavefront6targetE1EEEvT1_,comdat
	.globl	_ZN7rocprim17ROCPRIM_400000_NS6detail17trampoline_kernelINS0_14default_configENS1_20scan_config_selectorIN3c104HalfEEEZZNS1_9scan_implILNS1_25lookback_scan_determinismE0ELb0ELb0ES3_PKS6_PS6_S6_ZZZN2at6native31launch_logcumsumexp_cuda_kernelERKNSD_10TensorBaseESH_lENKUlvE_clEvENKUlvE3_clEvEUlS6_S6_E_S6_EEDaPvRmT3_T4_T5_mT6_P12ihipStream_tbENKUlT_T0_E_clISt17integral_constantIbLb1EESY_EEDaST_SU_EUlST_E_NS1_11comp_targetILNS1_3genE9ELNS1_11target_archE1100ELNS1_3gpuE3ELNS1_3repE0EEENS1_30default_config_static_selectorELNS0_4arch9wavefront6targetE1EEEvT1_ ; -- Begin function _ZN7rocprim17ROCPRIM_400000_NS6detail17trampoline_kernelINS0_14default_configENS1_20scan_config_selectorIN3c104HalfEEEZZNS1_9scan_implILNS1_25lookback_scan_determinismE0ELb0ELb0ES3_PKS6_PS6_S6_ZZZN2at6native31launch_logcumsumexp_cuda_kernelERKNSD_10TensorBaseESH_lENKUlvE_clEvENKUlvE3_clEvEUlS6_S6_E_S6_EEDaPvRmT3_T4_T5_mT6_P12ihipStream_tbENKUlT_T0_E_clISt17integral_constantIbLb1EESY_EEDaST_SU_EUlST_E_NS1_11comp_targetILNS1_3genE9ELNS1_11target_archE1100ELNS1_3gpuE3ELNS1_3repE0EEENS1_30default_config_static_selectorELNS0_4arch9wavefront6targetE1EEEvT1_
	.p2align	8
	.type	_ZN7rocprim17ROCPRIM_400000_NS6detail17trampoline_kernelINS0_14default_configENS1_20scan_config_selectorIN3c104HalfEEEZZNS1_9scan_implILNS1_25lookback_scan_determinismE0ELb0ELb0ES3_PKS6_PS6_S6_ZZZN2at6native31launch_logcumsumexp_cuda_kernelERKNSD_10TensorBaseESH_lENKUlvE_clEvENKUlvE3_clEvEUlS6_S6_E_S6_EEDaPvRmT3_T4_T5_mT6_P12ihipStream_tbENKUlT_T0_E_clISt17integral_constantIbLb1EESY_EEDaST_SU_EUlST_E_NS1_11comp_targetILNS1_3genE9ELNS1_11target_archE1100ELNS1_3gpuE3ELNS1_3repE0EEENS1_30default_config_static_selectorELNS0_4arch9wavefront6targetE1EEEvT1_,@function
_ZN7rocprim17ROCPRIM_400000_NS6detail17trampoline_kernelINS0_14default_configENS1_20scan_config_selectorIN3c104HalfEEEZZNS1_9scan_implILNS1_25lookback_scan_determinismE0ELb0ELb0ES3_PKS6_PS6_S6_ZZZN2at6native31launch_logcumsumexp_cuda_kernelERKNSD_10TensorBaseESH_lENKUlvE_clEvENKUlvE3_clEvEUlS6_S6_E_S6_EEDaPvRmT3_T4_T5_mT6_P12ihipStream_tbENKUlT_T0_E_clISt17integral_constantIbLb1EESY_EEDaST_SU_EUlST_E_NS1_11comp_targetILNS1_3genE9ELNS1_11target_archE1100ELNS1_3gpuE3ELNS1_3repE0EEENS1_30default_config_static_selectorELNS0_4arch9wavefront6targetE1EEEvT1_: ; @_ZN7rocprim17ROCPRIM_400000_NS6detail17trampoline_kernelINS0_14default_configENS1_20scan_config_selectorIN3c104HalfEEEZZNS1_9scan_implILNS1_25lookback_scan_determinismE0ELb0ELb0ES3_PKS6_PS6_S6_ZZZN2at6native31launch_logcumsumexp_cuda_kernelERKNSD_10TensorBaseESH_lENKUlvE_clEvENKUlvE3_clEvEUlS6_S6_E_S6_EEDaPvRmT3_T4_T5_mT6_P12ihipStream_tbENKUlT_T0_E_clISt17integral_constantIbLb1EESY_EEDaST_SU_EUlST_E_NS1_11comp_targetILNS1_3genE9ELNS1_11target_archE1100ELNS1_3gpuE3ELNS1_3repE0EEENS1_30default_config_static_selectorELNS0_4arch9wavefront6targetE1EEEvT1_
; %bb.0:
	.section	.rodata,"a",@progbits
	.p2align	6, 0x0
	.amdhsa_kernel _ZN7rocprim17ROCPRIM_400000_NS6detail17trampoline_kernelINS0_14default_configENS1_20scan_config_selectorIN3c104HalfEEEZZNS1_9scan_implILNS1_25lookback_scan_determinismE0ELb0ELb0ES3_PKS6_PS6_S6_ZZZN2at6native31launch_logcumsumexp_cuda_kernelERKNSD_10TensorBaseESH_lENKUlvE_clEvENKUlvE3_clEvEUlS6_S6_E_S6_EEDaPvRmT3_T4_T5_mT6_P12ihipStream_tbENKUlT_T0_E_clISt17integral_constantIbLb1EESY_EEDaST_SU_EUlST_E_NS1_11comp_targetILNS1_3genE9ELNS1_11target_archE1100ELNS1_3gpuE3ELNS1_3repE0EEENS1_30default_config_static_selectorELNS0_4arch9wavefront6targetE1EEEvT1_
		.amdhsa_group_segment_fixed_size 0
		.amdhsa_private_segment_fixed_size 0
		.amdhsa_kernarg_size 96
		.amdhsa_user_sgpr_count 6
		.amdhsa_user_sgpr_private_segment_buffer 1
		.amdhsa_user_sgpr_dispatch_ptr 0
		.amdhsa_user_sgpr_queue_ptr 0
		.amdhsa_user_sgpr_kernarg_segment_ptr 1
		.amdhsa_user_sgpr_dispatch_id 0
		.amdhsa_user_sgpr_flat_scratch_init 0
		.amdhsa_user_sgpr_private_segment_size 0
		.amdhsa_uses_dynamic_stack 0
		.amdhsa_system_sgpr_private_segment_wavefront_offset 0
		.amdhsa_system_sgpr_workgroup_id_x 1
		.amdhsa_system_sgpr_workgroup_id_y 0
		.amdhsa_system_sgpr_workgroup_id_z 0
		.amdhsa_system_sgpr_workgroup_info 0
		.amdhsa_system_vgpr_workitem_id 0
		.amdhsa_next_free_vgpr 1
		.amdhsa_next_free_sgpr 0
		.amdhsa_reserve_vcc 0
		.amdhsa_reserve_flat_scratch 0
		.amdhsa_float_round_mode_32 0
		.amdhsa_float_round_mode_16_64 0
		.amdhsa_float_denorm_mode_32 3
		.amdhsa_float_denorm_mode_16_64 3
		.amdhsa_dx10_clamp 1
		.amdhsa_ieee_mode 1
		.amdhsa_fp16_overflow 0
		.amdhsa_exception_fp_ieee_invalid_op 0
		.amdhsa_exception_fp_denorm_src 0
		.amdhsa_exception_fp_ieee_div_zero 0
		.amdhsa_exception_fp_ieee_overflow 0
		.amdhsa_exception_fp_ieee_underflow 0
		.amdhsa_exception_fp_ieee_inexact 0
		.amdhsa_exception_int_div_zero 0
	.end_amdhsa_kernel
	.section	.text._ZN7rocprim17ROCPRIM_400000_NS6detail17trampoline_kernelINS0_14default_configENS1_20scan_config_selectorIN3c104HalfEEEZZNS1_9scan_implILNS1_25lookback_scan_determinismE0ELb0ELb0ES3_PKS6_PS6_S6_ZZZN2at6native31launch_logcumsumexp_cuda_kernelERKNSD_10TensorBaseESH_lENKUlvE_clEvENKUlvE3_clEvEUlS6_S6_E_S6_EEDaPvRmT3_T4_T5_mT6_P12ihipStream_tbENKUlT_T0_E_clISt17integral_constantIbLb1EESY_EEDaST_SU_EUlST_E_NS1_11comp_targetILNS1_3genE9ELNS1_11target_archE1100ELNS1_3gpuE3ELNS1_3repE0EEENS1_30default_config_static_selectorELNS0_4arch9wavefront6targetE1EEEvT1_,"axG",@progbits,_ZN7rocprim17ROCPRIM_400000_NS6detail17trampoline_kernelINS0_14default_configENS1_20scan_config_selectorIN3c104HalfEEEZZNS1_9scan_implILNS1_25lookback_scan_determinismE0ELb0ELb0ES3_PKS6_PS6_S6_ZZZN2at6native31launch_logcumsumexp_cuda_kernelERKNSD_10TensorBaseESH_lENKUlvE_clEvENKUlvE3_clEvEUlS6_S6_E_S6_EEDaPvRmT3_T4_T5_mT6_P12ihipStream_tbENKUlT_T0_E_clISt17integral_constantIbLb1EESY_EEDaST_SU_EUlST_E_NS1_11comp_targetILNS1_3genE9ELNS1_11target_archE1100ELNS1_3gpuE3ELNS1_3repE0EEENS1_30default_config_static_selectorELNS0_4arch9wavefront6targetE1EEEvT1_,comdat
.Lfunc_end385:
	.size	_ZN7rocprim17ROCPRIM_400000_NS6detail17trampoline_kernelINS0_14default_configENS1_20scan_config_selectorIN3c104HalfEEEZZNS1_9scan_implILNS1_25lookback_scan_determinismE0ELb0ELb0ES3_PKS6_PS6_S6_ZZZN2at6native31launch_logcumsumexp_cuda_kernelERKNSD_10TensorBaseESH_lENKUlvE_clEvENKUlvE3_clEvEUlS6_S6_E_S6_EEDaPvRmT3_T4_T5_mT6_P12ihipStream_tbENKUlT_T0_E_clISt17integral_constantIbLb1EESY_EEDaST_SU_EUlST_E_NS1_11comp_targetILNS1_3genE9ELNS1_11target_archE1100ELNS1_3gpuE3ELNS1_3repE0EEENS1_30default_config_static_selectorELNS0_4arch9wavefront6targetE1EEEvT1_, .Lfunc_end385-_ZN7rocprim17ROCPRIM_400000_NS6detail17trampoline_kernelINS0_14default_configENS1_20scan_config_selectorIN3c104HalfEEEZZNS1_9scan_implILNS1_25lookback_scan_determinismE0ELb0ELb0ES3_PKS6_PS6_S6_ZZZN2at6native31launch_logcumsumexp_cuda_kernelERKNSD_10TensorBaseESH_lENKUlvE_clEvENKUlvE3_clEvEUlS6_S6_E_S6_EEDaPvRmT3_T4_T5_mT6_P12ihipStream_tbENKUlT_T0_E_clISt17integral_constantIbLb1EESY_EEDaST_SU_EUlST_E_NS1_11comp_targetILNS1_3genE9ELNS1_11target_archE1100ELNS1_3gpuE3ELNS1_3repE0EEENS1_30default_config_static_selectorELNS0_4arch9wavefront6targetE1EEEvT1_
                                        ; -- End function
	.set _ZN7rocprim17ROCPRIM_400000_NS6detail17trampoline_kernelINS0_14default_configENS1_20scan_config_selectorIN3c104HalfEEEZZNS1_9scan_implILNS1_25lookback_scan_determinismE0ELb0ELb0ES3_PKS6_PS6_S6_ZZZN2at6native31launch_logcumsumexp_cuda_kernelERKNSD_10TensorBaseESH_lENKUlvE_clEvENKUlvE3_clEvEUlS6_S6_E_S6_EEDaPvRmT3_T4_T5_mT6_P12ihipStream_tbENKUlT_T0_E_clISt17integral_constantIbLb1EESY_EEDaST_SU_EUlST_E_NS1_11comp_targetILNS1_3genE9ELNS1_11target_archE1100ELNS1_3gpuE3ELNS1_3repE0EEENS1_30default_config_static_selectorELNS0_4arch9wavefront6targetE1EEEvT1_.num_vgpr, 0
	.set _ZN7rocprim17ROCPRIM_400000_NS6detail17trampoline_kernelINS0_14default_configENS1_20scan_config_selectorIN3c104HalfEEEZZNS1_9scan_implILNS1_25lookback_scan_determinismE0ELb0ELb0ES3_PKS6_PS6_S6_ZZZN2at6native31launch_logcumsumexp_cuda_kernelERKNSD_10TensorBaseESH_lENKUlvE_clEvENKUlvE3_clEvEUlS6_S6_E_S6_EEDaPvRmT3_T4_T5_mT6_P12ihipStream_tbENKUlT_T0_E_clISt17integral_constantIbLb1EESY_EEDaST_SU_EUlST_E_NS1_11comp_targetILNS1_3genE9ELNS1_11target_archE1100ELNS1_3gpuE3ELNS1_3repE0EEENS1_30default_config_static_selectorELNS0_4arch9wavefront6targetE1EEEvT1_.num_agpr, 0
	.set _ZN7rocprim17ROCPRIM_400000_NS6detail17trampoline_kernelINS0_14default_configENS1_20scan_config_selectorIN3c104HalfEEEZZNS1_9scan_implILNS1_25lookback_scan_determinismE0ELb0ELb0ES3_PKS6_PS6_S6_ZZZN2at6native31launch_logcumsumexp_cuda_kernelERKNSD_10TensorBaseESH_lENKUlvE_clEvENKUlvE3_clEvEUlS6_S6_E_S6_EEDaPvRmT3_T4_T5_mT6_P12ihipStream_tbENKUlT_T0_E_clISt17integral_constantIbLb1EESY_EEDaST_SU_EUlST_E_NS1_11comp_targetILNS1_3genE9ELNS1_11target_archE1100ELNS1_3gpuE3ELNS1_3repE0EEENS1_30default_config_static_selectorELNS0_4arch9wavefront6targetE1EEEvT1_.numbered_sgpr, 0
	.set _ZN7rocprim17ROCPRIM_400000_NS6detail17trampoline_kernelINS0_14default_configENS1_20scan_config_selectorIN3c104HalfEEEZZNS1_9scan_implILNS1_25lookback_scan_determinismE0ELb0ELb0ES3_PKS6_PS6_S6_ZZZN2at6native31launch_logcumsumexp_cuda_kernelERKNSD_10TensorBaseESH_lENKUlvE_clEvENKUlvE3_clEvEUlS6_S6_E_S6_EEDaPvRmT3_T4_T5_mT6_P12ihipStream_tbENKUlT_T0_E_clISt17integral_constantIbLb1EESY_EEDaST_SU_EUlST_E_NS1_11comp_targetILNS1_3genE9ELNS1_11target_archE1100ELNS1_3gpuE3ELNS1_3repE0EEENS1_30default_config_static_selectorELNS0_4arch9wavefront6targetE1EEEvT1_.num_named_barrier, 0
	.set _ZN7rocprim17ROCPRIM_400000_NS6detail17trampoline_kernelINS0_14default_configENS1_20scan_config_selectorIN3c104HalfEEEZZNS1_9scan_implILNS1_25lookback_scan_determinismE0ELb0ELb0ES3_PKS6_PS6_S6_ZZZN2at6native31launch_logcumsumexp_cuda_kernelERKNSD_10TensorBaseESH_lENKUlvE_clEvENKUlvE3_clEvEUlS6_S6_E_S6_EEDaPvRmT3_T4_T5_mT6_P12ihipStream_tbENKUlT_T0_E_clISt17integral_constantIbLb1EESY_EEDaST_SU_EUlST_E_NS1_11comp_targetILNS1_3genE9ELNS1_11target_archE1100ELNS1_3gpuE3ELNS1_3repE0EEENS1_30default_config_static_selectorELNS0_4arch9wavefront6targetE1EEEvT1_.private_seg_size, 0
	.set _ZN7rocprim17ROCPRIM_400000_NS6detail17trampoline_kernelINS0_14default_configENS1_20scan_config_selectorIN3c104HalfEEEZZNS1_9scan_implILNS1_25lookback_scan_determinismE0ELb0ELb0ES3_PKS6_PS6_S6_ZZZN2at6native31launch_logcumsumexp_cuda_kernelERKNSD_10TensorBaseESH_lENKUlvE_clEvENKUlvE3_clEvEUlS6_S6_E_S6_EEDaPvRmT3_T4_T5_mT6_P12ihipStream_tbENKUlT_T0_E_clISt17integral_constantIbLb1EESY_EEDaST_SU_EUlST_E_NS1_11comp_targetILNS1_3genE9ELNS1_11target_archE1100ELNS1_3gpuE3ELNS1_3repE0EEENS1_30default_config_static_selectorELNS0_4arch9wavefront6targetE1EEEvT1_.uses_vcc, 0
	.set _ZN7rocprim17ROCPRIM_400000_NS6detail17trampoline_kernelINS0_14default_configENS1_20scan_config_selectorIN3c104HalfEEEZZNS1_9scan_implILNS1_25lookback_scan_determinismE0ELb0ELb0ES3_PKS6_PS6_S6_ZZZN2at6native31launch_logcumsumexp_cuda_kernelERKNSD_10TensorBaseESH_lENKUlvE_clEvENKUlvE3_clEvEUlS6_S6_E_S6_EEDaPvRmT3_T4_T5_mT6_P12ihipStream_tbENKUlT_T0_E_clISt17integral_constantIbLb1EESY_EEDaST_SU_EUlST_E_NS1_11comp_targetILNS1_3genE9ELNS1_11target_archE1100ELNS1_3gpuE3ELNS1_3repE0EEENS1_30default_config_static_selectorELNS0_4arch9wavefront6targetE1EEEvT1_.uses_flat_scratch, 0
	.set _ZN7rocprim17ROCPRIM_400000_NS6detail17trampoline_kernelINS0_14default_configENS1_20scan_config_selectorIN3c104HalfEEEZZNS1_9scan_implILNS1_25lookback_scan_determinismE0ELb0ELb0ES3_PKS6_PS6_S6_ZZZN2at6native31launch_logcumsumexp_cuda_kernelERKNSD_10TensorBaseESH_lENKUlvE_clEvENKUlvE3_clEvEUlS6_S6_E_S6_EEDaPvRmT3_T4_T5_mT6_P12ihipStream_tbENKUlT_T0_E_clISt17integral_constantIbLb1EESY_EEDaST_SU_EUlST_E_NS1_11comp_targetILNS1_3genE9ELNS1_11target_archE1100ELNS1_3gpuE3ELNS1_3repE0EEENS1_30default_config_static_selectorELNS0_4arch9wavefront6targetE1EEEvT1_.has_dyn_sized_stack, 0
	.set _ZN7rocprim17ROCPRIM_400000_NS6detail17trampoline_kernelINS0_14default_configENS1_20scan_config_selectorIN3c104HalfEEEZZNS1_9scan_implILNS1_25lookback_scan_determinismE0ELb0ELb0ES3_PKS6_PS6_S6_ZZZN2at6native31launch_logcumsumexp_cuda_kernelERKNSD_10TensorBaseESH_lENKUlvE_clEvENKUlvE3_clEvEUlS6_S6_E_S6_EEDaPvRmT3_T4_T5_mT6_P12ihipStream_tbENKUlT_T0_E_clISt17integral_constantIbLb1EESY_EEDaST_SU_EUlST_E_NS1_11comp_targetILNS1_3genE9ELNS1_11target_archE1100ELNS1_3gpuE3ELNS1_3repE0EEENS1_30default_config_static_selectorELNS0_4arch9wavefront6targetE1EEEvT1_.has_recursion, 0
	.set _ZN7rocprim17ROCPRIM_400000_NS6detail17trampoline_kernelINS0_14default_configENS1_20scan_config_selectorIN3c104HalfEEEZZNS1_9scan_implILNS1_25lookback_scan_determinismE0ELb0ELb0ES3_PKS6_PS6_S6_ZZZN2at6native31launch_logcumsumexp_cuda_kernelERKNSD_10TensorBaseESH_lENKUlvE_clEvENKUlvE3_clEvEUlS6_S6_E_S6_EEDaPvRmT3_T4_T5_mT6_P12ihipStream_tbENKUlT_T0_E_clISt17integral_constantIbLb1EESY_EEDaST_SU_EUlST_E_NS1_11comp_targetILNS1_3genE9ELNS1_11target_archE1100ELNS1_3gpuE3ELNS1_3repE0EEENS1_30default_config_static_selectorELNS0_4arch9wavefront6targetE1EEEvT1_.has_indirect_call, 0
	.section	.AMDGPU.csdata,"",@progbits
; Kernel info:
; codeLenInByte = 0
; TotalNumSgprs: 4
; NumVgprs: 0
; ScratchSize: 0
; MemoryBound: 0
; FloatMode: 240
; IeeeMode: 1
; LDSByteSize: 0 bytes/workgroup (compile time only)
; SGPRBlocks: 0
; VGPRBlocks: 0
; NumSGPRsForWavesPerEU: 4
; NumVGPRsForWavesPerEU: 1
; Occupancy: 10
; WaveLimiterHint : 0
; COMPUTE_PGM_RSRC2:SCRATCH_EN: 0
; COMPUTE_PGM_RSRC2:USER_SGPR: 6
; COMPUTE_PGM_RSRC2:TRAP_HANDLER: 0
; COMPUTE_PGM_RSRC2:TGID_X_EN: 1
; COMPUTE_PGM_RSRC2:TGID_Y_EN: 0
; COMPUTE_PGM_RSRC2:TGID_Z_EN: 0
; COMPUTE_PGM_RSRC2:TIDIG_COMP_CNT: 0
	.section	.text._ZN7rocprim17ROCPRIM_400000_NS6detail17trampoline_kernelINS0_14default_configENS1_20scan_config_selectorIN3c104HalfEEEZZNS1_9scan_implILNS1_25lookback_scan_determinismE0ELb0ELb0ES3_PKS6_PS6_S6_ZZZN2at6native31launch_logcumsumexp_cuda_kernelERKNSD_10TensorBaseESH_lENKUlvE_clEvENKUlvE3_clEvEUlS6_S6_E_S6_EEDaPvRmT3_T4_T5_mT6_P12ihipStream_tbENKUlT_T0_E_clISt17integral_constantIbLb1EESY_EEDaST_SU_EUlST_E_NS1_11comp_targetILNS1_3genE8ELNS1_11target_archE1030ELNS1_3gpuE2ELNS1_3repE0EEENS1_30default_config_static_selectorELNS0_4arch9wavefront6targetE1EEEvT1_,"axG",@progbits,_ZN7rocprim17ROCPRIM_400000_NS6detail17trampoline_kernelINS0_14default_configENS1_20scan_config_selectorIN3c104HalfEEEZZNS1_9scan_implILNS1_25lookback_scan_determinismE0ELb0ELb0ES3_PKS6_PS6_S6_ZZZN2at6native31launch_logcumsumexp_cuda_kernelERKNSD_10TensorBaseESH_lENKUlvE_clEvENKUlvE3_clEvEUlS6_S6_E_S6_EEDaPvRmT3_T4_T5_mT6_P12ihipStream_tbENKUlT_T0_E_clISt17integral_constantIbLb1EESY_EEDaST_SU_EUlST_E_NS1_11comp_targetILNS1_3genE8ELNS1_11target_archE1030ELNS1_3gpuE2ELNS1_3repE0EEENS1_30default_config_static_selectorELNS0_4arch9wavefront6targetE1EEEvT1_,comdat
	.globl	_ZN7rocprim17ROCPRIM_400000_NS6detail17trampoline_kernelINS0_14default_configENS1_20scan_config_selectorIN3c104HalfEEEZZNS1_9scan_implILNS1_25lookback_scan_determinismE0ELb0ELb0ES3_PKS6_PS6_S6_ZZZN2at6native31launch_logcumsumexp_cuda_kernelERKNSD_10TensorBaseESH_lENKUlvE_clEvENKUlvE3_clEvEUlS6_S6_E_S6_EEDaPvRmT3_T4_T5_mT6_P12ihipStream_tbENKUlT_T0_E_clISt17integral_constantIbLb1EESY_EEDaST_SU_EUlST_E_NS1_11comp_targetILNS1_3genE8ELNS1_11target_archE1030ELNS1_3gpuE2ELNS1_3repE0EEENS1_30default_config_static_selectorELNS0_4arch9wavefront6targetE1EEEvT1_ ; -- Begin function _ZN7rocprim17ROCPRIM_400000_NS6detail17trampoline_kernelINS0_14default_configENS1_20scan_config_selectorIN3c104HalfEEEZZNS1_9scan_implILNS1_25lookback_scan_determinismE0ELb0ELb0ES3_PKS6_PS6_S6_ZZZN2at6native31launch_logcumsumexp_cuda_kernelERKNSD_10TensorBaseESH_lENKUlvE_clEvENKUlvE3_clEvEUlS6_S6_E_S6_EEDaPvRmT3_T4_T5_mT6_P12ihipStream_tbENKUlT_T0_E_clISt17integral_constantIbLb1EESY_EEDaST_SU_EUlST_E_NS1_11comp_targetILNS1_3genE8ELNS1_11target_archE1030ELNS1_3gpuE2ELNS1_3repE0EEENS1_30default_config_static_selectorELNS0_4arch9wavefront6targetE1EEEvT1_
	.p2align	8
	.type	_ZN7rocprim17ROCPRIM_400000_NS6detail17trampoline_kernelINS0_14default_configENS1_20scan_config_selectorIN3c104HalfEEEZZNS1_9scan_implILNS1_25lookback_scan_determinismE0ELb0ELb0ES3_PKS6_PS6_S6_ZZZN2at6native31launch_logcumsumexp_cuda_kernelERKNSD_10TensorBaseESH_lENKUlvE_clEvENKUlvE3_clEvEUlS6_S6_E_S6_EEDaPvRmT3_T4_T5_mT6_P12ihipStream_tbENKUlT_T0_E_clISt17integral_constantIbLb1EESY_EEDaST_SU_EUlST_E_NS1_11comp_targetILNS1_3genE8ELNS1_11target_archE1030ELNS1_3gpuE2ELNS1_3repE0EEENS1_30default_config_static_selectorELNS0_4arch9wavefront6targetE1EEEvT1_,@function
_ZN7rocprim17ROCPRIM_400000_NS6detail17trampoline_kernelINS0_14default_configENS1_20scan_config_selectorIN3c104HalfEEEZZNS1_9scan_implILNS1_25lookback_scan_determinismE0ELb0ELb0ES3_PKS6_PS6_S6_ZZZN2at6native31launch_logcumsumexp_cuda_kernelERKNSD_10TensorBaseESH_lENKUlvE_clEvENKUlvE3_clEvEUlS6_S6_E_S6_EEDaPvRmT3_T4_T5_mT6_P12ihipStream_tbENKUlT_T0_E_clISt17integral_constantIbLb1EESY_EEDaST_SU_EUlST_E_NS1_11comp_targetILNS1_3genE8ELNS1_11target_archE1030ELNS1_3gpuE2ELNS1_3repE0EEENS1_30default_config_static_selectorELNS0_4arch9wavefront6targetE1EEEvT1_: ; @_ZN7rocprim17ROCPRIM_400000_NS6detail17trampoline_kernelINS0_14default_configENS1_20scan_config_selectorIN3c104HalfEEEZZNS1_9scan_implILNS1_25lookback_scan_determinismE0ELb0ELb0ES3_PKS6_PS6_S6_ZZZN2at6native31launch_logcumsumexp_cuda_kernelERKNSD_10TensorBaseESH_lENKUlvE_clEvENKUlvE3_clEvEUlS6_S6_E_S6_EEDaPvRmT3_T4_T5_mT6_P12ihipStream_tbENKUlT_T0_E_clISt17integral_constantIbLb1EESY_EEDaST_SU_EUlST_E_NS1_11comp_targetILNS1_3genE8ELNS1_11target_archE1030ELNS1_3gpuE2ELNS1_3repE0EEENS1_30default_config_static_selectorELNS0_4arch9wavefront6targetE1EEEvT1_
; %bb.0:
	.section	.rodata,"a",@progbits
	.p2align	6, 0x0
	.amdhsa_kernel _ZN7rocprim17ROCPRIM_400000_NS6detail17trampoline_kernelINS0_14default_configENS1_20scan_config_selectorIN3c104HalfEEEZZNS1_9scan_implILNS1_25lookback_scan_determinismE0ELb0ELb0ES3_PKS6_PS6_S6_ZZZN2at6native31launch_logcumsumexp_cuda_kernelERKNSD_10TensorBaseESH_lENKUlvE_clEvENKUlvE3_clEvEUlS6_S6_E_S6_EEDaPvRmT3_T4_T5_mT6_P12ihipStream_tbENKUlT_T0_E_clISt17integral_constantIbLb1EESY_EEDaST_SU_EUlST_E_NS1_11comp_targetILNS1_3genE8ELNS1_11target_archE1030ELNS1_3gpuE2ELNS1_3repE0EEENS1_30default_config_static_selectorELNS0_4arch9wavefront6targetE1EEEvT1_
		.amdhsa_group_segment_fixed_size 0
		.amdhsa_private_segment_fixed_size 0
		.amdhsa_kernarg_size 96
		.amdhsa_user_sgpr_count 6
		.amdhsa_user_sgpr_private_segment_buffer 1
		.amdhsa_user_sgpr_dispatch_ptr 0
		.amdhsa_user_sgpr_queue_ptr 0
		.amdhsa_user_sgpr_kernarg_segment_ptr 1
		.amdhsa_user_sgpr_dispatch_id 0
		.amdhsa_user_sgpr_flat_scratch_init 0
		.amdhsa_user_sgpr_private_segment_size 0
		.amdhsa_uses_dynamic_stack 0
		.amdhsa_system_sgpr_private_segment_wavefront_offset 0
		.amdhsa_system_sgpr_workgroup_id_x 1
		.amdhsa_system_sgpr_workgroup_id_y 0
		.amdhsa_system_sgpr_workgroup_id_z 0
		.amdhsa_system_sgpr_workgroup_info 0
		.amdhsa_system_vgpr_workitem_id 0
		.amdhsa_next_free_vgpr 1
		.amdhsa_next_free_sgpr 0
		.amdhsa_reserve_vcc 0
		.amdhsa_reserve_flat_scratch 0
		.amdhsa_float_round_mode_32 0
		.amdhsa_float_round_mode_16_64 0
		.amdhsa_float_denorm_mode_32 3
		.amdhsa_float_denorm_mode_16_64 3
		.amdhsa_dx10_clamp 1
		.amdhsa_ieee_mode 1
		.amdhsa_fp16_overflow 0
		.amdhsa_exception_fp_ieee_invalid_op 0
		.amdhsa_exception_fp_denorm_src 0
		.amdhsa_exception_fp_ieee_div_zero 0
		.amdhsa_exception_fp_ieee_overflow 0
		.amdhsa_exception_fp_ieee_underflow 0
		.amdhsa_exception_fp_ieee_inexact 0
		.amdhsa_exception_int_div_zero 0
	.end_amdhsa_kernel
	.section	.text._ZN7rocprim17ROCPRIM_400000_NS6detail17trampoline_kernelINS0_14default_configENS1_20scan_config_selectorIN3c104HalfEEEZZNS1_9scan_implILNS1_25lookback_scan_determinismE0ELb0ELb0ES3_PKS6_PS6_S6_ZZZN2at6native31launch_logcumsumexp_cuda_kernelERKNSD_10TensorBaseESH_lENKUlvE_clEvENKUlvE3_clEvEUlS6_S6_E_S6_EEDaPvRmT3_T4_T5_mT6_P12ihipStream_tbENKUlT_T0_E_clISt17integral_constantIbLb1EESY_EEDaST_SU_EUlST_E_NS1_11comp_targetILNS1_3genE8ELNS1_11target_archE1030ELNS1_3gpuE2ELNS1_3repE0EEENS1_30default_config_static_selectorELNS0_4arch9wavefront6targetE1EEEvT1_,"axG",@progbits,_ZN7rocprim17ROCPRIM_400000_NS6detail17trampoline_kernelINS0_14default_configENS1_20scan_config_selectorIN3c104HalfEEEZZNS1_9scan_implILNS1_25lookback_scan_determinismE0ELb0ELb0ES3_PKS6_PS6_S6_ZZZN2at6native31launch_logcumsumexp_cuda_kernelERKNSD_10TensorBaseESH_lENKUlvE_clEvENKUlvE3_clEvEUlS6_S6_E_S6_EEDaPvRmT3_T4_T5_mT6_P12ihipStream_tbENKUlT_T0_E_clISt17integral_constantIbLb1EESY_EEDaST_SU_EUlST_E_NS1_11comp_targetILNS1_3genE8ELNS1_11target_archE1030ELNS1_3gpuE2ELNS1_3repE0EEENS1_30default_config_static_selectorELNS0_4arch9wavefront6targetE1EEEvT1_,comdat
.Lfunc_end386:
	.size	_ZN7rocprim17ROCPRIM_400000_NS6detail17trampoline_kernelINS0_14default_configENS1_20scan_config_selectorIN3c104HalfEEEZZNS1_9scan_implILNS1_25lookback_scan_determinismE0ELb0ELb0ES3_PKS6_PS6_S6_ZZZN2at6native31launch_logcumsumexp_cuda_kernelERKNSD_10TensorBaseESH_lENKUlvE_clEvENKUlvE3_clEvEUlS6_S6_E_S6_EEDaPvRmT3_T4_T5_mT6_P12ihipStream_tbENKUlT_T0_E_clISt17integral_constantIbLb1EESY_EEDaST_SU_EUlST_E_NS1_11comp_targetILNS1_3genE8ELNS1_11target_archE1030ELNS1_3gpuE2ELNS1_3repE0EEENS1_30default_config_static_selectorELNS0_4arch9wavefront6targetE1EEEvT1_, .Lfunc_end386-_ZN7rocprim17ROCPRIM_400000_NS6detail17trampoline_kernelINS0_14default_configENS1_20scan_config_selectorIN3c104HalfEEEZZNS1_9scan_implILNS1_25lookback_scan_determinismE0ELb0ELb0ES3_PKS6_PS6_S6_ZZZN2at6native31launch_logcumsumexp_cuda_kernelERKNSD_10TensorBaseESH_lENKUlvE_clEvENKUlvE3_clEvEUlS6_S6_E_S6_EEDaPvRmT3_T4_T5_mT6_P12ihipStream_tbENKUlT_T0_E_clISt17integral_constantIbLb1EESY_EEDaST_SU_EUlST_E_NS1_11comp_targetILNS1_3genE8ELNS1_11target_archE1030ELNS1_3gpuE2ELNS1_3repE0EEENS1_30default_config_static_selectorELNS0_4arch9wavefront6targetE1EEEvT1_
                                        ; -- End function
	.set _ZN7rocprim17ROCPRIM_400000_NS6detail17trampoline_kernelINS0_14default_configENS1_20scan_config_selectorIN3c104HalfEEEZZNS1_9scan_implILNS1_25lookback_scan_determinismE0ELb0ELb0ES3_PKS6_PS6_S6_ZZZN2at6native31launch_logcumsumexp_cuda_kernelERKNSD_10TensorBaseESH_lENKUlvE_clEvENKUlvE3_clEvEUlS6_S6_E_S6_EEDaPvRmT3_T4_T5_mT6_P12ihipStream_tbENKUlT_T0_E_clISt17integral_constantIbLb1EESY_EEDaST_SU_EUlST_E_NS1_11comp_targetILNS1_3genE8ELNS1_11target_archE1030ELNS1_3gpuE2ELNS1_3repE0EEENS1_30default_config_static_selectorELNS0_4arch9wavefront6targetE1EEEvT1_.num_vgpr, 0
	.set _ZN7rocprim17ROCPRIM_400000_NS6detail17trampoline_kernelINS0_14default_configENS1_20scan_config_selectorIN3c104HalfEEEZZNS1_9scan_implILNS1_25lookback_scan_determinismE0ELb0ELb0ES3_PKS6_PS6_S6_ZZZN2at6native31launch_logcumsumexp_cuda_kernelERKNSD_10TensorBaseESH_lENKUlvE_clEvENKUlvE3_clEvEUlS6_S6_E_S6_EEDaPvRmT3_T4_T5_mT6_P12ihipStream_tbENKUlT_T0_E_clISt17integral_constantIbLb1EESY_EEDaST_SU_EUlST_E_NS1_11comp_targetILNS1_3genE8ELNS1_11target_archE1030ELNS1_3gpuE2ELNS1_3repE0EEENS1_30default_config_static_selectorELNS0_4arch9wavefront6targetE1EEEvT1_.num_agpr, 0
	.set _ZN7rocprim17ROCPRIM_400000_NS6detail17trampoline_kernelINS0_14default_configENS1_20scan_config_selectorIN3c104HalfEEEZZNS1_9scan_implILNS1_25lookback_scan_determinismE0ELb0ELb0ES3_PKS6_PS6_S6_ZZZN2at6native31launch_logcumsumexp_cuda_kernelERKNSD_10TensorBaseESH_lENKUlvE_clEvENKUlvE3_clEvEUlS6_S6_E_S6_EEDaPvRmT3_T4_T5_mT6_P12ihipStream_tbENKUlT_T0_E_clISt17integral_constantIbLb1EESY_EEDaST_SU_EUlST_E_NS1_11comp_targetILNS1_3genE8ELNS1_11target_archE1030ELNS1_3gpuE2ELNS1_3repE0EEENS1_30default_config_static_selectorELNS0_4arch9wavefront6targetE1EEEvT1_.numbered_sgpr, 0
	.set _ZN7rocprim17ROCPRIM_400000_NS6detail17trampoline_kernelINS0_14default_configENS1_20scan_config_selectorIN3c104HalfEEEZZNS1_9scan_implILNS1_25lookback_scan_determinismE0ELb0ELb0ES3_PKS6_PS6_S6_ZZZN2at6native31launch_logcumsumexp_cuda_kernelERKNSD_10TensorBaseESH_lENKUlvE_clEvENKUlvE3_clEvEUlS6_S6_E_S6_EEDaPvRmT3_T4_T5_mT6_P12ihipStream_tbENKUlT_T0_E_clISt17integral_constantIbLb1EESY_EEDaST_SU_EUlST_E_NS1_11comp_targetILNS1_3genE8ELNS1_11target_archE1030ELNS1_3gpuE2ELNS1_3repE0EEENS1_30default_config_static_selectorELNS0_4arch9wavefront6targetE1EEEvT1_.num_named_barrier, 0
	.set _ZN7rocprim17ROCPRIM_400000_NS6detail17trampoline_kernelINS0_14default_configENS1_20scan_config_selectorIN3c104HalfEEEZZNS1_9scan_implILNS1_25lookback_scan_determinismE0ELb0ELb0ES3_PKS6_PS6_S6_ZZZN2at6native31launch_logcumsumexp_cuda_kernelERKNSD_10TensorBaseESH_lENKUlvE_clEvENKUlvE3_clEvEUlS6_S6_E_S6_EEDaPvRmT3_T4_T5_mT6_P12ihipStream_tbENKUlT_T0_E_clISt17integral_constantIbLb1EESY_EEDaST_SU_EUlST_E_NS1_11comp_targetILNS1_3genE8ELNS1_11target_archE1030ELNS1_3gpuE2ELNS1_3repE0EEENS1_30default_config_static_selectorELNS0_4arch9wavefront6targetE1EEEvT1_.private_seg_size, 0
	.set _ZN7rocprim17ROCPRIM_400000_NS6detail17trampoline_kernelINS0_14default_configENS1_20scan_config_selectorIN3c104HalfEEEZZNS1_9scan_implILNS1_25lookback_scan_determinismE0ELb0ELb0ES3_PKS6_PS6_S6_ZZZN2at6native31launch_logcumsumexp_cuda_kernelERKNSD_10TensorBaseESH_lENKUlvE_clEvENKUlvE3_clEvEUlS6_S6_E_S6_EEDaPvRmT3_T4_T5_mT6_P12ihipStream_tbENKUlT_T0_E_clISt17integral_constantIbLb1EESY_EEDaST_SU_EUlST_E_NS1_11comp_targetILNS1_3genE8ELNS1_11target_archE1030ELNS1_3gpuE2ELNS1_3repE0EEENS1_30default_config_static_selectorELNS0_4arch9wavefront6targetE1EEEvT1_.uses_vcc, 0
	.set _ZN7rocprim17ROCPRIM_400000_NS6detail17trampoline_kernelINS0_14default_configENS1_20scan_config_selectorIN3c104HalfEEEZZNS1_9scan_implILNS1_25lookback_scan_determinismE0ELb0ELb0ES3_PKS6_PS6_S6_ZZZN2at6native31launch_logcumsumexp_cuda_kernelERKNSD_10TensorBaseESH_lENKUlvE_clEvENKUlvE3_clEvEUlS6_S6_E_S6_EEDaPvRmT3_T4_T5_mT6_P12ihipStream_tbENKUlT_T0_E_clISt17integral_constantIbLb1EESY_EEDaST_SU_EUlST_E_NS1_11comp_targetILNS1_3genE8ELNS1_11target_archE1030ELNS1_3gpuE2ELNS1_3repE0EEENS1_30default_config_static_selectorELNS0_4arch9wavefront6targetE1EEEvT1_.uses_flat_scratch, 0
	.set _ZN7rocprim17ROCPRIM_400000_NS6detail17trampoline_kernelINS0_14default_configENS1_20scan_config_selectorIN3c104HalfEEEZZNS1_9scan_implILNS1_25lookback_scan_determinismE0ELb0ELb0ES3_PKS6_PS6_S6_ZZZN2at6native31launch_logcumsumexp_cuda_kernelERKNSD_10TensorBaseESH_lENKUlvE_clEvENKUlvE3_clEvEUlS6_S6_E_S6_EEDaPvRmT3_T4_T5_mT6_P12ihipStream_tbENKUlT_T0_E_clISt17integral_constantIbLb1EESY_EEDaST_SU_EUlST_E_NS1_11comp_targetILNS1_3genE8ELNS1_11target_archE1030ELNS1_3gpuE2ELNS1_3repE0EEENS1_30default_config_static_selectorELNS0_4arch9wavefront6targetE1EEEvT1_.has_dyn_sized_stack, 0
	.set _ZN7rocprim17ROCPRIM_400000_NS6detail17trampoline_kernelINS0_14default_configENS1_20scan_config_selectorIN3c104HalfEEEZZNS1_9scan_implILNS1_25lookback_scan_determinismE0ELb0ELb0ES3_PKS6_PS6_S6_ZZZN2at6native31launch_logcumsumexp_cuda_kernelERKNSD_10TensorBaseESH_lENKUlvE_clEvENKUlvE3_clEvEUlS6_S6_E_S6_EEDaPvRmT3_T4_T5_mT6_P12ihipStream_tbENKUlT_T0_E_clISt17integral_constantIbLb1EESY_EEDaST_SU_EUlST_E_NS1_11comp_targetILNS1_3genE8ELNS1_11target_archE1030ELNS1_3gpuE2ELNS1_3repE0EEENS1_30default_config_static_selectorELNS0_4arch9wavefront6targetE1EEEvT1_.has_recursion, 0
	.set _ZN7rocprim17ROCPRIM_400000_NS6detail17trampoline_kernelINS0_14default_configENS1_20scan_config_selectorIN3c104HalfEEEZZNS1_9scan_implILNS1_25lookback_scan_determinismE0ELb0ELb0ES3_PKS6_PS6_S6_ZZZN2at6native31launch_logcumsumexp_cuda_kernelERKNSD_10TensorBaseESH_lENKUlvE_clEvENKUlvE3_clEvEUlS6_S6_E_S6_EEDaPvRmT3_T4_T5_mT6_P12ihipStream_tbENKUlT_T0_E_clISt17integral_constantIbLb1EESY_EEDaST_SU_EUlST_E_NS1_11comp_targetILNS1_3genE8ELNS1_11target_archE1030ELNS1_3gpuE2ELNS1_3repE0EEENS1_30default_config_static_selectorELNS0_4arch9wavefront6targetE1EEEvT1_.has_indirect_call, 0
	.section	.AMDGPU.csdata,"",@progbits
; Kernel info:
; codeLenInByte = 0
; TotalNumSgprs: 4
; NumVgprs: 0
; ScratchSize: 0
; MemoryBound: 0
; FloatMode: 240
; IeeeMode: 1
; LDSByteSize: 0 bytes/workgroup (compile time only)
; SGPRBlocks: 0
; VGPRBlocks: 0
; NumSGPRsForWavesPerEU: 4
; NumVGPRsForWavesPerEU: 1
; Occupancy: 10
; WaveLimiterHint : 0
; COMPUTE_PGM_RSRC2:SCRATCH_EN: 0
; COMPUTE_PGM_RSRC2:USER_SGPR: 6
; COMPUTE_PGM_RSRC2:TRAP_HANDLER: 0
; COMPUTE_PGM_RSRC2:TGID_X_EN: 1
; COMPUTE_PGM_RSRC2:TGID_Y_EN: 0
; COMPUTE_PGM_RSRC2:TGID_Z_EN: 0
; COMPUTE_PGM_RSRC2:TIDIG_COMP_CNT: 0
	.section	.text._ZN7rocprim17ROCPRIM_400000_NS6detail17trampoline_kernelINS0_14default_configENS1_20scan_config_selectorIN3c104HalfEEEZZNS1_9scan_implILNS1_25lookback_scan_determinismE0ELb0ELb0ES3_PKS6_PS6_S6_ZZZN2at6native31launch_logcumsumexp_cuda_kernelERKNSD_10TensorBaseESH_lENKUlvE_clEvENKUlvE3_clEvEUlS6_S6_E_S6_EEDaPvRmT3_T4_T5_mT6_P12ihipStream_tbENKUlT_T0_E_clISt17integral_constantIbLb1EESY_EEDaST_SU_EUlST_E0_NS1_11comp_targetILNS1_3genE0ELNS1_11target_archE4294967295ELNS1_3gpuE0ELNS1_3repE0EEENS1_30default_config_static_selectorELNS0_4arch9wavefront6targetE1EEEvT1_,"axG",@progbits,_ZN7rocprim17ROCPRIM_400000_NS6detail17trampoline_kernelINS0_14default_configENS1_20scan_config_selectorIN3c104HalfEEEZZNS1_9scan_implILNS1_25lookback_scan_determinismE0ELb0ELb0ES3_PKS6_PS6_S6_ZZZN2at6native31launch_logcumsumexp_cuda_kernelERKNSD_10TensorBaseESH_lENKUlvE_clEvENKUlvE3_clEvEUlS6_S6_E_S6_EEDaPvRmT3_T4_T5_mT6_P12ihipStream_tbENKUlT_T0_E_clISt17integral_constantIbLb1EESY_EEDaST_SU_EUlST_E0_NS1_11comp_targetILNS1_3genE0ELNS1_11target_archE4294967295ELNS1_3gpuE0ELNS1_3repE0EEENS1_30default_config_static_selectorELNS0_4arch9wavefront6targetE1EEEvT1_,comdat
	.globl	_ZN7rocprim17ROCPRIM_400000_NS6detail17trampoline_kernelINS0_14default_configENS1_20scan_config_selectorIN3c104HalfEEEZZNS1_9scan_implILNS1_25lookback_scan_determinismE0ELb0ELb0ES3_PKS6_PS6_S6_ZZZN2at6native31launch_logcumsumexp_cuda_kernelERKNSD_10TensorBaseESH_lENKUlvE_clEvENKUlvE3_clEvEUlS6_S6_E_S6_EEDaPvRmT3_T4_T5_mT6_P12ihipStream_tbENKUlT_T0_E_clISt17integral_constantIbLb1EESY_EEDaST_SU_EUlST_E0_NS1_11comp_targetILNS1_3genE0ELNS1_11target_archE4294967295ELNS1_3gpuE0ELNS1_3repE0EEENS1_30default_config_static_selectorELNS0_4arch9wavefront6targetE1EEEvT1_ ; -- Begin function _ZN7rocprim17ROCPRIM_400000_NS6detail17trampoline_kernelINS0_14default_configENS1_20scan_config_selectorIN3c104HalfEEEZZNS1_9scan_implILNS1_25lookback_scan_determinismE0ELb0ELb0ES3_PKS6_PS6_S6_ZZZN2at6native31launch_logcumsumexp_cuda_kernelERKNSD_10TensorBaseESH_lENKUlvE_clEvENKUlvE3_clEvEUlS6_S6_E_S6_EEDaPvRmT3_T4_T5_mT6_P12ihipStream_tbENKUlT_T0_E_clISt17integral_constantIbLb1EESY_EEDaST_SU_EUlST_E0_NS1_11comp_targetILNS1_3genE0ELNS1_11target_archE4294967295ELNS1_3gpuE0ELNS1_3repE0EEENS1_30default_config_static_selectorELNS0_4arch9wavefront6targetE1EEEvT1_
	.p2align	8
	.type	_ZN7rocprim17ROCPRIM_400000_NS6detail17trampoline_kernelINS0_14default_configENS1_20scan_config_selectorIN3c104HalfEEEZZNS1_9scan_implILNS1_25lookback_scan_determinismE0ELb0ELb0ES3_PKS6_PS6_S6_ZZZN2at6native31launch_logcumsumexp_cuda_kernelERKNSD_10TensorBaseESH_lENKUlvE_clEvENKUlvE3_clEvEUlS6_S6_E_S6_EEDaPvRmT3_T4_T5_mT6_P12ihipStream_tbENKUlT_T0_E_clISt17integral_constantIbLb1EESY_EEDaST_SU_EUlST_E0_NS1_11comp_targetILNS1_3genE0ELNS1_11target_archE4294967295ELNS1_3gpuE0ELNS1_3repE0EEENS1_30default_config_static_selectorELNS0_4arch9wavefront6targetE1EEEvT1_,@function
_ZN7rocprim17ROCPRIM_400000_NS6detail17trampoline_kernelINS0_14default_configENS1_20scan_config_selectorIN3c104HalfEEEZZNS1_9scan_implILNS1_25lookback_scan_determinismE0ELb0ELb0ES3_PKS6_PS6_S6_ZZZN2at6native31launch_logcumsumexp_cuda_kernelERKNSD_10TensorBaseESH_lENKUlvE_clEvENKUlvE3_clEvEUlS6_S6_E_S6_EEDaPvRmT3_T4_T5_mT6_P12ihipStream_tbENKUlT_T0_E_clISt17integral_constantIbLb1EESY_EEDaST_SU_EUlST_E0_NS1_11comp_targetILNS1_3genE0ELNS1_11target_archE4294967295ELNS1_3gpuE0ELNS1_3repE0EEENS1_30default_config_static_selectorELNS0_4arch9wavefront6targetE1EEEvT1_: ; @_ZN7rocprim17ROCPRIM_400000_NS6detail17trampoline_kernelINS0_14default_configENS1_20scan_config_selectorIN3c104HalfEEEZZNS1_9scan_implILNS1_25lookback_scan_determinismE0ELb0ELb0ES3_PKS6_PS6_S6_ZZZN2at6native31launch_logcumsumexp_cuda_kernelERKNSD_10TensorBaseESH_lENKUlvE_clEvENKUlvE3_clEvEUlS6_S6_E_S6_EEDaPvRmT3_T4_T5_mT6_P12ihipStream_tbENKUlT_T0_E_clISt17integral_constantIbLb1EESY_EEDaST_SU_EUlST_E0_NS1_11comp_targetILNS1_3genE0ELNS1_11target_archE4294967295ELNS1_3gpuE0ELNS1_3repE0EEENS1_30default_config_static_selectorELNS0_4arch9wavefront6targetE1EEEvT1_
; %bb.0:
	.section	.rodata,"a",@progbits
	.p2align	6, 0x0
	.amdhsa_kernel _ZN7rocprim17ROCPRIM_400000_NS6detail17trampoline_kernelINS0_14default_configENS1_20scan_config_selectorIN3c104HalfEEEZZNS1_9scan_implILNS1_25lookback_scan_determinismE0ELb0ELb0ES3_PKS6_PS6_S6_ZZZN2at6native31launch_logcumsumexp_cuda_kernelERKNSD_10TensorBaseESH_lENKUlvE_clEvENKUlvE3_clEvEUlS6_S6_E_S6_EEDaPvRmT3_T4_T5_mT6_P12ihipStream_tbENKUlT_T0_E_clISt17integral_constantIbLb1EESY_EEDaST_SU_EUlST_E0_NS1_11comp_targetILNS1_3genE0ELNS1_11target_archE4294967295ELNS1_3gpuE0ELNS1_3repE0EEENS1_30default_config_static_selectorELNS0_4arch9wavefront6targetE1EEEvT1_
		.amdhsa_group_segment_fixed_size 0
		.amdhsa_private_segment_fixed_size 0
		.amdhsa_kernarg_size 32
		.amdhsa_user_sgpr_count 6
		.amdhsa_user_sgpr_private_segment_buffer 1
		.amdhsa_user_sgpr_dispatch_ptr 0
		.amdhsa_user_sgpr_queue_ptr 0
		.amdhsa_user_sgpr_kernarg_segment_ptr 1
		.amdhsa_user_sgpr_dispatch_id 0
		.amdhsa_user_sgpr_flat_scratch_init 0
		.amdhsa_user_sgpr_private_segment_size 0
		.amdhsa_uses_dynamic_stack 0
		.amdhsa_system_sgpr_private_segment_wavefront_offset 0
		.amdhsa_system_sgpr_workgroup_id_x 1
		.amdhsa_system_sgpr_workgroup_id_y 0
		.amdhsa_system_sgpr_workgroup_id_z 0
		.amdhsa_system_sgpr_workgroup_info 0
		.amdhsa_system_vgpr_workitem_id 0
		.amdhsa_next_free_vgpr 1
		.amdhsa_next_free_sgpr 0
		.amdhsa_reserve_vcc 0
		.amdhsa_reserve_flat_scratch 0
		.amdhsa_float_round_mode_32 0
		.amdhsa_float_round_mode_16_64 0
		.amdhsa_float_denorm_mode_32 3
		.amdhsa_float_denorm_mode_16_64 3
		.amdhsa_dx10_clamp 1
		.amdhsa_ieee_mode 1
		.amdhsa_fp16_overflow 0
		.amdhsa_exception_fp_ieee_invalid_op 0
		.amdhsa_exception_fp_denorm_src 0
		.amdhsa_exception_fp_ieee_div_zero 0
		.amdhsa_exception_fp_ieee_overflow 0
		.amdhsa_exception_fp_ieee_underflow 0
		.amdhsa_exception_fp_ieee_inexact 0
		.amdhsa_exception_int_div_zero 0
	.end_amdhsa_kernel
	.section	.text._ZN7rocprim17ROCPRIM_400000_NS6detail17trampoline_kernelINS0_14default_configENS1_20scan_config_selectorIN3c104HalfEEEZZNS1_9scan_implILNS1_25lookback_scan_determinismE0ELb0ELb0ES3_PKS6_PS6_S6_ZZZN2at6native31launch_logcumsumexp_cuda_kernelERKNSD_10TensorBaseESH_lENKUlvE_clEvENKUlvE3_clEvEUlS6_S6_E_S6_EEDaPvRmT3_T4_T5_mT6_P12ihipStream_tbENKUlT_T0_E_clISt17integral_constantIbLb1EESY_EEDaST_SU_EUlST_E0_NS1_11comp_targetILNS1_3genE0ELNS1_11target_archE4294967295ELNS1_3gpuE0ELNS1_3repE0EEENS1_30default_config_static_selectorELNS0_4arch9wavefront6targetE1EEEvT1_,"axG",@progbits,_ZN7rocprim17ROCPRIM_400000_NS6detail17trampoline_kernelINS0_14default_configENS1_20scan_config_selectorIN3c104HalfEEEZZNS1_9scan_implILNS1_25lookback_scan_determinismE0ELb0ELb0ES3_PKS6_PS6_S6_ZZZN2at6native31launch_logcumsumexp_cuda_kernelERKNSD_10TensorBaseESH_lENKUlvE_clEvENKUlvE3_clEvEUlS6_S6_E_S6_EEDaPvRmT3_T4_T5_mT6_P12ihipStream_tbENKUlT_T0_E_clISt17integral_constantIbLb1EESY_EEDaST_SU_EUlST_E0_NS1_11comp_targetILNS1_3genE0ELNS1_11target_archE4294967295ELNS1_3gpuE0ELNS1_3repE0EEENS1_30default_config_static_selectorELNS0_4arch9wavefront6targetE1EEEvT1_,comdat
.Lfunc_end387:
	.size	_ZN7rocprim17ROCPRIM_400000_NS6detail17trampoline_kernelINS0_14default_configENS1_20scan_config_selectorIN3c104HalfEEEZZNS1_9scan_implILNS1_25lookback_scan_determinismE0ELb0ELb0ES3_PKS6_PS6_S6_ZZZN2at6native31launch_logcumsumexp_cuda_kernelERKNSD_10TensorBaseESH_lENKUlvE_clEvENKUlvE3_clEvEUlS6_S6_E_S6_EEDaPvRmT3_T4_T5_mT6_P12ihipStream_tbENKUlT_T0_E_clISt17integral_constantIbLb1EESY_EEDaST_SU_EUlST_E0_NS1_11comp_targetILNS1_3genE0ELNS1_11target_archE4294967295ELNS1_3gpuE0ELNS1_3repE0EEENS1_30default_config_static_selectorELNS0_4arch9wavefront6targetE1EEEvT1_, .Lfunc_end387-_ZN7rocprim17ROCPRIM_400000_NS6detail17trampoline_kernelINS0_14default_configENS1_20scan_config_selectorIN3c104HalfEEEZZNS1_9scan_implILNS1_25lookback_scan_determinismE0ELb0ELb0ES3_PKS6_PS6_S6_ZZZN2at6native31launch_logcumsumexp_cuda_kernelERKNSD_10TensorBaseESH_lENKUlvE_clEvENKUlvE3_clEvEUlS6_S6_E_S6_EEDaPvRmT3_T4_T5_mT6_P12ihipStream_tbENKUlT_T0_E_clISt17integral_constantIbLb1EESY_EEDaST_SU_EUlST_E0_NS1_11comp_targetILNS1_3genE0ELNS1_11target_archE4294967295ELNS1_3gpuE0ELNS1_3repE0EEENS1_30default_config_static_selectorELNS0_4arch9wavefront6targetE1EEEvT1_
                                        ; -- End function
	.set _ZN7rocprim17ROCPRIM_400000_NS6detail17trampoline_kernelINS0_14default_configENS1_20scan_config_selectorIN3c104HalfEEEZZNS1_9scan_implILNS1_25lookback_scan_determinismE0ELb0ELb0ES3_PKS6_PS6_S6_ZZZN2at6native31launch_logcumsumexp_cuda_kernelERKNSD_10TensorBaseESH_lENKUlvE_clEvENKUlvE3_clEvEUlS6_S6_E_S6_EEDaPvRmT3_T4_T5_mT6_P12ihipStream_tbENKUlT_T0_E_clISt17integral_constantIbLb1EESY_EEDaST_SU_EUlST_E0_NS1_11comp_targetILNS1_3genE0ELNS1_11target_archE4294967295ELNS1_3gpuE0ELNS1_3repE0EEENS1_30default_config_static_selectorELNS0_4arch9wavefront6targetE1EEEvT1_.num_vgpr, 0
	.set _ZN7rocprim17ROCPRIM_400000_NS6detail17trampoline_kernelINS0_14default_configENS1_20scan_config_selectorIN3c104HalfEEEZZNS1_9scan_implILNS1_25lookback_scan_determinismE0ELb0ELb0ES3_PKS6_PS6_S6_ZZZN2at6native31launch_logcumsumexp_cuda_kernelERKNSD_10TensorBaseESH_lENKUlvE_clEvENKUlvE3_clEvEUlS6_S6_E_S6_EEDaPvRmT3_T4_T5_mT6_P12ihipStream_tbENKUlT_T0_E_clISt17integral_constantIbLb1EESY_EEDaST_SU_EUlST_E0_NS1_11comp_targetILNS1_3genE0ELNS1_11target_archE4294967295ELNS1_3gpuE0ELNS1_3repE0EEENS1_30default_config_static_selectorELNS0_4arch9wavefront6targetE1EEEvT1_.num_agpr, 0
	.set _ZN7rocprim17ROCPRIM_400000_NS6detail17trampoline_kernelINS0_14default_configENS1_20scan_config_selectorIN3c104HalfEEEZZNS1_9scan_implILNS1_25lookback_scan_determinismE0ELb0ELb0ES3_PKS6_PS6_S6_ZZZN2at6native31launch_logcumsumexp_cuda_kernelERKNSD_10TensorBaseESH_lENKUlvE_clEvENKUlvE3_clEvEUlS6_S6_E_S6_EEDaPvRmT3_T4_T5_mT6_P12ihipStream_tbENKUlT_T0_E_clISt17integral_constantIbLb1EESY_EEDaST_SU_EUlST_E0_NS1_11comp_targetILNS1_3genE0ELNS1_11target_archE4294967295ELNS1_3gpuE0ELNS1_3repE0EEENS1_30default_config_static_selectorELNS0_4arch9wavefront6targetE1EEEvT1_.numbered_sgpr, 0
	.set _ZN7rocprim17ROCPRIM_400000_NS6detail17trampoline_kernelINS0_14default_configENS1_20scan_config_selectorIN3c104HalfEEEZZNS1_9scan_implILNS1_25lookback_scan_determinismE0ELb0ELb0ES3_PKS6_PS6_S6_ZZZN2at6native31launch_logcumsumexp_cuda_kernelERKNSD_10TensorBaseESH_lENKUlvE_clEvENKUlvE3_clEvEUlS6_S6_E_S6_EEDaPvRmT3_T4_T5_mT6_P12ihipStream_tbENKUlT_T0_E_clISt17integral_constantIbLb1EESY_EEDaST_SU_EUlST_E0_NS1_11comp_targetILNS1_3genE0ELNS1_11target_archE4294967295ELNS1_3gpuE0ELNS1_3repE0EEENS1_30default_config_static_selectorELNS0_4arch9wavefront6targetE1EEEvT1_.num_named_barrier, 0
	.set _ZN7rocprim17ROCPRIM_400000_NS6detail17trampoline_kernelINS0_14default_configENS1_20scan_config_selectorIN3c104HalfEEEZZNS1_9scan_implILNS1_25lookback_scan_determinismE0ELb0ELb0ES3_PKS6_PS6_S6_ZZZN2at6native31launch_logcumsumexp_cuda_kernelERKNSD_10TensorBaseESH_lENKUlvE_clEvENKUlvE3_clEvEUlS6_S6_E_S6_EEDaPvRmT3_T4_T5_mT6_P12ihipStream_tbENKUlT_T0_E_clISt17integral_constantIbLb1EESY_EEDaST_SU_EUlST_E0_NS1_11comp_targetILNS1_3genE0ELNS1_11target_archE4294967295ELNS1_3gpuE0ELNS1_3repE0EEENS1_30default_config_static_selectorELNS0_4arch9wavefront6targetE1EEEvT1_.private_seg_size, 0
	.set _ZN7rocprim17ROCPRIM_400000_NS6detail17trampoline_kernelINS0_14default_configENS1_20scan_config_selectorIN3c104HalfEEEZZNS1_9scan_implILNS1_25lookback_scan_determinismE0ELb0ELb0ES3_PKS6_PS6_S6_ZZZN2at6native31launch_logcumsumexp_cuda_kernelERKNSD_10TensorBaseESH_lENKUlvE_clEvENKUlvE3_clEvEUlS6_S6_E_S6_EEDaPvRmT3_T4_T5_mT6_P12ihipStream_tbENKUlT_T0_E_clISt17integral_constantIbLb1EESY_EEDaST_SU_EUlST_E0_NS1_11comp_targetILNS1_3genE0ELNS1_11target_archE4294967295ELNS1_3gpuE0ELNS1_3repE0EEENS1_30default_config_static_selectorELNS0_4arch9wavefront6targetE1EEEvT1_.uses_vcc, 0
	.set _ZN7rocprim17ROCPRIM_400000_NS6detail17trampoline_kernelINS0_14default_configENS1_20scan_config_selectorIN3c104HalfEEEZZNS1_9scan_implILNS1_25lookback_scan_determinismE0ELb0ELb0ES3_PKS6_PS6_S6_ZZZN2at6native31launch_logcumsumexp_cuda_kernelERKNSD_10TensorBaseESH_lENKUlvE_clEvENKUlvE3_clEvEUlS6_S6_E_S6_EEDaPvRmT3_T4_T5_mT6_P12ihipStream_tbENKUlT_T0_E_clISt17integral_constantIbLb1EESY_EEDaST_SU_EUlST_E0_NS1_11comp_targetILNS1_3genE0ELNS1_11target_archE4294967295ELNS1_3gpuE0ELNS1_3repE0EEENS1_30default_config_static_selectorELNS0_4arch9wavefront6targetE1EEEvT1_.uses_flat_scratch, 0
	.set _ZN7rocprim17ROCPRIM_400000_NS6detail17trampoline_kernelINS0_14default_configENS1_20scan_config_selectorIN3c104HalfEEEZZNS1_9scan_implILNS1_25lookback_scan_determinismE0ELb0ELb0ES3_PKS6_PS6_S6_ZZZN2at6native31launch_logcumsumexp_cuda_kernelERKNSD_10TensorBaseESH_lENKUlvE_clEvENKUlvE3_clEvEUlS6_S6_E_S6_EEDaPvRmT3_T4_T5_mT6_P12ihipStream_tbENKUlT_T0_E_clISt17integral_constantIbLb1EESY_EEDaST_SU_EUlST_E0_NS1_11comp_targetILNS1_3genE0ELNS1_11target_archE4294967295ELNS1_3gpuE0ELNS1_3repE0EEENS1_30default_config_static_selectorELNS0_4arch9wavefront6targetE1EEEvT1_.has_dyn_sized_stack, 0
	.set _ZN7rocprim17ROCPRIM_400000_NS6detail17trampoline_kernelINS0_14default_configENS1_20scan_config_selectorIN3c104HalfEEEZZNS1_9scan_implILNS1_25lookback_scan_determinismE0ELb0ELb0ES3_PKS6_PS6_S6_ZZZN2at6native31launch_logcumsumexp_cuda_kernelERKNSD_10TensorBaseESH_lENKUlvE_clEvENKUlvE3_clEvEUlS6_S6_E_S6_EEDaPvRmT3_T4_T5_mT6_P12ihipStream_tbENKUlT_T0_E_clISt17integral_constantIbLb1EESY_EEDaST_SU_EUlST_E0_NS1_11comp_targetILNS1_3genE0ELNS1_11target_archE4294967295ELNS1_3gpuE0ELNS1_3repE0EEENS1_30default_config_static_selectorELNS0_4arch9wavefront6targetE1EEEvT1_.has_recursion, 0
	.set _ZN7rocprim17ROCPRIM_400000_NS6detail17trampoline_kernelINS0_14default_configENS1_20scan_config_selectorIN3c104HalfEEEZZNS1_9scan_implILNS1_25lookback_scan_determinismE0ELb0ELb0ES3_PKS6_PS6_S6_ZZZN2at6native31launch_logcumsumexp_cuda_kernelERKNSD_10TensorBaseESH_lENKUlvE_clEvENKUlvE3_clEvEUlS6_S6_E_S6_EEDaPvRmT3_T4_T5_mT6_P12ihipStream_tbENKUlT_T0_E_clISt17integral_constantIbLb1EESY_EEDaST_SU_EUlST_E0_NS1_11comp_targetILNS1_3genE0ELNS1_11target_archE4294967295ELNS1_3gpuE0ELNS1_3repE0EEENS1_30default_config_static_selectorELNS0_4arch9wavefront6targetE1EEEvT1_.has_indirect_call, 0
	.section	.AMDGPU.csdata,"",@progbits
; Kernel info:
; codeLenInByte = 0
; TotalNumSgprs: 4
; NumVgprs: 0
; ScratchSize: 0
; MemoryBound: 0
; FloatMode: 240
; IeeeMode: 1
; LDSByteSize: 0 bytes/workgroup (compile time only)
; SGPRBlocks: 0
; VGPRBlocks: 0
; NumSGPRsForWavesPerEU: 4
; NumVGPRsForWavesPerEU: 1
; Occupancy: 10
; WaveLimiterHint : 0
; COMPUTE_PGM_RSRC2:SCRATCH_EN: 0
; COMPUTE_PGM_RSRC2:USER_SGPR: 6
; COMPUTE_PGM_RSRC2:TRAP_HANDLER: 0
; COMPUTE_PGM_RSRC2:TGID_X_EN: 1
; COMPUTE_PGM_RSRC2:TGID_Y_EN: 0
; COMPUTE_PGM_RSRC2:TGID_Z_EN: 0
; COMPUTE_PGM_RSRC2:TIDIG_COMP_CNT: 0
	.section	.text._ZN7rocprim17ROCPRIM_400000_NS6detail17trampoline_kernelINS0_14default_configENS1_20scan_config_selectorIN3c104HalfEEEZZNS1_9scan_implILNS1_25lookback_scan_determinismE0ELb0ELb0ES3_PKS6_PS6_S6_ZZZN2at6native31launch_logcumsumexp_cuda_kernelERKNSD_10TensorBaseESH_lENKUlvE_clEvENKUlvE3_clEvEUlS6_S6_E_S6_EEDaPvRmT3_T4_T5_mT6_P12ihipStream_tbENKUlT_T0_E_clISt17integral_constantIbLb1EESY_EEDaST_SU_EUlST_E0_NS1_11comp_targetILNS1_3genE5ELNS1_11target_archE942ELNS1_3gpuE9ELNS1_3repE0EEENS1_30default_config_static_selectorELNS0_4arch9wavefront6targetE1EEEvT1_,"axG",@progbits,_ZN7rocprim17ROCPRIM_400000_NS6detail17trampoline_kernelINS0_14default_configENS1_20scan_config_selectorIN3c104HalfEEEZZNS1_9scan_implILNS1_25lookback_scan_determinismE0ELb0ELb0ES3_PKS6_PS6_S6_ZZZN2at6native31launch_logcumsumexp_cuda_kernelERKNSD_10TensorBaseESH_lENKUlvE_clEvENKUlvE3_clEvEUlS6_S6_E_S6_EEDaPvRmT3_T4_T5_mT6_P12ihipStream_tbENKUlT_T0_E_clISt17integral_constantIbLb1EESY_EEDaST_SU_EUlST_E0_NS1_11comp_targetILNS1_3genE5ELNS1_11target_archE942ELNS1_3gpuE9ELNS1_3repE0EEENS1_30default_config_static_selectorELNS0_4arch9wavefront6targetE1EEEvT1_,comdat
	.globl	_ZN7rocprim17ROCPRIM_400000_NS6detail17trampoline_kernelINS0_14default_configENS1_20scan_config_selectorIN3c104HalfEEEZZNS1_9scan_implILNS1_25lookback_scan_determinismE0ELb0ELb0ES3_PKS6_PS6_S6_ZZZN2at6native31launch_logcumsumexp_cuda_kernelERKNSD_10TensorBaseESH_lENKUlvE_clEvENKUlvE3_clEvEUlS6_S6_E_S6_EEDaPvRmT3_T4_T5_mT6_P12ihipStream_tbENKUlT_T0_E_clISt17integral_constantIbLb1EESY_EEDaST_SU_EUlST_E0_NS1_11comp_targetILNS1_3genE5ELNS1_11target_archE942ELNS1_3gpuE9ELNS1_3repE0EEENS1_30default_config_static_selectorELNS0_4arch9wavefront6targetE1EEEvT1_ ; -- Begin function _ZN7rocprim17ROCPRIM_400000_NS6detail17trampoline_kernelINS0_14default_configENS1_20scan_config_selectorIN3c104HalfEEEZZNS1_9scan_implILNS1_25lookback_scan_determinismE0ELb0ELb0ES3_PKS6_PS6_S6_ZZZN2at6native31launch_logcumsumexp_cuda_kernelERKNSD_10TensorBaseESH_lENKUlvE_clEvENKUlvE3_clEvEUlS6_S6_E_S6_EEDaPvRmT3_T4_T5_mT6_P12ihipStream_tbENKUlT_T0_E_clISt17integral_constantIbLb1EESY_EEDaST_SU_EUlST_E0_NS1_11comp_targetILNS1_3genE5ELNS1_11target_archE942ELNS1_3gpuE9ELNS1_3repE0EEENS1_30default_config_static_selectorELNS0_4arch9wavefront6targetE1EEEvT1_
	.p2align	8
	.type	_ZN7rocprim17ROCPRIM_400000_NS6detail17trampoline_kernelINS0_14default_configENS1_20scan_config_selectorIN3c104HalfEEEZZNS1_9scan_implILNS1_25lookback_scan_determinismE0ELb0ELb0ES3_PKS6_PS6_S6_ZZZN2at6native31launch_logcumsumexp_cuda_kernelERKNSD_10TensorBaseESH_lENKUlvE_clEvENKUlvE3_clEvEUlS6_S6_E_S6_EEDaPvRmT3_T4_T5_mT6_P12ihipStream_tbENKUlT_T0_E_clISt17integral_constantIbLb1EESY_EEDaST_SU_EUlST_E0_NS1_11comp_targetILNS1_3genE5ELNS1_11target_archE942ELNS1_3gpuE9ELNS1_3repE0EEENS1_30default_config_static_selectorELNS0_4arch9wavefront6targetE1EEEvT1_,@function
_ZN7rocprim17ROCPRIM_400000_NS6detail17trampoline_kernelINS0_14default_configENS1_20scan_config_selectorIN3c104HalfEEEZZNS1_9scan_implILNS1_25lookback_scan_determinismE0ELb0ELb0ES3_PKS6_PS6_S6_ZZZN2at6native31launch_logcumsumexp_cuda_kernelERKNSD_10TensorBaseESH_lENKUlvE_clEvENKUlvE3_clEvEUlS6_S6_E_S6_EEDaPvRmT3_T4_T5_mT6_P12ihipStream_tbENKUlT_T0_E_clISt17integral_constantIbLb1EESY_EEDaST_SU_EUlST_E0_NS1_11comp_targetILNS1_3genE5ELNS1_11target_archE942ELNS1_3gpuE9ELNS1_3repE0EEENS1_30default_config_static_selectorELNS0_4arch9wavefront6targetE1EEEvT1_: ; @_ZN7rocprim17ROCPRIM_400000_NS6detail17trampoline_kernelINS0_14default_configENS1_20scan_config_selectorIN3c104HalfEEEZZNS1_9scan_implILNS1_25lookback_scan_determinismE0ELb0ELb0ES3_PKS6_PS6_S6_ZZZN2at6native31launch_logcumsumexp_cuda_kernelERKNSD_10TensorBaseESH_lENKUlvE_clEvENKUlvE3_clEvEUlS6_S6_E_S6_EEDaPvRmT3_T4_T5_mT6_P12ihipStream_tbENKUlT_T0_E_clISt17integral_constantIbLb1EESY_EEDaST_SU_EUlST_E0_NS1_11comp_targetILNS1_3genE5ELNS1_11target_archE942ELNS1_3gpuE9ELNS1_3repE0EEENS1_30default_config_static_selectorELNS0_4arch9wavefront6targetE1EEEvT1_
; %bb.0:
	.section	.rodata,"a",@progbits
	.p2align	6, 0x0
	.amdhsa_kernel _ZN7rocprim17ROCPRIM_400000_NS6detail17trampoline_kernelINS0_14default_configENS1_20scan_config_selectorIN3c104HalfEEEZZNS1_9scan_implILNS1_25lookback_scan_determinismE0ELb0ELb0ES3_PKS6_PS6_S6_ZZZN2at6native31launch_logcumsumexp_cuda_kernelERKNSD_10TensorBaseESH_lENKUlvE_clEvENKUlvE3_clEvEUlS6_S6_E_S6_EEDaPvRmT3_T4_T5_mT6_P12ihipStream_tbENKUlT_T0_E_clISt17integral_constantIbLb1EESY_EEDaST_SU_EUlST_E0_NS1_11comp_targetILNS1_3genE5ELNS1_11target_archE942ELNS1_3gpuE9ELNS1_3repE0EEENS1_30default_config_static_selectorELNS0_4arch9wavefront6targetE1EEEvT1_
		.amdhsa_group_segment_fixed_size 0
		.amdhsa_private_segment_fixed_size 0
		.amdhsa_kernarg_size 32
		.amdhsa_user_sgpr_count 6
		.amdhsa_user_sgpr_private_segment_buffer 1
		.amdhsa_user_sgpr_dispatch_ptr 0
		.amdhsa_user_sgpr_queue_ptr 0
		.amdhsa_user_sgpr_kernarg_segment_ptr 1
		.amdhsa_user_sgpr_dispatch_id 0
		.amdhsa_user_sgpr_flat_scratch_init 0
		.amdhsa_user_sgpr_private_segment_size 0
		.amdhsa_uses_dynamic_stack 0
		.amdhsa_system_sgpr_private_segment_wavefront_offset 0
		.amdhsa_system_sgpr_workgroup_id_x 1
		.amdhsa_system_sgpr_workgroup_id_y 0
		.amdhsa_system_sgpr_workgroup_id_z 0
		.amdhsa_system_sgpr_workgroup_info 0
		.amdhsa_system_vgpr_workitem_id 0
		.amdhsa_next_free_vgpr 1
		.amdhsa_next_free_sgpr 0
		.amdhsa_reserve_vcc 0
		.amdhsa_reserve_flat_scratch 0
		.amdhsa_float_round_mode_32 0
		.amdhsa_float_round_mode_16_64 0
		.amdhsa_float_denorm_mode_32 3
		.amdhsa_float_denorm_mode_16_64 3
		.amdhsa_dx10_clamp 1
		.amdhsa_ieee_mode 1
		.amdhsa_fp16_overflow 0
		.amdhsa_exception_fp_ieee_invalid_op 0
		.amdhsa_exception_fp_denorm_src 0
		.amdhsa_exception_fp_ieee_div_zero 0
		.amdhsa_exception_fp_ieee_overflow 0
		.amdhsa_exception_fp_ieee_underflow 0
		.amdhsa_exception_fp_ieee_inexact 0
		.amdhsa_exception_int_div_zero 0
	.end_amdhsa_kernel
	.section	.text._ZN7rocprim17ROCPRIM_400000_NS6detail17trampoline_kernelINS0_14default_configENS1_20scan_config_selectorIN3c104HalfEEEZZNS1_9scan_implILNS1_25lookback_scan_determinismE0ELb0ELb0ES3_PKS6_PS6_S6_ZZZN2at6native31launch_logcumsumexp_cuda_kernelERKNSD_10TensorBaseESH_lENKUlvE_clEvENKUlvE3_clEvEUlS6_S6_E_S6_EEDaPvRmT3_T4_T5_mT6_P12ihipStream_tbENKUlT_T0_E_clISt17integral_constantIbLb1EESY_EEDaST_SU_EUlST_E0_NS1_11comp_targetILNS1_3genE5ELNS1_11target_archE942ELNS1_3gpuE9ELNS1_3repE0EEENS1_30default_config_static_selectorELNS0_4arch9wavefront6targetE1EEEvT1_,"axG",@progbits,_ZN7rocprim17ROCPRIM_400000_NS6detail17trampoline_kernelINS0_14default_configENS1_20scan_config_selectorIN3c104HalfEEEZZNS1_9scan_implILNS1_25lookback_scan_determinismE0ELb0ELb0ES3_PKS6_PS6_S6_ZZZN2at6native31launch_logcumsumexp_cuda_kernelERKNSD_10TensorBaseESH_lENKUlvE_clEvENKUlvE3_clEvEUlS6_S6_E_S6_EEDaPvRmT3_T4_T5_mT6_P12ihipStream_tbENKUlT_T0_E_clISt17integral_constantIbLb1EESY_EEDaST_SU_EUlST_E0_NS1_11comp_targetILNS1_3genE5ELNS1_11target_archE942ELNS1_3gpuE9ELNS1_3repE0EEENS1_30default_config_static_selectorELNS0_4arch9wavefront6targetE1EEEvT1_,comdat
.Lfunc_end388:
	.size	_ZN7rocprim17ROCPRIM_400000_NS6detail17trampoline_kernelINS0_14default_configENS1_20scan_config_selectorIN3c104HalfEEEZZNS1_9scan_implILNS1_25lookback_scan_determinismE0ELb0ELb0ES3_PKS6_PS6_S6_ZZZN2at6native31launch_logcumsumexp_cuda_kernelERKNSD_10TensorBaseESH_lENKUlvE_clEvENKUlvE3_clEvEUlS6_S6_E_S6_EEDaPvRmT3_T4_T5_mT6_P12ihipStream_tbENKUlT_T0_E_clISt17integral_constantIbLb1EESY_EEDaST_SU_EUlST_E0_NS1_11comp_targetILNS1_3genE5ELNS1_11target_archE942ELNS1_3gpuE9ELNS1_3repE0EEENS1_30default_config_static_selectorELNS0_4arch9wavefront6targetE1EEEvT1_, .Lfunc_end388-_ZN7rocprim17ROCPRIM_400000_NS6detail17trampoline_kernelINS0_14default_configENS1_20scan_config_selectorIN3c104HalfEEEZZNS1_9scan_implILNS1_25lookback_scan_determinismE0ELb0ELb0ES3_PKS6_PS6_S6_ZZZN2at6native31launch_logcumsumexp_cuda_kernelERKNSD_10TensorBaseESH_lENKUlvE_clEvENKUlvE3_clEvEUlS6_S6_E_S6_EEDaPvRmT3_T4_T5_mT6_P12ihipStream_tbENKUlT_T0_E_clISt17integral_constantIbLb1EESY_EEDaST_SU_EUlST_E0_NS1_11comp_targetILNS1_3genE5ELNS1_11target_archE942ELNS1_3gpuE9ELNS1_3repE0EEENS1_30default_config_static_selectorELNS0_4arch9wavefront6targetE1EEEvT1_
                                        ; -- End function
	.set _ZN7rocprim17ROCPRIM_400000_NS6detail17trampoline_kernelINS0_14default_configENS1_20scan_config_selectorIN3c104HalfEEEZZNS1_9scan_implILNS1_25lookback_scan_determinismE0ELb0ELb0ES3_PKS6_PS6_S6_ZZZN2at6native31launch_logcumsumexp_cuda_kernelERKNSD_10TensorBaseESH_lENKUlvE_clEvENKUlvE3_clEvEUlS6_S6_E_S6_EEDaPvRmT3_T4_T5_mT6_P12ihipStream_tbENKUlT_T0_E_clISt17integral_constantIbLb1EESY_EEDaST_SU_EUlST_E0_NS1_11comp_targetILNS1_3genE5ELNS1_11target_archE942ELNS1_3gpuE9ELNS1_3repE0EEENS1_30default_config_static_selectorELNS0_4arch9wavefront6targetE1EEEvT1_.num_vgpr, 0
	.set _ZN7rocprim17ROCPRIM_400000_NS6detail17trampoline_kernelINS0_14default_configENS1_20scan_config_selectorIN3c104HalfEEEZZNS1_9scan_implILNS1_25lookback_scan_determinismE0ELb0ELb0ES3_PKS6_PS6_S6_ZZZN2at6native31launch_logcumsumexp_cuda_kernelERKNSD_10TensorBaseESH_lENKUlvE_clEvENKUlvE3_clEvEUlS6_S6_E_S6_EEDaPvRmT3_T4_T5_mT6_P12ihipStream_tbENKUlT_T0_E_clISt17integral_constantIbLb1EESY_EEDaST_SU_EUlST_E0_NS1_11comp_targetILNS1_3genE5ELNS1_11target_archE942ELNS1_3gpuE9ELNS1_3repE0EEENS1_30default_config_static_selectorELNS0_4arch9wavefront6targetE1EEEvT1_.num_agpr, 0
	.set _ZN7rocprim17ROCPRIM_400000_NS6detail17trampoline_kernelINS0_14default_configENS1_20scan_config_selectorIN3c104HalfEEEZZNS1_9scan_implILNS1_25lookback_scan_determinismE0ELb0ELb0ES3_PKS6_PS6_S6_ZZZN2at6native31launch_logcumsumexp_cuda_kernelERKNSD_10TensorBaseESH_lENKUlvE_clEvENKUlvE3_clEvEUlS6_S6_E_S6_EEDaPvRmT3_T4_T5_mT6_P12ihipStream_tbENKUlT_T0_E_clISt17integral_constantIbLb1EESY_EEDaST_SU_EUlST_E0_NS1_11comp_targetILNS1_3genE5ELNS1_11target_archE942ELNS1_3gpuE9ELNS1_3repE0EEENS1_30default_config_static_selectorELNS0_4arch9wavefront6targetE1EEEvT1_.numbered_sgpr, 0
	.set _ZN7rocprim17ROCPRIM_400000_NS6detail17trampoline_kernelINS0_14default_configENS1_20scan_config_selectorIN3c104HalfEEEZZNS1_9scan_implILNS1_25lookback_scan_determinismE0ELb0ELb0ES3_PKS6_PS6_S6_ZZZN2at6native31launch_logcumsumexp_cuda_kernelERKNSD_10TensorBaseESH_lENKUlvE_clEvENKUlvE3_clEvEUlS6_S6_E_S6_EEDaPvRmT3_T4_T5_mT6_P12ihipStream_tbENKUlT_T0_E_clISt17integral_constantIbLb1EESY_EEDaST_SU_EUlST_E0_NS1_11comp_targetILNS1_3genE5ELNS1_11target_archE942ELNS1_3gpuE9ELNS1_3repE0EEENS1_30default_config_static_selectorELNS0_4arch9wavefront6targetE1EEEvT1_.num_named_barrier, 0
	.set _ZN7rocprim17ROCPRIM_400000_NS6detail17trampoline_kernelINS0_14default_configENS1_20scan_config_selectorIN3c104HalfEEEZZNS1_9scan_implILNS1_25lookback_scan_determinismE0ELb0ELb0ES3_PKS6_PS6_S6_ZZZN2at6native31launch_logcumsumexp_cuda_kernelERKNSD_10TensorBaseESH_lENKUlvE_clEvENKUlvE3_clEvEUlS6_S6_E_S6_EEDaPvRmT3_T4_T5_mT6_P12ihipStream_tbENKUlT_T0_E_clISt17integral_constantIbLb1EESY_EEDaST_SU_EUlST_E0_NS1_11comp_targetILNS1_3genE5ELNS1_11target_archE942ELNS1_3gpuE9ELNS1_3repE0EEENS1_30default_config_static_selectorELNS0_4arch9wavefront6targetE1EEEvT1_.private_seg_size, 0
	.set _ZN7rocprim17ROCPRIM_400000_NS6detail17trampoline_kernelINS0_14default_configENS1_20scan_config_selectorIN3c104HalfEEEZZNS1_9scan_implILNS1_25lookback_scan_determinismE0ELb0ELb0ES3_PKS6_PS6_S6_ZZZN2at6native31launch_logcumsumexp_cuda_kernelERKNSD_10TensorBaseESH_lENKUlvE_clEvENKUlvE3_clEvEUlS6_S6_E_S6_EEDaPvRmT3_T4_T5_mT6_P12ihipStream_tbENKUlT_T0_E_clISt17integral_constantIbLb1EESY_EEDaST_SU_EUlST_E0_NS1_11comp_targetILNS1_3genE5ELNS1_11target_archE942ELNS1_3gpuE9ELNS1_3repE0EEENS1_30default_config_static_selectorELNS0_4arch9wavefront6targetE1EEEvT1_.uses_vcc, 0
	.set _ZN7rocprim17ROCPRIM_400000_NS6detail17trampoline_kernelINS0_14default_configENS1_20scan_config_selectorIN3c104HalfEEEZZNS1_9scan_implILNS1_25lookback_scan_determinismE0ELb0ELb0ES3_PKS6_PS6_S6_ZZZN2at6native31launch_logcumsumexp_cuda_kernelERKNSD_10TensorBaseESH_lENKUlvE_clEvENKUlvE3_clEvEUlS6_S6_E_S6_EEDaPvRmT3_T4_T5_mT6_P12ihipStream_tbENKUlT_T0_E_clISt17integral_constantIbLb1EESY_EEDaST_SU_EUlST_E0_NS1_11comp_targetILNS1_3genE5ELNS1_11target_archE942ELNS1_3gpuE9ELNS1_3repE0EEENS1_30default_config_static_selectorELNS0_4arch9wavefront6targetE1EEEvT1_.uses_flat_scratch, 0
	.set _ZN7rocprim17ROCPRIM_400000_NS6detail17trampoline_kernelINS0_14default_configENS1_20scan_config_selectorIN3c104HalfEEEZZNS1_9scan_implILNS1_25lookback_scan_determinismE0ELb0ELb0ES3_PKS6_PS6_S6_ZZZN2at6native31launch_logcumsumexp_cuda_kernelERKNSD_10TensorBaseESH_lENKUlvE_clEvENKUlvE3_clEvEUlS6_S6_E_S6_EEDaPvRmT3_T4_T5_mT6_P12ihipStream_tbENKUlT_T0_E_clISt17integral_constantIbLb1EESY_EEDaST_SU_EUlST_E0_NS1_11comp_targetILNS1_3genE5ELNS1_11target_archE942ELNS1_3gpuE9ELNS1_3repE0EEENS1_30default_config_static_selectorELNS0_4arch9wavefront6targetE1EEEvT1_.has_dyn_sized_stack, 0
	.set _ZN7rocprim17ROCPRIM_400000_NS6detail17trampoline_kernelINS0_14default_configENS1_20scan_config_selectorIN3c104HalfEEEZZNS1_9scan_implILNS1_25lookback_scan_determinismE0ELb0ELb0ES3_PKS6_PS6_S6_ZZZN2at6native31launch_logcumsumexp_cuda_kernelERKNSD_10TensorBaseESH_lENKUlvE_clEvENKUlvE3_clEvEUlS6_S6_E_S6_EEDaPvRmT3_T4_T5_mT6_P12ihipStream_tbENKUlT_T0_E_clISt17integral_constantIbLb1EESY_EEDaST_SU_EUlST_E0_NS1_11comp_targetILNS1_3genE5ELNS1_11target_archE942ELNS1_3gpuE9ELNS1_3repE0EEENS1_30default_config_static_selectorELNS0_4arch9wavefront6targetE1EEEvT1_.has_recursion, 0
	.set _ZN7rocprim17ROCPRIM_400000_NS6detail17trampoline_kernelINS0_14default_configENS1_20scan_config_selectorIN3c104HalfEEEZZNS1_9scan_implILNS1_25lookback_scan_determinismE0ELb0ELb0ES3_PKS6_PS6_S6_ZZZN2at6native31launch_logcumsumexp_cuda_kernelERKNSD_10TensorBaseESH_lENKUlvE_clEvENKUlvE3_clEvEUlS6_S6_E_S6_EEDaPvRmT3_T4_T5_mT6_P12ihipStream_tbENKUlT_T0_E_clISt17integral_constantIbLb1EESY_EEDaST_SU_EUlST_E0_NS1_11comp_targetILNS1_3genE5ELNS1_11target_archE942ELNS1_3gpuE9ELNS1_3repE0EEENS1_30default_config_static_selectorELNS0_4arch9wavefront6targetE1EEEvT1_.has_indirect_call, 0
	.section	.AMDGPU.csdata,"",@progbits
; Kernel info:
; codeLenInByte = 0
; TotalNumSgprs: 4
; NumVgprs: 0
; ScratchSize: 0
; MemoryBound: 0
; FloatMode: 240
; IeeeMode: 1
; LDSByteSize: 0 bytes/workgroup (compile time only)
; SGPRBlocks: 0
; VGPRBlocks: 0
; NumSGPRsForWavesPerEU: 4
; NumVGPRsForWavesPerEU: 1
; Occupancy: 10
; WaveLimiterHint : 0
; COMPUTE_PGM_RSRC2:SCRATCH_EN: 0
; COMPUTE_PGM_RSRC2:USER_SGPR: 6
; COMPUTE_PGM_RSRC2:TRAP_HANDLER: 0
; COMPUTE_PGM_RSRC2:TGID_X_EN: 1
; COMPUTE_PGM_RSRC2:TGID_Y_EN: 0
; COMPUTE_PGM_RSRC2:TGID_Z_EN: 0
; COMPUTE_PGM_RSRC2:TIDIG_COMP_CNT: 0
	.section	.text._ZN7rocprim17ROCPRIM_400000_NS6detail17trampoline_kernelINS0_14default_configENS1_20scan_config_selectorIN3c104HalfEEEZZNS1_9scan_implILNS1_25lookback_scan_determinismE0ELb0ELb0ES3_PKS6_PS6_S6_ZZZN2at6native31launch_logcumsumexp_cuda_kernelERKNSD_10TensorBaseESH_lENKUlvE_clEvENKUlvE3_clEvEUlS6_S6_E_S6_EEDaPvRmT3_T4_T5_mT6_P12ihipStream_tbENKUlT_T0_E_clISt17integral_constantIbLb1EESY_EEDaST_SU_EUlST_E0_NS1_11comp_targetILNS1_3genE4ELNS1_11target_archE910ELNS1_3gpuE8ELNS1_3repE0EEENS1_30default_config_static_selectorELNS0_4arch9wavefront6targetE1EEEvT1_,"axG",@progbits,_ZN7rocprim17ROCPRIM_400000_NS6detail17trampoline_kernelINS0_14default_configENS1_20scan_config_selectorIN3c104HalfEEEZZNS1_9scan_implILNS1_25lookback_scan_determinismE0ELb0ELb0ES3_PKS6_PS6_S6_ZZZN2at6native31launch_logcumsumexp_cuda_kernelERKNSD_10TensorBaseESH_lENKUlvE_clEvENKUlvE3_clEvEUlS6_S6_E_S6_EEDaPvRmT3_T4_T5_mT6_P12ihipStream_tbENKUlT_T0_E_clISt17integral_constantIbLb1EESY_EEDaST_SU_EUlST_E0_NS1_11comp_targetILNS1_3genE4ELNS1_11target_archE910ELNS1_3gpuE8ELNS1_3repE0EEENS1_30default_config_static_selectorELNS0_4arch9wavefront6targetE1EEEvT1_,comdat
	.globl	_ZN7rocprim17ROCPRIM_400000_NS6detail17trampoline_kernelINS0_14default_configENS1_20scan_config_selectorIN3c104HalfEEEZZNS1_9scan_implILNS1_25lookback_scan_determinismE0ELb0ELb0ES3_PKS6_PS6_S6_ZZZN2at6native31launch_logcumsumexp_cuda_kernelERKNSD_10TensorBaseESH_lENKUlvE_clEvENKUlvE3_clEvEUlS6_S6_E_S6_EEDaPvRmT3_T4_T5_mT6_P12ihipStream_tbENKUlT_T0_E_clISt17integral_constantIbLb1EESY_EEDaST_SU_EUlST_E0_NS1_11comp_targetILNS1_3genE4ELNS1_11target_archE910ELNS1_3gpuE8ELNS1_3repE0EEENS1_30default_config_static_selectorELNS0_4arch9wavefront6targetE1EEEvT1_ ; -- Begin function _ZN7rocprim17ROCPRIM_400000_NS6detail17trampoline_kernelINS0_14default_configENS1_20scan_config_selectorIN3c104HalfEEEZZNS1_9scan_implILNS1_25lookback_scan_determinismE0ELb0ELb0ES3_PKS6_PS6_S6_ZZZN2at6native31launch_logcumsumexp_cuda_kernelERKNSD_10TensorBaseESH_lENKUlvE_clEvENKUlvE3_clEvEUlS6_S6_E_S6_EEDaPvRmT3_T4_T5_mT6_P12ihipStream_tbENKUlT_T0_E_clISt17integral_constantIbLb1EESY_EEDaST_SU_EUlST_E0_NS1_11comp_targetILNS1_3genE4ELNS1_11target_archE910ELNS1_3gpuE8ELNS1_3repE0EEENS1_30default_config_static_selectorELNS0_4arch9wavefront6targetE1EEEvT1_
	.p2align	8
	.type	_ZN7rocprim17ROCPRIM_400000_NS6detail17trampoline_kernelINS0_14default_configENS1_20scan_config_selectorIN3c104HalfEEEZZNS1_9scan_implILNS1_25lookback_scan_determinismE0ELb0ELb0ES3_PKS6_PS6_S6_ZZZN2at6native31launch_logcumsumexp_cuda_kernelERKNSD_10TensorBaseESH_lENKUlvE_clEvENKUlvE3_clEvEUlS6_S6_E_S6_EEDaPvRmT3_T4_T5_mT6_P12ihipStream_tbENKUlT_T0_E_clISt17integral_constantIbLb1EESY_EEDaST_SU_EUlST_E0_NS1_11comp_targetILNS1_3genE4ELNS1_11target_archE910ELNS1_3gpuE8ELNS1_3repE0EEENS1_30default_config_static_selectorELNS0_4arch9wavefront6targetE1EEEvT1_,@function
_ZN7rocprim17ROCPRIM_400000_NS6detail17trampoline_kernelINS0_14default_configENS1_20scan_config_selectorIN3c104HalfEEEZZNS1_9scan_implILNS1_25lookback_scan_determinismE0ELb0ELb0ES3_PKS6_PS6_S6_ZZZN2at6native31launch_logcumsumexp_cuda_kernelERKNSD_10TensorBaseESH_lENKUlvE_clEvENKUlvE3_clEvEUlS6_S6_E_S6_EEDaPvRmT3_T4_T5_mT6_P12ihipStream_tbENKUlT_T0_E_clISt17integral_constantIbLb1EESY_EEDaST_SU_EUlST_E0_NS1_11comp_targetILNS1_3genE4ELNS1_11target_archE910ELNS1_3gpuE8ELNS1_3repE0EEENS1_30default_config_static_selectorELNS0_4arch9wavefront6targetE1EEEvT1_: ; @_ZN7rocprim17ROCPRIM_400000_NS6detail17trampoline_kernelINS0_14default_configENS1_20scan_config_selectorIN3c104HalfEEEZZNS1_9scan_implILNS1_25lookback_scan_determinismE0ELb0ELb0ES3_PKS6_PS6_S6_ZZZN2at6native31launch_logcumsumexp_cuda_kernelERKNSD_10TensorBaseESH_lENKUlvE_clEvENKUlvE3_clEvEUlS6_S6_E_S6_EEDaPvRmT3_T4_T5_mT6_P12ihipStream_tbENKUlT_T0_E_clISt17integral_constantIbLb1EESY_EEDaST_SU_EUlST_E0_NS1_11comp_targetILNS1_3genE4ELNS1_11target_archE910ELNS1_3gpuE8ELNS1_3repE0EEENS1_30default_config_static_selectorELNS0_4arch9wavefront6targetE1EEEvT1_
; %bb.0:
	.section	.rodata,"a",@progbits
	.p2align	6, 0x0
	.amdhsa_kernel _ZN7rocprim17ROCPRIM_400000_NS6detail17trampoline_kernelINS0_14default_configENS1_20scan_config_selectorIN3c104HalfEEEZZNS1_9scan_implILNS1_25lookback_scan_determinismE0ELb0ELb0ES3_PKS6_PS6_S6_ZZZN2at6native31launch_logcumsumexp_cuda_kernelERKNSD_10TensorBaseESH_lENKUlvE_clEvENKUlvE3_clEvEUlS6_S6_E_S6_EEDaPvRmT3_T4_T5_mT6_P12ihipStream_tbENKUlT_T0_E_clISt17integral_constantIbLb1EESY_EEDaST_SU_EUlST_E0_NS1_11comp_targetILNS1_3genE4ELNS1_11target_archE910ELNS1_3gpuE8ELNS1_3repE0EEENS1_30default_config_static_selectorELNS0_4arch9wavefront6targetE1EEEvT1_
		.amdhsa_group_segment_fixed_size 0
		.amdhsa_private_segment_fixed_size 0
		.amdhsa_kernarg_size 32
		.amdhsa_user_sgpr_count 6
		.amdhsa_user_sgpr_private_segment_buffer 1
		.amdhsa_user_sgpr_dispatch_ptr 0
		.amdhsa_user_sgpr_queue_ptr 0
		.amdhsa_user_sgpr_kernarg_segment_ptr 1
		.amdhsa_user_sgpr_dispatch_id 0
		.amdhsa_user_sgpr_flat_scratch_init 0
		.amdhsa_user_sgpr_private_segment_size 0
		.amdhsa_uses_dynamic_stack 0
		.amdhsa_system_sgpr_private_segment_wavefront_offset 0
		.amdhsa_system_sgpr_workgroup_id_x 1
		.amdhsa_system_sgpr_workgroup_id_y 0
		.amdhsa_system_sgpr_workgroup_id_z 0
		.amdhsa_system_sgpr_workgroup_info 0
		.amdhsa_system_vgpr_workitem_id 0
		.amdhsa_next_free_vgpr 1
		.amdhsa_next_free_sgpr 0
		.amdhsa_reserve_vcc 0
		.amdhsa_reserve_flat_scratch 0
		.amdhsa_float_round_mode_32 0
		.amdhsa_float_round_mode_16_64 0
		.amdhsa_float_denorm_mode_32 3
		.amdhsa_float_denorm_mode_16_64 3
		.amdhsa_dx10_clamp 1
		.amdhsa_ieee_mode 1
		.amdhsa_fp16_overflow 0
		.amdhsa_exception_fp_ieee_invalid_op 0
		.amdhsa_exception_fp_denorm_src 0
		.amdhsa_exception_fp_ieee_div_zero 0
		.amdhsa_exception_fp_ieee_overflow 0
		.amdhsa_exception_fp_ieee_underflow 0
		.amdhsa_exception_fp_ieee_inexact 0
		.amdhsa_exception_int_div_zero 0
	.end_amdhsa_kernel
	.section	.text._ZN7rocprim17ROCPRIM_400000_NS6detail17trampoline_kernelINS0_14default_configENS1_20scan_config_selectorIN3c104HalfEEEZZNS1_9scan_implILNS1_25lookback_scan_determinismE0ELb0ELb0ES3_PKS6_PS6_S6_ZZZN2at6native31launch_logcumsumexp_cuda_kernelERKNSD_10TensorBaseESH_lENKUlvE_clEvENKUlvE3_clEvEUlS6_S6_E_S6_EEDaPvRmT3_T4_T5_mT6_P12ihipStream_tbENKUlT_T0_E_clISt17integral_constantIbLb1EESY_EEDaST_SU_EUlST_E0_NS1_11comp_targetILNS1_3genE4ELNS1_11target_archE910ELNS1_3gpuE8ELNS1_3repE0EEENS1_30default_config_static_selectorELNS0_4arch9wavefront6targetE1EEEvT1_,"axG",@progbits,_ZN7rocprim17ROCPRIM_400000_NS6detail17trampoline_kernelINS0_14default_configENS1_20scan_config_selectorIN3c104HalfEEEZZNS1_9scan_implILNS1_25lookback_scan_determinismE0ELb0ELb0ES3_PKS6_PS6_S6_ZZZN2at6native31launch_logcumsumexp_cuda_kernelERKNSD_10TensorBaseESH_lENKUlvE_clEvENKUlvE3_clEvEUlS6_S6_E_S6_EEDaPvRmT3_T4_T5_mT6_P12ihipStream_tbENKUlT_T0_E_clISt17integral_constantIbLb1EESY_EEDaST_SU_EUlST_E0_NS1_11comp_targetILNS1_3genE4ELNS1_11target_archE910ELNS1_3gpuE8ELNS1_3repE0EEENS1_30default_config_static_selectorELNS0_4arch9wavefront6targetE1EEEvT1_,comdat
.Lfunc_end389:
	.size	_ZN7rocprim17ROCPRIM_400000_NS6detail17trampoline_kernelINS0_14default_configENS1_20scan_config_selectorIN3c104HalfEEEZZNS1_9scan_implILNS1_25lookback_scan_determinismE0ELb0ELb0ES3_PKS6_PS6_S6_ZZZN2at6native31launch_logcumsumexp_cuda_kernelERKNSD_10TensorBaseESH_lENKUlvE_clEvENKUlvE3_clEvEUlS6_S6_E_S6_EEDaPvRmT3_T4_T5_mT6_P12ihipStream_tbENKUlT_T0_E_clISt17integral_constantIbLb1EESY_EEDaST_SU_EUlST_E0_NS1_11comp_targetILNS1_3genE4ELNS1_11target_archE910ELNS1_3gpuE8ELNS1_3repE0EEENS1_30default_config_static_selectorELNS0_4arch9wavefront6targetE1EEEvT1_, .Lfunc_end389-_ZN7rocprim17ROCPRIM_400000_NS6detail17trampoline_kernelINS0_14default_configENS1_20scan_config_selectorIN3c104HalfEEEZZNS1_9scan_implILNS1_25lookback_scan_determinismE0ELb0ELb0ES3_PKS6_PS6_S6_ZZZN2at6native31launch_logcumsumexp_cuda_kernelERKNSD_10TensorBaseESH_lENKUlvE_clEvENKUlvE3_clEvEUlS6_S6_E_S6_EEDaPvRmT3_T4_T5_mT6_P12ihipStream_tbENKUlT_T0_E_clISt17integral_constantIbLb1EESY_EEDaST_SU_EUlST_E0_NS1_11comp_targetILNS1_3genE4ELNS1_11target_archE910ELNS1_3gpuE8ELNS1_3repE0EEENS1_30default_config_static_selectorELNS0_4arch9wavefront6targetE1EEEvT1_
                                        ; -- End function
	.set _ZN7rocprim17ROCPRIM_400000_NS6detail17trampoline_kernelINS0_14default_configENS1_20scan_config_selectorIN3c104HalfEEEZZNS1_9scan_implILNS1_25lookback_scan_determinismE0ELb0ELb0ES3_PKS6_PS6_S6_ZZZN2at6native31launch_logcumsumexp_cuda_kernelERKNSD_10TensorBaseESH_lENKUlvE_clEvENKUlvE3_clEvEUlS6_S6_E_S6_EEDaPvRmT3_T4_T5_mT6_P12ihipStream_tbENKUlT_T0_E_clISt17integral_constantIbLb1EESY_EEDaST_SU_EUlST_E0_NS1_11comp_targetILNS1_3genE4ELNS1_11target_archE910ELNS1_3gpuE8ELNS1_3repE0EEENS1_30default_config_static_selectorELNS0_4arch9wavefront6targetE1EEEvT1_.num_vgpr, 0
	.set _ZN7rocprim17ROCPRIM_400000_NS6detail17trampoline_kernelINS0_14default_configENS1_20scan_config_selectorIN3c104HalfEEEZZNS1_9scan_implILNS1_25lookback_scan_determinismE0ELb0ELb0ES3_PKS6_PS6_S6_ZZZN2at6native31launch_logcumsumexp_cuda_kernelERKNSD_10TensorBaseESH_lENKUlvE_clEvENKUlvE3_clEvEUlS6_S6_E_S6_EEDaPvRmT3_T4_T5_mT6_P12ihipStream_tbENKUlT_T0_E_clISt17integral_constantIbLb1EESY_EEDaST_SU_EUlST_E0_NS1_11comp_targetILNS1_3genE4ELNS1_11target_archE910ELNS1_3gpuE8ELNS1_3repE0EEENS1_30default_config_static_selectorELNS0_4arch9wavefront6targetE1EEEvT1_.num_agpr, 0
	.set _ZN7rocprim17ROCPRIM_400000_NS6detail17trampoline_kernelINS0_14default_configENS1_20scan_config_selectorIN3c104HalfEEEZZNS1_9scan_implILNS1_25lookback_scan_determinismE0ELb0ELb0ES3_PKS6_PS6_S6_ZZZN2at6native31launch_logcumsumexp_cuda_kernelERKNSD_10TensorBaseESH_lENKUlvE_clEvENKUlvE3_clEvEUlS6_S6_E_S6_EEDaPvRmT3_T4_T5_mT6_P12ihipStream_tbENKUlT_T0_E_clISt17integral_constantIbLb1EESY_EEDaST_SU_EUlST_E0_NS1_11comp_targetILNS1_3genE4ELNS1_11target_archE910ELNS1_3gpuE8ELNS1_3repE0EEENS1_30default_config_static_selectorELNS0_4arch9wavefront6targetE1EEEvT1_.numbered_sgpr, 0
	.set _ZN7rocprim17ROCPRIM_400000_NS6detail17trampoline_kernelINS0_14default_configENS1_20scan_config_selectorIN3c104HalfEEEZZNS1_9scan_implILNS1_25lookback_scan_determinismE0ELb0ELb0ES3_PKS6_PS6_S6_ZZZN2at6native31launch_logcumsumexp_cuda_kernelERKNSD_10TensorBaseESH_lENKUlvE_clEvENKUlvE3_clEvEUlS6_S6_E_S6_EEDaPvRmT3_T4_T5_mT6_P12ihipStream_tbENKUlT_T0_E_clISt17integral_constantIbLb1EESY_EEDaST_SU_EUlST_E0_NS1_11comp_targetILNS1_3genE4ELNS1_11target_archE910ELNS1_3gpuE8ELNS1_3repE0EEENS1_30default_config_static_selectorELNS0_4arch9wavefront6targetE1EEEvT1_.num_named_barrier, 0
	.set _ZN7rocprim17ROCPRIM_400000_NS6detail17trampoline_kernelINS0_14default_configENS1_20scan_config_selectorIN3c104HalfEEEZZNS1_9scan_implILNS1_25lookback_scan_determinismE0ELb0ELb0ES3_PKS6_PS6_S6_ZZZN2at6native31launch_logcumsumexp_cuda_kernelERKNSD_10TensorBaseESH_lENKUlvE_clEvENKUlvE3_clEvEUlS6_S6_E_S6_EEDaPvRmT3_T4_T5_mT6_P12ihipStream_tbENKUlT_T0_E_clISt17integral_constantIbLb1EESY_EEDaST_SU_EUlST_E0_NS1_11comp_targetILNS1_3genE4ELNS1_11target_archE910ELNS1_3gpuE8ELNS1_3repE0EEENS1_30default_config_static_selectorELNS0_4arch9wavefront6targetE1EEEvT1_.private_seg_size, 0
	.set _ZN7rocprim17ROCPRIM_400000_NS6detail17trampoline_kernelINS0_14default_configENS1_20scan_config_selectorIN3c104HalfEEEZZNS1_9scan_implILNS1_25lookback_scan_determinismE0ELb0ELb0ES3_PKS6_PS6_S6_ZZZN2at6native31launch_logcumsumexp_cuda_kernelERKNSD_10TensorBaseESH_lENKUlvE_clEvENKUlvE3_clEvEUlS6_S6_E_S6_EEDaPvRmT3_T4_T5_mT6_P12ihipStream_tbENKUlT_T0_E_clISt17integral_constantIbLb1EESY_EEDaST_SU_EUlST_E0_NS1_11comp_targetILNS1_3genE4ELNS1_11target_archE910ELNS1_3gpuE8ELNS1_3repE0EEENS1_30default_config_static_selectorELNS0_4arch9wavefront6targetE1EEEvT1_.uses_vcc, 0
	.set _ZN7rocprim17ROCPRIM_400000_NS6detail17trampoline_kernelINS0_14default_configENS1_20scan_config_selectorIN3c104HalfEEEZZNS1_9scan_implILNS1_25lookback_scan_determinismE0ELb0ELb0ES3_PKS6_PS6_S6_ZZZN2at6native31launch_logcumsumexp_cuda_kernelERKNSD_10TensorBaseESH_lENKUlvE_clEvENKUlvE3_clEvEUlS6_S6_E_S6_EEDaPvRmT3_T4_T5_mT6_P12ihipStream_tbENKUlT_T0_E_clISt17integral_constantIbLb1EESY_EEDaST_SU_EUlST_E0_NS1_11comp_targetILNS1_3genE4ELNS1_11target_archE910ELNS1_3gpuE8ELNS1_3repE0EEENS1_30default_config_static_selectorELNS0_4arch9wavefront6targetE1EEEvT1_.uses_flat_scratch, 0
	.set _ZN7rocprim17ROCPRIM_400000_NS6detail17trampoline_kernelINS0_14default_configENS1_20scan_config_selectorIN3c104HalfEEEZZNS1_9scan_implILNS1_25lookback_scan_determinismE0ELb0ELb0ES3_PKS6_PS6_S6_ZZZN2at6native31launch_logcumsumexp_cuda_kernelERKNSD_10TensorBaseESH_lENKUlvE_clEvENKUlvE3_clEvEUlS6_S6_E_S6_EEDaPvRmT3_T4_T5_mT6_P12ihipStream_tbENKUlT_T0_E_clISt17integral_constantIbLb1EESY_EEDaST_SU_EUlST_E0_NS1_11comp_targetILNS1_3genE4ELNS1_11target_archE910ELNS1_3gpuE8ELNS1_3repE0EEENS1_30default_config_static_selectorELNS0_4arch9wavefront6targetE1EEEvT1_.has_dyn_sized_stack, 0
	.set _ZN7rocprim17ROCPRIM_400000_NS6detail17trampoline_kernelINS0_14default_configENS1_20scan_config_selectorIN3c104HalfEEEZZNS1_9scan_implILNS1_25lookback_scan_determinismE0ELb0ELb0ES3_PKS6_PS6_S6_ZZZN2at6native31launch_logcumsumexp_cuda_kernelERKNSD_10TensorBaseESH_lENKUlvE_clEvENKUlvE3_clEvEUlS6_S6_E_S6_EEDaPvRmT3_T4_T5_mT6_P12ihipStream_tbENKUlT_T0_E_clISt17integral_constantIbLb1EESY_EEDaST_SU_EUlST_E0_NS1_11comp_targetILNS1_3genE4ELNS1_11target_archE910ELNS1_3gpuE8ELNS1_3repE0EEENS1_30default_config_static_selectorELNS0_4arch9wavefront6targetE1EEEvT1_.has_recursion, 0
	.set _ZN7rocprim17ROCPRIM_400000_NS6detail17trampoline_kernelINS0_14default_configENS1_20scan_config_selectorIN3c104HalfEEEZZNS1_9scan_implILNS1_25lookback_scan_determinismE0ELb0ELb0ES3_PKS6_PS6_S6_ZZZN2at6native31launch_logcumsumexp_cuda_kernelERKNSD_10TensorBaseESH_lENKUlvE_clEvENKUlvE3_clEvEUlS6_S6_E_S6_EEDaPvRmT3_T4_T5_mT6_P12ihipStream_tbENKUlT_T0_E_clISt17integral_constantIbLb1EESY_EEDaST_SU_EUlST_E0_NS1_11comp_targetILNS1_3genE4ELNS1_11target_archE910ELNS1_3gpuE8ELNS1_3repE0EEENS1_30default_config_static_selectorELNS0_4arch9wavefront6targetE1EEEvT1_.has_indirect_call, 0
	.section	.AMDGPU.csdata,"",@progbits
; Kernel info:
; codeLenInByte = 0
; TotalNumSgprs: 4
; NumVgprs: 0
; ScratchSize: 0
; MemoryBound: 0
; FloatMode: 240
; IeeeMode: 1
; LDSByteSize: 0 bytes/workgroup (compile time only)
; SGPRBlocks: 0
; VGPRBlocks: 0
; NumSGPRsForWavesPerEU: 4
; NumVGPRsForWavesPerEU: 1
; Occupancy: 10
; WaveLimiterHint : 0
; COMPUTE_PGM_RSRC2:SCRATCH_EN: 0
; COMPUTE_PGM_RSRC2:USER_SGPR: 6
; COMPUTE_PGM_RSRC2:TRAP_HANDLER: 0
; COMPUTE_PGM_RSRC2:TGID_X_EN: 1
; COMPUTE_PGM_RSRC2:TGID_Y_EN: 0
; COMPUTE_PGM_RSRC2:TGID_Z_EN: 0
; COMPUTE_PGM_RSRC2:TIDIG_COMP_CNT: 0
	.section	.text._ZN7rocprim17ROCPRIM_400000_NS6detail17trampoline_kernelINS0_14default_configENS1_20scan_config_selectorIN3c104HalfEEEZZNS1_9scan_implILNS1_25lookback_scan_determinismE0ELb0ELb0ES3_PKS6_PS6_S6_ZZZN2at6native31launch_logcumsumexp_cuda_kernelERKNSD_10TensorBaseESH_lENKUlvE_clEvENKUlvE3_clEvEUlS6_S6_E_S6_EEDaPvRmT3_T4_T5_mT6_P12ihipStream_tbENKUlT_T0_E_clISt17integral_constantIbLb1EESY_EEDaST_SU_EUlST_E0_NS1_11comp_targetILNS1_3genE3ELNS1_11target_archE908ELNS1_3gpuE7ELNS1_3repE0EEENS1_30default_config_static_selectorELNS0_4arch9wavefront6targetE1EEEvT1_,"axG",@progbits,_ZN7rocprim17ROCPRIM_400000_NS6detail17trampoline_kernelINS0_14default_configENS1_20scan_config_selectorIN3c104HalfEEEZZNS1_9scan_implILNS1_25lookback_scan_determinismE0ELb0ELb0ES3_PKS6_PS6_S6_ZZZN2at6native31launch_logcumsumexp_cuda_kernelERKNSD_10TensorBaseESH_lENKUlvE_clEvENKUlvE3_clEvEUlS6_S6_E_S6_EEDaPvRmT3_T4_T5_mT6_P12ihipStream_tbENKUlT_T0_E_clISt17integral_constantIbLb1EESY_EEDaST_SU_EUlST_E0_NS1_11comp_targetILNS1_3genE3ELNS1_11target_archE908ELNS1_3gpuE7ELNS1_3repE0EEENS1_30default_config_static_selectorELNS0_4arch9wavefront6targetE1EEEvT1_,comdat
	.globl	_ZN7rocprim17ROCPRIM_400000_NS6detail17trampoline_kernelINS0_14default_configENS1_20scan_config_selectorIN3c104HalfEEEZZNS1_9scan_implILNS1_25lookback_scan_determinismE0ELb0ELb0ES3_PKS6_PS6_S6_ZZZN2at6native31launch_logcumsumexp_cuda_kernelERKNSD_10TensorBaseESH_lENKUlvE_clEvENKUlvE3_clEvEUlS6_S6_E_S6_EEDaPvRmT3_T4_T5_mT6_P12ihipStream_tbENKUlT_T0_E_clISt17integral_constantIbLb1EESY_EEDaST_SU_EUlST_E0_NS1_11comp_targetILNS1_3genE3ELNS1_11target_archE908ELNS1_3gpuE7ELNS1_3repE0EEENS1_30default_config_static_selectorELNS0_4arch9wavefront6targetE1EEEvT1_ ; -- Begin function _ZN7rocprim17ROCPRIM_400000_NS6detail17trampoline_kernelINS0_14default_configENS1_20scan_config_selectorIN3c104HalfEEEZZNS1_9scan_implILNS1_25lookback_scan_determinismE0ELb0ELb0ES3_PKS6_PS6_S6_ZZZN2at6native31launch_logcumsumexp_cuda_kernelERKNSD_10TensorBaseESH_lENKUlvE_clEvENKUlvE3_clEvEUlS6_S6_E_S6_EEDaPvRmT3_T4_T5_mT6_P12ihipStream_tbENKUlT_T0_E_clISt17integral_constantIbLb1EESY_EEDaST_SU_EUlST_E0_NS1_11comp_targetILNS1_3genE3ELNS1_11target_archE908ELNS1_3gpuE7ELNS1_3repE0EEENS1_30default_config_static_selectorELNS0_4arch9wavefront6targetE1EEEvT1_
	.p2align	8
	.type	_ZN7rocprim17ROCPRIM_400000_NS6detail17trampoline_kernelINS0_14default_configENS1_20scan_config_selectorIN3c104HalfEEEZZNS1_9scan_implILNS1_25lookback_scan_determinismE0ELb0ELb0ES3_PKS6_PS6_S6_ZZZN2at6native31launch_logcumsumexp_cuda_kernelERKNSD_10TensorBaseESH_lENKUlvE_clEvENKUlvE3_clEvEUlS6_S6_E_S6_EEDaPvRmT3_T4_T5_mT6_P12ihipStream_tbENKUlT_T0_E_clISt17integral_constantIbLb1EESY_EEDaST_SU_EUlST_E0_NS1_11comp_targetILNS1_3genE3ELNS1_11target_archE908ELNS1_3gpuE7ELNS1_3repE0EEENS1_30default_config_static_selectorELNS0_4arch9wavefront6targetE1EEEvT1_,@function
_ZN7rocprim17ROCPRIM_400000_NS6detail17trampoline_kernelINS0_14default_configENS1_20scan_config_selectorIN3c104HalfEEEZZNS1_9scan_implILNS1_25lookback_scan_determinismE0ELb0ELb0ES3_PKS6_PS6_S6_ZZZN2at6native31launch_logcumsumexp_cuda_kernelERKNSD_10TensorBaseESH_lENKUlvE_clEvENKUlvE3_clEvEUlS6_S6_E_S6_EEDaPvRmT3_T4_T5_mT6_P12ihipStream_tbENKUlT_T0_E_clISt17integral_constantIbLb1EESY_EEDaST_SU_EUlST_E0_NS1_11comp_targetILNS1_3genE3ELNS1_11target_archE908ELNS1_3gpuE7ELNS1_3repE0EEENS1_30default_config_static_selectorELNS0_4arch9wavefront6targetE1EEEvT1_: ; @_ZN7rocprim17ROCPRIM_400000_NS6detail17trampoline_kernelINS0_14default_configENS1_20scan_config_selectorIN3c104HalfEEEZZNS1_9scan_implILNS1_25lookback_scan_determinismE0ELb0ELb0ES3_PKS6_PS6_S6_ZZZN2at6native31launch_logcumsumexp_cuda_kernelERKNSD_10TensorBaseESH_lENKUlvE_clEvENKUlvE3_clEvEUlS6_S6_E_S6_EEDaPvRmT3_T4_T5_mT6_P12ihipStream_tbENKUlT_T0_E_clISt17integral_constantIbLb1EESY_EEDaST_SU_EUlST_E0_NS1_11comp_targetILNS1_3genE3ELNS1_11target_archE908ELNS1_3gpuE7ELNS1_3repE0EEENS1_30default_config_static_selectorELNS0_4arch9wavefront6targetE1EEEvT1_
; %bb.0:
	.section	.rodata,"a",@progbits
	.p2align	6, 0x0
	.amdhsa_kernel _ZN7rocprim17ROCPRIM_400000_NS6detail17trampoline_kernelINS0_14default_configENS1_20scan_config_selectorIN3c104HalfEEEZZNS1_9scan_implILNS1_25lookback_scan_determinismE0ELb0ELb0ES3_PKS6_PS6_S6_ZZZN2at6native31launch_logcumsumexp_cuda_kernelERKNSD_10TensorBaseESH_lENKUlvE_clEvENKUlvE3_clEvEUlS6_S6_E_S6_EEDaPvRmT3_T4_T5_mT6_P12ihipStream_tbENKUlT_T0_E_clISt17integral_constantIbLb1EESY_EEDaST_SU_EUlST_E0_NS1_11comp_targetILNS1_3genE3ELNS1_11target_archE908ELNS1_3gpuE7ELNS1_3repE0EEENS1_30default_config_static_selectorELNS0_4arch9wavefront6targetE1EEEvT1_
		.amdhsa_group_segment_fixed_size 0
		.amdhsa_private_segment_fixed_size 0
		.amdhsa_kernarg_size 32
		.amdhsa_user_sgpr_count 6
		.amdhsa_user_sgpr_private_segment_buffer 1
		.amdhsa_user_sgpr_dispatch_ptr 0
		.amdhsa_user_sgpr_queue_ptr 0
		.amdhsa_user_sgpr_kernarg_segment_ptr 1
		.amdhsa_user_sgpr_dispatch_id 0
		.amdhsa_user_sgpr_flat_scratch_init 0
		.amdhsa_user_sgpr_private_segment_size 0
		.amdhsa_uses_dynamic_stack 0
		.amdhsa_system_sgpr_private_segment_wavefront_offset 0
		.amdhsa_system_sgpr_workgroup_id_x 1
		.amdhsa_system_sgpr_workgroup_id_y 0
		.amdhsa_system_sgpr_workgroup_id_z 0
		.amdhsa_system_sgpr_workgroup_info 0
		.amdhsa_system_vgpr_workitem_id 0
		.amdhsa_next_free_vgpr 1
		.amdhsa_next_free_sgpr 0
		.amdhsa_reserve_vcc 0
		.amdhsa_reserve_flat_scratch 0
		.amdhsa_float_round_mode_32 0
		.amdhsa_float_round_mode_16_64 0
		.amdhsa_float_denorm_mode_32 3
		.amdhsa_float_denorm_mode_16_64 3
		.amdhsa_dx10_clamp 1
		.amdhsa_ieee_mode 1
		.amdhsa_fp16_overflow 0
		.amdhsa_exception_fp_ieee_invalid_op 0
		.amdhsa_exception_fp_denorm_src 0
		.amdhsa_exception_fp_ieee_div_zero 0
		.amdhsa_exception_fp_ieee_overflow 0
		.amdhsa_exception_fp_ieee_underflow 0
		.amdhsa_exception_fp_ieee_inexact 0
		.amdhsa_exception_int_div_zero 0
	.end_amdhsa_kernel
	.section	.text._ZN7rocprim17ROCPRIM_400000_NS6detail17trampoline_kernelINS0_14default_configENS1_20scan_config_selectorIN3c104HalfEEEZZNS1_9scan_implILNS1_25lookback_scan_determinismE0ELb0ELb0ES3_PKS6_PS6_S6_ZZZN2at6native31launch_logcumsumexp_cuda_kernelERKNSD_10TensorBaseESH_lENKUlvE_clEvENKUlvE3_clEvEUlS6_S6_E_S6_EEDaPvRmT3_T4_T5_mT6_P12ihipStream_tbENKUlT_T0_E_clISt17integral_constantIbLb1EESY_EEDaST_SU_EUlST_E0_NS1_11comp_targetILNS1_3genE3ELNS1_11target_archE908ELNS1_3gpuE7ELNS1_3repE0EEENS1_30default_config_static_selectorELNS0_4arch9wavefront6targetE1EEEvT1_,"axG",@progbits,_ZN7rocprim17ROCPRIM_400000_NS6detail17trampoline_kernelINS0_14default_configENS1_20scan_config_selectorIN3c104HalfEEEZZNS1_9scan_implILNS1_25lookback_scan_determinismE0ELb0ELb0ES3_PKS6_PS6_S6_ZZZN2at6native31launch_logcumsumexp_cuda_kernelERKNSD_10TensorBaseESH_lENKUlvE_clEvENKUlvE3_clEvEUlS6_S6_E_S6_EEDaPvRmT3_T4_T5_mT6_P12ihipStream_tbENKUlT_T0_E_clISt17integral_constantIbLb1EESY_EEDaST_SU_EUlST_E0_NS1_11comp_targetILNS1_3genE3ELNS1_11target_archE908ELNS1_3gpuE7ELNS1_3repE0EEENS1_30default_config_static_selectorELNS0_4arch9wavefront6targetE1EEEvT1_,comdat
.Lfunc_end390:
	.size	_ZN7rocprim17ROCPRIM_400000_NS6detail17trampoline_kernelINS0_14default_configENS1_20scan_config_selectorIN3c104HalfEEEZZNS1_9scan_implILNS1_25lookback_scan_determinismE0ELb0ELb0ES3_PKS6_PS6_S6_ZZZN2at6native31launch_logcumsumexp_cuda_kernelERKNSD_10TensorBaseESH_lENKUlvE_clEvENKUlvE3_clEvEUlS6_S6_E_S6_EEDaPvRmT3_T4_T5_mT6_P12ihipStream_tbENKUlT_T0_E_clISt17integral_constantIbLb1EESY_EEDaST_SU_EUlST_E0_NS1_11comp_targetILNS1_3genE3ELNS1_11target_archE908ELNS1_3gpuE7ELNS1_3repE0EEENS1_30default_config_static_selectorELNS0_4arch9wavefront6targetE1EEEvT1_, .Lfunc_end390-_ZN7rocprim17ROCPRIM_400000_NS6detail17trampoline_kernelINS0_14default_configENS1_20scan_config_selectorIN3c104HalfEEEZZNS1_9scan_implILNS1_25lookback_scan_determinismE0ELb0ELb0ES3_PKS6_PS6_S6_ZZZN2at6native31launch_logcumsumexp_cuda_kernelERKNSD_10TensorBaseESH_lENKUlvE_clEvENKUlvE3_clEvEUlS6_S6_E_S6_EEDaPvRmT3_T4_T5_mT6_P12ihipStream_tbENKUlT_T0_E_clISt17integral_constantIbLb1EESY_EEDaST_SU_EUlST_E0_NS1_11comp_targetILNS1_3genE3ELNS1_11target_archE908ELNS1_3gpuE7ELNS1_3repE0EEENS1_30default_config_static_selectorELNS0_4arch9wavefront6targetE1EEEvT1_
                                        ; -- End function
	.set _ZN7rocprim17ROCPRIM_400000_NS6detail17trampoline_kernelINS0_14default_configENS1_20scan_config_selectorIN3c104HalfEEEZZNS1_9scan_implILNS1_25lookback_scan_determinismE0ELb0ELb0ES3_PKS6_PS6_S6_ZZZN2at6native31launch_logcumsumexp_cuda_kernelERKNSD_10TensorBaseESH_lENKUlvE_clEvENKUlvE3_clEvEUlS6_S6_E_S6_EEDaPvRmT3_T4_T5_mT6_P12ihipStream_tbENKUlT_T0_E_clISt17integral_constantIbLb1EESY_EEDaST_SU_EUlST_E0_NS1_11comp_targetILNS1_3genE3ELNS1_11target_archE908ELNS1_3gpuE7ELNS1_3repE0EEENS1_30default_config_static_selectorELNS0_4arch9wavefront6targetE1EEEvT1_.num_vgpr, 0
	.set _ZN7rocprim17ROCPRIM_400000_NS6detail17trampoline_kernelINS0_14default_configENS1_20scan_config_selectorIN3c104HalfEEEZZNS1_9scan_implILNS1_25lookback_scan_determinismE0ELb0ELb0ES3_PKS6_PS6_S6_ZZZN2at6native31launch_logcumsumexp_cuda_kernelERKNSD_10TensorBaseESH_lENKUlvE_clEvENKUlvE3_clEvEUlS6_S6_E_S6_EEDaPvRmT3_T4_T5_mT6_P12ihipStream_tbENKUlT_T0_E_clISt17integral_constantIbLb1EESY_EEDaST_SU_EUlST_E0_NS1_11comp_targetILNS1_3genE3ELNS1_11target_archE908ELNS1_3gpuE7ELNS1_3repE0EEENS1_30default_config_static_selectorELNS0_4arch9wavefront6targetE1EEEvT1_.num_agpr, 0
	.set _ZN7rocprim17ROCPRIM_400000_NS6detail17trampoline_kernelINS0_14default_configENS1_20scan_config_selectorIN3c104HalfEEEZZNS1_9scan_implILNS1_25lookback_scan_determinismE0ELb0ELb0ES3_PKS6_PS6_S6_ZZZN2at6native31launch_logcumsumexp_cuda_kernelERKNSD_10TensorBaseESH_lENKUlvE_clEvENKUlvE3_clEvEUlS6_S6_E_S6_EEDaPvRmT3_T4_T5_mT6_P12ihipStream_tbENKUlT_T0_E_clISt17integral_constantIbLb1EESY_EEDaST_SU_EUlST_E0_NS1_11comp_targetILNS1_3genE3ELNS1_11target_archE908ELNS1_3gpuE7ELNS1_3repE0EEENS1_30default_config_static_selectorELNS0_4arch9wavefront6targetE1EEEvT1_.numbered_sgpr, 0
	.set _ZN7rocprim17ROCPRIM_400000_NS6detail17trampoline_kernelINS0_14default_configENS1_20scan_config_selectorIN3c104HalfEEEZZNS1_9scan_implILNS1_25lookback_scan_determinismE0ELb0ELb0ES3_PKS6_PS6_S6_ZZZN2at6native31launch_logcumsumexp_cuda_kernelERKNSD_10TensorBaseESH_lENKUlvE_clEvENKUlvE3_clEvEUlS6_S6_E_S6_EEDaPvRmT3_T4_T5_mT6_P12ihipStream_tbENKUlT_T0_E_clISt17integral_constantIbLb1EESY_EEDaST_SU_EUlST_E0_NS1_11comp_targetILNS1_3genE3ELNS1_11target_archE908ELNS1_3gpuE7ELNS1_3repE0EEENS1_30default_config_static_selectorELNS0_4arch9wavefront6targetE1EEEvT1_.num_named_barrier, 0
	.set _ZN7rocprim17ROCPRIM_400000_NS6detail17trampoline_kernelINS0_14default_configENS1_20scan_config_selectorIN3c104HalfEEEZZNS1_9scan_implILNS1_25lookback_scan_determinismE0ELb0ELb0ES3_PKS6_PS6_S6_ZZZN2at6native31launch_logcumsumexp_cuda_kernelERKNSD_10TensorBaseESH_lENKUlvE_clEvENKUlvE3_clEvEUlS6_S6_E_S6_EEDaPvRmT3_T4_T5_mT6_P12ihipStream_tbENKUlT_T0_E_clISt17integral_constantIbLb1EESY_EEDaST_SU_EUlST_E0_NS1_11comp_targetILNS1_3genE3ELNS1_11target_archE908ELNS1_3gpuE7ELNS1_3repE0EEENS1_30default_config_static_selectorELNS0_4arch9wavefront6targetE1EEEvT1_.private_seg_size, 0
	.set _ZN7rocprim17ROCPRIM_400000_NS6detail17trampoline_kernelINS0_14default_configENS1_20scan_config_selectorIN3c104HalfEEEZZNS1_9scan_implILNS1_25lookback_scan_determinismE0ELb0ELb0ES3_PKS6_PS6_S6_ZZZN2at6native31launch_logcumsumexp_cuda_kernelERKNSD_10TensorBaseESH_lENKUlvE_clEvENKUlvE3_clEvEUlS6_S6_E_S6_EEDaPvRmT3_T4_T5_mT6_P12ihipStream_tbENKUlT_T0_E_clISt17integral_constantIbLb1EESY_EEDaST_SU_EUlST_E0_NS1_11comp_targetILNS1_3genE3ELNS1_11target_archE908ELNS1_3gpuE7ELNS1_3repE0EEENS1_30default_config_static_selectorELNS0_4arch9wavefront6targetE1EEEvT1_.uses_vcc, 0
	.set _ZN7rocprim17ROCPRIM_400000_NS6detail17trampoline_kernelINS0_14default_configENS1_20scan_config_selectorIN3c104HalfEEEZZNS1_9scan_implILNS1_25lookback_scan_determinismE0ELb0ELb0ES3_PKS6_PS6_S6_ZZZN2at6native31launch_logcumsumexp_cuda_kernelERKNSD_10TensorBaseESH_lENKUlvE_clEvENKUlvE3_clEvEUlS6_S6_E_S6_EEDaPvRmT3_T4_T5_mT6_P12ihipStream_tbENKUlT_T0_E_clISt17integral_constantIbLb1EESY_EEDaST_SU_EUlST_E0_NS1_11comp_targetILNS1_3genE3ELNS1_11target_archE908ELNS1_3gpuE7ELNS1_3repE0EEENS1_30default_config_static_selectorELNS0_4arch9wavefront6targetE1EEEvT1_.uses_flat_scratch, 0
	.set _ZN7rocprim17ROCPRIM_400000_NS6detail17trampoline_kernelINS0_14default_configENS1_20scan_config_selectorIN3c104HalfEEEZZNS1_9scan_implILNS1_25lookback_scan_determinismE0ELb0ELb0ES3_PKS6_PS6_S6_ZZZN2at6native31launch_logcumsumexp_cuda_kernelERKNSD_10TensorBaseESH_lENKUlvE_clEvENKUlvE3_clEvEUlS6_S6_E_S6_EEDaPvRmT3_T4_T5_mT6_P12ihipStream_tbENKUlT_T0_E_clISt17integral_constantIbLb1EESY_EEDaST_SU_EUlST_E0_NS1_11comp_targetILNS1_3genE3ELNS1_11target_archE908ELNS1_3gpuE7ELNS1_3repE0EEENS1_30default_config_static_selectorELNS0_4arch9wavefront6targetE1EEEvT1_.has_dyn_sized_stack, 0
	.set _ZN7rocprim17ROCPRIM_400000_NS6detail17trampoline_kernelINS0_14default_configENS1_20scan_config_selectorIN3c104HalfEEEZZNS1_9scan_implILNS1_25lookback_scan_determinismE0ELb0ELb0ES3_PKS6_PS6_S6_ZZZN2at6native31launch_logcumsumexp_cuda_kernelERKNSD_10TensorBaseESH_lENKUlvE_clEvENKUlvE3_clEvEUlS6_S6_E_S6_EEDaPvRmT3_T4_T5_mT6_P12ihipStream_tbENKUlT_T0_E_clISt17integral_constantIbLb1EESY_EEDaST_SU_EUlST_E0_NS1_11comp_targetILNS1_3genE3ELNS1_11target_archE908ELNS1_3gpuE7ELNS1_3repE0EEENS1_30default_config_static_selectorELNS0_4arch9wavefront6targetE1EEEvT1_.has_recursion, 0
	.set _ZN7rocprim17ROCPRIM_400000_NS6detail17trampoline_kernelINS0_14default_configENS1_20scan_config_selectorIN3c104HalfEEEZZNS1_9scan_implILNS1_25lookback_scan_determinismE0ELb0ELb0ES3_PKS6_PS6_S6_ZZZN2at6native31launch_logcumsumexp_cuda_kernelERKNSD_10TensorBaseESH_lENKUlvE_clEvENKUlvE3_clEvEUlS6_S6_E_S6_EEDaPvRmT3_T4_T5_mT6_P12ihipStream_tbENKUlT_T0_E_clISt17integral_constantIbLb1EESY_EEDaST_SU_EUlST_E0_NS1_11comp_targetILNS1_3genE3ELNS1_11target_archE908ELNS1_3gpuE7ELNS1_3repE0EEENS1_30default_config_static_selectorELNS0_4arch9wavefront6targetE1EEEvT1_.has_indirect_call, 0
	.section	.AMDGPU.csdata,"",@progbits
; Kernel info:
; codeLenInByte = 0
; TotalNumSgprs: 4
; NumVgprs: 0
; ScratchSize: 0
; MemoryBound: 0
; FloatMode: 240
; IeeeMode: 1
; LDSByteSize: 0 bytes/workgroup (compile time only)
; SGPRBlocks: 0
; VGPRBlocks: 0
; NumSGPRsForWavesPerEU: 4
; NumVGPRsForWavesPerEU: 1
; Occupancy: 10
; WaveLimiterHint : 0
; COMPUTE_PGM_RSRC2:SCRATCH_EN: 0
; COMPUTE_PGM_RSRC2:USER_SGPR: 6
; COMPUTE_PGM_RSRC2:TRAP_HANDLER: 0
; COMPUTE_PGM_RSRC2:TGID_X_EN: 1
; COMPUTE_PGM_RSRC2:TGID_Y_EN: 0
; COMPUTE_PGM_RSRC2:TGID_Z_EN: 0
; COMPUTE_PGM_RSRC2:TIDIG_COMP_CNT: 0
	.section	.text._ZN7rocprim17ROCPRIM_400000_NS6detail17trampoline_kernelINS0_14default_configENS1_20scan_config_selectorIN3c104HalfEEEZZNS1_9scan_implILNS1_25lookback_scan_determinismE0ELb0ELb0ES3_PKS6_PS6_S6_ZZZN2at6native31launch_logcumsumexp_cuda_kernelERKNSD_10TensorBaseESH_lENKUlvE_clEvENKUlvE3_clEvEUlS6_S6_E_S6_EEDaPvRmT3_T4_T5_mT6_P12ihipStream_tbENKUlT_T0_E_clISt17integral_constantIbLb1EESY_EEDaST_SU_EUlST_E0_NS1_11comp_targetILNS1_3genE2ELNS1_11target_archE906ELNS1_3gpuE6ELNS1_3repE0EEENS1_30default_config_static_selectorELNS0_4arch9wavefront6targetE1EEEvT1_,"axG",@progbits,_ZN7rocprim17ROCPRIM_400000_NS6detail17trampoline_kernelINS0_14default_configENS1_20scan_config_selectorIN3c104HalfEEEZZNS1_9scan_implILNS1_25lookback_scan_determinismE0ELb0ELb0ES3_PKS6_PS6_S6_ZZZN2at6native31launch_logcumsumexp_cuda_kernelERKNSD_10TensorBaseESH_lENKUlvE_clEvENKUlvE3_clEvEUlS6_S6_E_S6_EEDaPvRmT3_T4_T5_mT6_P12ihipStream_tbENKUlT_T0_E_clISt17integral_constantIbLb1EESY_EEDaST_SU_EUlST_E0_NS1_11comp_targetILNS1_3genE2ELNS1_11target_archE906ELNS1_3gpuE6ELNS1_3repE0EEENS1_30default_config_static_selectorELNS0_4arch9wavefront6targetE1EEEvT1_,comdat
	.globl	_ZN7rocprim17ROCPRIM_400000_NS6detail17trampoline_kernelINS0_14default_configENS1_20scan_config_selectorIN3c104HalfEEEZZNS1_9scan_implILNS1_25lookback_scan_determinismE0ELb0ELb0ES3_PKS6_PS6_S6_ZZZN2at6native31launch_logcumsumexp_cuda_kernelERKNSD_10TensorBaseESH_lENKUlvE_clEvENKUlvE3_clEvEUlS6_S6_E_S6_EEDaPvRmT3_T4_T5_mT6_P12ihipStream_tbENKUlT_T0_E_clISt17integral_constantIbLb1EESY_EEDaST_SU_EUlST_E0_NS1_11comp_targetILNS1_3genE2ELNS1_11target_archE906ELNS1_3gpuE6ELNS1_3repE0EEENS1_30default_config_static_selectorELNS0_4arch9wavefront6targetE1EEEvT1_ ; -- Begin function _ZN7rocprim17ROCPRIM_400000_NS6detail17trampoline_kernelINS0_14default_configENS1_20scan_config_selectorIN3c104HalfEEEZZNS1_9scan_implILNS1_25lookback_scan_determinismE0ELb0ELb0ES3_PKS6_PS6_S6_ZZZN2at6native31launch_logcumsumexp_cuda_kernelERKNSD_10TensorBaseESH_lENKUlvE_clEvENKUlvE3_clEvEUlS6_S6_E_S6_EEDaPvRmT3_T4_T5_mT6_P12ihipStream_tbENKUlT_T0_E_clISt17integral_constantIbLb1EESY_EEDaST_SU_EUlST_E0_NS1_11comp_targetILNS1_3genE2ELNS1_11target_archE906ELNS1_3gpuE6ELNS1_3repE0EEENS1_30default_config_static_selectorELNS0_4arch9wavefront6targetE1EEEvT1_
	.p2align	8
	.type	_ZN7rocprim17ROCPRIM_400000_NS6detail17trampoline_kernelINS0_14default_configENS1_20scan_config_selectorIN3c104HalfEEEZZNS1_9scan_implILNS1_25lookback_scan_determinismE0ELb0ELb0ES3_PKS6_PS6_S6_ZZZN2at6native31launch_logcumsumexp_cuda_kernelERKNSD_10TensorBaseESH_lENKUlvE_clEvENKUlvE3_clEvEUlS6_S6_E_S6_EEDaPvRmT3_T4_T5_mT6_P12ihipStream_tbENKUlT_T0_E_clISt17integral_constantIbLb1EESY_EEDaST_SU_EUlST_E0_NS1_11comp_targetILNS1_3genE2ELNS1_11target_archE906ELNS1_3gpuE6ELNS1_3repE0EEENS1_30default_config_static_selectorELNS0_4arch9wavefront6targetE1EEEvT1_,@function
_ZN7rocprim17ROCPRIM_400000_NS6detail17trampoline_kernelINS0_14default_configENS1_20scan_config_selectorIN3c104HalfEEEZZNS1_9scan_implILNS1_25lookback_scan_determinismE0ELb0ELb0ES3_PKS6_PS6_S6_ZZZN2at6native31launch_logcumsumexp_cuda_kernelERKNSD_10TensorBaseESH_lENKUlvE_clEvENKUlvE3_clEvEUlS6_S6_E_S6_EEDaPvRmT3_T4_T5_mT6_P12ihipStream_tbENKUlT_T0_E_clISt17integral_constantIbLb1EESY_EEDaST_SU_EUlST_E0_NS1_11comp_targetILNS1_3genE2ELNS1_11target_archE906ELNS1_3gpuE6ELNS1_3repE0EEENS1_30default_config_static_selectorELNS0_4arch9wavefront6targetE1EEEvT1_: ; @_ZN7rocprim17ROCPRIM_400000_NS6detail17trampoline_kernelINS0_14default_configENS1_20scan_config_selectorIN3c104HalfEEEZZNS1_9scan_implILNS1_25lookback_scan_determinismE0ELb0ELb0ES3_PKS6_PS6_S6_ZZZN2at6native31launch_logcumsumexp_cuda_kernelERKNSD_10TensorBaseESH_lENKUlvE_clEvENKUlvE3_clEvEUlS6_S6_E_S6_EEDaPvRmT3_T4_T5_mT6_P12ihipStream_tbENKUlT_T0_E_clISt17integral_constantIbLb1EESY_EEDaST_SU_EUlST_E0_NS1_11comp_targetILNS1_3genE2ELNS1_11target_archE906ELNS1_3gpuE6ELNS1_3repE0EEENS1_30default_config_static_selectorELNS0_4arch9wavefront6targetE1EEEvT1_
; %bb.0:
	s_load_dwordx4 s[48:51], s[4:5], 0x0
	v_mov_b32_e32 v1, 0
	v_lshlrev_b32_e32 v13, 1, v0
	s_waitcnt lgkmcnt(0)
	global_load_ushort v1, v1, s[48:49]
	v_cmp_gt_u32_e64 s[2:3], s50, v0
	s_waitcnt vmcnt(0)
	v_mov_b32_e32 v2, v1
	s_mov_b64 s[0:1], exec
                                        ; implicit-def: $vgpr48 : SGPR spill to VGPR lane
	v_writelane_b32 v48, s2, 0
	v_writelane_b32 v48, s3, 1
	s_and_b64 s[2:3], s[0:1], s[2:3]
	s_mov_b64 exec, s[2:3]
	s_cbranch_execz .LBB391_2
; %bb.1:
	global_load_ushort v2, v13, s[48:49]
.LBB391_2:
	s_or_b64 exec, exec, s[0:1]
	v_or_b32_e32 v3, 0x100, v0
	v_cmp_gt_u32_e64 s[2:3], s50, v3
	v_mov_b32_e32 v3, v1
	s_mov_b64 s[0:1], exec
	v_writelane_b32 v48, s2, 2
	v_writelane_b32 v48, s3, 3
	s_and_b64 s[2:3], s[0:1], s[2:3]
	s_mov_b64 exec, s[2:3]
	s_cbranch_execz .LBB391_4
; %bb.3:
	global_load_ushort v3, v13, s[48:49] offset:512
.LBB391_4:
	s_or_b64 exec, exec, s[0:1]
	v_or_b32_e32 v4, 0x200, v0
	v_cmp_gt_u32_e64 s[2:3], s50, v4
	v_mov_b32_e32 v4, v1
	s_mov_b64 s[0:1], exec
	v_writelane_b32 v48, s2, 4
	v_writelane_b32 v48, s3, 5
	s_and_b64 s[2:3], s[0:1], s[2:3]
	s_mov_b64 exec, s[2:3]
	s_cbranch_execz .LBB391_6
; %bb.5:
	global_load_ushort v4, v13, s[48:49] offset:1024
.LBB391_6:
	;; [unrolled: 13-line block ×6, first 2 shown]
	s_or_b64 exec, exec, s[0:1]
	v_or_b32_e32 v9, 0x700, v0
	v_cmp_gt_u32_e64 s[12:13], s50, v9
	v_mov_b32_e32 v9, v1
	s_and_saveexec_b64 s[0:1], s[12:13]
	s_cbranch_execz .LBB391_16
; %bb.15:
	global_load_ushort v9, v13, s[48:49] offset:3584
.LBB391_16:
	s_or_b64 exec, exec, s[0:1]
	v_or_b32_e32 v11, 0x800, v0
	v_cmp_gt_u32_e64 s[14:15], s50, v11
	v_mov_b32_e32 v10, v1
	s_and_saveexec_b64 s[0:1], s[14:15]
	s_cbranch_execz .LBB391_18
; %bb.17:
	v_lshlrev_b32_e32 v10, 1, v11
	global_load_ushort v10, v10, s[48:49]
.LBB391_18:
	s_or_b64 exec, exec, s[0:1]
	v_or_b32_e32 v12, 0x900, v0
	v_cmp_gt_u32_e64 s[16:17], s50, v12
	v_mov_b32_e32 v11, v1
	s_and_saveexec_b64 s[0:1], s[16:17]
	s_cbranch_execz .LBB391_20
; %bb.19:
	v_lshlrev_b32_e32 v11, 1, v12
	global_load_ushort v11, v11, s[48:49]
.LBB391_20:
	;; [unrolled: 10-line block ×15, first 2 shown]
	s_or_b64 exec, exec, s[0:1]
	v_or_b32_e32 v26, 0x1700, v0
	v_cmp_gt_u32_e64 s[46:47], s50, v26
	s_and_saveexec_b64 s[0:1], s[46:47]
	s_cbranch_execz .LBB391_48
; %bb.47:
	v_lshlrev_b32_e32 v1, 1, v26
	global_load_ushort v1, v1, s[48:49]
.LBB391_48:
	s_or_b64 exec, exec, s[0:1]
	s_waitcnt vmcnt(0)
	ds_write_b16 v13, v2
	ds_write_b16 v13, v3 offset:512
	ds_write_b16 v13, v4 offset:1024
	;; [unrolled: 1-line block ×23, first 2 shown]
	v_mad_u32_u24 v5, v0, 46, v13
	s_waitcnt lgkmcnt(0)
	s_barrier
	ds_read_b128 v[1:4], v5
	ds_read_b128 v[9:12], v5 offset:16
	ds_read_b128 v[5:8], v5 offset:32
	s_movk_i32 s2, 0x1f8
	s_waitcnt lgkmcnt(0)
	v_cvt_f32_f16_e32 v14, v1
	v_cvt_f32_f16_sdwa v15, v1 dst_sel:DWORD dst_unused:UNUSED_PAD src0_sel:WORD_1
	v_cmp_u_f16_e64 s[94:95], v1, v1
	v_cmp_u_f16_sdwa s[48:49], v1, v1 src0_sel:WORD_1 src1_sel:WORD_1
	v_mov_b32_e32 v32, v14
	v_min_f32_e32 v28, v14, v15
	v_cndmask_b32_e64 v16, v28, v14, s[94:95]
	v_max_f32_e32 v29, v14, v15
	v_cndmask_b32_e64 v17, v16, v15, s[48:49]
	v_cndmask_b32_e64 v16, v29, v14, s[94:95]
	;; [unrolled: 1-line block ×3, first 2 shown]
	v_cmp_neq_f32_e64 s[50:51], v17, v16
	v_cmp_class_f32_e64 s[0:1], v17, s2
	s_or_b64 s[6:7], s[50:51], s[0:1]
	v_mov_b32_e32 v31, v1
	v_mov_b32_e32 v30, v1
	s_barrier
	s_and_saveexec_b64 s[0:1], s[6:7]
	s_cbranch_execz .LBB391_50
; %bb.49:
	v_sub_f32_e32 v17, v17, v16
	s_mov_b32 s3, 0x3fb8aa3b
	v_mul_f32_e32 v18, 0x3fb8aa3b, v17
	v_fma_f32 v19, v17, s3, -v18
	v_rndne_f32_e32 v20, v18
	v_fmac_f32_e32 v19, 0x32a5705f, v17
	v_sub_f32_e32 v18, v18, v20
	v_add_f32_e32 v18, v18, v19
	v_exp_f32_e32 v18, v18
	v_cvt_i32_f32_e32 v19, v20
	s_mov_b32 s3, 0xc2ce8ed0
	v_cmp_ngt_f32_e64 s[50:51], s3, v17
	s_mov_b32 s3, 0x42b17218
	v_ldexp_f32 v18, v18, v19
	v_cndmask_b32_e64 v18, 0, v18, s[50:51]
	v_mov_b32_e32 v19, 0x7f800000
	v_cmp_nlt_f32_e64 s[50:51], s3, v17
	v_cndmask_b32_e64 v20, v19, v18, s[50:51]
	v_add_f32_e32 v21, 1.0, v20
	v_cvt_f64_f32_e32 v[17:18], v21
	v_add_f32_e32 v22, -1.0, v21
	v_sub_f32_e32 v23, v22, v21
	v_sub_f32_e32 v22, v20, v22
	v_frexp_exp_i32_f64_e32 v17, v[17:18]
	v_add_f32_e32 v18, 1.0, v23
	v_add_f32_e32 v18, v22, v18
	v_frexp_mant_f32_e32 v22, v21
	s_mov_b32 s6, 0x3f2aaaab
	v_cmp_gt_f32_e64 s[50:51], s6, v22
	s_mov_b32 s6, 0x3f317218
	s_mov_b32 s3, 0x7f800000
	v_subbrev_co_u32_e64 v17, s[50:51], 0, v17, s[50:51]
	v_sub_u32_e32 v22, 0, v17
	v_ldexp_f32 v21, v21, v22
	v_ldexp_f32 v18, v18, v22
	v_add_f32_e32 v22, -1.0, v21
	v_add_f32_e32 v25, 1.0, v21
	v_add_f32_e32 v23, 1.0, v22
	v_add_f32_e32 v26, -1.0, v25
	v_sub_f32_e32 v23, v21, v23
	v_sub_f32_e32 v21, v21, v26
	v_add_f32_e32 v23, v18, v23
	v_add_f32_e32 v18, v18, v21
	;; [unrolled: 1-line block ×3, first 2 shown]
	v_rcp_f32_e32 v26, v21
	v_add_f32_e32 v24, v22, v23
	v_sub_f32_e32 v22, v22, v24
	v_add_f32_e32 v22, v23, v22
	v_sub_f32_e32 v23, v25, v21
	v_add_f32_e32 v18, v18, v23
	v_mul_f32_e32 v23, v24, v26
	v_mul_f32_e32 v25, v21, v23
	v_fma_f32 v27, v23, v21, -v25
	v_fmac_f32_e32 v27, v23, v18
	v_add_f32_e32 v30, v25, v27
	v_sub_f32_e32 v31, v24, v30
	v_sub_f32_e32 v24, v24, v31
	v_sub_f32_e32 v25, v30, v25
	v_sub_f32_e32 v24, v24, v30
	v_add_f32_e32 v22, v22, v24
	v_sub_f32_e32 v24, v25, v27
	v_add_f32_e32 v22, v24, v22
	v_add_f32_e32 v24, v31, v22
	v_mul_f32_e32 v25, v26, v24
	v_mul_f32_e32 v27, v21, v25
	v_fma_f32 v21, v25, v21, -v27
	v_fmac_f32_e32 v21, v25, v18
	v_sub_f32_e32 v18, v31, v24
	v_add_f32_e32 v18, v22, v18
	v_add_f32_e32 v22, v27, v21
	v_sub_f32_e32 v30, v24, v22
	v_sub_f32_e32 v24, v24, v30
	;; [unrolled: 1-line block ×4, first 2 shown]
	v_add_f32_e32 v18, v18, v22
	v_sub_f32_e32 v21, v27, v21
	v_add_f32_e32 v18, v21, v18
	v_add_f32_e32 v21, v23, v25
	;; [unrolled: 1-line block ×3, first 2 shown]
	v_sub_f32_e32 v22, v21, v23
	v_mul_f32_e32 v18, v26, v18
	v_sub_f32_e32 v22, v25, v22
	v_add_f32_e32 v18, v22, v18
	v_cvt_f32_i32_e32 v17, v17
	v_add_f32_e32 v22, v21, v18
	v_mul_f32_e32 v23, v22, v22
	v_mov_b32_e32 v24, 0x3ecc95a3
	v_fmac_f32_e32 v24, 0x3e9b6dac, v23
	v_mov_b32_e32 v25, 0x3f2aaada
	v_fmac_f32_e32 v25, v23, v24
	v_mul_f32_e32 v24, 0x3f317218, v17
	v_fma_f32 v26, v17, s6, -v24
	v_fmac_f32_e32 v26, 0xb102e308, v17
	v_sub_f32_e32 v17, v22, v21
	v_sub_f32_e32 v17, v18, v17
	v_add_f32_e32 v18, v24, v26
	v_sub_f32_e32 v21, v18, v24
	v_ldexp_f32 v24, v22, 1
	v_mul_f32_e32 v22, v22, v23
	v_mul_f32_e32 v22, v22, v25
	v_add_f32_e32 v23, v24, v22
	v_sub_f32_e32 v24, v23, v24
	v_ldexp_f32 v17, v17, 1
	v_sub_f32_e32 v22, v22, v24
	v_add_f32_e32 v17, v17, v22
	v_add_f32_e32 v22, v23, v17
	v_sub_f32_e32 v23, v22, v23
	v_sub_f32_e32 v17, v17, v23
	v_add_f32_e32 v23, v18, v22
	v_sub_f32_e32 v24, v23, v18
	v_sub_f32_e32 v25, v23, v24
	;; [unrolled: 1-line block ×5, first 2 shown]
	v_add_f32_e32 v18, v22, v18
	v_add_f32_e32 v22, v21, v17
	v_sub_f32_e32 v24, v22, v21
	v_sub_f32_e32 v25, v22, v24
	;; [unrolled: 1-line block ×4, first 2 shown]
	v_add_f32_e32 v18, v22, v18
	v_add_f32_e32 v17, v17, v21
	v_add_f32_e32 v21, v23, v18
	v_sub_f32_e32 v22, v21, v23
	v_sub_f32_e32 v18, v18, v22
	v_add_f32_e32 v17, v17, v18
	v_add_f32_e32 v17, v21, v17
	v_cmp_neq_f32_e64 s[50:51], s3, v20
	s_mov_b32 s3, 0x33800000
	v_cndmask_b32_e64 v17, v19, v17, s[50:51]
	v_cmp_lt_f32_e64 s[50:51], |v20|, s3
	v_cndmask_b32_e64 v17, v17, v20, s[50:51]
	v_add_f32_e32 v16, v16, v17
	v_cvt_f16_f32_e32 v31, v16
	v_cvt_f32_f16_e32 v32, v31
	v_mov_b32_e32 v30, v31
.LBB391_50:
	s_or_b64 exec, exec, s[0:1]
	v_cvt_f32_f16_e32 v16, v2
	v_max_f32_e32 v17, v32, v32
	v_cmp_u_f16_e64 s[52:53], v31, v31
	v_cmp_u_f16_e64 s[50:51], v2, v2
	v_min_f32_e32 v18, v17, v16
	v_max_f32_e32 v17, v17, v16
	v_cndmask_b32_e64 v18, v18, v32, s[52:53]
	v_cndmask_b32_e64 v17, v17, v32, s[52:53]
	;; [unrolled: 1-line block ×4, first 2 shown]
	v_cmp_neq_f32_e64 s[52:53], v18, v17
	v_cmp_class_f32_e64 s[0:1], v18, s2
	s_or_b64 s[2:3], s[52:53], s[0:1]
	s_and_saveexec_b64 s[0:1], s[2:3]
	s_cbranch_execz .LBB391_52
; %bb.51:
	v_sub_f32_e32 v18, v18, v17
	s_mov_b32 s2, 0x3fb8aa3b
	v_mul_f32_e32 v19, 0x3fb8aa3b, v18
	v_fma_f32 v20, v18, s2, -v19
	v_rndne_f32_e32 v21, v19
	v_fmac_f32_e32 v20, 0x32a5705f, v18
	v_sub_f32_e32 v19, v19, v21
	v_add_f32_e32 v19, v19, v20
	v_exp_f32_e32 v19, v19
	v_cvt_i32_f32_e32 v20, v21
	s_mov_b32 s2, 0xc2ce8ed0
	v_cmp_ngt_f32_e64 s[52:53], s2, v18
	s_mov_b32 s2, 0x42b17218
	v_ldexp_f32 v19, v19, v20
	v_cndmask_b32_e64 v19, 0, v19, s[52:53]
	v_mov_b32_e32 v20, 0x7f800000
	v_cmp_nlt_f32_e64 s[52:53], s2, v18
	v_cndmask_b32_e64 v21, v20, v19, s[52:53]
	v_add_f32_e32 v22, 1.0, v21
	v_cvt_f64_f32_e32 v[18:19], v22
	v_add_f32_e32 v23, -1.0, v22
	v_sub_f32_e32 v24, v23, v22
	v_sub_f32_e32 v23, v21, v23
	v_frexp_exp_i32_f64_e32 v18, v[18:19]
	v_add_f32_e32 v19, 1.0, v24
	v_add_f32_e32 v19, v23, v19
	v_frexp_mant_f32_e32 v23, v22
	s_mov_b32 s3, 0x3f2aaaab
	v_cmp_gt_f32_e64 s[52:53], s3, v23
	s_mov_b32 s3, 0x3f317218
	s_mov_b32 s2, 0x7f800000
	v_subbrev_co_u32_e64 v18, s[52:53], 0, v18, s[52:53]
	v_sub_u32_e32 v23, 0, v18
	v_ldexp_f32 v22, v22, v23
	v_ldexp_f32 v19, v19, v23
	v_add_f32_e32 v23, -1.0, v22
	v_add_f32_e32 v26, 1.0, v22
	v_add_f32_e32 v24, 1.0, v23
	v_add_f32_e32 v27, -1.0, v26
	v_sub_f32_e32 v24, v22, v24
	v_sub_f32_e32 v22, v22, v27
	v_add_f32_e32 v24, v19, v24
	v_add_f32_e32 v19, v19, v22
	;; [unrolled: 1-line block ×3, first 2 shown]
	v_rcp_f32_e32 v27, v22
	v_add_f32_e32 v25, v23, v24
	v_sub_f32_e32 v23, v23, v25
	v_add_f32_e32 v23, v24, v23
	v_sub_f32_e32 v24, v26, v22
	v_add_f32_e32 v19, v19, v24
	v_mul_f32_e32 v24, v25, v27
	v_mul_f32_e32 v26, v22, v24
	v_fma_f32 v30, v24, v22, -v26
	v_fmac_f32_e32 v30, v24, v19
	v_add_f32_e32 v31, v26, v30
	v_sub_f32_e32 v32, v25, v31
	v_sub_f32_e32 v25, v25, v32
	v_sub_f32_e32 v26, v31, v26
	v_sub_f32_e32 v25, v25, v31
	v_add_f32_e32 v23, v23, v25
	v_sub_f32_e32 v25, v26, v30
	v_add_f32_e32 v23, v25, v23
	v_add_f32_e32 v25, v32, v23
	v_mul_f32_e32 v26, v27, v25
	v_mul_f32_e32 v30, v22, v26
	v_fma_f32 v22, v26, v22, -v30
	v_fmac_f32_e32 v22, v26, v19
	v_sub_f32_e32 v19, v32, v25
	v_add_f32_e32 v19, v23, v19
	v_add_f32_e32 v23, v30, v22
	v_sub_f32_e32 v31, v25, v23
	v_sub_f32_e32 v25, v25, v31
	;; [unrolled: 1-line block ×4, first 2 shown]
	v_add_f32_e32 v19, v19, v23
	v_sub_f32_e32 v22, v30, v22
	v_add_f32_e32 v19, v22, v19
	v_add_f32_e32 v22, v24, v26
	;; [unrolled: 1-line block ×3, first 2 shown]
	v_sub_f32_e32 v23, v22, v24
	v_mul_f32_e32 v19, v27, v19
	v_sub_f32_e32 v23, v26, v23
	v_add_f32_e32 v19, v23, v19
	v_cvt_f32_i32_e32 v18, v18
	v_add_f32_e32 v23, v22, v19
	v_mul_f32_e32 v24, v23, v23
	v_mov_b32_e32 v25, 0x3ecc95a3
	v_fmac_f32_e32 v25, 0x3e9b6dac, v24
	v_mov_b32_e32 v26, 0x3f2aaada
	v_fmac_f32_e32 v26, v24, v25
	v_mul_f32_e32 v25, 0x3f317218, v18
	v_fma_f32 v27, v18, s3, -v25
	v_fmac_f32_e32 v27, 0xb102e308, v18
	v_sub_f32_e32 v18, v23, v22
	v_sub_f32_e32 v18, v19, v18
	v_add_f32_e32 v19, v25, v27
	v_sub_f32_e32 v22, v19, v25
	v_ldexp_f32 v25, v23, 1
	v_mul_f32_e32 v23, v23, v24
	v_mul_f32_e32 v23, v23, v26
	v_add_f32_e32 v24, v25, v23
	v_sub_f32_e32 v25, v24, v25
	v_ldexp_f32 v18, v18, 1
	v_sub_f32_e32 v23, v23, v25
	v_add_f32_e32 v18, v18, v23
	v_add_f32_e32 v23, v24, v18
	v_sub_f32_e32 v24, v23, v24
	v_sub_f32_e32 v18, v18, v24
	v_add_f32_e32 v24, v19, v23
	v_sub_f32_e32 v25, v24, v19
	v_sub_f32_e32 v26, v24, v25
	;; [unrolled: 1-line block ×5, first 2 shown]
	v_add_f32_e32 v19, v23, v19
	v_add_f32_e32 v23, v22, v18
	v_sub_f32_e32 v25, v23, v22
	v_sub_f32_e32 v26, v23, v25
	;; [unrolled: 1-line block ×4, first 2 shown]
	v_add_f32_e32 v19, v23, v19
	v_add_f32_e32 v18, v18, v22
	;; [unrolled: 1-line block ×3, first 2 shown]
	v_sub_f32_e32 v23, v22, v24
	v_sub_f32_e32 v19, v19, v23
	v_add_f32_e32 v18, v18, v19
	v_add_f32_e32 v18, v22, v18
	v_cmp_neq_f32_e64 s[52:53], s2, v21
	s_mov_b32 s2, 0x33800000
	v_cndmask_b32_e64 v18, v20, v18, s[52:53]
	v_cmp_lt_f32_e64 s[52:53], |v21|, s2
	v_cndmask_b32_e64 v18, v18, v21, s[52:53]
	v_add_f32_e32 v17, v17, v18
	v_cvt_f16_f32_e32 v31, v17
	v_cvt_f32_f16_e32 v32, v31
	v_mov_b32_e32 v30, v31
.LBB391_52:
	s_or_b64 exec, exec, s[0:1]
	v_cvt_f32_f16_sdwa v17, v2 dst_sel:DWORD dst_unused:UNUSED_PAD src0_sel:WORD_1
	v_max_f32_e32 v19, v32, v32
	v_cmp_u_f16_e64 s[54:55], v31, v31
	v_cmp_u_f16_sdwa s[52:53], v2, v2 src0_sel:WORD_1 src1_sel:WORD_1
	v_min_f32_e32 v18, v19, v17
	v_max_f32_e32 v2, v19, v17
	v_cndmask_b32_e64 v18, v18, v32, s[54:55]
	v_cndmask_b32_e64 v2, v2, v32, s[54:55]
	;; [unrolled: 1-line block ×4, first 2 shown]
	s_movk_i32 s2, 0x1f8
	v_cmp_neq_f32_e64 s[54:55], v18, v2
	v_cmp_class_f32_e64 s[0:1], v18, s2
	s_or_b64 s[6:7], s[54:55], s[0:1]
	s_and_saveexec_b64 s[0:1], s[6:7]
	s_cbranch_execz .LBB391_54
; %bb.53:
	v_sub_f32_e32 v18, v18, v2
	s_mov_b32 s3, 0x3fb8aa3b
	v_mul_f32_e32 v19, 0x3fb8aa3b, v18
	v_fma_f32 v20, v18, s3, -v19
	v_rndne_f32_e32 v21, v19
	v_fmac_f32_e32 v20, 0x32a5705f, v18
	v_sub_f32_e32 v19, v19, v21
	v_add_f32_e32 v19, v19, v20
	v_exp_f32_e32 v19, v19
	v_cvt_i32_f32_e32 v20, v21
	s_mov_b32 s3, 0xc2ce8ed0
	v_cmp_ngt_f32_e64 s[54:55], s3, v18
	s_mov_b32 s3, 0x42b17218
	v_ldexp_f32 v19, v19, v20
	v_cndmask_b32_e64 v19, 0, v19, s[54:55]
	v_mov_b32_e32 v20, 0x7f800000
	v_cmp_nlt_f32_e64 s[54:55], s3, v18
	v_cndmask_b32_e64 v21, v20, v19, s[54:55]
	v_add_f32_e32 v22, 1.0, v21
	v_cvt_f64_f32_e32 v[18:19], v22
	v_add_f32_e32 v23, -1.0, v22
	v_sub_f32_e32 v24, v23, v22
	v_sub_f32_e32 v23, v21, v23
	v_frexp_exp_i32_f64_e32 v18, v[18:19]
	v_add_f32_e32 v19, 1.0, v24
	v_add_f32_e32 v19, v23, v19
	v_frexp_mant_f32_e32 v23, v22
	s_mov_b32 s6, 0x3f2aaaab
	v_cmp_gt_f32_e64 s[54:55], s6, v23
	s_mov_b32 s6, 0x3f317218
	s_mov_b32 s3, 0x7f800000
	v_subbrev_co_u32_e64 v18, s[54:55], 0, v18, s[54:55]
	v_sub_u32_e32 v23, 0, v18
	v_ldexp_f32 v22, v22, v23
	v_ldexp_f32 v19, v19, v23
	v_add_f32_e32 v23, -1.0, v22
	v_add_f32_e32 v26, 1.0, v22
	v_add_f32_e32 v24, 1.0, v23
	v_add_f32_e32 v27, -1.0, v26
	v_sub_f32_e32 v24, v22, v24
	v_sub_f32_e32 v22, v22, v27
	v_add_f32_e32 v24, v19, v24
	v_add_f32_e32 v19, v19, v22
	;; [unrolled: 1-line block ×3, first 2 shown]
	v_rcp_f32_e32 v27, v22
	v_add_f32_e32 v25, v23, v24
	v_sub_f32_e32 v23, v23, v25
	v_add_f32_e32 v23, v24, v23
	v_sub_f32_e32 v24, v26, v22
	v_add_f32_e32 v19, v19, v24
	v_mul_f32_e32 v24, v25, v27
	v_mul_f32_e32 v26, v22, v24
	v_fma_f32 v30, v24, v22, -v26
	v_fmac_f32_e32 v30, v24, v19
	v_add_f32_e32 v31, v26, v30
	v_sub_f32_e32 v32, v25, v31
	v_sub_f32_e32 v25, v25, v32
	;; [unrolled: 1-line block ×4, first 2 shown]
	v_add_f32_e32 v23, v23, v25
	v_sub_f32_e32 v25, v26, v30
	v_add_f32_e32 v23, v25, v23
	v_add_f32_e32 v25, v32, v23
	v_mul_f32_e32 v26, v27, v25
	v_mul_f32_e32 v30, v22, v26
	v_fma_f32 v22, v26, v22, -v30
	v_fmac_f32_e32 v22, v26, v19
	v_sub_f32_e32 v19, v32, v25
	v_add_f32_e32 v19, v23, v19
	v_add_f32_e32 v23, v30, v22
	v_sub_f32_e32 v31, v25, v23
	v_sub_f32_e32 v25, v25, v31
	;; [unrolled: 1-line block ×4, first 2 shown]
	v_add_f32_e32 v19, v19, v23
	v_sub_f32_e32 v22, v30, v22
	v_add_f32_e32 v19, v22, v19
	v_add_f32_e32 v22, v24, v26
	;; [unrolled: 1-line block ×3, first 2 shown]
	v_sub_f32_e32 v23, v22, v24
	v_mul_f32_e32 v19, v27, v19
	v_sub_f32_e32 v23, v26, v23
	v_add_f32_e32 v19, v23, v19
	v_cvt_f32_i32_e32 v18, v18
	v_add_f32_e32 v23, v22, v19
	v_mul_f32_e32 v24, v23, v23
	v_mov_b32_e32 v25, 0x3ecc95a3
	v_fmac_f32_e32 v25, 0x3e9b6dac, v24
	v_mov_b32_e32 v26, 0x3f2aaada
	v_fmac_f32_e32 v26, v24, v25
	v_mul_f32_e32 v25, 0x3f317218, v18
	v_fma_f32 v27, v18, s6, -v25
	v_fmac_f32_e32 v27, 0xb102e308, v18
	v_sub_f32_e32 v18, v23, v22
	v_sub_f32_e32 v18, v19, v18
	v_add_f32_e32 v19, v25, v27
	v_sub_f32_e32 v22, v19, v25
	v_ldexp_f32 v25, v23, 1
	v_mul_f32_e32 v23, v23, v24
	v_mul_f32_e32 v23, v23, v26
	v_add_f32_e32 v24, v25, v23
	v_sub_f32_e32 v25, v24, v25
	v_ldexp_f32 v18, v18, 1
	v_sub_f32_e32 v23, v23, v25
	v_add_f32_e32 v18, v18, v23
	v_add_f32_e32 v23, v24, v18
	v_sub_f32_e32 v24, v23, v24
	v_sub_f32_e32 v18, v18, v24
	v_add_f32_e32 v24, v19, v23
	v_sub_f32_e32 v25, v24, v19
	v_sub_f32_e32 v26, v24, v25
	;; [unrolled: 1-line block ×5, first 2 shown]
	v_add_f32_e32 v19, v23, v19
	v_add_f32_e32 v23, v22, v18
	v_sub_f32_e32 v25, v23, v22
	v_sub_f32_e32 v26, v23, v25
	v_sub_f32_e32 v22, v22, v26
	v_sub_f32_e32 v18, v18, v25
	v_add_f32_e32 v19, v23, v19
	v_add_f32_e32 v18, v18, v22
	v_add_f32_e32 v22, v24, v19
	v_sub_f32_e32 v23, v22, v24
	v_sub_f32_e32 v19, v19, v23
	v_add_f32_e32 v18, v18, v19
	v_add_f32_e32 v18, v22, v18
	v_cmp_neq_f32_e64 s[54:55], s3, v21
	s_mov_b32 s3, 0x33800000
	v_cndmask_b32_e64 v18, v20, v18, s[54:55]
	v_cmp_lt_f32_e64 s[54:55], |v21|, s3
	v_cndmask_b32_e64 v18, v18, v21, s[54:55]
	v_add_f32_e32 v2, v2, v18
	v_cvt_f16_f32_e32 v31, v2
	v_cvt_f32_f16_e32 v32, v31
	v_mov_b32_e32 v30, v31
.LBB391_54:
	s_or_b64 exec, exec, s[0:1]
	v_cvt_f32_f16_e32 v2, v3
	v_max_f32_e32 v18, v32, v32
	v_cmp_u_f16_e64 s[56:57], v31, v31
	v_cmp_u_f16_e64 s[54:55], v3, v3
	v_min_f32_e32 v19, v18, v2
	v_max_f32_e32 v18, v18, v2
	v_cndmask_b32_e64 v19, v19, v32, s[56:57]
	v_cndmask_b32_e64 v18, v18, v32, s[56:57]
	;; [unrolled: 1-line block ×4, first 2 shown]
	v_cmp_neq_f32_e64 s[56:57], v19, v18
	v_cmp_class_f32_e64 s[0:1], v19, s2
	s_or_b64 s[2:3], s[56:57], s[0:1]
	s_and_saveexec_b64 s[0:1], s[2:3]
	s_cbranch_execz .LBB391_56
; %bb.55:
	v_sub_f32_e32 v19, v19, v18
	s_mov_b32 s2, 0x3fb8aa3b
	v_mul_f32_e32 v20, 0x3fb8aa3b, v19
	v_fma_f32 v21, v19, s2, -v20
	v_rndne_f32_e32 v22, v20
	v_fmac_f32_e32 v21, 0x32a5705f, v19
	v_sub_f32_e32 v20, v20, v22
	v_add_f32_e32 v20, v20, v21
	v_exp_f32_e32 v20, v20
	v_cvt_i32_f32_e32 v21, v22
	s_mov_b32 s2, 0xc2ce8ed0
	v_cmp_ngt_f32_e64 s[56:57], s2, v19
	s_mov_b32 s2, 0x42b17218
	v_ldexp_f32 v20, v20, v21
	v_cndmask_b32_e64 v20, 0, v20, s[56:57]
	v_mov_b32_e32 v21, 0x7f800000
	v_cmp_nlt_f32_e64 s[56:57], s2, v19
	v_cndmask_b32_e64 v22, v21, v20, s[56:57]
	v_add_f32_e32 v23, 1.0, v22
	v_cvt_f64_f32_e32 v[19:20], v23
	v_add_f32_e32 v24, -1.0, v23
	v_sub_f32_e32 v25, v24, v23
	v_sub_f32_e32 v24, v22, v24
	v_frexp_exp_i32_f64_e32 v19, v[19:20]
	v_add_f32_e32 v20, 1.0, v25
	v_add_f32_e32 v20, v24, v20
	v_frexp_mant_f32_e32 v24, v23
	s_mov_b32 s3, 0x3f2aaaab
	v_cmp_gt_f32_e64 s[56:57], s3, v24
	s_mov_b32 s3, 0x3f317218
	s_mov_b32 s2, 0x7f800000
	v_subbrev_co_u32_e64 v19, s[56:57], 0, v19, s[56:57]
	v_sub_u32_e32 v24, 0, v19
	v_ldexp_f32 v23, v23, v24
	v_ldexp_f32 v20, v20, v24
	v_add_f32_e32 v24, -1.0, v23
	v_add_f32_e32 v27, 1.0, v23
	v_add_f32_e32 v25, 1.0, v24
	v_add_f32_e32 v30, -1.0, v27
	v_sub_f32_e32 v25, v23, v25
	v_sub_f32_e32 v23, v23, v30
	v_add_f32_e32 v25, v20, v25
	v_add_f32_e32 v20, v20, v23
	;; [unrolled: 1-line block ×3, first 2 shown]
	v_rcp_f32_e32 v30, v23
	v_add_f32_e32 v26, v24, v25
	v_sub_f32_e32 v24, v24, v26
	v_add_f32_e32 v24, v25, v24
	v_sub_f32_e32 v25, v27, v23
	v_add_f32_e32 v20, v20, v25
	v_mul_f32_e32 v25, v26, v30
	v_mul_f32_e32 v27, v23, v25
	v_fma_f32 v31, v25, v23, -v27
	v_fmac_f32_e32 v31, v25, v20
	v_add_f32_e32 v32, v27, v31
	v_sub_f32_e32 v33, v26, v32
	v_sub_f32_e32 v26, v26, v33
	;; [unrolled: 1-line block ×4, first 2 shown]
	v_add_f32_e32 v24, v24, v26
	v_sub_f32_e32 v26, v27, v31
	v_add_f32_e32 v24, v26, v24
	v_add_f32_e32 v26, v33, v24
	v_mul_f32_e32 v27, v30, v26
	v_mul_f32_e32 v31, v23, v27
	v_fma_f32 v23, v27, v23, -v31
	v_fmac_f32_e32 v23, v27, v20
	v_sub_f32_e32 v20, v33, v26
	v_add_f32_e32 v20, v24, v20
	v_add_f32_e32 v24, v31, v23
	v_sub_f32_e32 v32, v26, v24
	v_sub_f32_e32 v26, v26, v32
	;; [unrolled: 1-line block ×4, first 2 shown]
	v_add_f32_e32 v20, v20, v24
	v_sub_f32_e32 v23, v31, v23
	v_add_f32_e32 v20, v23, v20
	v_add_f32_e32 v23, v25, v27
	;; [unrolled: 1-line block ×3, first 2 shown]
	v_sub_f32_e32 v24, v23, v25
	v_mul_f32_e32 v20, v30, v20
	v_sub_f32_e32 v24, v27, v24
	v_add_f32_e32 v20, v24, v20
	v_cvt_f32_i32_e32 v19, v19
	v_add_f32_e32 v24, v23, v20
	v_mul_f32_e32 v25, v24, v24
	v_mov_b32_e32 v26, 0x3ecc95a3
	v_fmac_f32_e32 v26, 0x3e9b6dac, v25
	v_mov_b32_e32 v27, 0x3f2aaada
	v_fmac_f32_e32 v27, v25, v26
	v_mul_f32_e32 v26, 0x3f317218, v19
	v_fma_f32 v30, v19, s3, -v26
	v_fmac_f32_e32 v30, 0xb102e308, v19
	v_sub_f32_e32 v19, v24, v23
	v_sub_f32_e32 v19, v20, v19
	v_add_f32_e32 v20, v26, v30
	v_sub_f32_e32 v23, v20, v26
	v_ldexp_f32 v26, v24, 1
	v_mul_f32_e32 v24, v24, v25
	v_mul_f32_e32 v24, v24, v27
	v_add_f32_e32 v25, v26, v24
	v_sub_f32_e32 v26, v25, v26
	v_ldexp_f32 v19, v19, 1
	v_sub_f32_e32 v24, v24, v26
	v_add_f32_e32 v19, v19, v24
	v_add_f32_e32 v24, v25, v19
	v_sub_f32_e32 v25, v24, v25
	v_sub_f32_e32 v19, v19, v25
	v_add_f32_e32 v25, v20, v24
	v_sub_f32_e32 v26, v25, v20
	v_sub_f32_e32 v27, v25, v26
	;; [unrolled: 1-line block ×5, first 2 shown]
	v_add_f32_e32 v20, v24, v20
	v_add_f32_e32 v24, v23, v19
	v_sub_f32_e32 v26, v24, v23
	v_sub_f32_e32 v27, v24, v26
	;; [unrolled: 1-line block ×4, first 2 shown]
	v_add_f32_e32 v20, v24, v20
	v_add_f32_e32 v19, v19, v23
	;; [unrolled: 1-line block ×3, first 2 shown]
	v_sub_f32_e32 v24, v23, v25
	v_sub_f32_e32 v20, v20, v24
	v_add_f32_e32 v19, v19, v20
	v_add_f32_e32 v19, v23, v19
	v_cmp_neq_f32_e64 s[56:57], s2, v22
	s_mov_b32 s2, 0x33800000
	v_cndmask_b32_e64 v19, v21, v19, s[56:57]
	v_cmp_lt_f32_e64 s[56:57], |v22|, s2
	v_cndmask_b32_e64 v19, v19, v22, s[56:57]
	v_add_f32_e32 v18, v18, v19
	v_cvt_f16_f32_e32 v31, v18
	v_cvt_f32_f16_e32 v32, v31
	v_mov_b32_e32 v30, v31
.LBB391_56:
	s_or_b64 exec, exec, s[0:1]
	v_cvt_f32_f16_sdwa v18, v3 dst_sel:DWORD dst_unused:UNUSED_PAD src0_sel:WORD_1
	v_max_f32_e32 v20, v32, v32
	v_cmp_u_f16_e64 s[58:59], v31, v31
	v_cmp_u_f16_sdwa s[56:57], v3, v3 src0_sel:WORD_1 src1_sel:WORD_1
	v_min_f32_e32 v19, v20, v18
	v_max_f32_e32 v3, v20, v18
	v_cndmask_b32_e64 v19, v19, v32, s[58:59]
	v_cndmask_b32_e64 v3, v3, v32, s[58:59]
	;; [unrolled: 1-line block ×4, first 2 shown]
	s_movk_i32 s2, 0x1f8
	v_cmp_neq_f32_e64 s[58:59], v19, v3
	v_cmp_class_f32_e64 s[0:1], v19, s2
	s_or_b64 s[6:7], s[58:59], s[0:1]
	s_and_saveexec_b64 s[0:1], s[6:7]
	s_cbranch_execz .LBB391_58
; %bb.57:
	v_sub_f32_e32 v19, v19, v3
	s_mov_b32 s3, 0x3fb8aa3b
	v_mul_f32_e32 v20, 0x3fb8aa3b, v19
	v_fma_f32 v21, v19, s3, -v20
	v_rndne_f32_e32 v22, v20
	v_fmac_f32_e32 v21, 0x32a5705f, v19
	v_sub_f32_e32 v20, v20, v22
	v_add_f32_e32 v20, v20, v21
	v_exp_f32_e32 v20, v20
	v_cvt_i32_f32_e32 v21, v22
	s_mov_b32 s3, 0xc2ce8ed0
	v_cmp_ngt_f32_e64 s[58:59], s3, v19
	s_mov_b32 s3, 0x42b17218
	v_ldexp_f32 v20, v20, v21
	v_cndmask_b32_e64 v20, 0, v20, s[58:59]
	v_mov_b32_e32 v21, 0x7f800000
	v_cmp_nlt_f32_e64 s[58:59], s3, v19
	v_cndmask_b32_e64 v22, v21, v20, s[58:59]
	v_add_f32_e32 v23, 1.0, v22
	v_cvt_f64_f32_e32 v[19:20], v23
	v_add_f32_e32 v24, -1.0, v23
	v_sub_f32_e32 v25, v24, v23
	v_sub_f32_e32 v24, v22, v24
	v_frexp_exp_i32_f64_e32 v19, v[19:20]
	v_add_f32_e32 v20, 1.0, v25
	v_add_f32_e32 v20, v24, v20
	v_frexp_mant_f32_e32 v24, v23
	s_mov_b32 s6, 0x3f2aaaab
	v_cmp_gt_f32_e64 s[58:59], s6, v24
	s_mov_b32 s6, 0x3f317218
	s_mov_b32 s3, 0x7f800000
	v_subbrev_co_u32_e64 v19, s[58:59], 0, v19, s[58:59]
	v_sub_u32_e32 v24, 0, v19
	v_ldexp_f32 v23, v23, v24
	v_ldexp_f32 v20, v20, v24
	v_add_f32_e32 v24, -1.0, v23
	v_add_f32_e32 v27, 1.0, v23
	v_add_f32_e32 v25, 1.0, v24
	v_add_f32_e32 v30, -1.0, v27
	v_sub_f32_e32 v25, v23, v25
	v_sub_f32_e32 v23, v23, v30
	v_add_f32_e32 v25, v20, v25
	v_add_f32_e32 v20, v20, v23
	;; [unrolled: 1-line block ×3, first 2 shown]
	v_rcp_f32_e32 v30, v23
	v_add_f32_e32 v26, v24, v25
	v_sub_f32_e32 v24, v24, v26
	v_add_f32_e32 v24, v25, v24
	v_sub_f32_e32 v25, v27, v23
	v_add_f32_e32 v20, v20, v25
	v_mul_f32_e32 v25, v26, v30
	v_mul_f32_e32 v27, v23, v25
	v_fma_f32 v31, v25, v23, -v27
	v_fmac_f32_e32 v31, v25, v20
	v_add_f32_e32 v32, v27, v31
	v_sub_f32_e32 v33, v26, v32
	v_sub_f32_e32 v26, v26, v33
	;; [unrolled: 1-line block ×4, first 2 shown]
	v_add_f32_e32 v24, v24, v26
	v_sub_f32_e32 v26, v27, v31
	v_add_f32_e32 v24, v26, v24
	v_add_f32_e32 v26, v33, v24
	v_mul_f32_e32 v27, v30, v26
	v_mul_f32_e32 v31, v23, v27
	v_fma_f32 v23, v27, v23, -v31
	v_fmac_f32_e32 v23, v27, v20
	v_sub_f32_e32 v20, v33, v26
	v_add_f32_e32 v20, v24, v20
	v_add_f32_e32 v24, v31, v23
	v_sub_f32_e32 v32, v26, v24
	v_sub_f32_e32 v26, v26, v32
	;; [unrolled: 1-line block ×4, first 2 shown]
	v_add_f32_e32 v20, v20, v24
	v_sub_f32_e32 v23, v31, v23
	v_add_f32_e32 v20, v23, v20
	v_add_f32_e32 v23, v25, v27
	;; [unrolled: 1-line block ×3, first 2 shown]
	v_sub_f32_e32 v24, v23, v25
	v_mul_f32_e32 v20, v30, v20
	v_sub_f32_e32 v24, v27, v24
	v_add_f32_e32 v20, v24, v20
	v_cvt_f32_i32_e32 v19, v19
	v_add_f32_e32 v24, v23, v20
	v_mul_f32_e32 v25, v24, v24
	v_mov_b32_e32 v26, 0x3ecc95a3
	v_fmac_f32_e32 v26, 0x3e9b6dac, v25
	v_mov_b32_e32 v27, 0x3f2aaada
	v_fmac_f32_e32 v27, v25, v26
	v_mul_f32_e32 v26, 0x3f317218, v19
	v_fma_f32 v30, v19, s6, -v26
	v_fmac_f32_e32 v30, 0xb102e308, v19
	v_sub_f32_e32 v19, v24, v23
	v_sub_f32_e32 v19, v20, v19
	v_add_f32_e32 v20, v26, v30
	v_sub_f32_e32 v23, v20, v26
	v_ldexp_f32 v26, v24, 1
	v_mul_f32_e32 v24, v24, v25
	v_mul_f32_e32 v24, v24, v27
	v_add_f32_e32 v25, v26, v24
	v_sub_f32_e32 v26, v25, v26
	v_ldexp_f32 v19, v19, 1
	v_sub_f32_e32 v24, v24, v26
	v_add_f32_e32 v19, v19, v24
	v_add_f32_e32 v24, v25, v19
	v_sub_f32_e32 v25, v24, v25
	v_sub_f32_e32 v19, v19, v25
	v_add_f32_e32 v25, v20, v24
	v_sub_f32_e32 v26, v25, v20
	v_sub_f32_e32 v27, v25, v26
	;; [unrolled: 1-line block ×5, first 2 shown]
	v_add_f32_e32 v20, v24, v20
	v_add_f32_e32 v24, v23, v19
	v_sub_f32_e32 v26, v24, v23
	v_sub_f32_e32 v27, v24, v26
	;; [unrolled: 1-line block ×4, first 2 shown]
	v_add_f32_e32 v20, v24, v20
	v_add_f32_e32 v19, v19, v23
	;; [unrolled: 1-line block ×3, first 2 shown]
	v_sub_f32_e32 v24, v23, v25
	v_sub_f32_e32 v20, v20, v24
	v_add_f32_e32 v19, v19, v20
	v_add_f32_e32 v19, v23, v19
	v_cmp_neq_f32_e64 s[58:59], s3, v22
	s_mov_b32 s3, 0x33800000
	v_cndmask_b32_e64 v19, v21, v19, s[58:59]
	v_cmp_lt_f32_e64 s[58:59], |v22|, s3
	v_cndmask_b32_e64 v19, v19, v22, s[58:59]
	v_add_f32_e32 v3, v3, v19
	v_cvt_f16_f32_e32 v31, v3
	v_cvt_f32_f16_e32 v32, v31
	v_mov_b32_e32 v30, v31
.LBB391_58:
	s_or_b64 exec, exec, s[0:1]
	v_cvt_f32_f16_e32 v3, v4
	v_max_f32_e32 v19, v32, v32
	v_cmp_u_f16_e64 s[60:61], v31, v31
	v_cmp_u_f16_e64 s[58:59], v4, v4
	v_min_f32_e32 v20, v19, v3
	v_max_f32_e32 v19, v19, v3
	v_cndmask_b32_e64 v20, v20, v32, s[60:61]
	v_cndmask_b32_e64 v19, v19, v32, s[60:61]
	;; [unrolled: 1-line block ×4, first 2 shown]
	v_cmp_neq_f32_e64 s[60:61], v20, v19
	v_cmp_class_f32_e64 s[0:1], v20, s2
	s_or_b64 s[2:3], s[60:61], s[0:1]
	s_and_saveexec_b64 s[0:1], s[2:3]
	s_cbranch_execz .LBB391_60
; %bb.59:
	v_sub_f32_e32 v20, v20, v19
	s_mov_b32 s2, 0x3fb8aa3b
	v_mul_f32_e32 v21, 0x3fb8aa3b, v20
	v_fma_f32 v22, v20, s2, -v21
	v_rndne_f32_e32 v23, v21
	v_fmac_f32_e32 v22, 0x32a5705f, v20
	v_sub_f32_e32 v21, v21, v23
	v_add_f32_e32 v21, v21, v22
	v_exp_f32_e32 v21, v21
	v_cvt_i32_f32_e32 v22, v23
	s_mov_b32 s2, 0xc2ce8ed0
	v_cmp_ngt_f32_e64 s[60:61], s2, v20
	s_mov_b32 s2, 0x42b17218
	v_ldexp_f32 v21, v21, v22
	v_cndmask_b32_e64 v21, 0, v21, s[60:61]
	v_mov_b32_e32 v22, 0x7f800000
	v_cmp_nlt_f32_e64 s[60:61], s2, v20
	v_cndmask_b32_e64 v23, v22, v21, s[60:61]
	v_add_f32_e32 v24, 1.0, v23
	v_cvt_f64_f32_e32 v[20:21], v24
	v_add_f32_e32 v25, -1.0, v24
	v_sub_f32_e32 v26, v25, v24
	v_sub_f32_e32 v25, v23, v25
	v_frexp_exp_i32_f64_e32 v20, v[20:21]
	v_add_f32_e32 v21, 1.0, v26
	v_add_f32_e32 v21, v25, v21
	v_frexp_mant_f32_e32 v25, v24
	s_mov_b32 s3, 0x3f2aaaab
	v_cmp_gt_f32_e64 s[60:61], s3, v25
	s_mov_b32 s3, 0x3f317218
	s_mov_b32 s2, 0x7f800000
	v_subbrev_co_u32_e64 v20, s[60:61], 0, v20, s[60:61]
	v_sub_u32_e32 v25, 0, v20
	v_ldexp_f32 v24, v24, v25
	v_ldexp_f32 v21, v21, v25
	v_add_f32_e32 v25, -1.0, v24
	v_add_f32_e32 v30, 1.0, v24
	v_add_f32_e32 v26, 1.0, v25
	v_add_f32_e32 v31, -1.0, v30
	v_sub_f32_e32 v26, v24, v26
	v_sub_f32_e32 v24, v24, v31
	v_add_f32_e32 v26, v21, v26
	v_add_f32_e32 v21, v21, v24
	;; [unrolled: 1-line block ×3, first 2 shown]
	v_rcp_f32_e32 v31, v24
	v_add_f32_e32 v27, v25, v26
	v_sub_f32_e32 v25, v25, v27
	v_add_f32_e32 v25, v26, v25
	v_sub_f32_e32 v26, v30, v24
	v_add_f32_e32 v21, v21, v26
	v_mul_f32_e32 v26, v27, v31
	v_mul_f32_e32 v30, v24, v26
	v_fma_f32 v32, v26, v24, -v30
	v_fmac_f32_e32 v32, v26, v21
	v_add_f32_e32 v33, v30, v32
	v_sub_f32_e32 v34, v27, v33
	v_sub_f32_e32 v27, v27, v34
	;; [unrolled: 1-line block ×4, first 2 shown]
	v_add_f32_e32 v25, v25, v27
	v_sub_f32_e32 v27, v30, v32
	v_add_f32_e32 v25, v27, v25
	v_add_f32_e32 v27, v34, v25
	v_mul_f32_e32 v30, v31, v27
	v_mul_f32_e32 v32, v24, v30
	v_fma_f32 v24, v30, v24, -v32
	v_fmac_f32_e32 v24, v30, v21
	v_sub_f32_e32 v21, v34, v27
	v_add_f32_e32 v21, v25, v21
	v_add_f32_e32 v25, v32, v24
	v_sub_f32_e32 v33, v27, v25
	v_sub_f32_e32 v27, v27, v33
	;; [unrolled: 1-line block ×4, first 2 shown]
	v_add_f32_e32 v21, v21, v25
	v_sub_f32_e32 v24, v32, v24
	v_add_f32_e32 v21, v24, v21
	v_add_f32_e32 v24, v26, v30
	;; [unrolled: 1-line block ×3, first 2 shown]
	v_sub_f32_e32 v25, v24, v26
	v_mul_f32_e32 v21, v31, v21
	v_sub_f32_e32 v25, v30, v25
	v_add_f32_e32 v21, v25, v21
	v_cvt_f32_i32_e32 v20, v20
	v_add_f32_e32 v25, v24, v21
	v_mul_f32_e32 v26, v25, v25
	v_mov_b32_e32 v27, 0x3ecc95a3
	v_fmac_f32_e32 v27, 0x3e9b6dac, v26
	v_mov_b32_e32 v30, 0x3f2aaada
	v_fmac_f32_e32 v30, v26, v27
	v_mul_f32_e32 v27, 0x3f317218, v20
	v_fma_f32 v31, v20, s3, -v27
	v_fmac_f32_e32 v31, 0xb102e308, v20
	v_sub_f32_e32 v20, v25, v24
	v_sub_f32_e32 v20, v21, v20
	v_add_f32_e32 v21, v27, v31
	v_sub_f32_e32 v24, v21, v27
	v_ldexp_f32 v27, v25, 1
	v_mul_f32_e32 v25, v25, v26
	v_mul_f32_e32 v25, v25, v30
	v_add_f32_e32 v26, v27, v25
	v_sub_f32_e32 v27, v26, v27
	v_ldexp_f32 v20, v20, 1
	v_sub_f32_e32 v25, v25, v27
	v_add_f32_e32 v20, v20, v25
	v_add_f32_e32 v25, v26, v20
	v_sub_f32_e32 v26, v25, v26
	v_sub_f32_e32 v20, v20, v26
	v_add_f32_e32 v26, v21, v25
	v_sub_f32_e32 v27, v26, v21
	v_sub_f32_e32 v30, v26, v27
	;; [unrolled: 1-line block ×5, first 2 shown]
	v_add_f32_e32 v21, v25, v21
	v_add_f32_e32 v25, v24, v20
	v_sub_f32_e32 v27, v25, v24
	v_sub_f32_e32 v30, v25, v27
	;; [unrolled: 1-line block ×4, first 2 shown]
	v_add_f32_e32 v21, v25, v21
	v_add_f32_e32 v20, v20, v24
	v_add_f32_e32 v24, v26, v21
	v_sub_f32_e32 v25, v24, v26
	v_sub_f32_e32 v21, v21, v25
	v_add_f32_e32 v20, v20, v21
	v_add_f32_e32 v20, v24, v20
	v_cmp_neq_f32_e64 s[60:61], s2, v23
	s_mov_b32 s2, 0x33800000
	v_cndmask_b32_e64 v20, v22, v20, s[60:61]
	v_cmp_lt_f32_e64 s[60:61], |v23|, s2
	v_cndmask_b32_e64 v20, v20, v23, s[60:61]
	v_add_f32_e32 v19, v19, v20
	v_cvt_f16_f32_e32 v31, v19
	v_cvt_f32_f16_e32 v32, v31
	v_mov_b32_e32 v30, v31
.LBB391_60:
	s_or_b64 exec, exec, s[0:1]
	v_cvt_f32_f16_sdwa v19, v4 dst_sel:DWORD dst_unused:UNUSED_PAD src0_sel:WORD_1
	v_max_f32_e32 v21, v32, v32
	v_cmp_u_f16_e64 s[62:63], v31, v31
	v_cmp_u_f16_sdwa s[60:61], v4, v4 src0_sel:WORD_1 src1_sel:WORD_1
	v_min_f32_e32 v20, v21, v19
	v_max_f32_e32 v4, v21, v19
	v_cndmask_b32_e64 v20, v20, v32, s[62:63]
	v_cndmask_b32_e64 v4, v4, v32, s[62:63]
	;; [unrolled: 1-line block ×4, first 2 shown]
	s_movk_i32 s2, 0x1f8
	v_cmp_neq_f32_e64 s[62:63], v20, v4
	v_cmp_class_f32_e64 s[0:1], v20, s2
	s_or_b64 s[6:7], s[62:63], s[0:1]
	s_and_saveexec_b64 s[0:1], s[6:7]
	s_cbranch_execz .LBB391_62
; %bb.61:
	v_sub_f32_e32 v20, v20, v4
	s_mov_b32 s3, 0x3fb8aa3b
	v_mul_f32_e32 v21, 0x3fb8aa3b, v20
	v_fma_f32 v22, v20, s3, -v21
	v_rndne_f32_e32 v23, v21
	v_fmac_f32_e32 v22, 0x32a5705f, v20
	v_sub_f32_e32 v21, v21, v23
	v_add_f32_e32 v21, v21, v22
	v_exp_f32_e32 v21, v21
	v_cvt_i32_f32_e32 v22, v23
	s_mov_b32 s3, 0xc2ce8ed0
	v_cmp_ngt_f32_e64 s[62:63], s3, v20
	s_mov_b32 s3, 0x42b17218
	v_ldexp_f32 v21, v21, v22
	v_cndmask_b32_e64 v21, 0, v21, s[62:63]
	v_mov_b32_e32 v22, 0x7f800000
	v_cmp_nlt_f32_e64 s[62:63], s3, v20
	v_cndmask_b32_e64 v23, v22, v21, s[62:63]
	v_add_f32_e32 v24, 1.0, v23
	v_cvt_f64_f32_e32 v[20:21], v24
	v_add_f32_e32 v25, -1.0, v24
	v_sub_f32_e32 v26, v25, v24
	v_sub_f32_e32 v25, v23, v25
	v_frexp_exp_i32_f64_e32 v20, v[20:21]
	v_add_f32_e32 v21, 1.0, v26
	v_add_f32_e32 v21, v25, v21
	v_frexp_mant_f32_e32 v25, v24
	s_mov_b32 s6, 0x3f2aaaab
	v_cmp_gt_f32_e64 s[62:63], s6, v25
	s_mov_b32 s6, 0x3f317218
	s_mov_b32 s3, 0x7f800000
	v_subbrev_co_u32_e64 v20, s[62:63], 0, v20, s[62:63]
	v_sub_u32_e32 v25, 0, v20
	v_ldexp_f32 v24, v24, v25
	v_ldexp_f32 v21, v21, v25
	v_add_f32_e32 v25, -1.0, v24
	v_add_f32_e32 v30, 1.0, v24
	v_add_f32_e32 v26, 1.0, v25
	v_add_f32_e32 v31, -1.0, v30
	v_sub_f32_e32 v26, v24, v26
	v_sub_f32_e32 v24, v24, v31
	v_add_f32_e32 v26, v21, v26
	v_add_f32_e32 v21, v21, v24
	;; [unrolled: 1-line block ×3, first 2 shown]
	v_rcp_f32_e32 v31, v24
	v_add_f32_e32 v27, v25, v26
	v_sub_f32_e32 v25, v25, v27
	v_add_f32_e32 v25, v26, v25
	v_sub_f32_e32 v26, v30, v24
	v_add_f32_e32 v21, v21, v26
	v_mul_f32_e32 v26, v27, v31
	v_mul_f32_e32 v30, v24, v26
	v_fma_f32 v32, v26, v24, -v30
	v_fmac_f32_e32 v32, v26, v21
	v_add_f32_e32 v33, v30, v32
	v_sub_f32_e32 v34, v27, v33
	v_sub_f32_e32 v27, v27, v34
	;; [unrolled: 1-line block ×4, first 2 shown]
	v_add_f32_e32 v25, v25, v27
	v_sub_f32_e32 v27, v30, v32
	v_add_f32_e32 v25, v27, v25
	v_add_f32_e32 v27, v34, v25
	v_mul_f32_e32 v30, v31, v27
	v_mul_f32_e32 v32, v24, v30
	v_fma_f32 v24, v30, v24, -v32
	v_fmac_f32_e32 v24, v30, v21
	v_sub_f32_e32 v21, v34, v27
	v_add_f32_e32 v21, v25, v21
	v_add_f32_e32 v25, v32, v24
	v_sub_f32_e32 v33, v27, v25
	v_sub_f32_e32 v27, v27, v33
	;; [unrolled: 1-line block ×4, first 2 shown]
	v_add_f32_e32 v21, v21, v25
	v_sub_f32_e32 v24, v32, v24
	v_add_f32_e32 v21, v24, v21
	v_add_f32_e32 v24, v26, v30
	;; [unrolled: 1-line block ×3, first 2 shown]
	v_sub_f32_e32 v25, v24, v26
	v_mul_f32_e32 v21, v31, v21
	v_sub_f32_e32 v25, v30, v25
	v_add_f32_e32 v21, v25, v21
	v_cvt_f32_i32_e32 v20, v20
	v_add_f32_e32 v25, v24, v21
	v_mul_f32_e32 v26, v25, v25
	v_mov_b32_e32 v27, 0x3ecc95a3
	v_fmac_f32_e32 v27, 0x3e9b6dac, v26
	v_mov_b32_e32 v30, 0x3f2aaada
	v_fmac_f32_e32 v30, v26, v27
	v_mul_f32_e32 v27, 0x3f317218, v20
	v_fma_f32 v31, v20, s6, -v27
	v_fmac_f32_e32 v31, 0xb102e308, v20
	v_sub_f32_e32 v20, v25, v24
	v_sub_f32_e32 v20, v21, v20
	v_add_f32_e32 v21, v27, v31
	v_sub_f32_e32 v24, v21, v27
	v_ldexp_f32 v27, v25, 1
	v_mul_f32_e32 v25, v25, v26
	v_mul_f32_e32 v25, v25, v30
	v_add_f32_e32 v26, v27, v25
	v_sub_f32_e32 v27, v26, v27
	v_ldexp_f32 v20, v20, 1
	v_sub_f32_e32 v25, v25, v27
	v_add_f32_e32 v20, v20, v25
	v_add_f32_e32 v25, v26, v20
	v_sub_f32_e32 v26, v25, v26
	v_sub_f32_e32 v20, v20, v26
	v_add_f32_e32 v26, v21, v25
	v_sub_f32_e32 v27, v26, v21
	v_sub_f32_e32 v30, v26, v27
	;; [unrolled: 1-line block ×5, first 2 shown]
	v_add_f32_e32 v21, v25, v21
	v_add_f32_e32 v25, v24, v20
	v_sub_f32_e32 v27, v25, v24
	v_sub_f32_e32 v30, v25, v27
	v_sub_f32_e32 v24, v24, v30
	v_sub_f32_e32 v20, v20, v27
	v_add_f32_e32 v21, v25, v21
	v_add_f32_e32 v20, v20, v24
	;; [unrolled: 1-line block ×3, first 2 shown]
	v_sub_f32_e32 v25, v24, v26
	v_sub_f32_e32 v21, v21, v25
	v_add_f32_e32 v20, v20, v21
	v_add_f32_e32 v20, v24, v20
	v_cmp_neq_f32_e64 s[62:63], s3, v23
	s_mov_b32 s3, 0x33800000
	v_cndmask_b32_e64 v20, v22, v20, s[62:63]
	v_cmp_lt_f32_e64 s[62:63], |v23|, s3
	v_cndmask_b32_e64 v20, v20, v23, s[62:63]
	v_add_f32_e32 v4, v4, v20
	v_cvt_f16_f32_e32 v31, v4
	v_cvt_f32_f16_e32 v32, v31
	v_mov_b32_e32 v30, v31
.LBB391_62:
	s_or_b64 exec, exec, s[0:1]
	v_cvt_f32_f16_e32 v4, v9
	v_max_f32_e32 v20, v32, v32
	v_cmp_u_f16_e64 s[64:65], v31, v31
	v_cmp_u_f16_e64 s[62:63], v9, v9
	v_min_f32_e32 v21, v20, v4
	v_max_f32_e32 v20, v20, v4
	v_cndmask_b32_e64 v21, v21, v32, s[64:65]
	v_cndmask_b32_e64 v20, v20, v32, s[64:65]
	;; [unrolled: 1-line block ×4, first 2 shown]
	v_cmp_neq_f32_e64 s[64:65], v21, v20
	v_cmp_class_f32_e64 s[0:1], v21, s2
	s_or_b64 s[2:3], s[64:65], s[0:1]
	s_and_saveexec_b64 s[0:1], s[2:3]
	s_cbranch_execz .LBB391_64
; %bb.63:
	v_sub_f32_e32 v21, v21, v20
	s_mov_b32 s2, 0x3fb8aa3b
	v_mul_f32_e32 v22, 0x3fb8aa3b, v21
	v_fma_f32 v23, v21, s2, -v22
	v_rndne_f32_e32 v24, v22
	v_fmac_f32_e32 v23, 0x32a5705f, v21
	v_sub_f32_e32 v22, v22, v24
	v_add_f32_e32 v22, v22, v23
	v_exp_f32_e32 v22, v22
	v_cvt_i32_f32_e32 v23, v24
	s_mov_b32 s2, 0xc2ce8ed0
	v_cmp_ngt_f32_e64 s[64:65], s2, v21
	s_mov_b32 s2, 0x42b17218
	v_ldexp_f32 v22, v22, v23
	v_cndmask_b32_e64 v22, 0, v22, s[64:65]
	v_mov_b32_e32 v23, 0x7f800000
	v_cmp_nlt_f32_e64 s[64:65], s2, v21
	v_cndmask_b32_e64 v24, v23, v22, s[64:65]
	v_add_f32_e32 v25, 1.0, v24
	v_cvt_f64_f32_e32 v[21:22], v25
	v_add_f32_e32 v26, -1.0, v25
	v_sub_f32_e32 v27, v26, v25
	v_sub_f32_e32 v26, v24, v26
	v_frexp_exp_i32_f64_e32 v21, v[21:22]
	v_add_f32_e32 v22, 1.0, v27
	v_add_f32_e32 v22, v26, v22
	v_frexp_mant_f32_e32 v26, v25
	s_mov_b32 s3, 0x3f2aaaab
	v_cmp_gt_f32_e64 s[64:65], s3, v26
	s_mov_b32 s3, 0x3f317218
	s_mov_b32 s2, 0x7f800000
	v_subbrev_co_u32_e64 v21, s[64:65], 0, v21, s[64:65]
	v_sub_u32_e32 v26, 0, v21
	v_ldexp_f32 v25, v25, v26
	v_ldexp_f32 v22, v22, v26
	v_add_f32_e32 v26, -1.0, v25
	v_add_f32_e32 v31, 1.0, v25
	v_add_f32_e32 v27, 1.0, v26
	v_add_f32_e32 v32, -1.0, v31
	v_sub_f32_e32 v27, v25, v27
	v_sub_f32_e32 v25, v25, v32
	v_add_f32_e32 v27, v22, v27
	v_add_f32_e32 v22, v22, v25
	;; [unrolled: 1-line block ×3, first 2 shown]
	v_rcp_f32_e32 v32, v25
	v_add_f32_e32 v30, v26, v27
	v_sub_f32_e32 v26, v26, v30
	v_add_f32_e32 v26, v27, v26
	v_sub_f32_e32 v27, v31, v25
	v_add_f32_e32 v22, v22, v27
	v_mul_f32_e32 v27, v30, v32
	v_mul_f32_e32 v31, v25, v27
	v_fma_f32 v33, v27, v25, -v31
	v_fmac_f32_e32 v33, v27, v22
	v_add_f32_e32 v34, v31, v33
	v_sub_f32_e32 v35, v30, v34
	v_sub_f32_e32 v30, v30, v35
	;; [unrolled: 1-line block ×4, first 2 shown]
	v_add_f32_e32 v26, v26, v30
	v_sub_f32_e32 v30, v31, v33
	v_add_f32_e32 v26, v30, v26
	v_add_f32_e32 v30, v35, v26
	v_mul_f32_e32 v31, v32, v30
	v_mul_f32_e32 v33, v25, v31
	v_fma_f32 v25, v31, v25, -v33
	v_fmac_f32_e32 v25, v31, v22
	v_sub_f32_e32 v22, v35, v30
	v_add_f32_e32 v22, v26, v22
	v_add_f32_e32 v26, v33, v25
	v_sub_f32_e32 v34, v30, v26
	v_sub_f32_e32 v30, v30, v34
	v_sub_f32_e32 v33, v26, v33
	v_sub_f32_e32 v26, v30, v26
	v_add_f32_e32 v22, v22, v26
	v_sub_f32_e32 v25, v33, v25
	v_add_f32_e32 v22, v25, v22
	v_add_f32_e32 v25, v27, v31
	;; [unrolled: 1-line block ×3, first 2 shown]
	v_sub_f32_e32 v26, v25, v27
	v_mul_f32_e32 v22, v32, v22
	v_sub_f32_e32 v26, v31, v26
	v_add_f32_e32 v22, v26, v22
	v_cvt_f32_i32_e32 v21, v21
	v_add_f32_e32 v26, v25, v22
	v_mul_f32_e32 v27, v26, v26
	v_mov_b32_e32 v30, 0x3ecc95a3
	v_fmac_f32_e32 v30, 0x3e9b6dac, v27
	v_mov_b32_e32 v31, 0x3f2aaada
	v_fmac_f32_e32 v31, v27, v30
	v_mul_f32_e32 v30, 0x3f317218, v21
	v_fma_f32 v32, v21, s3, -v30
	v_fmac_f32_e32 v32, 0xb102e308, v21
	v_sub_f32_e32 v21, v26, v25
	v_sub_f32_e32 v21, v22, v21
	v_add_f32_e32 v22, v30, v32
	v_sub_f32_e32 v25, v22, v30
	v_ldexp_f32 v30, v26, 1
	v_mul_f32_e32 v26, v26, v27
	v_mul_f32_e32 v26, v26, v31
	v_add_f32_e32 v27, v30, v26
	v_sub_f32_e32 v30, v27, v30
	v_ldexp_f32 v21, v21, 1
	v_sub_f32_e32 v26, v26, v30
	v_add_f32_e32 v21, v21, v26
	v_add_f32_e32 v26, v27, v21
	v_sub_f32_e32 v27, v26, v27
	v_sub_f32_e32 v21, v21, v27
	v_add_f32_e32 v27, v22, v26
	v_sub_f32_e32 v30, v27, v22
	v_sub_f32_e32 v31, v27, v30
	;; [unrolled: 1-line block ×5, first 2 shown]
	v_add_f32_e32 v22, v26, v22
	v_add_f32_e32 v26, v25, v21
	v_sub_f32_e32 v30, v26, v25
	v_sub_f32_e32 v31, v26, v30
	;; [unrolled: 1-line block ×4, first 2 shown]
	v_add_f32_e32 v22, v26, v22
	v_add_f32_e32 v21, v21, v25
	;; [unrolled: 1-line block ×3, first 2 shown]
	v_sub_f32_e32 v26, v25, v27
	v_sub_f32_e32 v22, v22, v26
	v_add_f32_e32 v21, v21, v22
	v_add_f32_e32 v21, v25, v21
	v_cmp_neq_f32_e64 s[64:65], s2, v24
	s_mov_b32 s2, 0x33800000
	v_cndmask_b32_e64 v21, v23, v21, s[64:65]
	v_cmp_lt_f32_e64 s[64:65], |v24|, s2
	v_cndmask_b32_e64 v21, v21, v24, s[64:65]
	v_add_f32_e32 v20, v20, v21
	v_cvt_f16_f32_e32 v31, v20
	v_cvt_f32_f16_e32 v32, v31
	v_mov_b32_e32 v30, v31
.LBB391_64:
	s_or_b64 exec, exec, s[0:1]
	v_cvt_f32_f16_sdwa v20, v9 dst_sel:DWORD dst_unused:UNUSED_PAD src0_sel:WORD_1
	v_max_f32_e32 v22, v32, v32
	v_cmp_u_f16_e64 s[66:67], v31, v31
	v_cmp_u_f16_sdwa s[64:65], v9, v9 src0_sel:WORD_1 src1_sel:WORD_1
	v_min_f32_e32 v21, v22, v20
	v_max_f32_e32 v9, v22, v20
	v_cndmask_b32_e64 v21, v21, v32, s[66:67]
	v_cndmask_b32_e64 v9, v9, v32, s[66:67]
	;; [unrolled: 1-line block ×4, first 2 shown]
	s_movk_i32 s2, 0x1f8
	v_cmp_neq_f32_e64 s[66:67], v21, v9
	v_cmp_class_f32_e64 s[0:1], v21, s2
	s_or_b64 s[6:7], s[66:67], s[0:1]
	s_and_saveexec_b64 s[0:1], s[6:7]
	s_cbranch_execz .LBB391_66
; %bb.65:
	v_sub_f32_e32 v21, v21, v9
	s_mov_b32 s3, 0x3fb8aa3b
	v_mul_f32_e32 v22, 0x3fb8aa3b, v21
	v_fma_f32 v23, v21, s3, -v22
	v_rndne_f32_e32 v24, v22
	v_fmac_f32_e32 v23, 0x32a5705f, v21
	v_sub_f32_e32 v22, v22, v24
	v_add_f32_e32 v22, v22, v23
	v_exp_f32_e32 v22, v22
	v_cvt_i32_f32_e32 v23, v24
	s_mov_b32 s3, 0xc2ce8ed0
	v_cmp_ngt_f32_e64 s[66:67], s3, v21
	s_mov_b32 s3, 0x42b17218
	v_ldexp_f32 v22, v22, v23
	v_cndmask_b32_e64 v22, 0, v22, s[66:67]
	v_mov_b32_e32 v23, 0x7f800000
	v_cmp_nlt_f32_e64 s[66:67], s3, v21
	v_cndmask_b32_e64 v24, v23, v22, s[66:67]
	v_add_f32_e32 v25, 1.0, v24
	v_cvt_f64_f32_e32 v[21:22], v25
	v_add_f32_e32 v26, -1.0, v25
	v_sub_f32_e32 v27, v26, v25
	v_sub_f32_e32 v26, v24, v26
	v_frexp_exp_i32_f64_e32 v21, v[21:22]
	v_add_f32_e32 v22, 1.0, v27
	v_add_f32_e32 v22, v26, v22
	v_frexp_mant_f32_e32 v26, v25
	s_mov_b32 s6, 0x3f2aaaab
	v_cmp_gt_f32_e64 s[66:67], s6, v26
	s_mov_b32 s6, 0x3f317218
	s_mov_b32 s3, 0x7f800000
	v_subbrev_co_u32_e64 v21, s[66:67], 0, v21, s[66:67]
	v_sub_u32_e32 v26, 0, v21
	v_ldexp_f32 v25, v25, v26
	v_ldexp_f32 v22, v22, v26
	v_add_f32_e32 v26, -1.0, v25
	v_add_f32_e32 v31, 1.0, v25
	v_add_f32_e32 v27, 1.0, v26
	v_add_f32_e32 v32, -1.0, v31
	v_sub_f32_e32 v27, v25, v27
	v_sub_f32_e32 v25, v25, v32
	v_add_f32_e32 v27, v22, v27
	v_add_f32_e32 v22, v22, v25
	;; [unrolled: 1-line block ×3, first 2 shown]
	v_rcp_f32_e32 v32, v25
	v_add_f32_e32 v30, v26, v27
	v_sub_f32_e32 v26, v26, v30
	v_add_f32_e32 v26, v27, v26
	v_sub_f32_e32 v27, v31, v25
	v_add_f32_e32 v22, v22, v27
	v_mul_f32_e32 v27, v30, v32
	v_mul_f32_e32 v31, v25, v27
	v_fma_f32 v33, v27, v25, -v31
	v_fmac_f32_e32 v33, v27, v22
	v_add_f32_e32 v34, v31, v33
	v_sub_f32_e32 v35, v30, v34
	v_sub_f32_e32 v30, v30, v35
	;; [unrolled: 1-line block ×4, first 2 shown]
	v_add_f32_e32 v26, v26, v30
	v_sub_f32_e32 v30, v31, v33
	v_add_f32_e32 v26, v30, v26
	v_add_f32_e32 v30, v35, v26
	v_mul_f32_e32 v31, v32, v30
	v_mul_f32_e32 v33, v25, v31
	v_fma_f32 v25, v31, v25, -v33
	v_fmac_f32_e32 v25, v31, v22
	v_sub_f32_e32 v22, v35, v30
	v_add_f32_e32 v22, v26, v22
	v_add_f32_e32 v26, v33, v25
	v_sub_f32_e32 v34, v30, v26
	v_sub_f32_e32 v30, v30, v34
	;; [unrolled: 1-line block ×4, first 2 shown]
	v_add_f32_e32 v22, v22, v26
	v_sub_f32_e32 v25, v33, v25
	v_add_f32_e32 v22, v25, v22
	v_add_f32_e32 v25, v27, v31
	;; [unrolled: 1-line block ×3, first 2 shown]
	v_sub_f32_e32 v26, v25, v27
	v_mul_f32_e32 v22, v32, v22
	v_sub_f32_e32 v26, v31, v26
	v_add_f32_e32 v22, v26, v22
	v_cvt_f32_i32_e32 v21, v21
	v_add_f32_e32 v26, v25, v22
	v_mul_f32_e32 v27, v26, v26
	v_mov_b32_e32 v30, 0x3ecc95a3
	v_fmac_f32_e32 v30, 0x3e9b6dac, v27
	v_mov_b32_e32 v31, 0x3f2aaada
	v_fmac_f32_e32 v31, v27, v30
	v_mul_f32_e32 v30, 0x3f317218, v21
	v_fma_f32 v32, v21, s6, -v30
	v_fmac_f32_e32 v32, 0xb102e308, v21
	v_sub_f32_e32 v21, v26, v25
	v_sub_f32_e32 v21, v22, v21
	v_add_f32_e32 v22, v30, v32
	v_sub_f32_e32 v25, v22, v30
	v_ldexp_f32 v30, v26, 1
	v_mul_f32_e32 v26, v26, v27
	v_mul_f32_e32 v26, v26, v31
	v_add_f32_e32 v27, v30, v26
	v_sub_f32_e32 v30, v27, v30
	v_ldexp_f32 v21, v21, 1
	v_sub_f32_e32 v26, v26, v30
	v_add_f32_e32 v21, v21, v26
	v_add_f32_e32 v26, v27, v21
	v_sub_f32_e32 v27, v26, v27
	v_sub_f32_e32 v21, v21, v27
	v_add_f32_e32 v27, v22, v26
	v_sub_f32_e32 v30, v27, v22
	v_sub_f32_e32 v31, v27, v30
	;; [unrolled: 1-line block ×5, first 2 shown]
	v_add_f32_e32 v22, v26, v22
	v_add_f32_e32 v26, v25, v21
	v_sub_f32_e32 v30, v26, v25
	v_sub_f32_e32 v31, v26, v30
	v_sub_f32_e32 v25, v25, v31
	v_sub_f32_e32 v21, v21, v30
	v_add_f32_e32 v22, v26, v22
	v_add_f32_e32 v21, v21, v25
	v_add_f32_e32 v25, v27, v22
	v_sub_f32_e32 v26, v25, v27
	v_sub_f32_e32 v22, v22, v26
	v_add_f32_e32 v21, v21, v22
	v_add_f32_e32 v21, v25, v21
	v_cmp_neq_f32_e64 s[66:67], s3, v24
	s_mov_b32 s3, 0x33800000
	v_cndmask_b32_e64 v21, v23, v21, s[66:67]
	v_cmp_lt_f32_e64 s[66:67], |v24|, s3
	v_cndmask_b32_e64 v21, v21, v24, s[66:67]
	v_add_f32_e32 v9, v9, v21
	v_cvt_f16_f32_e32 v31, v9
	v_cvt_f32_f16_e32 v32, v31
	v_mov_b32_e32 v30, v31
.LBB391_66:
	s_or_b64 exec, exec, s[0:1]
	v_cvt_f32_f16_e32 v9, v10
	v_max_f32_e32 v21, v32, v32
	v_cmp_u_f16_e64 s[68:69], v31, v31
	v_cmp_u_f16_e64 s[66:67], v10, v10
	v_min_f32_e32 v22, v21, v9
	v_max_f32_e32 v21, v21, v9
	v_cndmask_b32_e64 v22, v22, v32, s[68:69]
	v_cndmask_b32_e64 v21, v21, v32, s[68:69]
	;; [unrolled: 1-line block ×4, first 2 shown]
	v_cmp_neq_f32_e64 s[68:69], v22, v21
	v_cmp_class_f32_e64 s[0:1], v22, s2
	s_or_b64 s[2:3], s[68:69], s[0:1]
	s_and_saveexec_b64 s[0:1], s[2:3]
	s_cbranch_execz .LBB391_68
; %bb.67:
	v_sub_f32_e32 v22, v22, v21
	s_mov_b32 s2, 0x3fb8aa3b
	v_mul_f32_e32 v23, 0x3fb8aa3b, v22
	v_fma_f32 v24, v22, s2, -v23
	v_rndne_f32_e32 v25, v23
	v_fmac_f32_e32 v24, 0x32a5705f, v22
	v_sub_f32_e32 v23, v23, v25
	v_add_f32_e32 v23, v23, v24
	v_exp_f32_e32 v23, v23
	v_cvt_i32_f32_e32 v24, v25
	s_mov_b32 s2, 0xc2ce8ed0
	v_cmp_ngt_f32_e64 s[68:69], s2, v22
	s_mov_b32 s2, 0x42b17218
	v_ldexp_f32 v23, v23, v24
	v_cndmask_b32_e64 v23, 0, v23, s[68:69]
	v_mov_b32_e32 v24, 0x7f800000
	v_cmp_nlt_f32_e64 s[68:69], s2, v22
	v_cndmask_b32_e64 v25, v24, v23, s[68:69]
	v_add_f32_e32 v26, 1.0, v25
	v_cvt_f64_f32_e32 v[22:23], v26
	v_add_f32_e32 v27, -1.0, v26
	v_sub_f32_e32 v30, v27, v26
	v_sub_f32_e32 v27, v25, v27
	v_frexp_exp_i32_f64_e32 v22, v[22:23]
	v_add_f32_e32 v23, 1.0, v30
	v_add_f32_e32 v23, v27, v23
	v_frexp_mant_f32_e32 v27, v26
	s_mov_b32 s3, 0x3f2aaaab
	v_cmp_gt_f32_e64 s[68:69], s3, v27
	s_mov_b32 s3, 0x3f317218
	s_mov_b32 s2, 0x7f800000
	v_subbrev_co_u32_e64 v22, s[68:69], 0, v22, s[68:69]
	v_sub_u32_e32 v27, 0, v22
	v_ldexp_f32 v26, v26, v27
	v_ldexp_f32 v23, v23, v27
	v_add_f32_e32 v27, -1.0, v26
	v_add_f32_e32 v32, 1.0, v26
	v_add_f32_e32 v30, 1.0, v27
	v_add_f32_e32 v33, -1.0, v32
	v_sub_f32_e32 v30, v26, v30
	v_sub_f32_e32 v26, v26, v33
	v_add_f32_e32 v30, v23, v30
	v_add_f32_e32 v23, v23, v26
	;; [unrolled: 1-line block ×3, first 2 shown]
	v_rcp_f32_e32 v33, v26
	v_add_f32_e32 v31, v27, v30
	v_sub_f32_e32 v27, v27, v31
	v_add_f32_e32 v27, v30, v27
	v_sub_f32_e32 v30, v32, v26
	v_add_f32_e32 v23, v23, v30
	v_mul_f32_e32 v30, v31, v33
	v_mul_f32_e32 v32, v26, v30
	v_fma_f32 v34, v30, v26, -v32
	v_fmac_f32_e32 v34, v30, v23
	v_add_f32_e32 v35, v32, v34
	v_sub_f32_e32 v36, v31, v35
	v_sub_f32_e32 v31, v31, v36
	;; [unrolled: 1-line block ×4, first 2 shown]
	v_add_f32_e32 v27, v27, v31
	v_sub_f32_e32 v31, v32, v34
	v_add_f32_e32 v27, v31, v27
	v_add_f32_e32 v31, v36, v27
	v_mul_f32_e32 v32, v33, v31
	v_mul_f32_e32 v34, v26, v32
	v_fma_f32 v26, v32, v26, -v34
	v_fmac_f32_e32 v26, v32, v23
	v_sub_f32_e32 v23, v36, v31
	v_add_f32_e32 v23, v27, v23
	v_add_f32_e32 v27, v34, v26
	v_sub_f32_e32 v35, v31, v27
	v_sub_f32_e32 v31, v31, v35
	;; [unrolled: 1-line block ×4, first 2 shown]
	v_add_f32_e32 v23, v23, v27
	v_sub_f32_e32 v26, v34, v26
	v_add_f32_e32 v23, v26, v23
	v_add_f32_e32 v26, v30, v32
	;; [unrolled: 1-line block ×3, first 2 shown]
	v_sub_f32_e32 v27, v26, v30
	v_mul_f32_e32 v23, v33, v23
	v_sub_f32_e32 v27, v32, v27
	v_add_f32_e32 v23, v27, v23
	v_cvt_f32_i32_e32 v22, v22
	v_add_f32_e32 v27, v26, v23
	v_mul_f32_e32 v30, v27, v27
	v_mov_b32_e32 v31, 0x3ecc95a3
	v_fmac_f32_e32 v31, 0x3e9b6dac, v30
	v_mov_b32_e32 v32, 0x3f2aaada
	v_fmac_f32_e32 v32, v30, v31
	v_mul_f32_e32 v31, 0x3f317218, v22
	v_fma_f32 v33, v22, s3, -v31
	v_fmac_f32_e32 v33, 0xb102e308, v22
	v_sub_f32_e32 v22, v27, v26
	v_sub_f32_e32 v22, v23, v22
	v_add_f32_e32 v23, v31, v33
	v_sub_f32_e32 v26, v23, v31
	v_ldexp_f32 v31, v27, 1
	v_mul_f32_e32 v27, v27, v30
	v_mul_f32_e32 v27, v27, v32
	v_add_f32_e32 v30, v31, v27
	v_sub_f32_e32 v31, v30, v31
	v_ldexp_f32 v22, v22, 1
	v_sub_f32_e32 v27, v27, v31
	v_add_f32_e32 v22, v22, v27
	v_add_f32_e32 v27, v30, v22
	v_sub_f32_e32 v30, v27, v30
	v_sub_f32_e32 v22, v22, v30
	v_add_f32_e32 v30, v23, v27
	v_sub_f32_e32 v31, v30, v23
	v_sub_f32_e32 v32, v30, v31
	;; [unrolled: 1-line block ×5, first 2 shown]
	v_add_f32_e32 v23, v27, v23
	v_add_f32_e32 v27, v26, v22
	v_sub_f32_e32 v31, v27, v26
	v_sub_f32_e32 v32, v27, v31
	;; [unrolled: 1-line block ×4, first 2 shown]
	v_add_f32_e32 v23, v27, v23
	v_add_f32_e32 v22, v22, v26
	;; [unrolled: 1-line block ×3, first 2 shown]
	v_sub_f32_e32 v27, v26, v30
	v_sub_f32_e32 v23, v23, v27
	v_add_f32_e32 v22, v22, v23
	v_add_f32_e32 v22, v26, v22
	v_cmp_neq_f32_e64 s[68:69], s2, v25
	s_mov_b32 s2, 0x33800000
	v_cndmask_b32_e64 v22, v24, v22, s[68:69]
	v_cmp_lt_f32_e64 s[68:69], |v25|, s2
	v_cndmask_b32_e64 v22, v22, v25, s[68:69]
	v_add_f32_e32 v21, v21, v22
	v_cvt_f16_f32_e32 v31, v21
	v_cvt_f32_f16_e32 v32, v31
	v_mov_b32_e32 v30, v31
.LBB391_68:
	s_or_b64 exec, exec, s[0:1]
	v_cvt_f32_f16_sdwa v21, v10 dst_sel:DWORD dst_unused:UNUSED_PAD src0_sel:WORD_1
	v_max_f32_e32 v23, v32, v32
	v_cmp_u_f16_e64 s[70:71], v31, v31
	v_cmp_u_f16_sdwa s[68:69], v10, v10 src0_sel:WORD_1 src1_sel:WORD_1
	v_min_f32_e32 v22, v23, v21
	v_max_f32_e32 v10, v23, v21
	v_cndmask_b32_e64 v22, v22, v32, s[70:71]
	v_cndmask_b32_e64 v10, v10, v32, s[70:71]
	;; [unrolled: 1-line block ×4, first 2 shown]
	s_movk_i32 s2, 0x1f8
	v_cmp_neq_f32_e64 s[70:71], v22, v10
	v_cmp_class_f32_e64 s[0:1], v22, s2
	s_or_b64 s[6:7], s[70:71], s[0:1]
	s_and_saveexec_b64 s[0:1], s[6:7]
	s_cbranch_execz .LBB391_70
; %bb.69:
	v_sub_f32_e32 v22, v22, v10
	s_mov_b32 s3, 0x3fb8aa3b
	v_mul_f32_e32 v23, 0x3fb8aa3b, v22
	v_fma_f32 v24, v22, s3, -v23
	v_rndne_f32_e32 v25, v23
	v_fmac_f32_e32 v24, 0x32a5705f, v22
	v_sub_f32_e32 v23, v23, v25
	v_add_f32_e32 v23, v23, v24
	v_exp_f32_e32 v23, v23
	v_cvt_i32_f32_e32 v24, v25
	s_mov_b32 s3, 0xc2ce8ed0
	v_cmp_ngt_f32_e64 s[70:71], s3, v22
	s_mov_b32 s3, 0x42b17218
	v_ldexp_f32 v23, v23, v24
	v_cndmask_b32_e64 v23, 0, v23, s[70:71]
	v_mov_b32_e32 v24, 0x7f800000
	v_cmp_nlt_f32_e64 s[70:71], s3, v22
	v_cndmask_b32_e64 v25, v24, v23, s[70:71]
	v_add_f32_e32 v26, 1.0, v25
	v_cvt_f64_f32_e32 v[22:23], v26
	v_add_f32_e32 v27, -1.0, v26
	v_sub_f32_e32 v30, v27, v26
	v_sub_f32_e32 v27, v25, v27
	v_frexp_exp_i32_f64_e32 v22, v[22:23]
	v_add_f32_e32 v23, 1.0, v30
	v_add_f32_e32 v23, v27, v23
	v_frexp_mant_f32_e32 v27, v26
	s_mov_b32 s6, 0x3f2aaaab
	v_cmp_gt_f32_e64 s[70:71], s6, v27
	s_mov_b32 s6, 0x3f317218
	s_mov_b32 s3, 0x7f800000
	v_subbrev_co_u32_e64 v22, s[70:71], 0, v22, s[70:71]
	v_sub_u32_e32 v27, 0, v22
	v_ldexp_f32 v26, v26, v27
	v_ldexp_f32 v23, v23, v27
	v_add_f32_e32 v27, -1.0, v26
	v_add_f32_e32 v32, 1.0, v26
	v_add_f32_e32 v30, 1.0, v27
	v_add_f32_e32 v33, -1.0, v32
	v_sub_f32_e32 v30, v26, v30
	v_sub_f32_e32 v26, v26, v33
	v_add_f32_e32 v30, v23, v30
	v_add_f32_e32 v23, v23, v26
	;; [unrolled: 1-line block ×3, first 2 shown]
	v_rcp_f32_e32 v33, v26
	v_add_f32_e32 v31, v27, v30
	v_sub_f32_e32 v27, v27, v31
	v_add_f32_e32 v27, v30, v27
	v_sub_f32_e32 v30, v32, v26
	v_add_f32_e32 v23, v23, v30
	v_mul_f32_e32 v30, v31, v33
	v_mul_f32_e32 v32, v26, v30
	v_fma_f32 v34, v30, v26, -v32
	v_fmac_f32_e32 v34, v30, v23
	v_add_f32_e32 v35, v32, v34
	v_sub_f32_e32 v36, v31, v35
	v_sub_f32_e32 v31, v31, v36
	;; [unrolled: 1-line block ×4, first 2 shown]
	v_add_f32_e32 v27, v27, v31
	v_sub_f32_e32 v31, v32, v34
	v_add_f32_e32 v27, v31, v27
	v_add_f32_e32 v31, v36, v27
	v_mul_f32_e32 v32, v33, v31
	v_mul_f32_e32 v34, v26, v32
	v_fma_f32 v26, v32, v26, -v34
	v_fmac_f32_e32 v26, v32, v23
	v_sub_f32_e32 v23, v36, v31
	v_add_f32_e32 v23, v27, v23
	v_add_f32_e32 v27, v34, v26
	v_sub_f32_e32 v35, v31, v27
	v_sub_f32_e32 v31, v31, v35
	;; [unrolled: 1-line block ×4, first 2 shown]
	v_add_f32_e32 v23, v23, v27
	v_sub_f32_e32 v26, v34, v26
	v_add_f32_e32 v23, v26, v23
	v_add_f32_e32 v26, v30, v32
	;; [unrolled: 1-line block ×3, first 2 shown]
	v_sub_f32_e32 v27, v26, v30
	v_mul_f32_e32 v23, v33, v23
	v_sub_f32_e32 v27, v32, v27
	v_add_f32_e32 v23, v27, v23
	v_cvt_f32_i32_e32 v22, v22
	v_add_f32_e32 v27, v26, v23
	v_mul_f32_e32 v30, v27, v27
	v_mov_b32_e32 v31, 0x3ecc95a3
	v_fmac_f32_e32 v31, 0x3e9b6dac, v30
	v_mov_b32_e32 v32, 0x3f2aaada
	v_fmac_f32_e32 v32, v30, v31
	v_mul_f32_e32 v31, 0x3f317218, v22
	v_fma_f32 v33, v22, s6, -v31
	v_fmac_f32_e32 v33, 0xb102e308, v22
	v_sub_f32_e32 v22, v27, v26
	v_sub_f32_e32 v22, v23, v22
	v_add_f32_e32 v23, v31, v33
	v_sub_f32_e32 v26, v23, v31
	v_ldexp_f32 v31, v27, 1
	v_mul_f32_e32 v27, v27, v30
	v_mul_f32_e32 v27, v27, v32
	v_add_f32_e32 v30, v31, v27
	v_sub_f32_e32 v31, v30, v31
	v_ldexp_f32 v22, v22, 1
	v_sub_f32_e32 v27, v27, v31
	v_add_f32_e32 v22, v22, v27
	v_add_f32_e32 v27, v30, v22
	v_sub_f32_e32 v30, v27, v30
	v_sub_f32_e32 v22, v22, v30
	v_add_f32_e32 v30, v23, v27
	v_sub_f32_e32 v31, v30, v23
	v_sub_f32_e32 v32, v30, v31
	;; [unrolled: 1-line block ×5, first 2 shown]
	v_add_f32_e32 v23, v27, v23
	v_add_f32_e32 v27, v26, v22
	v_sub_f32_e32 v31, v27, v26
	v_sub_f32_e32 v32, v27, v31
	;; [unrolled: 1-line block ×4, first 2 shown]
	v_add_f32_e32 v23, v27, v23
	v_add_f32_e32 v22, v22, v26
	v_add_f32_e32 v26, v30, v23
	v_sub_f32_e32 v27, v26, v30
	v_sub_f32_e32 v23, v23, v27
	v_add_f32_e32 v22, v22, v23
	v_add_f32_e32 v22, v26, v22
	v_cmp_neq_f32_e64 s[70:71], s3, v25
	s_mov_b32 s3, 0x33800000
	v_cndmask_b32_e64 v22, v24, v22, s[70:71]
	v_cmp_lt_f32_e64 s[70:71], |v25|, s3
	v_cndmask_b32_e64 v22, v22, v25, s[70:71]
	v_add_f32_e32 v10, v10, v22
	v_cvt_f16_f32_e32 v31, v10
	v_cvt_f32_f16_e32 v32, v31
	v_mov_b32_e32 v30, v31
.LBB391_70:
	s_or_b64 exec, exec, s[0:1]
	v_cvt_f32_f16_e32 v10, v11
	v_max_f32_e32 v22, v32, v32
	v_cmp_u_f16_e64 s[72:73], v31, v31
	v_cmp_u_f16_e64 s[70:71], v11, v11
	v_min_f32_e32 v23, v22, v10
	v_max_f32_e32 v22, v22, v10
	v_cndmask_b32_e64 v23, v23, v32, s[72:73]
	v_cndmask_b32_e64 v22, v22, v32, s[72:73]
	;; [unrolled: 1-line block ×4, first 2 shown]
	v_cmp_neq_f32_e64 s[72:73], v23, v22
	v_cmp_class_f32_e64 s[0:1], v23, s2
	s_or_b64 s[2:3], s[72:73], s[0:1]
	s_and_saveexec_b64 s[0:1], s[2:3]
	s_cbranch_execz .LBB391_72
; %bb.71:
	v_sub_f32_e32 v23, v23, v22
	s_mov_b32 s2, 0x3fb8aa3b
	v_mul_f32_e32 v24, 0x3fb8aa3b, v23
	v_fma_f32 v25, v23, s2, -v24
	v_rndne_f32_e32 v26, v24
	v_fmac_f32_e32 v25, 0x32a5705f, v23
	v_sub_f32_e32 v24, v24, v26
	v_add_f32_e32 v24, v24, v25
	v_exp_f32_e32 v24, v24
	v_cvt_i32_f32_e32 v25, v26
	s_mov_b32 s2, 0xc2ce8ed0
	v_cmp_ngt_f32_e64 s[72:73], s2, v23
	s_mov_b32 s2, 0x42b17218
	v_ldexp_f32 v24, v24, v25
	v_cndmask_b32_e64 v24, 0, v24, s[72:73]
	v_mov_b32_e32 v25, 0x7f800000
	v_cmp_nlt_f32_e64 s[72:73], s2, v23
	v_cndmask_b32_e64 v26, v25, v24, s[72:73]
	v_add_f32_e32 v27, 1.0, v26
	v_cvt_f64_f32_e32 v[23:24], v27
	v_add_f32_e32 v30, -1.0, v27
	v_sub_f32_e32 v31, v30, v27
	v_sub_f32_e32 v30, v26, v30
	v_frexp_exp_i32_f64_e32 v23, v[23:24]
	v_add_f32_e32 v24, 1.0, v31
	v_add_f32_e32 v24, v30, v24
	v_frexp_mant_f32_e32 v30, v27
	s_mov_b32 s3, 0x3f2aaaab
	v_cmp_gt_f32_e64 s[72:73], s3, v30
	s_mov_b32 s3, 0x3f317218
	s_mov_b32 s2, 0x7f800000
	v_subbrev_co_u32_e64 v23, s[72:73], 0, v23, s[72:73]
	v_sub_u32_e32 v30, 0, v23
	v_ldexp_f32 v27, v27, v30
	v_ldexp_f32 v24, v24, v30
	v_add_f32_e32 v30, -1.0, v27
	v_add_f32_e32 v33, 1.0, v27
	v_add_f32_e32 v31, 1.0, v30
	v_add_f32_e32 v34, -1.0, v33
	v_sub_f32_e32 v31, v27, v31
	v_sub_f32_e32 v27, v27, v34
	v_add_f32_e32 v31, v24, v31
	v_add_f32_e32 v24, v24, v27
	;; [unrolled: 1-line block ×3, first 2 shown]
	v_rcp_f32_e32 v34, v27
	v_add_f32_e32 v32, v30, v31
	v_sub_f32_e32 v30, v30, v32
	v_add_f32_e32 v30, v31, v30
	v_sub_f32_e32 v31, v33, v27
	v_add_f32_e32 v24, v24, v31
	v_mul_f32_e32 v31, v32, v34
	v_mul_f32_e32 v33, v27, v31
	v_fma_f32 v35, v31, v27, -v33
	v_fmac_f32_e32 v35, v31, v24
	v_add_f32_e32 v36, v33, v35
	v_sub_f32_e32 v37, v32, v36
	v_sub_f32_e32 v32, v32, v37
	;; [unrolled: 1-line block ×4, first 2 shown]
	v_add_f32_e32 v30, v30, v32
	v_sub_f32_e32 v32, v33, v35
	v_add_f32_e32 v30, v32, v30
	v_add_f32_e32 v32, v37, v30
	v_mul_f32_e32 v33, v34, v32
	v_mul_f32_e32 v35, v27, v33
	v_fma_f32 v27, v33, v27, -v35
	v_fmac_f32_e32 v27, v33, v24
	v_sub_f32_e32 v24, v37, v32
	v_add_f32_e32 v24, v30, v24
	v_add_f32_e32 v30, v35, v27
	v_sub_f32_e32 v36, v32, v30
	v_sub_f32_e32 v32, v32, v36
	;; [unrolled: 1-line block ×4, first 2 shown]
	v_add_f32_e32 v24, v24, v30
	v_sub_f32_e32 v27, v35, v27
	v_add_f32_e32 v24, v27, v24
	v_add_f32_e32 v27, v31, v33
	;; [unrolled: 1-line block ×3, first 2 shown]
	v_sub_f32_e32 v30, v27, v31
	v_mul_f32_e32 v24, v34, v24
	v_sub_f32_e32 v30, v33, v30
	v_add_f32_e32 v24, v30, v24
	v_cvt_f32_i32_e32 v23, v23
	v_add_f32_e32 v30, v27, v24
	v_mul_f32_e32 v31, v30, v30
	v_mov_b32_e32 v32, 0x3ecc95a3
	v_fmac_f32_e32 v32, 0x3e9b6dac, v31
	v_mov_b32_e32 v33, 0x3f2aaada
	v_fmac_f32_e32 v33, v31, v32
	v_mul_f32_e32 v32, 0x3f317218, v23
	v_fma_f32 v34, v23, s3, -v32
	v_fmac_f32_e32 v34, 0xb102e308, v23
	v_sub_f32_e32 v23, v30, v27
	v_sub_f32_e32 v23, v24, v23
	v_add_f32_e32 v24, v32, v34
	v_sub_f32_e32 v27, v24, v32
	v_ldexp_f32 v32, v30, 1
	v_mul_f32_e32 v30, v30, v31
	v_mul_f32_e32 v30, v30, v33
	v_add_f32_e32 v31, v32, v30
	v_sub_f32_e32 v32, v31, v32
	v_ldexp_f32 v23, v23, 1
	v_sub_f32_e32 v30, v30, v32
	v_add_f32_e32 v23, v23, v30
	v_add_f32_e32 v30, v31, v23
	v_sub_f32_e32 v31, v30, v31
	v_sub_f32_e32 v23, v23, v31
	v_add_f32_e32 v31, v24, v30
	v_sub_f32_e32 v32, v31, v24
	v_sub_f32_e32 v33, v31, v32
	v_sub_f32_e32 v27, v34, v27
	v_sub_f32_e32 v24, v24, v33
	v_sub_f32_e32 v30, v30, v32
	v_add_f32_e32 v24, v30, v24
	v_add_f32_e32 v30, v27, v23
	v_sub_f32_e32 v32, v30, v27
	v_sub_f32_e32 v33, v30, v32
	;; [unrolled: 1-line block ×4, first 2 shown]
	v_add_f32_e32 v24, v30, v24
	v_add_f32_e32 v23, v23, v27
	;; [unrolled: 1-line block ×3, first 2 shown]
	v_sub_f32_e32 v30, v27, v31
	v_sub_f32_e32 v24, v24, v30
	v_add_f32_e32 v23, v23, v24
	v_add_f32_e32 v23, v27, v23
	v_cmp_neq_f32_e64 s[72:73], s2, v26
	s_mov_b32 s2, 0x33800000
	v_cndmask_b32_e64 v23, v25, v23, s[72:73]
	v_cmp_lt_f32_e64 s[72:73], |v26|, s2
	v_cndmask_b32_e64 v23, v23, v26, s[72:73]
	v_add_f32_e32 v22, v22, v23
	v_cvt_f16_f32_e32 v31, v22
	v_cvt_f32_f16_e32 v32, v31
	v_mov_b32_e32 v30, v31
.LBB391_72:
	s_or_b64 exec, exec, s[0:1]
	v_cvt_f32_f16_sdwa v22, v11 dst_sel:DWORD dst_unused:UNUSED_PAD src0_sel:WORD_1
	v_max_f32_e32 v24, v32, v32
	v_cmp_u_f16_e64 s[74:75], v31, v31
	v_cmp_u_f16_sdwa s[72:73], v11, v11 src0_sel:WORD_1 src1_sel:WORD_1
	v_min_f32_e32 v23, v24, v22
	v_max_f32_e32 v11, v24, v22
	v_cndmask_b32_e64 v23, v23, v32, s[74:75]
	v_cndmask_b32_e64 v11, v11, v32, s[74:75]
	;; [unrolled: 1-line block ×4, first 2 shown]
	s_movk_i32 s2, 0x1f8
	v_cmp_neq_f32_e64 s[74:75], v23, v11
	v_cmp_class_f32_e64 s[0:1], v23, s2
	s_or_b64 s[6:7], s[74:75], s[0:1]
	s_and_saveexec_b64 s[0:1], s[6:7]
	s_cbranch_execz .LBB391_74
; %bb.73:
	v_sub_f32_e32 v23, v23, v11
	s_mov_b32 s3, 0x3fb8aa3b
	v_mul_f32_e32 v24, 0x3fb8aa3b, v23
	v_fma_f32 v25, v23, s3, -v24
	v_rndne_f32_e32 v26, v24
	v_fmac_f32_e32 v25, 0x32a5705f, v23
	v_sub_f32_e32 v24, v24, v26
	v_add_f32_e32 v24, v24, v25
	v_exp_f32_e32 v24, v24
	v_cvt_i32_f32_e32 v25, v26
	s_mov_b32 s3, 0xc2ce8ed0
	v_cmp_ngt_f32_e64 s[74:75], s3, v23
	s_mov_b32 s3, 0x42b17218
	v_ldexp_f32 v24, v24, v25
	v_cndmask_b32_e64 v24, 0, v24, s[74:75]
	v_mov_b32_e32 v25, 0x7f800000
	v_cmp_nlt_f32_e64 s[74:75], s3, v23
	v_cndmask_b32_e64 v26, v25, v24, s[74:75]
	v_add_f32_e32 v27, 1.0, v26
	v_cvt_f64_f32_e32 v[23:24], v27
	v_add_f32_e32 v30, -1.0, v27
	v_sub_f32_e32 v31, v30, v27
	v_sub_f32_e32 v30, v26, v30
	v_frexp_exp_i32_f64_e32 v23, v[23:24]
	v_add_f32_e32 v24, 1.0, v31
	v_add_f32_e32 v24, v30, v24
	v_frexp_mant_f32_e32 v30, v27
	s_mov_b32 s6, 0x3f2aaaab
	v_cmp_gt_f32_e64 s[74:75], s6, v30
	s_mov_b32 s6, 0x3f317218
	s_mov_b32 s3, 0x7f800000
	v_subbrev_co_u32_e64 v23, s[74:75], 0, v23, s[74:75]
	v_sub_u32_e32 v30, 0, v23
	v_ldexp_f32 v27, v27, v30
	v_ldexp_f32 v24, v24, v30
	v_add_f32_e32 v30, -1.0, v27
	v_add_f32_e32 v33, 1.0, v27
	v_add_f32_e32 v31, 1.0, v30
	v_add_f32_e32 v34, -1.0, v33
	v_sub_f32_e32 v31, v27, v31
	v_sub_f32_e32 v27, v27, v34
	v_add_f32_e32 v31, v24, v31
	v_add_f32_e32 v24, v24, v27
	;; [unrolled: 1-line block ×3, first 2 shown]
	v_rcp_f32_e32 v34, v27
	v_add_f32_e32 v32, v30, v31
	v_sub_f32_e32 v30, v30, v32
	v_add_f32_e32 v30, v31, v30
	v_sub_f32_e32 v31, v33, v27
	v_add_f32_e32 v24, v24, v31
	v_mul_f32_e32 v31, v32, v34
	v_mul_f32_e32 v33, v27, v31
	v_fma_f32 v35, v31, v27, -v33
	v_fmac_f32_e32 v35, v31, v24
	v_add_f32_e32 v36, v33, v35
	v_sub_f32_e32 v37, v32, v36
	v_sub_f32_e32 v32, v32, v37
	;; [unrolled: 1-line block ×4, first 2 shown]
	v_add_f32_e32 v30, v30, v32
	v_sub_f32_e32 v32, v33, v35
	v_add_f32_e32 v30, v32, v30
	v_add_f32_e32 v32, v37, v30
	v_mul_f32_e32 v33, v34, v32
	v_mul_f32_e32 v35, v27, v33
	v_fma_f32 v27, v33, v27, -v35
	v_fmac_f32_e32 v27, v33, v24
	v_sub_f32_e32 v24, v37, v32
	v_add_f32_e32 v24, v30, v24
	v_add_f32_e32 v30, v35, v27
	v_sub_f32_e32 v36, v32, v30
	v_sub_f32_e32 v32, v32, v36
	;; [unrolled: 1-line block ×4, first 2 shown]
	v_add_f32_e32 v24, v24, v30
	v_sub_f32_e32 v27, v35, v27
	v_add_f32_e32 v24, v27, v24
	v_add_f32_e32 v27, v31, v33
	;; [unrolled: 1-line block ×3, first 2 shown]
	v_sub_f32_e32 v30, v27, v31
	v_mul_f32_e32 v24, v34, v24
	v_sub_f32_e32 v30, v33, v30
	v_add_f32_e32 v24, v30, v24
	v_cvt_f32_i32_e32 v23, v23
	v_add_f32_e32 v30, v27, v24
	v_mul_f32_e32 v31, v30, v30
	v_mov_b32_e32 v32, 0x3ecc95a3
	v_fmac_f32_e32 v32, 0x3e9b6dac, v31
	v_mov_b32_e32 v33, 0x3f2aaada
	v_fmac_f32_e32 v33, v31, v32
	v_mul_f32_e32 v32, 0x3f317218, v23
	v_fma_f32 v34, v23, s6, -v32
	v_fmac_f32_e32 v34, 0xb102e308, v23
	v_sub_f32_e32 v23, v30, v27
	v_sub_f32_e32 v23, v24, v23
	v_add_f32_e32 v24, v32, v34
	v_sub_f32_e32 v27, v24, v32
	v_ldexp_f32 v32, v30, 1
	v_mul_f32_e32 v30, v30, v31
	v_mul_f32_e32 v30, v30, v33
	v_add_f32_e32 v31, v32, v30
	v_sub_f32_e32 v32, v31, v32
	v_ldexp_f32 v23, v23, 1
	v_sub_f32_e32 v30, v30, v32
	v_add_f32_e32 v23, v23, v30
	v_add_f32_e32 v30, v31, v23
	v_sub_f32_e32 v31, v30, v31
	v_sub_f32_e32 v23, v23, v31
	v_add_f32_e32 v31, v24, v30
	v_sub_f32_e32 v32, v31, v24
	v_sub_f32_e32 v33, v31, v32
	;; [unrolled: 1-line block ×5, first 2 shown]
	v_add_f32_e32 v24, v30, v24
	v_add_f32_e32 v30, v27, v23
	v_sub_f32_e32 v32, v30, v27
	v_sub_f32_e32 v33, v30, v32
	;; [unrolled: 1-line block ×4, first 2 shown]
	v_add_f32_e32 v24, v30, v24
	v_add_f32_e32 v23, v23, v27
	;; [unrolled: 1-line block ×3, first 2 shown]
	v_sub_f32_e32 v30, v27, v31
	v_sub_f32_e32 v24, v24, v30
	v_add_f32_e32 v23, v23, v24
	v_add_f32_e32 v23, v27, v23
	v_cmp_neq_f32_e64 s[74:75], s3, v26
	s_mov_b32 s3, 0x33800000
	v_cndmask_b32_e64 v23, v25, v23, s[74:75]
	v_cmp_lt_f32_e64 s[74:75], |v26|, s3
	v_cndmask_b32_e64 v23, v23, v26, s[74:75]
	v_add_f32_e32 v11, v11, v23
	v_cvt_f16_f32_e32 v31, v11
	v_cvt_f32_f16_e32 v32, v31
	v_mov_b32_e32 v30, v31
.LBB391_74:
	s_or_b64 exec, exec, s[0:1]
	v_cvt_f32_f16_e32 v11, v12
	v_max_f32_e32 v23, v32, v32
	v_cmp_u_f16_e64 s[76:77], v31, v31
	v_cmp_u_f16_e64 s[74:75], v12, v12
	v_min_f32_e32 v24, v23, v11
	v_max_f32_e32 v23, v23, v11
	v_cndmask_b32_e64 v24, v24, v32, s[76:77]
	v_cndmask_b32_e64 v23, v23, v32, s[76:77]
	;; [unrolled: 1-line block ×4, first 2 shown]
	v_cmp_neq_f32_e64 s[76:77], v24, v23
	v_cmp_class_f32_e64 s[0:1], v24, s2
	s_or_b64 s[2:3], s[76:77], s[0:1]
	s_and_saveexec_b64 s[0:1], s[2:3]
	s_cbranch_execz .LBB391_76
; %bb.75:
	v_sub_f32_e32 v24, v24, v23
	s_mov_b32 s2, 0x3fb8aa3b
	v_mul_f32_e32 v25, 0x3fb8aa3b, v24
	v_fma_f32 v26, v24, s2, -v25
	v_rndne_f32_e32 v27, v25
	v_fmac_f32_e32 v26, 0x32a5705f, v24
	v_sub_f32_e32 v25, v25, v27
	v_add_f32_e32 v25, v25, v26
	v_exp_f32_e32 v25, v25
	v_cvt_i32_f32_e32 v26, v27
	s_mov_b32 s2, 0xc2ce8ed0
	v_cmp_ngt_f32_e64 s[76:77], s2, v24
	s_mov_b32 s2, 0x42b17218
	v_ldexp_f32 v25, v25, v26
	v_cndmask_b32_e64 v25, 0, v25, s[76:77]
	v_mov_b32_e32 v26, 0x7f800000
	v_cmp_nlt_f32_e64 s[76:77], s2, v24
	v_cndmask_b32_e64 v27, v26, v25, s[76:77]
	v_add_f32_e32 v30, 1.0, v27
	v_cvt_f64_f32_e32 v[24:25], v30
	v_add_f32_e32 v31, -1.0, v30
	v_sub_f32_e32 v32, v31, v30
	v_sub_f32_e32 v31, v27, v31
	v_frexp_exp_i32_f64_e32 v24, v[24:25]
	v_add_f32_e32 v25, 1.0, v32
	v_add_f32_e32 v25, v31, v25
	v_frexp_mant_f32_e32 v31, v30
	s_mov_b32 s3, 0x3f2aaaab
	v_cmp_gt_f32_e64 s[76:77], s3, v31
	s_mov_b32 s3, 0x3f317218
	s_mov_b32 s2, 0x7f800000
	v_subbrev_co_u32_e64 v24, s[76:77], 0, v24, s[76:77]
	v_sub_u32_e32 v31, 0, v24
	v_ldexp_f32 v30, v30, v31
	v_ldexp_f32 v25, v25, v31
	v_add_f32_e32 v31, -1.0, v30
	v_add_f32_e32 v34, 1.0, v30
	v_add_f32_e32 v32, 1.0, v31
	v_add_f32_e32 v35, -1.0, v34
	v_sub_f32_e32 v32, v30, v32
	v_sub_f32_e32 v30, v30, v35
	v_add_f32_e32 v32, v25, v32
	v_add_f32_e32 v25, v25, v30
	;; [unrolled: 1-line block ×3, first 2 shown]
	v_rcp_f32_e32 v35, v30
	v_add_f32_e32 v33, v31, v32
	v_sub_f32_e32 v31, v31, v33
	v_add_f32_e32 v31, v32, v31
	v_sub_f32_e32 v32, v34, v30
	v_add_f32_e32 v25, v25, v32
	v_mul_f32_e32 v32, v33, v35
	v_mul_f32_e32 v34, v30, v32
	v_fma_f32 v36, v32, v30, -v34
	v_fmac_f32_e32 v36, v32, v25
	v_add_f32_e32 v37, v34, v36
	v_sub_f32_e32 v38, v33, v37
	v_sub_f32_e32 v33, v33, v38
	;; [unrolled: 1-line block ×4, first 2 shown]
	v_add_f32_e32 v31, v31, v33
	v_sub_f32_e32 v33, v34, v36
	v_add_f32_e32 v31, v33, v31
	v_add_f32_e32 v33, v38, v31
	v_mul_f32_e32 v34, v35, v33
	v_mul_f32_e32 v36, v30, v34
	v_fma_f32 v30, v34, v30, -v36
	v_fmac_f32_e32 v30, v34, v25
	v_sub_f32_e32 v25, v38, v33
	v_add_f32_e32 v25, v31, v25
	v_add_f32_e32 v31, v36, v30
	v_sub_f32_e32 v37, v33, v31
	v_sub_f32_e32 v33, v33, v37
	;; [unrolled: 1-line block ×4, first 2 shown]
	v_add_f32_e32 v25, v25, v31
	v_sub_f32_e32 v30, v36, v30
	v_add_f32_e32 v25, v30, v25
	v_add_f32_e32 v30, v32, v34
	;; [unrolled: 1-line block ×3, first 2 shown]
	v_sub_f32_e32 v31, v30, v32
	v_mul_f32_e32 v25, v35, v25
	v_sub_f32_e32 v31, v34, v31
	v_add_f32_e32 v25, v31, v25
	v_cvt_f32_i32_e32 v24, v24
	v_add_f32_e32 v31, v30, v25
	v_mul_f32_e32 v32, v31, v31
	v_mov_b32_e32 v33, 0x3ecc95a3
	v_fmac_f32_e32 v33, 0x3e9b6dac, v32
	v_mov_b32_e32 v34, 0x3f2aaada
	v_fmac_f32_e32 v34, v32, v33
	v_mul_f32_e32 v33, 0x3f317218, v24
	v_fma_f32 v35, v24, s3, -v33
	v_fmac_f32_e32 v35, 0xb102e308, v24
	v_sub_f32_e32 v24, v31, v30
	v_sub_f32_e32 v24, v25, v24
	v_add_f32_e32 v25, v33, v35
	v_sub_f32_e32 v30, v25, v33
	v_ldexp_f32 v33, v31, 1
	v_mul_f32_e32 v31, v31, v32
	v_mul_f32_e32 v31, v31, v34
	v_add_f32_e32 v32, v33, v31
	v_sub_f32_e32 v33, v32, v33
	v_ldexp_f32 v24, v24, 1
	v_sub_f32_e32 v31, v31, v33
	v_add_f32_e32 v24, v24, v31
	v_add_f32_e32 v31, v32, v24
	v_sub_f32_e32 v32, v31, v32
	v_sub_f32_e32 v24, v24, v32
	v_add_f32_e32 v32, v25, v31
	v_sub_f32_e32 v33, v32, v25
	v_sub_f32_e32 v34, v32, v33
	;; [unrolled: 1-line block ×5, first 2 shown]
	v_add_f32_e32 v25, v31, v25
	v_add_f32_e32 v31, v30, v24
	v_sub_f32_e32 v33, v31, v30
	v_sub_f32_e32 v34, v31, v33
	v_sub_f32_e32 v30, v30, v34
	v_sub_f32_e32 v24, v24, v33
	v_add_f32_e32 v25, v31, v25
	v_add_f32_e32 v24, v24, v30
	;; [unrolled: 1-line block ×3, first 2 shown]
	v_sub_f32_e32 v31, v30, v32
	v_sub_f32_e32 v25, v25, v31
	v_add_f32_e32 v24, v24, v25
	v_add_f32_e32 v24, v30, v24
	v_cmp_neq_f32_e64 s[76:77], s2, v27
	s_mov_b32 s2, 0x33800000
	v_cndmask_b32_e64 v24, v26, v24, s[76:77]
	v_cmp_lt_f32_e64 s[76:77], |v27|, s2
	v_cndmask_b32_e64 v24, v24, v27, s[76:77]
	v_add_f32_e32 v23, v23, v24
	v_cvt_f16_f32_e32 v31, v23
	v_cvt_f32_f16_e32 v32, v31
	v_mov_b32_e32 v30, v31
.LBB391_76:
	s_or_b64 exec, exec, s[0:1]
	v_cvt_f32_f16_sdwa v23, v12 dst_sel:DWORD dst_unused:UNUSED_PAD src0_sel:WORD_1
	v_max_f32_e32 v25, v32, v32
	v_cmp_u_f16_e64 s[78:79], v31, v31
	v_cmp_u_f16_sdwa s[76:77], v12, v12 src0_sel:WORD_1 src1_sel:WORD_1
	v_min_f32_e32 v24, v25, v23
	v_max_f32_e32 v12, v25, v23
	v_cndmask_b32_e64 v24, v24, v32, s[78:79]
	v_cndmask_b32_e64 v12, v12, v32, s[78:79]
	;; [unrolled: 1-line block ×4, first 2 shown]
	s_movk_i32 s2, 0x1f8
	v_cmp_neq_f32_e64 s[78:79], v24, v12
	v_cmp_class_f32_e64 s[0:1], v24, s2
	s_or_b64 s[6:7], s[78:79], s[0:1]
	s_and_saveexec_b64 s[0:1], s[6:7]
	s_cbranch_execz .LBB391_78
; %bb.77:
	v_sub_f32_e32 v24, v24, v12
	s_mov_b32 s3, 0x3fb8aa3b
	v_mul_f32_e32 v25, 0x3fb8aa3b, v24
	v_fma_f32 v26, v24, s3, -v25
	v_rndne_f32_e32 v27, v25
	v_fmac_f32_e32 v26, 0x32a5705f, v24
	v_sub_f32_e32 v25, v25, v27
	v_add_f32_e32 v25, v25, v26
	v_exp_f32_e32 v25, v25
	v_cvt_i32_f32_e32 v26, v27
	s_mov_b32 s3, 0xc2ce8ed0
	v_cmp_ngt_f32_e64 s[78:79], s3, v24
	s_mov_b32 s3, 0x42b17218
	v_ldexp_f32 v25, v25, v26
	v_cndmask_b32_e64 v25, 0, v25, s[78:79]
	v_mov_b32_e32 v26, 0x7f800000
	v_cmp_nlt_f32_e64 s[78:79], s3, v24
	v_cndmask_b32_e64 v27, v26, v25, s[78:79]
	v_add_f32_e32 v30, 1.0, v27
	v_cvt_f64_f32_e32 v[24:25], v30
	v_add_f32_e32 v31, -1.0, v30
	v_sub_f32_e32 v32, v31, v30
	v_sub_f32_e32 v31, v27, v31
	v_frexp_exp_i32_f64_e32 v24, v[24:25]
	v_add_f32_e32 v25, 1.0, v32
	v_add_f32_e32 v25, v31, v25
	v_frexp_mant_f32_e32 v31, v30
	s_mov_b32 s6, 0x3f2aaaab
	v_cmp_gt_f32_e64 s[78:79], s6, v31
	s_mov_b32 s6, 0x3f317218
	s_mov_b32 s3, 0x7f800000
	v_subbrev_co_u32_e64 v24, s[78:79], 0, v24, s[78:79]
	v_sub_u32_e32 v31, 0, v24
	v_ldexp_f32 v30, v30, v31
	v_ldexp_f32 v25, v25, v31
	v_add_f32_e32 v31, -1.0, v30
	v_add_f32_e32 v34, 1.0, v30
	v_add_f32_e32 v32, 1.0, v31
	v_add_f32_e32 v35, -1.0, v34
	v_sub_f32_e32 v32, v30, v32
	v_sub_f32_e32 v30, v30, v35
	v_add_f32_e32 v32, v25, v32
	v_add_f32_e32 v25, v25, v30
	;; [unrolled: 1-line block ×3, first 2 shown]
	v_rcp_f32_e32 v35, v30
	v_add_f32_e32 v33, v31, v32
	v_sub_f32_e32 v31, v31, v33
	v_add_f32_e32 v31, v32, v31
	v_sub_f32_e32 v32, v34, v30
	v_add_f32_e32 v25, v25, v32
	v_mul_f32_e32 v32, v33, v35
	v_mul_f32_e32 v34, v30, v32
	v_fma_f32 v36, v32, v30, -v34
	v_fmac_f32_e32 v36, v32, v25
	v_add_f32_e32 v37, v34, v36
	v_sub_f32_e32 v38, v33, v37
	v_sub_f32_e32 v33, v33, v38
	;; [unrolled: 1-line block ×4, first 2 shown]
	v_add_f32_e32 v31, v31, v33
	v_sub_f32_e32 v33, v34, v36
	v_add_f32_e32 v31, v33, v31
	v_add_f32_e32 v33, v38, v31
	v_mul_f32_e32 v34, v35, v33
	v_mul_f32_e32 v36, v30, v34
	v_fma_f32 v30, v34, v30, -v36
	v_fmac_f32_e32 v30, v34, v25
	v_sub_f32_e32 v25, v38, v33
	v_add_f32_e32 v25, v31, v25
	v_add_f32_e32 v31, v36, v30
	v_sub_f32_e32 v37, v33, v31
	v_sub_f32_e32 v33, v33, v37
	;; [unrolled: 1-line block ×4, first 2 shown]
	v_add_f32_e32 v25, v25, v31
	v_sub_f32_e32 v30, v36, v30
	v_add_f32_e32 v25, v30, v25
	v_add_f32_e32 v30, v32, v34
	;; [unrolled: 1-line block ×3, first 2 shown]
	v_sub_f32_e32 v31, v30, v32
	v_mul_f32_e32 v25, v35, v25
	v_sub_f32_e32 v31, v34, v31
	v_add_f32_e32 v25, v31, v25
	v_cvt_f32_i32_e32 v24, v24
	v_add_f32_e32 v31, v30, v25
	v_mul_f32_e32 v32, v31, v31
	v_mov_b32_e32 v33, 0x3ecc95a3
	v_fmac_f32_e32 v33, 0x3e9b6dac, v32
	v_mov_b32_e32 v34, 0x3f2aaada
	v_fmac_f32_e32 v34, v32, v33
	v_mul_f32_e32 v33, 0x3f317218, v24
	v_fma_f32 v35, v24, s6, -v33
	v_fmac_f32_e32 v35, 0xb102e308, v24
	v_sub_f32_e32 v24, v31, v30
	v_sub_f32_e32 v24, v25, v24
	v_add_f32_e32 v25, v33, v35
	v_sub_f32_e32 v30, v25, v33
	v_ldexp_f32 v33, v31, 1
	v_mul_f32_e32 v31, v31, v32
	v_mul_f32_e32 v31, v31, v34
	v_add_f32_e32 v32, v33, v31
	v_sub_f32_e32 v33, v32, v33
	v_ldexp_f32 v24, v24, 1
	v_sub_f32_e32 v31, v31, v33
	v_add_f32_e32 v24, v24, v31
	v_add_f32_e32 v31, v32, v24
	v_sub_f32_e32 v32, v31, v32
	v_sub_f32_e32 v24, v24, v32
	v_add_f32_e32 v32, v25, v31
	v_sub_f32_e32 v33, v32, v25
	v_sub_f32_e32 v34, v32, v33
	;; [unrolled: 1-line block ×5, first 2 shown]
	v_add_f32_e32 v25, v31, v25
	v_add_f32_e32 v31, v30, v24
	v_sub_f32_e32 v33, v31, v30
	v_sub_f32_e32 v34, v31, v33
	;; [unrolled: 1-line block ×4, first 2 shown]
	v_add_f32_e32 v25, v31, v25
	v_add_f32_e32 v24, v24, v30
	;; [unrolled: 1-line block ×3, first 2 shown]
	v_sub_f32_e32 v31, v30, v32
	v_sub_f32_e32 v25, v25, v31
	v_add_f32_e32 v24, v24, v25
	v_add_f32_e32 v24, v30, v24
	v_cmp_neq_f32_e64 s[78:79], s3, v27
	s_mov_b32 s3, 0x33800000
	v_cndmask_b32_e64 v24, v26, v24, s[78:79]
	v_cmp_lt_f32_e64 s[78:79], |v27|, s3
	v_cndmask_b32_e64 v24, v24, v27, s[78:79]
	v_add_f32_e32 v12, v12, v24
	v_cvt_f16_f32_e32 v31, v12
	v_cvt_f32_f16_e32 v32, v31
	v_mov_b32_e32 v30, v31
.LBB391_78:
	s_or_b64 exec, exec, s[0:1]
	v_cvt_f32_f16_e32 v12, v5
	v_max_f32_e32 v24, v32, v32
	v_cmp_u_f16_e64 s[80:81], v31, v31
	v_cmp_u_f16_e64 s[78:79], v5, v5
	v_min_f32_e32 v25, v24, v12
	v_max_f32_e32 v24, v24, v12
	v_cndmask_b32_e64 v25, v25, v32, s[80:81]
	v_cndmask_b32_e64 v24, v24, v32, s[80:81]
	;; [unrolled: 1-line block ×4, first 2 shown]
	v_cmp_neq_f32_e64 s[80:81], v25, v24
	v_cmp_class_f32_e64 s[0:1], v25, s2
	s_or_b64 s[2:3], s[80:81], s[0:1]
	s_and_saveexec_b64 s[0:1], s[2:3]
	s_cbranch_execz .LBB391_80
; %bb.79:
	v_sub_f32_e32 v25, v25, v24
	s_mov_b32 s2, 0x3fb8aa3b
	v_mul_f32_e32 v26, 0x3fb8aa3b, v25
	v_fma_f32 v27, v25, s2, -v26
	v_rndne_f32_e32 v30, v26
	v_fmac_f32_e32 v27, 0x32a5705f, v25
	v_sub_f32_e32 v26, v26, v30
	v_add_f32_e32 v26, v26, v27
	v_exp_f32_e32 v26, v26
	v_cvt_i32_f32_e32 v27, v30
	s_mov_b32 s2, 0xc2ce8ed0
	v_cmp_ngt_f32_e64 s[80:81], s2, v25
	s_mov_b32 s2, 0x42b17218
	v_ldexp_f32 v26, v26, v27
	v_cndmask_b32_e64 v26, 0, v26, s[80:81]
	v_mov_b32_e32 v27, 0x7f800000
	v_cmp_nlt_f32_e64 s[80:81], s2, v25
	v_cndmask_b32_e64 v30, v27, v26, s[80:81]
	v_add_f32_e32 v31, 1.0, v30
	v_cvt_f64_f32_e32 v[25:26], v31
	v_add_f32_e32 v32, -1.0, v31
	v_sub_f32_e32 v33, v32, v31
	v_sub_f32_e32 v32, v30, v32
	v_frexp_exp_i32_f64_e32 v25, v[25:26]
	v_add_f32_e32 v26, 1.0, v33
	v_add_f32_e32 v26, v32, v26
	v_frexp_mant_f32_e32 v32, v31
	s_mov_b32 s3, 0x3f2aaaab
	v_cmp_gt_f32_e64 s[80:81], s3, v32
	s_mov_b32 s3, 0x3f317218
	s_mov_b32 s2, 0x7f800000
	v_subbrev_co_u32_e64 v25, s[80:81], 0, v25, s[80:81]
	v_sub_u32_e32 v32, 0, v25
	v_ldexp_f32 v31, v31, v32
	v_ldexp_f32 v26, v26, v32
	v_add_f32_e32 v32, -1.0, v31
	v_add_f32_e32 v35, 1.0, v31
	v_add_f32_e32 v33, 1.0, v32
	v_add_f32_e32 v36, -1.0, v35
	v_sub_f32_e32 v33, v31, v33
	v_sub_f32_e32 v31, v31, v36
	v_add_f32_e32 v33, v26, v33
	v_add_f32_e32 v26, v26, v31
	;; [unrolled: 1-line block ×3, first 2 shown]
	v_rcp_f32_e32 v36, v31
	v_add_f32_e32 v34, v32, v33
	v_sub_f32_e32 v32, v32, v34
	v_add_f32_e32 v32, v33, v32
	v_sub_f32_e32 v33, v35, v31
	v_add_f32_e32 v26, v26, v33
	v_mul_f32_e32 v33, v34, v36
	v_mul_f32_e32 v35, v31, v33
	v_fma_f32 v37, v33, v31, -v35
	v_fmac_f32_e32 v37, v33, v26
	v_add_f32_e32 v38, v35, v37
	v_sub_f32_e32 v39, v34, v38
	v_sub_f32_e32 v34, v34, v39
	;; [unrolled: 1-line block ×4, first 2 shown]
	v_add_f32_e32 v32, v32, v34
	v_sub_f32_e32 v34, v35, v37
	v_add_f32_e32 v32, v34, v32
	v_add_f32_e32 v34, v39, v32
	v_mul_f32_e32 v35, v36, v34
	v_mul_f32_e32 v37, v31, v35
	v_fma_f32 v31, v35, v31, -v37
	v_fmac_f32_e32 v31, v35, v26
	v_sub_f32_e32 v26, v39, v34
	v_add_f32_e32 v26, v32, v26
	v_add_f32_e32 v32, v37, v31
	v_sub_f32_e32 v38, v34, v32
	v_sub_f32_e32 v34, v34, v38
	;; [unrolled: 1-line block ×4, first 2 shown]
	v_add_f32_e32 v26, v26, v32
	v_sub_f32_e32 v31, v37, v31
	v_add_f32_e32 v26, v31, v26
	v_add_f32_e32 v31, v33, v35
	v_add_f32_e32 v26, v38, v26
	v_sub_f32_e32 v32, v31, v33
	v_mul_f32_e32 v26, v36, v26
	v_sub_f32_e32 v32, v35, v32
	v_add_f32_e32 v26, v32, v26
	v_cvt_f32_i32_e32 v25, v25
	v_add_f32_e32 v32, v31, v26
	v_mul_f32_e32 v33, v32, v32
	v_mov_b32_e32 v34, 0x3ecc95a3
	v_fmac_f32_e32 v34, 0x3e9b6dac, v33
	v_mov_b32_e32 v35, 0x3f2aaada
	v_fmac_f32_e32 v35, v33, v34
	v_mul_f32_e32 v34, 0x3f317218, v25
	v_fma_f32 v36, v25, s3, -v34
	v_fmac_f32_e32 v36, 0xb102e308, v25
	v_sub_f32_e32 v25, v32, v31
	v_sub_f32_e32 v25, v26, v25
	v_add_f32_e32 v26, v34, v36
	v_sub_f32_e32 v31, v26, v34
	v_ldexp_f32 v34, v32, 1
	v_mul_f32_e32 v32, v32, v33
	v_mul_f32_e32 v32, v32, v35
	v_add_f32_e32 v33, v34, v32
	v_sub_f32_e32 v34, v33, v34
	v_ldexp_f32 v25, v25, 1
	v_sub_f32_e32 v32, v32, v34
	v_add_f32_e32 v25, v25, v32
	v_add_f32_e32 v32, v33, v25
	v_sub_f32_e32 v33, v32, v33
	v_sub_f32_e32 v25, v25, v33
	v_add_f32_e32 v33, v26, v32
	v_sub_f32_e32 v34, v33, v26
	v_sub_f32_e32 v35, v33, v34
	;; [unrolled: 1-line block ×5, first 2 shown]
	v_add_f32_e32 v26, v32, v26
	v_add_f32_e32 v32, v31, v25
	v_sub_f32_e32 v34, v32, v31
	v_sub_f32_e32 v35, v32, v34
	;; [unrolled: 1-line block ×4, first 2 shown]
	v_add_f32_e32 v26, v32, v26
	v_add_f32_e32 v25, v25, v31
	v_add_f32_e32 v31, v33, v26
	v_sub_f32_e32 v32, v31, v33
	v_sub_f32_e32 v26, v26, v32
	v_add_f32_e32 v25, v25, v26
	v_add_f32_e32 v25, v31, v25
	v_cmp_neq_f32_e64 s[80:81], s2, v30
	s_mov_b32 s2, 0x33800000
	v_cndmask_b32_e64 v25, v27, v25, s[80:81]
	v_cmp_lt_f32_e64 s[80:81], |v30|, s2
	v_cndmask_b32_e64 v25, v25, v30, s[80:81]
	v_add_f32_e32 v24, v24, v25
	v_cvt_f16_f32_e32 v31, v24
	v_cvt_f32_f16_e32 v32, v31
	v_mov_b32_e32 v30, v31
.LBB391_80:
	s_or_b64 exec, exec, s[0:1]
	v_cvt_f32_f16_sdwa v24, v5 dst_sel:DWORD dst_unused:UNUSED_PAD src0_sel:WORD_1
	v_max_f32_e32 v26, v32, v32
	v_cmp_u_f16_e64 s[82:83], v31, v31
	v_cmp_u_f16_sdwa s[80:81], v5, v5 src0_sel:WORD_1 src1_sel:WORD_1
	v_min_f32_e32 v25, v26, v24
	v_max_f32_e32 v5, v26, v24
	v_cndmask_b32_e64 v25, v25, v32, s[82:83]
	v_cndmask_b32_e64 v5, v5, v32, s[82:83]
	;; [unrolled: 1-line block ×4, first 2 shown]
	s_movk_i32 s2, 0x1f8
	v_cmp_neq_f32_e64 s[82:83], v25, v5
	v_cmp_class_f32_e64 s[0:1], v25, s2
	s_or_b64 s[6:7], s[82:83], s[0:1]
	s_and_saveexec_b64 s[0:1], s[6:7]
	s_cbranch_execz .LBB391_82
; %bb.81:
	v_sub_f32_e32 v25, v25, v5
	s_mov_b32 s3, 0x3fb8aa3b
	v_mul_f32_e32 v26, 0x3fb8aa3b, v25
	v_fma_f32 v27, v25, s3, -v26
	v_rndne_f32_e32 v30, v26
	v_fmac_f32_e32 v27, 0x32a5705f, v25
	v_sub_f32_e32 v26, v26, v30
	v_add_f32_e32 v26, v26, v27
	v_exp_f32_e32 v26, v26
	v_cvt_i32_f32_e32 v27, v30
	s_mov_b32 s3, 0xc2ce8ed0
	v_cmp_ngt_f32_e64 s[82:83], s3, v25
	s_mov_b32 s3, 0x42b17218
	v_ldexp_f32 v26, v26, v27
	v_cndmask_b32_e64 v26, 0, v26, s[82:83]
	v_mov_b32_e32 v27, 0x7f800000
	v_cmp_nlt_f32_e64 s[82:83], s3, v25
	v_cndmask_b32_e64 v30, v27, v26, s[82:83]
	v_add_f32_e32 v31, 1.0, v30
	v_cvt_f64_f32_e32 v[25:26], v31
	v_add_f32_e32 v32, -1.0, v31
	v_sub_f32_e32 v33, v32, v31
	v_sub_f32_e32 v32, v30, v32
	v_frexp_exp_i32_f64_e32 v25, v[25:26]
	v_add_f32_e32 v26, 1.0, v33
	v_add_f32_e32 v26, v32, v26
	v_frexp_mant_f32_e32 v32, v31
	s_mov_b32 s6, 0x3f2aaaab
	v_cmp_gt_f32_e64 s[82:83], s6, v32
	s_mov_b32 s6, 0x3f317218
	s_mov_b32 s3, 0x7f800000
	v_subbrev_co_u32_e64 v25, s[82:83], 0, v25, s[82:83]
	v_sub_u32_e32 v32, 0, v25
	v_ldexp_f32 v31, v31, v32
	v_ldexp_f32 v26, v26, v32
	v_add_f32_e32 v32, -1.0, v31
	v_add_f32_e32 v35, 1.0, v31
	v_add_f32_e32 v33, 1.0, v32
	v_add_f32_e32 v36, -1.0, v35
	v_sub_f32_e32 v33, v31, v33
	v_sub_f32_e32 v31, v31, v36
	v_add_f32_e32 v33, v26, v33
	v_add_f32_e32 v26, v26, v31
	;; [unrolled: 1-line block ×3, first 2 shown]
	v_rcp_f32_e32 v36, v31
	v_add_f32_e32 v34, v32, v33
	v_sub_f32_e32 v32, v32, v34
	v_add_f32_e32 v32, v33, v32
	v_sub_f32_e32 v33, v35, v31
	v_add_f32_e32 v26, v26, v33
	v_mul_f32_e32 v33, v34, v36
	v_mul_f32_e32 v35, v31, v33
	v_fma_f32 v37, v33, v31, -v35
	v_fmac_f32_e32 v37, v33, v26
	v_add_f32_e32 v38, v35, v37
	v_sub_f32_e32 v39, v34, v38
	v_sub_f32_e32 v34, v34, v39
	;; [unrolled: 1-line block ×4, first 2 shown]
	v_add_f32_e32 v32, v32, v34
	v_sub_f32_e32 v34, v35, v37
	v_add_f32_e32 v32, v34, v32
	v_add_f32_e32 v34, v39, v32
	v_mul_f32_e32 v35, v36, v34
	v_mul_f32_e32 v37, v31, v35
	v_fma_f32 v31, v35, v31, -v37
	v_fmac_f32_e32 v31, v35, v26
	v_sub_f32_e32 v26, v39, v34
	v_add_f32_e32 v26, v32, v26
	v_add_f32_e32 v32, v37, v31
	v_sub_f32_e32 v38, v34, v32
	v_sub_f32_e32 v34, v34, v38
	v_sub_f32_e32 v37, v32, v37
	v_sub_f32_e32 v32, v34, v32
	v_add_f32_e32 v26, v26, v32
	v_sub_f32_e32 v31, v37, v31
	v_add_f32_e32 v26, v31, v26
	v_add_f32_e32 v31, v33, v35
	;; [unrolled: 1-line block ×3, first 2 shown]
	v_sub_f32_e32 v32, v31, v33
	v_mul_f32_e32 v26, v36, v26
	v_sub_f32_e32 v32, v35, v32
	v_add_f32_e32 v26, v32, v26
	v_cvt_f32_i32_e32 v25, v25
	v_add_f32_e32 v32, v31, v26
	v_mul_f32_e32 v33, v32, v32
	v_mov_b32_e32 v34, 0x3ecc95a3
	v_fmac_f32_e32 v34, 0x3e9b6dac, v33
	v_mov_b32_e32 v35, 0x3f2aaada
	v_fmac_f32_e32 v35, v33, v34
	v_mul_f32_e32 v34, 0x3f317218, v25
	v_fma_f32 v36, v25, s6, -v34
	v_fmac_f32_e32 v36, 0xb102e308, v25
	v_sub_f32_e32 v25, v32, v31
	v_sub_f32_e32 v25, v26, v25
	v_add_f32_e32 v26, v34, v36
	v_sub_f32_e32 v31, v26, v34
	v_ldexp_f32 v34, v32, 1
	v_mul_f32_e32 v32, v32, v33
	v_mul_f32_e32 v32, v32, v35
	v_add_f32_e32 v33, v34, v32
	v_sub_f32_e32 v34, v33, v34
	v_ldexp_f32 v25, v25, 1
	v_sub_f32_e32 v32, v32, v34
	v_add_f32_e32 v25, v25, v32
	v_add_f32_e32 v32, v33, v25
	v_sub_f32_e32 v33, v32, v33
	v_sub_f32_e32 v25, v25, v33
	v_add_f32_e32 v33, v26, v32
	v_sub_f32_e32 v34, v33, v26
	v_sub_f32_e32 v35, v33, v34
	;; [unrolled: 1-line block ×5, first 2 shown]
	v_add_f32_e32 v26, v32, v26
	v_add_f32_e32 v32, v31, v25
	v_sub_f32_e32 v34, v32, v31
	v_sub_f32_e32 v35, v32, v34
	v_sub_f32_e32 v31, v31, v35
	v_sub_f32_e32 v25, v25, v34
	v_add_f32_e32 v26, v32, v26
	v_add_f32_e32 v25, v25, v31
	;; [unrolled: 1-line block ×3, first 2 shown]
	v_sub_f32_e32 v32, v31, v33
	v_sub_f32_e32 v26, v26, v32
	v_add_f32_e32 v25, v25, v26
	v_add_f32_e32 v25, v31, v25
	v_cmp_neq_f32_e64 s[82:83], s3, v30
	s_mov_b32 s3, 0x33800000
	v_cndmask_b32_e64 v25, v27, v25, s[82:83]
	v_cmp_lt_f32_e64 s[82:83], |v30|, s3
	v_cndmask_b32_e64 v25, v25, v30, s[82:83]
	v_add_f32_e32 v5, v5, v25
	v_cvt_f16_f32_e32 v31, v5
	v_cvt_f32_f16_e32 v32, v31
	v_mov_b32_e32 v30, v31
.LBB391_82:
	s_or_b64 exec, exec, s[0:1]
	v_cvt_f32_f16_e32 v5, v6
	v_max_f32_e32 v25, v32, v32
	v_cmp_u_f16_e64 s[84:85], v31, v31
	v_cmp_u_f16_e64 s[82:83], v6, v6
	v_min_f32_e32 v26, v25, v5
	v_max_f32_e32 v25, v25, v5
	v_cndmask_b32_e64 v26, v26, v32, s[84:85]
	v_cndmask_b32_e64 v25, v25, v32, s[84:85]
	;; [unrolled: 1-line block ×4, first 2 shown]
	v_cmp_neq_f32_e64 s[84:85], v26, v25
	v_cmp_class_f32_e64 s[0:1], v26, s2
	s_or_b64 s[2:3], s[84:85], s[0:1]
	s_and_saveexec_b64 s[0:1], s[2:3]
	s_cbranch_execz .LBB391_84
; %bb.83:
	v_sub_f32_e32 v26, v26, v25
	s_mov_b32 s2, 0x3fb8aa3b
	v_mul_f32_e32 v27, 0x3fb8aa3b, v26
	v_fma_f32 v30, v26, s2, -v27
	v_rndne_f32_e32 v31, v27
	v_fmac_f32_e32 v30, 0x32a5705f, v26
	v_sub_f32_e32 v27, v27, v31
	v_add_f32_e32 v27, v27, v30
	v_exp_f32_e32 v27, v27
	v_cvt_i32_f32_e32 v30, v31
	s_mov_b32 s2, 0xc2ce8ed0
	v_cmp_ngt_f32_e64 s[84:85], s2, v26
	s_mov_b32 s2, 0x42b17218
	v_ldexp_f32 v27, v27, v30
	v_cndmask_b32_e64 v27, 0, v27, s[84:85]
	v_mov_b32_e32 v30, 0x7f800000
	v_cmp_nlt_f32_e64 s[84:85], s2, v26
	v_cndmask_b32_e64 v31, v30, v27, s[84:85]
	v_add_f32_e32 v32, 1.0, v31
	v_cvt_f64_f32_e32 v[26:27], v32
	v_add_f32_e32 v33, -1.0, v32
	v_sub_f32_e32 v34, v33, v32
	v_sub_f32_e32 v33, v31, v33
	v_frexp_exp_i32_f64_e32 v26, v[26:27]
	v_add_f32_e32 v27, 1.0, v34
	v_add_f32_e32 v27, v33, v27
	v_frexp_mant_f32_e32 v33, v32
	s_mov_b32 s3, 0x3f2aaaab
	v_cmp_gt_f32_e64 s[84:85], s3, v33
	s_mov_b32 s3, 0x3f317218
	s_mov_b32 s2, 0x7f800000
	v_subbrev_co_u32_e64 v26, s[84:85], 0, v26, s[84:85]
	v_sub_u32_e32 v33, 0, v26
	v_ldexp_f32 v32, v32, v33
	v_ldexp_f32 v27, v27, v33
	v_add_f32_e32 v33, -1.0, v32
	v_add_f32_e32 v36, 1.0, v32
	v_add_f32_e32 v34, 1.0, v33
	v_add_f32_e32 v37, -1.0, v36
	v_sub_f32_e32 v34, v32, v34
	v_sub_f32_e32 v32, v32, v37
	v_add_f32_e32 v34, v27, v34
	v_add_f32_e32 v27, v27, v32
	;; [unrolled: 1-line block ×3, first 2 shown]
	v_rcp_f32_e32 v37, v32
	v_add_f32_e32 v35, v33, v34
	v_sub_f32_e32 v33, v33, v35
	v_add_f32_e32 v33, v34, v33
	v_sub_f32_e32 v34, v36, v32
	v_add_f32_e32 v27, v27, v34
	v_mul_f32_e32 v34, v35, v37
	v_mul_f32_e32 v36, v32, v34
	v_fma_f32 v38, v34, v32, -v36
	v_fmac_f32_e32 v38, v34, v27
	v_add_f32_e32 v39, v36, v38
	v_sub_f32_e32 v40, v35, v39
	v_sub_f32_e32 v35, v35, v40
	;; [unrolled: 1-line block ×4, first 2 shown]
	v_add_f32_e32 v33, v33, v35
	v_sub_f32_e32 v35, v36, v38
	v_add_f32_e32 v33, v35, v33
	v_add_f32_e32 v35, v40, v33
	v_mul_f32_e32 v36, v37, v35
	v_mul_f32_e32 v38, v32, v36
	v_fma_f32 v32, v36, v32, -v38
	v_fmac_f32_e32 v32, v36, v27
	v_sub_f32_e32 v27, v40, v35
	v_add_f32_e32 v27, v33, v27
	v_add_f32_e32 v33, v38, v32
	v_sub_f32_e32 v39, v35, v33
	v_sub_f32_e32 v35, v35, v39
	;; [unrolled: 1-line block ×4, first 2 shown]
	v_add_f32_e32 v27, v27, v33
	v_sub_f32_e32 v32, v38, v32
	v_add_f32_e32 v27, v32, v27
	v_add_f32_e32 v32, v34, v36
	;; [unrolled: 1-line block ×3, first 2 shown]
	v_sub_f32_e32 v33, v32, v34
	v_mul_f32_e32 v27, v37, v27
	v_sub_f32_e32 v33, v36, v33
	v_add_f32_e32 v27, v33, v27
	v_cvt_f32_i32_e32 v26, v26
	v_add_f32_e32 v33, v32, v27
	v_mul_f32_e32 v34, v33, v33
	v_mov_b32_e32 v35, 0x3ecc95a3
	v_fmac_f32_e32 v35, 0x3e9b6dac, v34
	v_mov_b32_e32 v36, 0x3f2aaada
	v_fmac_f32_e32 v36, v34, v35
	v_mul_f32_e32 v35, 0x3f317218, v26
	v_fma_f32 v37, v26, s3, -v35
	v_fmac_f32_e32 v37, 0xb102e308, v26
	v_sub_f32_e32 v26, v33, v32
	v_sub_f32_e32 v26, v27, v26
	v_add_f32_e32 v27, v35, v37
	v_sub_f32_e32 v32, v27, v35
	v_ldexp_f32 v35, v33, 1
	v_mul_f32_e32 v33, v33, v34
	v_mul_f32_e32 v33, v33, v36
	v_add_f32_e32 v34, v35, v33
	v_sub_f32_e32 v35, v34, v35
	v_ldexp_f32 v26, v26, 1
	v_sub_f32_e32 v33, v33, v35
	v_add_f32_e32 v26, v26, v33
	v_add_f32_e32 v33, v34, v26
	v_sub_f32_e32 v34, v33, v34
	v_sub_f32_e32 v26, v26, v34
	v_add_f32_e32 v34, v27, v33
	v_sub_f32_e32 v35, v34, v27
	v_sub_f32_e32 v36, v34, v35
	;; [unrolled: 1-line block ×5, first 2 shown]
	v_add_f32_e32 v27, v33, v27
	v_add_f32_e32 v33, v32, v26
	v_sub_f32_e32 v35, v33, v32
	v_sub_f32_e32 v36, v33, v35
	v_sub_f32_e32 v32, v32, v36
	v_sub_f32_e32 v26, v26, v35
	v_add_f32_e32 v27, v33, v27
	v_add_f32_e32 v26, v26, v32
	;; [unrolled: 1-line block ×3, first 2 shown]
	v_sub_f32_e32 v33, v32, v34
	v_sub_f32_e32 v27, v27, v33
	v_add_f32_e32 v26, v26, v27
	v_add_f32_e32 v26, v32, v26
	v_cmp_neq_f32_e64 s[84:85], s2, v31
	s_mov_b32 s2, 0x33800000
	v_cndmask_b32_e64 v26, v30, v26, s[84:85]
	v_cmp_lt_f32_e64 s[84:85], |v31|, s2
	v_cndmask_b32_e64 v26, v26, v31, s[84:85]
	v_add_f32_e32 v25, v25, v26
	v_cvt_f16_f32_e32 v31, v25
	v_cvt_f32_f16_e32 v32, v31
	v_mov_b32_e32 v30, v31
.LBB391_84:
	s_or_b64 exec, exec, s[0:1]
	v_cvt_f32_f16_sdwa v25, v6 dst_sel:DWORD dst_unused:UNUSED_PAD src0_sel:WORD_1
	v_max_f32_e32 v27, v32, v32
	v_cmp_u_f16_e64 s[86:87], v31, v31
	v_cmp_u_f16_sdwa s[84:85], v6, v6 src0_sel:WORD_1 src1_sel:WORD_1
	v_min_f32_e32 v26, v27, v25
	v_max_f32_e32 v6, v27, v25
	v_cndmask_b32_e64 v26, v26, v32, s[86:87]
	v_cndmask_b32_e64 v6, v6, v32, s[86:87]
	;; [unrolled: 1-line block ×4, first 2 shown]
	s_movk_i32 s2, 0x1f8
	v_cmp_neq_f32_e64 s[86:87], v26, v6
	v_cmp_class_f32_e64 s[0:1], v26, s2
	s_or_b64 s[6:7], s[86:87], s[0:1]
	s_and_saveexec_b64 s[0:1], s[6:7]
	s_cbranch_execz .LBB391_86
; %bb.85:
	v_sub_f32_e32 v26, v26, v6
	s_mov_b32 s3, 0x3fb8aa3b
	v_mul_f32_e32 v27, 0x3fb8aa3b, v26
	v_fma_f32 v30, v26, s3, -v27
	v_rndne_f32_e32 v31, v27
	v_fmac_f32_e32 v30, 0x32a5705f, v26
	v_sub_f32_e32 v27, v27, v31
	v_add_f32_e32 v27, v27, v30
	v_exp_f32_e32 v27, v27
	v_cvt_i32_f32_e32 v30, v31
	s_mov_b32 s3, 0xc2ce8ed0
	v_cmp_ngt_f32_e64 s[86:87], s3, v26
	s_mov_b32 s3, 0x42b17218
	v_ldexp_f32 v27, v27, v30
	v_cndmask_b32_e64 v27, 0, v27, s[86:87]
	v_mov_b32_e32 v30, 0x7f800000
	v_cmp_nlt_f32_e64 s[86:87], s3, v26
	v_cndmask_b32_e64 v31, v30, v27, s[86:87]
	v_add_f32_e32 v32, 1.0, v31
	v_cvt_f64_f32_e32 v[26:27], v32
	v_add_f32_e32 v33, -1.0, v32
	v_sub_f32_e32 v34, v33, v32
	v_sub_f32_e32 v33, v31, v33
	v_frexp_exp_i32_f64_e32 v26, v[26:27]
	v_add_f32_e32 v27, 1.0, v34
	v_add_f32_e32 v27, v33, v27
	v_frexp_mant_f32_e32 v33, v32
	s_mov_b32 s6, 0x3f2aaaab
	v_cmp_gt_f32_e64 s[86:87], s6, v33
	s_mov_b32 s6, 0x3f317218
	s_mov_b32 s3, 0x7f800000
	v_subbrev_co_u32_e64 v26, s[86:87], 0, v26, s[86:87]
	v_sub_u32_e32 v33, 0, v26
	v_ldexp_f32 v32, v32, v33
	v_ldexp_f32 v27, v27, v33
	v_add_f32_e32 v33, -1.0, v32
	v_add_f32_e32 v36, 1.0, v32
	v_add_f32_e32 v34, 1.0, v33
	v_add_f32_e32 v37, -1.0, v36
	v_sub_f32_e32 v34, v32, v34
	v_sub_f32_e32 v32, v32, v37
	v_add_f32_e32 v34, v27, v34
	v_add_f32_e32 v27, v27, v32
	;; [unrolled: 1-line block ×3, first 2 shown]
	v_rcp_f32_e32 v37, v32
	v_add_f32_e32 v35, v33, v34
	v_sub_f32_e32 v33, v33, v35
	v_add_f32_e32 v33, v34, v33
	v_sub_f32_e32 v34, v36, v32
	v_add_f32_e32 v27, v27, v34
	v_mul_f32_e32 v34, v35, v37
	v_mul_f32_e32 v36, v32, v34
	v_fma_f32 v38, v34, v32, -v36
	v_fmac_f32_e32 v38, v34, v27
	v_add_f32_e32 v39, v36, v38
	v_sub_f32_e32 v40, v35, v39
	v_sub_f32_e32 v35, v35, v40
	;; [unrolled: 1-line block ×4, first 2 shown]
	v_add_f32_e32 v33, v33, v35
	v_sub_f32_e32 v35, v36, v38
	v_add_f32_e32 v33, v35, v33
	v_add_f32_e32 v35, v40, v33
	v_mul_f32_e32 v36, v37, v35
	v_mul_f32_e32 v38, v32, v36
	v_fma_f32 v32, v36, v32, -v38
	v_fmac_f32_e32 v32, v36, v27
	v_sub_f32_e32 v27, v40, v35
	v_add_f32_e32 v27, v33, v27
	v_add_f32_e32 v33, v38, v32
	v_sub_f32_e32 v39, v35, v33
	v_sub_f32_e32 v35, v35, v39
	;; [unrolled: 1-line block ×4, first 2 shown]
	v_add_f32_e32 v27, v27, v33
	v_sub_f32_e32 v32, v38, v32
	v_add_f32_e32 v27, v32, v27
	v_add_f32_e32 v32, v34, v36
	;; [unrolled: 1-line block ×3, first 2 shown]
	v_sub_f32_e32 v33, v32, v34
	v_mul_f32_e32 v27, v37, v27
	v_sub_f32_e32 v33, v36, v33
	v_add_f32_e32 v27, v33, v27
	v_cvt_f32_i32_e32 v26, v26
	v_add_f32_e32 v33, v32, v27
	v_mul_f32_e32 v34, v33, v33
	v_mov_b32_e32 v35, 0x3ecc95a3
	v_fmac_f32_e32 v35, 0x3e9b6dac, v34
	v_mov_b32_e32 v36, 0x3f2aaada
	v_fmac_f32_e32 v36, v34, v35
	v_mul_f32_e32 v35, 0x3f317218, v26
	v_fma_f32 v37, v26, s6, -v35
	v_fmac_f32_e32 v37, 0xb102e308, v26
	v_sub_f32_e32 v26, v33, v32
	v_sub_f32_e32 v26, v27, v26
	v_add_f32_e32 v27, v35, v37
	v_sub_f32_e32 v32, v27, v35
	v_ldexp_f32 v35, v33, 1
	v_mul_f32_e32 v33, v33, v34
	v_mul_f32_e32 v33, v33, v36
	v_add_f32_e32 v34, v35, v33
	v_sub_f32_e32 v35, v34, v35
	v_ldexp_f32 v26, v26, 1
	v_sub_f32_e32 v33, v33, v35
	v_add_f32_e32 v26, v26, v33
	v_add_f32_e32 v33, v34, v26
	v_sub_f32_e32 v34, v33, v34
	v_sub_f32_e32 v26, v26, v34
	v_add_f32_e32 v34, v27, v33
	v_sub_f32_e32 v35, v34, v27
	v_sub_f32_e32 v36, v34, v35
	;; [unrolled: 1-line block ×5, first 2 shown]
	v_add_f32_e32 v27, v33, v27
	v_add_f32_e32 v33, v32, v26
	v_sub_f32_e32 v35, v33, v32
	v_sub_f32_e32 v36, v33, v35
	;; [unrolled: 1-line block ×4, first 2 shown]
	v_add_f32_e32 v27, v33, v27
	v_add_f32_e32 v26, v26, v32
	;; [unrolled: 1-line block ×3, first 2 shown]
	v_sub_f32_e32 v33, v32, v34
	v_sub_f32_e32 v27, v27, v33
	v_add_f32_e32 v26, v26, v27
	v_add_f32_e32 v26, v32, v26
	v_cmp_neq_f32_e64 s[86:87], s3, v31
	s_mov_b32 s3, 0x33800000
	v_cndmask_b32_e64 v26, v30, v26, s[86:87]
	v_cmp_lt_f32_e64 s[86:87], |v31|, s3
	v_cndmask_b32_e64 v26, v26, v31, s[86:87]
	v_add_f32_e32 v6, v6, v26
	v_cvt_f16_f32_e32 v31, v6
	v_cvt_f32_f16_e32 v32, v31
	v_mov_b32_e32 v30, v31
.LBB391_86:
	s_or_b64 exec, exec, s[0:1]
	v_cvt_f32_f16_e32 v6, v7
	v_max_f32_e32 v26, v32, v32
	v_cmp_u_f16_e64 s[88:89], v31, v31
	v_cmp_u_f16_e64 s[86:87], v7, v7
	v_min_f32_e32 v27, v26, v6
	v_max_f32_e32 v26, v26, v6
	v_cndmask_b32_e64 v27, v27, v32, s[88:89]
	v_cndmask_b32_e64 v26, v26, v32, s[88:89]
	v_cndmask_b32_e64 v27, v27, v6, s[86:87]
	v_cndmask_b32_e64 v26, v26, v6, s[86:87]
	v_cmp_neq_f32_e64 s[88:89], v27, v26
	v_cmp_class_f32_e64 s[0:1], v27, s2
	s_or_b64 s[2:3], s[88:89], s[0:1]
	s_and_saveexec_b64 s[0:1], s[2:3]
	s_cbranch_execz .LBB391_88
; %bb.87:
	v_sub_f32_e32 v27, v27, v26
	s_mov_b32 s2, 0x3fb8aa3b
	v_mul_f32_e32 v30, 0x3fb8aa3b, v27
	v_fma_f32 v31, v27, s2, -v30
	v_rndne_f32_e32 v32, v30
	v_fmac_f32_e32 v31, 0x32a5705f, v27
	v_sub_f32_e32 v30, v30, v32
	v_add_f32_e32 v30, v30, v31
	v_exp_f32_e32 v30, v30
	v_cvt_i32_f32_e32 v31, v32
	s_mov_b32 s2, 0xc2ce8ed0
	v_cmp_ngt_f32_e64 s[88:89], s2, v27
	s_mov_b32 s2, 0x42b17218
	v_ldexp_f32 v30, v30, v31
	v_cndmask_b32_e64 v30, 0, v30, s[88:89]
	v_mov_b32_e32 v32, 0x7f800000
	v_cmp_nlt_f32_e64 s[88:89], s2, v27
	v_cndmask_b32_e64 v27, v32, v30, s[88:89]
	v_add_f32_e32 v33, 1.0, v27
	v_cvt_f64_f32_e32 v[30:31], v33
	v_add_f32_e32 v34, -1.0, v33
	v_sub_f32_e32 v35, v34, v33
	v_sub_f32_e32 v34, v27, v34
	v_frexp_exp_i32_f64_e32 v30, v[30:31]
	v_add_f32_e32 v31, 1.0, v35
	v_add_f32_e32 v31, v34, v31
	v_frexp_mant_f32_e32 v34, v33
	s_mov_b32 s3, 0x3f2aaaab
	v_cmp_gt_f32_e64 s[88:89], s3, v34
	s_mov_b32 s3, 0x3f317218
	s_mov_b32 s2, 0x7f800000
	v_subbrev_co_u32_e64 v30, s[88:89], 0, v30, s[88:89]
	v_sub_u32_e32 v34, 0, v30
	v_ldexp_f32 v33, v33, v34
	v_ldexp_f32 v31, v31, v34
	v_add_f32_e32 v34, -1.0, v33
	v_add_f32_e32 v37, 1.0, v33
	v_add_f32_e32 v35, 1.0, v34
	v_add_f32_e32 v38, -1.0, v37
	v_sub_f32_e32 v35, v33, v35
	v_sub_f32_e32 v33, v33, v38
	v_add_f32_e32 v35, v31, v35
	v_add_f32_e32 v31, v31, v33
	;; [unrolled: 1-line block ×3, first 2 shown]
	v_rcp_f32_e32 v38, v33
	v_add_f32_e32 v36, v34, v35
	v_sub_f32_e32 v34, v34, v36
	v_add_f32_e32 v34, v35, v34
	v_sub_f32_e32 v35, v37, v33
	v_add_f32_e32 v31, v31, v35
	v_mul_f32_e32 v35, v36, v38
	v_mul_f32_e32 v37, v33, v35
	v_fma_f32 v39, v35, v33, -v37
	v_fmac_f32_e32 v39, v35, v31
	v_add_f32_e32 v40, v37, v39
	v_sub_f32_e32 v41, v36, v40
	v_sub_f32_e32 v36, v36, v41
	v_sub_f32_e32 v37, v40, v37
	v_sub_f32_e32 v36, v36, v40
	v_add_f32_e32 v34, v34, v36
	v_sub_f32_e32 v36, v37, v39
	v_add_f32_e32 v34, v36, v34
	v_add_f32_e32 v36, v41, v34
	v_mul_f32_e32 v37, v38, v36
	v_mul_f32_e32 v39, v33, v37
	v_fma_f32 v33, v37, v33, -v39
	v_fmac_f32_e32 v33, v37, v31
	v_sub_f32_e32 v31, v41, v36
	v_add_f32_e32 v31, v34, v31
	v_add_f32_e32 v34, v39, v33
	v_sub_f32_e32 v40, v36, v34
	v_sub_f32_e32 v36, v36, v40
	;; [unrolled: 1-line block ×4, first 2 shown]
	v_add_f32_e32 v31, v31, v34
	v_sub_f32_e32 v33, v39, v33
	v_add_f32_e32 v31, v33, v31
	v_add_f32_e32 v33, v35, v37
	v_add_f32_e32 v31, v40, v31
	v_sub_f32_e32 v34, v33, v35
	v_mul_f32_e32 v31, v38, v31
	v_sub_f32_e32 v34, v37, v34
	v_add_f32_e32 v31, v34, v31
	v_cvt_f32_i32_e32 v30, v30
	v_add_f32_e32 v34, v33, v31
	v_mul_f32_e32 v35, v34, v34
	v_mov_b32_e32 v36, 0x3ecc95a3
	v_fmac_f32_e32 v36, 0x3e9b6dac, v35
	v_mov_b32_e32 v37, 0x3f2aaada
	v_fmac_f32_e32 v37, v35, v36
	v_mul_f32_e32 v36, 0x3f317218, v30
	v_fma_f32 v38, v30, s3, -v36
	v_fmac_f32_e32 v38, 0xb102e308, v30
	v_sub_f32_e32 v30, v34, v33
	v_sub_f32_e32 v30, v31, v30
	v_add_f32_e32 v31, v36, v38
	v_sub_f32_e32 v33, v31, v36
	v_ldexp_f32 v36, v34, 1
	v_mul_f32_e32 v34, v34, v35
	v_mul_f32_e32 v34, v34, v37
	v_add_f32_e32 v35, v36, v34
	v_sub_f32_e32 v36, v35, v36
	v_ldexp_f32 v30, v30, 1
	v_sub_f32_e32 v34, v34, v36
	v_add_f32_e32 v30, v30, v34
	v_add_f32_e32 v34, v35, v30
	v_sub_f32_e32 v35, v34, v35
	v_sub_f32_e32 v30, v30, v35
	v_add_f32_e32 v35, v31, v34
	v_sub_f32_e32 v36, v35, v31
	v_sub_f32_e32 v37, v35, v36
	;; [unrolled: 1-line block ×5, first 2 shown]
	v_add_f32_e32 v31, v34, v31
	v_add_f32_e32 v34, v33, v30
	v_sub_f32_e32 v36, v34, v33
	v_sub_f32_e32 v37, v34, v36
	;; [unrolled: 1-line block ×4, first 2 shown]
	v_add_f32_e32 v31, v34, v31
	v_add_f32_e32 v30, v30, v33
	;; [unrolled: 1-line block ×3, first 2 shown]
	v_sub_f32_e32 v34, v33, v35
	v_sub_f32_e32 v31, v31, v34
	v_add_f32_e32 v30, v30, v31
	v_add_f32_e32 v30, v33, v30
	v_cmp_neq_f32_e64 s[88:89], s2, v27
	s_mov_b32 s2, 0x33800000
	v_cndmask_b32_e64 v30, v32, v30, s[88:89]
	v_cmp_lt_f32_e64 s[88:89], |v27|, s2
	v_cndmask_b32_e64 v27, v30, v27, s[88:89]
	v_add_f32_e32 v26, v26, v27
	v_cvt_f16_f32_e32 v31, v26
	v_cvt_f32_f16_e32 v32, v31
	v_mov_b32_e32 v30, v31
.LBB391_88:
	s_or_b64 exec, exec, s[0:1]
	v_cvt_f32_f16_sdwa v26, v7 dst_sel:DWORD dst_unused:UNUSED_PAD src0_sel:WORD_1
	v_max_f32_e32 v33, v32, v32
	v_cmp_u_f16_e64 s[90:91], v31, v31
	v_cmp_u_f16_sdwa s[88:89], v7, v7 src0_sel:WORD_1 src1_sel:WORD_1
	v_min_f32_e32 v27, v33, v26
	v_max_f32_e32 v7, v33, v26
	v_cndmask_b32_e64 v27, v27, v32, s[90:91]
	v_cndmask_b32_e64 v7, v7, v32, s[90:91]
	;; [unrolled: 1-line block ×4, first 2 shown]
	s_movk_i32 s2, 0x1f8
	v_cmp_neq_f32_e64 s[90:91], v27, v7
	v_cmp_class_f32_e64 s[0:1], v27, s2
	s_or_b64 s[6:7], s[90:91], s[0:1]
	s_and_saveexec_b64 s[0:1], s[6:7]
	s_cbranch_execz .LBB391_90
; %bb.89:
	v_sub_f32_e32 v27, v27, v7
	s_mov_b32 s3, 0x3fb8aa3b
	v_mul_f32_e32 v30, 0x3fb8aa3b, v27
	v_fma_f32 v31, v27, s3, -v30
	v_rndne_f32_e32 v32, v30
	v_fmac_f32_e32 v31, 0x32a5705f, v27
	v_sub_f32_e32 v30, v30, v32
	v_add_f32_e32 v30, v30, v31
	v_exp_f32_e32 v30, v30
	v_cvt_i32_f32_e32 v31, v32
	s_mov_b32 s3, 0xc2ce8ed0
	v_cmp_ngt_f32_e64 s[90:91], s3, v27
	s_mov_b32 s3, 0x42b17218
	v_ldexp_f32 v30, v30, v31
	v_cndmask_b32_e64 v30, 0, v30, s[90:91]
	v_mov_b32_e32 v32, 0x7f800000
	v_cmp_nlt_f32_e64 s[90:91], s3, v27
	v_cndmask_b32_e64 v27, v32, v30, s[90:91]
	v_add_f32_e32 v33, 1.0, v27
	v_cvt_f64_f32_e32 v[30:31], v33
	v_add_f32_e32 v34, -1.0, v33
	v_sub_f32_e32 v35, v34, v33
	v_sub_f32_e32 v34, v27, v34
	v_frexp_exp_i32_f64_e32 v30, v[30:31]
	v_add_f32_e32 v31, 1.0, v35
	v_add_f32_e32 v31, v34, v31
	v_frexp_mant_f32_e32 v34, v33
	s_mov_b32 s6, 0x3f2aaaab
	v_cmp_gt_f32_e64 s[90:91], s6, v34
	s_mov_b32 s6, 0x3f317218
	s_mov_b32 s3, 0x7f800000
	v_subbrev_co_u32_e64 v30, s[90:91], 0, v30, s[90:91]
	v_sub_u32_e32 v34, 0, v30
	v_ldexp_f32 v33, v33, v34
	v_ldexp_f32 v31, v31, v34
	v_add_f32_e32 v34, -1.0, v33
	v_add_f32_e32 v37, 1.0, v33
	v_add_f32_e32 v35, 1.0, v34
	v_add_f32_e32 v38, -1.0, v37
	v_sub_f32_e32 v35, v33, v35
	v_sub_f32_e32 v33, v33, v38
	v_add_f32_e32 v35, v31, v35
	v_add_f32_e32 v31, v31, v33
	;; [unrolled: 1-line block ×3, first 2 shown]
	v_rcp_f32_e32 v38, v33
	v_add_f32_e32 v36, v34, v35
	v_sub_f32_e32 v34, v34, v36
	v_add_f32_e32 v34, v35, v34
	v_sub_f32_e32 v35, v37, v33
	v_add_f32_e32 v31, v31, v35
	v_mul_f32_e32 v35, v36, v38
	v_mul_f32_e32 v37, v33, v35
	v_fma_f32 v39, v35, v33, -v37
	v_fmac_f32_e32 v39, v35, v31
	v_add_f32_e32 v40, v37, v39
	v_sub_f32_e32 v41, v36, v40
	v_sub_f32_e32 v36, v36, v41
	;; [unrolled: 1-line block ×4, first 2 shown]
	v_add_f32_e32 v34, v34, v36
	v_sub_f32_e32 v36, v37, v39
	v_add_f32_e32 v34, v36, v34
	v_add_f32_e32 v36, v41, v34
	v_mul_f32_e32 v37, v38, v36
	v_mul_f32_e32 v39, v33, v37
	v_fma_f32 v33, v37, v33, -v39
	v_fmac_f32_e32 v33, v37, v31
	v_sub_f32_e32 v31, v41, v36
	v_add_f32_e32 v31, v34, v31
	v_add_f32_e32 v34, v39, v33
	v_sub_f32_e32 v40, v36, v34
	v_sub_f32_e32 v36, v36, v40
	;; [unrolled: 1-line block ×4, first 2 shown]
	v_add_f32_e32 v31, v31, v34
	v_sub_f32_e32 v33, v39, v33
	v_add_f32_e32 v31, v33, v31
	v_add_f32_e32 v33, v35, v37
	;; [unrolled: 1-line block ×3, first 2 shown]
	v_sub_f32_e32 v34, v33, v35
	v_mul_f32_e32 v31, v38, v31
	v_sub_f32_e32 v34, v37, v34
	v_add_f32_e32 v31, v34, v31
	v_cvt_f32_i32_e32 v30, v30
	v_add_f32_e32 v34, v33, v31
	v_mul_f32_e32 v35, v34, v34
	v_mov_b32_e32 v36, 0x3ecc95a3
	v_fmac_f32_e32 v36, 0x3e9b6dac, v35
	v_mov_b32_e32 v37, 0x3f2aaada
	v_fmac_f32_e32 v37, v35, v36
	v_mul_f32_e32 v36, 0x3f317218, v30
	v_fma_f32 v38, v30, s6, -v36
	v_fmac_f32_e32 v38, 0xb102e308, v30
	v_sub_f32_e32 v30, v34, v33
	v_sub_f32_e32 v30, v31, v30
	v_add_f32_e32 v31, v36, v38
	v_sub_f32_e32 v33, v31, v36
	v_ldexp_f32 v36, v34, 1
	v_mul_f32_e32 v34, v34, v35
	v_mul_f32_e32 v34, v34, v37
	v_add_f32_e32 v35, v36, v34
	v_sub_f32_e32 v36, v35, v36
	v_ldexp_f32 v30, v30, 1
	v_sub_f32_e32 v34, v34, v36
	v_add_f32_e32 v30, v30, v34
	v_add_f32_e32 v34, v35, v30
	v_sub_f32_e32 v35, v34, v35
	v_sub_f32_e32 v30, v30, v35
	v_add_f32_e32 v35, v31, v34
	v_sub_f32_e32 v36, v35, v31
	v_sub_f32_e32 v37, v35, v36
	;; [unrolled: 1-line block ×5, first 2 shown]
	v_add_f32_e32 v31, v34, v31
	v_add_f32_e32 v34, v33, v30
	v_sub_f32_e32 v36, v34, v33
	v_sub_f32_e32 v37, v34, v36
	;; [unrolled: 1-line block ×4, first 2 shown]
	v_add_f32_e32 v31, v34, v31
	v_add_f32_e32 v30, v30, v33
	;; [unrolled: 1-line block ×3, first 2 shown]
	v_sub_f32_e32 v34, v33, v35
	v_sub_f32_e32 v31, v31, v34
	v_add_f32_e32 v30, v30, v31
	v_add_f32_e32 v30, v33, v30
	v_cmp_neq_f32_e64 s[90:91], s3, v27
	s_mov_b32 s3, 0x33800000
	v_cndmask_b32_e64 v30, v32, v30, s[90:91]
	v_cmp_lt_f32_e64 s[90:91], |v27|, s3
	v_cndmask_b32_e64 v27, v30, v27, s[90:91]
	v_add_f32_e32 v7, v7, v27
	v_cvt_f16_f32_e32 v31, v7
	v_cvt_f32_f16_e32 v32, v31
	v_mov_b32_e32 v30, v31
.LBB391_90:
	s_or_b64 exec, exec, s[0:1]
	v_cvt_f32_f16_e32 v7, v8
	v_max_f32_e32 v27, v32, v32
	v_cmp_u_f16_e64 s[92:93], v31, v31
	v_cmp_u_f16_e64 s[90:91], v8, v8
	v_min_f32_e32 v33, v27, v7
	v_max_f32_e32 v27, v27, v7
	v_cndmask_b32_e64 v33, v33, v32, s[92:93]
	v_cndmask_b32_e64 v27, v27, v32, s[92:93]
	v_cndmask_b32_e64 v33, v33, v7, s[90:91]
	v_cndmask_b32_e64 v27, v27, v7, s[90:91]
	v_cmp_neq_f32_e64 s[92:93], v33, v27
	v_cmp_class_f32_e64 s[0:1], v33, s2
	s_or_b64 s[2:3], s[92:93], s[0:1]
	s_and_saveexec_b64 s[0:1], s[2:3]
	s_cbranch_execz .LBB391_92
; %bb.91:
	v_sub_f32_e32 v30, v33, v27
	s_mov_b32 s2, 0x3fb8aa3b
	v_mul_f32_e32 v31, 0x3fb8aa3b, v30
	v_fma_f32 v32, v30, s2, -v31
	v_rndne_f32_e32 v33, v31
	v_fmac_f32_e32 v32, 0x32a5705f, v30
	v_sub_f32_e32 v31, v31, v33
	v_add_f32_e32 v31, v31, v32
	v_exp_f32_e32 v31, v31
	v_cvt_i32_f32_e32 v32, v33
	s_mov_b32 s2, 0xc2ce8ed0
	v_cmp_ngt_f32_e64 s[92:93], s2, v30
	s_mov_b32 s2, 0x42b17218
	v_ldexp_f32 v31, v31, v32
	v_cndmask_b32_e64 v31, 0, v31, s[92:93]
	v_mov_b32_e32 v32, 0x7f800000
	v_cmp_nlt_f32_e64 s[92:93], s2, v30
	v_cndmask_b32_e64 v33, v32, v31, s[92:93]
	v_add_f32_e32 v34, 1.0, v33
	v_cvt_f64_f32_e32 v[30:31], v34
	v_add_f32_e32 v35, -1.0, v34
	v_sub_f32_e32 v36, v35, v34
	v_sub_f32_e32 v35, v33, v35
	v_frexp_exp_i32_f64_e32 v30, v[30:31]
	v_add_f32_e32 v31, 1.0, v36
	v_add_f32_e32 v31, v35, v31
	v_frexp_mant_f32_e32 v35, v34
	s_mov_b32 s3, 0x3f2aaaab
	v_cmp_gt_f32_e64 s[92:93], s3, v35
	s_mov_b32 s3, 0x3f317218
	s_mov_b32 s2, 0x7f800000
	v_subbrev_co_u32_e64 v30, s[92:93], 0, v30, s[92:93]
	v_sub_u32_e32 v35, 0, v30
	v_ldexp_f32 v34, v34, v35
	v_ldexp_f32 v31, v31, v35
	v_add_f32_e32 v35, -1.0, v34
	v_add_f32_e32 v38, 1.0, v34
	v_add_f32_e32 v36, 1.0, v35
	v_add_f32_e32 v39, -1.0, v38
	v_sub_f32_e32 v36, v34, v36
	v_sub_f32_e32 v34, v34, v39
	v_add_f32_e32 v36, v31, v36
	v_add_f32_e32 v31, v31, v34
	;; [unrolled: 1-line block ×3, first 2 shown]
	v_rcp_f32_e32 v39, v34
	v_add_f32_e32 v37, v35, v36
	v_sub_f32_e32 v35, v35, v37
	v_add_f32_e32 v35, v36, v35
	v_sub_f32_e32 v36, v38, v34
	v_add_f32_e32 v31, v31, v36
	v_mul_f32_e32 v36, v37, v39
	v_mul_f32_e32 v38, v34, v36
	v_fma_f32 v40, v36, v34, -v38
	v_fmac_f32_e32 v40, v36, v31
	v_add_f32_e32 v41, v38, v40
	v_sub_f32_e32 v42, v37, v41
	v_sub_f32_e32 v37, v37, v42
	;; [unrolled: 1-line block ×4, first 2 shown]
	v_add_f32_e32 v35, v35, v37
	v_sub_f32_e32 v37, v38, v40
	v_add_f32_e32 v35, v37, v35
	v_add_f32_e32 v37, v42, v35
	v_mul_f32_e32 v38, v39, v37
	v_mul_f32_e32 v40, v34, v38
	v_fma_f32 v34, v38, v34, -v40
	v_fmac_f32_e32 v34, v38, v31
	v_sub_f32_e32 v31, v42, v37
	v_add_f32_e32 v31, v35, v31
	v_add_f32_e32 v35, v40, v34
	v_sub_f32_e32 v41, v37, v35
	v_sub_f32_e32 v37, v37, v41
	;; [unrolled: 1-line block ×4, first 2 shown]
	v_add_f32_e32 v31, v31, v35
	v_sub_f32_e32 v34, v40, v34
	v_add_f32_e32 v31, v34, v31
	v_add_f32_e32 v34, v36, v38
	;; [unrolled: 1-line block ×3, first 2 shown]
	v_sub_f32_e32 v35, v34, v36
	v_mul_f32_e32 v31, v39, v31
	v_sub_f32_e32 v35, v38, v35
	v_add_f32_e32 v31, v35, v31
	v_cvt_f32_i32_e32 v30, v30
	v_add_f32_e32 v35, v34, v31
	v_mul_f32_e32 v36, v35, v35
	v_mov_b32_e32 v37, 0x3ecc95a3
	v_fmac_f32_e32 v37, 0x3e9b6dac, v36
	v_mov_b32_e32 v38, 0x3f2aaada
	v_fmac_f32_e32 v38, v36, v37
	v_mul_f32_e32 v37, 0x3f317218, v30
	v_fma_f32 v39, v30, s3, -v37
	v_fmac_f32_e32 v39, 0xb102e308, v30
	v_sub_f32_e32 v30, v35, v34
	v_sub_f32_e32 v30, v31, v30
	v_add_f32_e32 v31, v37, v39
	v_sub_f32_e32 v34, v31, v37
	v_ldexp_f32 v37, v35, 1
	v_mul_f32_e32 v35, v35, v36
	v_mul_f32_e32 v35, v35, v38
	v_add_f32_e32 v36, v37, v35
	v_sub_f32_e32 v37, v36, v37
	v_ldexp_f32 v30, v30, 1
	v_sub_f32_e32 v35, v35, v37
	v_add_f32_e32 v30, v30, v35
	v_add_f32_e32 v35, v36, v30
	v_sub_f32_e32 v36, v35, v36
	v_sub_f32_e32 v30, v30, v36
	v_add_f32_e32 v36, v31, v35
	v_sub_f32_e32 v37, v36, v31
	v_sub_f32_e32 v38, v36, v37
	;; [unrolled: 1-line block ×5, first 2 shown]
	v_add_f32_e32 v31, v35, v31
	v_add_f32_e32 v35, v34, v30
	v_sub_f32_e32 v37, v35, v34
	v_sub_f32_e32 v38, v35, v37
	;; [unrolled: 1-line block ×4, first 2 shown]
	v_add_f32_e32 v31, v35, v31
	v_add_f32_e32 v30, v30, v34
	;; [unrolled: 1-line block ×3, first 2 shown]
	v_sub_f32_e32 v35, v34, v36
	v_sub_f32_e32 v31, v31, v35
	v_add_f32_e32 v30, v30, v31
	v_add_f32_e32 v30, v34, v30
	v_cmp_neq_f32_e64 s[92:93], s2, v33
	s_mov_b32 s2, 0x33800000
	v_cndmask_b32_e64 v30, v32, v30, s[92:93]
	v_cmp_lt_f32_e64 s[92:93], |v33|, s2
	v_cndmask_b32_e64 v30, v30, v33, s[92:93]
	v_add_f32_e32 v27, v27, v30
	v_cvt_f16_f32_e32 v31, v27
	v_cvt_f32_f16_e32 v32, v31
	v_mov_b32_e32 v30, v31
.LBB391_92:
	s_or_b64 exec, exec, s[0:1]
	v_cvt_f32_f16_sdwa v27, v8 dst_sel:DWORD dst_unused:UNUSED_PAD src0_sel:WORD_1
	v_max_f32_e32 v33, v32, v32
	v_cmp_u_f16_e32 vcc, v31, v31
	v_cmp_u_f16_sdwa s[92:93], v8, v8 src0_sel:WORD_1 src1_sel:WORD_1
	v_min_f32_e32 v34, v33, v27
	v_max_f32_e32 v8, v33, v27
	v_cndmask_b32_e32 v31, v34, v32, vcc
	v_cndmask_b32_e32 v8, v8, v32, vcc
	v_cndmask_b32_e64 v31, v31, v27, s[92:93]
	v_cndmask_b32_e64 v8, v8, v27, s[92:93]
	s_movk_i32 s0, 0x1f8
	v_cmp_neq_f32_e32 vcc, v31, v8
	v_cmp_class_f32_e64 s[0:1], v31, s0
	s_or_b64 s[2:3], vcc, s[0:1]
	s_and_saveexec_b64 s[0:1], s[2:3]
	s_cbranch_execz .LBB391_94
; %bb.93:
	v_sub_f32_e32 v30, v31, v8
	s_mov_b32 s2, 0x3fb8aa3b
	v_mul_f32_e32 v31, 0x3fb8aa3b, v30
	v_fma_f32 v32, v30, s2, -v31
	v_rndne_f32_e32 v33, v31
	v_fmac_f32_e32 v32, 0x32a5705f, v30
	v_sub_f32_e32 v31, v31, v33
	v_add_f32_e32 v31, v31, v32
	v_exp_f32_e32 v31, v31
	v_cvt_i32_f32_e32 v32, v33
	s_mov_b32 s2, 0xc2ce8ed0
	v_cmp_ngt_f32_e32 vcc, s2, v30
	s_mov_b32 s2, 0x42b17218
	v_ldexp_f32 v31, v31, v32
	v_cndmask_b32_e32 v31, 0, v31, vcc
	v_mov_b32_e32 v32, 0x7f800000
	v_cmp_nlt_f32_e32 vcc, s2, v30
	v_cndmask_b32_e32 v33, v32, v31, vcc
	v_add_f32_e32 v34, 1.0, v33
	v_cvt_f64_f32_e32 v[30:31], v34
	v_add_f32_e32 v35, -1.0, v34
	v_sub_f32_e32 v36, v35, v34
	v_sub_f32_e32 v35, v33, v35
	v_frexp_exp_i32_f64_e32 v30, v[30:31]
	v_add_f32_e32 v31, 1.0, v36
	v_add_f32_e32 v31, v35, v31
	v_frexp_mant_f32_e32 v35, v34
	s_mov_b32 s3, 0x3f2aaaab
	v_cmp_gt_f32_e32 vcc, s3, v35
	s_mov_b32 s3, 0x3f317218
	s_mov_b32 s2, 0x7f800000
	v_subbrev_co_u32_e32 v30, vcc, 0, v30, vcc
	v_sub_u32_e32 v35, 0, v30
	v_ldexp_f32 v34, v34, v35
	v_ldexp_f32 v31, v31, v35
	v_add_f32_e32 v35, -1.0, v34
	v_add_f32_e32 v38, 1.0, v34
	v_add_f32_e32 v36, 1.0, v35
	v_add_f32_e32 v39, -1.0, v38
	v_sub_f32_e32 v36, v34, v36
	v_sub_f32_e32 v34, v34, v39
	v_add_f32_e32 v36, v31, v36
	v_add_f32_e32 v31, v31, v34
	;; [unrolled: 1-line block ×3, first 2 shown]
	v_rcp_f32_e32 v39, v34
	v_add_f32_e32 v37, v35, v36
	v_sub_f32_e32 v35, v35, v37
	v_add_f32_e32 v35, v36, v35
	v_sub_f32_e32 v36, v38, v34
	v_add_f32_e32 v31, v31, v36
	v_mul_f32_e32 v36, v37, v39
	v_mul_f32_e32 v38, v34, v36
	v_fma_f32 v40, v36, v34, -v38
	v_fmac_f32_e32 v40, v36, v31
	v_add_f32_e32 v41, v38, v40
	v_sub_f32_e32 v42, v37, v41
	v_sub_f32_e32 v37, v37, v42
	;; [unrolled: 1-line block ×4, first 2 shown]
	v_add_f32_e32 v35, v35, v37
	v_sub_f32_e32 v37, v38, v40
	v_add_f32_e32 v35, v37, v35
	v_add_f32_e32 v37, v42, v35
	v_mul_f32_e32 v38, v39, v37
	v_mul_f32_e32 v40, v34, v38
	v_fma_f32 v34, v38, v34, -v40
	v_fmac_f32_e32 v34, v38, v31
	v_sub_f32_e32 v31, v42, v37
	v_add_f32_e32 v31, v35, v31
	v_add_f32_e32 v35, v40, v34
	v_sub_f32_e32 v41, v37, v35
	v_sub_f32_e32 v37, v37, v41
	v_sub_f32_e32 v40, v35, v40
	v_sub_f32_e32 v35, v37, v35
	v_add_f32_e32 v31, v31, v35
	v_sub_f32_e32 v34, v40, v34
	v_add_f32_e32 v31, v34, v31
	v_add_f32_e32 v34, v36, v38
	;; [unrolled: 1-line block ×3, first 2 shown]
	v_sub_f32_e32 v35, v34, v36
	v_mul_f32_e32 v31, v39, v31
	v_sub_f32_e32 v35, v38, v35
	v_add_f32_e32 v31, v35, v31
	v_cvt_f32_i32_e32 v30, v30
	v_add_f32_e32 v35, v34, v31
	v_mul_f32_e32 v36, v35, v35
	v_mov_b32_e32 v37, 0x3ecc95a3
	v_fmac_f32_e32 v37, 0x3e9b6dac, v36
	v_mov_b32_e32 v38, 0x3f2aaada
	v_fmac_f32_e32 v38, v36, v37
	v_mul_f32_e32 v37, 0x3f317218, v30
	v_fma_f32 v39, v30, s3, -v37
	v_fmac_f32_e32 v39, 0xb102e308, v30
	v_sub_f32_e32 v30, v35, v34
	v_sub_f32_e32 v30, v31, v30
	v_add_f32_e32 v31, v37, v39
	v_sub_f32_e32 v34, v31, v37
	v_ldexp_f32 v37, v35, 1
	v_mul_f32_e32 v35, v35, v36
	v_mul_f32_e32 v35, v35, v38
	v_add_f32_e32 v36, v37, v35
	v_sub_f32_e32 v37, v36, v37
	v_ldexp_f32 v30, v30, 1
	v_sub_f32_e32 v35, v35, v37
	v_add_f32_e32 v30, v30, v35
	v_add_f32_e32 v35, v36, v30
	v_sub_f32_e32 v36, v35, v36
	v_sub_f32_e32 v30, v30, v36
	v_add_f32_e32 v36, v31, v35
	v_sub_f32_e32 v37, v36, v31
	v_sub_f32_e32 v38, v36, v37
	;; [unrolled: 1-line block ×5, first 2 shown]
	v_add_f32_e32 v31, v35, v31
	v_add_f32_e32 v35, v34, v30
	v_sub_f32_e32 v37, v35, v34
	v_sub_f32_e32 v38, v35, v37
	v_sub_f32_e32 v34, v34, v38
	v_sub_f32_e32 v30, v30, v37
	v_add_f32_e32 v31, v35, v31
	v_add_f32_e32 v30, v30, v34
	;; [unrolled: 1-line block ×3, first 2 shown]
	v_sub_f32_e32 v35, v34, v36
	v_sub_f32_e32 v31, v31, v35
	v_add_f32_e32 v30, v30, v31
	v_add_f32_e32 v30, v34, v30
	v_cmp_neq_f32_e32 vcc, s2, v33
	s_mov_b32 s2, 0x33800000
	v_cndmask_b32_e32 v30, v32, v30, vcc
	v_cmp_lt_f32_e64 vcc, |v33|, s2
	v_cndmask_b32_e32 v30, v30, v33, vcc
	v_add_f32_e32 v8, v8, v30
	v_cvt_f16_f32_e32 v30, v8
.LBB391_94:
	s_or_b64 exec, exec, s[0:1]
	s_load_dwordx2 s[0:1], s[4:5], 0x18
	v_lshrrev_b32_e32 v8, 4, v0
	v_and_b32_e32 v8, 14, v8
	v_lshl_add_u32 v8, v0, 1, v8
	v_cmp_gt_u32_e32 vcc, 64, v0
	ds_write_b16 v8, v30
	s_waitcnt lgkmcnt(0)
	s_barrier
	s_and_saveexec_b64 s[6:7], vcc
	s_cbranch_execz .LBB391_134
; %bb.95:
	v_lshrrev_b32_e32 v8, 2, v0
	v_and_b32_e32 v8, 62, v8
	v_lshlrev_b32_e32 v31, 3, v0
	v_add_u32_e32 v8, v8, v31
	ds_read_u16 v34, v8
	ds_read_u16 v32, v8 offset:2
	s_movk_i32 s8, 0x1f8
	s_waitcnt lgkmcnt(1)
	v_cvt_f32_f16_e32 v31, v34
	s_waitcnt lgkmcnt(0)
	v_cvt_f32_f16_e32 v33, v32
	v_cmp_u_f16_e64 s[4:5], v34, v34
	v_cmp_u_f16_e32 vcc, v32, v32
	v_min_f32_e32 v35, v31, v33
	v_max_f32_e32 v36, v31, v33
	v_cndmask_b32_e64 v35, v35, v31, s[4:5]
	v_cndmask_b32_e64 v36, v36, v31, s[4:5]
	v_cndmask_b32_e32 v35, v35, v33, vcc
	v_cndmask_b32_e32 v32, v36, v33, vcc
	v_cmp_neq_f32_e32 vcc, v35, v32
	v_cmp_class_f32_e64 s[2:3], v35, s8
	s_or_b64 vcc, vcc, s[2:3]
	v_mov_b32_e32 v33, v31
	s_and_saveexec_b64 s[2:3], vcc
	s_cbranch_execz .LBB391_97
; %bb.96:
	v_sub_f32_e32 v33, v35, v32
	s_mov_b32 s9, 0x3fb8aa3b
	v_mul_f32_e32 v34, 0x3fb8aa3b, v33
	v_fma_f32 v35, v33, s9, -v34
	v_rndne_f32_e32 v36, v34
	v_fmac_f32_e32 v35, 0x32a5705f, v33
	v_sub_f32_e32 v34, v34, v36
	v_add_f32_e32 v34, v34, v35
	v_exp_f32_e32 v34, v34
	v_cvt_i32_f32_e32 v35, v36
	s_mov_b32 s9, 0xc2ce8ed0
	v_cmp_ngt_f32_e32 vcc, s9, v33
	s_mov_b32 s9, 0x42b17218
	v_ldexp_f32 v34, v34, v35
	v_cndmask_b32_e32 v34, 0, v34, vcc
	v_mov_b32_e32 v35, 0x7f800000
	v_cmp_nlt_f32_e32 vcc, s9, v33
	v_cndmask_b32_e32 v36, v35, v34, vcc
	v_add_f32_e32 v37, 1.0, v36
	v_cvt_f64_f32_e32 v[33:34], v37
	v_add_f32_e32 v38, -1.0, v37
	v_sub_f32_e32 v39, v38, v37
	v_sub_f32_e32 v38, v36, v38
	v_frexp_exp_i32_f64_e32 v33, v[33:34]
	v_add_f32_e32 v34, 1.0, v39
	v_add_f32_e32 v34, v38, v34
	v_frexp_mant_f32_e32 v38, v37
	s_mov_b32 s10, 0x3f2aaaab
	v_cmp_gt_f32_e32 vcc, s10, v38
	s_mov_b32 s10, 0x3f317218
	s_mov_b32 s9, 0x7f800000
	v_subbrev_co_u32_e32 v33, vcc, 0, v33, vcc
	v_sub_u32_e32 v38, 0, v33
	v_ldexp_f32 v37, v37, v38
	v_ldexp_f32 v34, v34, v38
	v_add_f32_e32 v38, -1.0, v37
	v_add_f32_e32 v41, 1.0, v37
	v_add_f32_e32 v39, 1.0, v38
	v_add_f32_e32 v42, -1.0, v41
	v_sub_f32_e32 v39, v37, v39
	v_sub_f32_e32 v37, v37, v42
	v_add_f32_e32 v39, v34, v39
	v_add_f32_e32 v34, v34, v37
	;; [unrolled: 1-line block ×3, first 2 shown]
	v_rcp_f32_e32 v42, v37
	v_add_f32_e32 v40, v38, v39
	v_sub_f32_e32 v38, v38, v40
	v_add_f32_e32 v38, v39, v38
	v_sub_f32_e32 v39, v41, v37
	v_add_f32_e32 v34, v34, v39
	v_mul_f32_e32 v39, v40, v42
	v_mul_f32_e32 v41, v37, v39
	v_fma_f32 v43, v39, v37, -v41
	v_fmac_f32_e32 v43, v39, v34
	v_add_f32_e32 v44, v41, v43
	v_sub_f32_e32 v45, v40, v44
	v_sub_f32_e32 v40, v40, v45
	;; [unrolled: 1-line block ×4, first 2 shown]
	v_add_f32_e32 v38, v38, v40
	v_sub_f32_e32 v40, v41, v43
	v_add_f32_e32 v38, v40, v38
	v_add_f32_e32 v40, v45, v38
	v_mul_f32_e32 v41, v42, v40
	v_mul_f32_e32 v43, v37, v41
	v_fma_f32 v37, v41, v37, -v43
	v_fmac_f32_e32 v37, v41, v34
	v_sub_f32_e32 v34, v45, v40
	v_add_f32_e32 v34, v38, v34
	v_add_f32_e32 v38, v43, v37
	v_sub_f32_e32 v44, v40, v38
	v_sub_f32_e32 v40, v40, v44
	;; [unrolled: 1-line block ×4, first 2 shown]
	v_add_f32_e32 v34, v34, v38
	v_sub_f32_e32 v37, v43, v37
	v_add_f32_e32 v34, v37, v34
	v_add_f32_e32 v37, v39, v41
	;; [unrolled: 1-line block ×3, first 2 shown]
	v_sub_f32_e32 v38, v37, v39
	v_mul_f32_e32 v34, v42, v34
	v_sub_f32_e32 v38, v41, v38
	v_add_f32_e32 v34, v38, v34
	v_cvt_f32_i32_e32 v33, v33
	v_add_f32_e32 v38, v37, v34
	v_mul_f32_e32 v39, v38, v38
	v_mov_b32_e32 v40, 0x3ecc95a3
	v_fmac_f32_e32 v40, 0x3e9b6dac, v39
	v_mov_b32_e32 v41, 0x3f2aaada
	v_fmac_f32_e32 v41, v39, v40
	v_mul_f32_e32 v40, 0x3f317218, v33
	v_fma_f32 v42, v33, s10, -v40
	v_fmac_f32_e32 v42, 0xb102e308, v33
	v_sub_f32_e32 v33, v38, v37
	v_sub_f32_e32 v33, v34, v33
	v_add_f32_e32 v34, v40, v42
	v_sub_f32_e32 v37, v34, v40
	v_ldexp_f32 v40, v38, 1
	v_mul_f32_e32 v38, v38, v39
	v_mul_f32_e32 v38, v38, v41
	v_add_f32_e32 v39, v40, v38
	v_sub_f32_e32 v40, v39, v40
	v_ldexp_f32 v33, v33, 1
	v_sub_f32_e32 v38, v38, v40
	v_add_f32_e32 v33, v33, v38
	v_add_f32_e32 v38, v39, v33
	v_sub_f32_e32 v39, v38, v39
	v_sub_f32_e32 v33, v33, v39
	v_add_f32_e32 v39, v34, v38
	v_sub_f32_e32 v40, v39, v34
	v_sub_f32_e32 v41, v39, v40
	;; [unrolled: 1-line block ×5, first 2 shown]
	v_add_f32_e32 v34, v38, v34
	v_add_f32_e32 v38, v37, v33
	v_sub_f32_e32 v40, v38, v37
	v_sub_f32_e32 v41, v38, v40
	;; [unrolled: 1-line block ×4, first 2 shown]
	v_add_f32_e32 v34, v38, v34
	v_add_f32_e32 v33, v33, v37
	;; [unrolled: 1-line block ×3, first 2 shown]
	v_sub_f32_e32 v38, v37, v39
	v_sub_f32_e32 v34, v34, v38
	v_add_f32_e32 v33, v33, v34
	v_add_f32_e32 v33, v37, v33
	v_cmp_neq_f32_e32 vcc, s9, v36
	s_mov_b32 s9, 0x33800000
	v_cndmask_b32_e32 v33, v35, v33, vcc
	v_cmp_lt_f32_e64 vcc, |v36|, s9
	v_cndmask_b32_e32 v33, v33, v36, vcc
	v_add_f32_e32 v32, v32, v33
	v_cvt_f16_f32_e32 v34, v32
	v_cvt_f32_f16_e32 v33, v34
.LBB391_97:
	s_or_b64 exec, exec, s[2:3]
	ds_read_u16 v32, v8 offset:4
	v_max_f32_e32 v35, v33, v33
	v_cmp_u_f16_e32 vcc, v34, v34
	s_waitcnt lgkmcnt(0)
	v_cvt_f32_f16_e32 v36, v32
	v_min_f32_e32 v37, v35, v36
	v_max_f32_e32 v35, v35, v36
	v_cndmask_b32_e32 v37, v37, v33, vcc
	v_cndmask_b32_e32 v38, v35, v33, vcc
	v_cmp_u_f16_e32 vcc, v32, v32
	v_cndmask_b32_e32 v35, v37, v36, vcc
	v_cndmask_b32_e32 v32, v38, v36, vcc
	v_cmp_neq_f32_e32 vcc, v35, v32
	v_cmp_class_f32_e64 s[2:3], v35, s8
	s_or_b64 s[8:9], vcc, s[2:3]
	s_and_saveexec_b64 s[2:3], s[8:9]
	s_cbranch_execz .LBB391_99
; %bb.98:
	v_sub_f32_e32 v33, v35, v32
	s_mov_b32 s8, 0x3fb8aa3b
	v_mul_f32_e32 v34, 0x3fb8aa3b, v33
	v_fma_f32 v35, v33, s8, -v34
	v_rndne_f32_e32 v36, v34
	v_fmac_f32_e32 v35, 0x32a5705f, v33
	v_sub_f32_e32 v34, v34, v36
	v_add_f32_e32 v34, v34, v35
	v_exp_f32_e32 v34, v34
	v_cvt_i32_f32_e32 v35, v36
	s_mov_b32 s8, 0xc2ce8ed0
	v_cmp_ngt_f32_e32 vcc, s8, v33
	s_mov_b32 s8, 0x42b17218
	v_ldexp_f32 v34, v34, v35
	v_cndmask_b32_e32 v34, 0, v34, vcc
	v_mov_b32_e32 v35, 0x7f800000
	v_cmp_nlt_f32_e32 vcc, s8, v33
	v_cndmask_b32_e32 v36, v35, v34, vcc
	v_add_f32_e32 v37, 1.0, v36
	v_cvt_f64_f32_e32 v[33:34], v37
	v_add_f32_e32 v38, -1.0, v37
	v_sub_f32_e32 v39, v38, v37
	v_sub_f32_e32 v38, v36, v38
	v_frexp_exp_i32_f64_e32 v33, v[33:34]
	v_add_f32_e32 v34, 1.0, v39
	v_add_f32_e32 v34, v38, v34
	v_frexp_mant_f32_e32 v38, v37
	s_mov_b32 s9, 0x3f2aaaab
	v_cmp_gt_f32_e32 vcc, s9, v38
	s_mov_b32 s9, 0x3f317218
	s_mov_b32 s8, 0x7f800000
	v_subbrev_co_u32_e32 v33, vcc, 0, v33, vcc
	v_sub_u32_e32 v38, 0, v33
	v_ldexp_f32 v37, v37, v38
	v_ldexp_f32 v34, v34, v38
	v_add_f32_e32 v38, -1.0, v37
	v_add_f32_e32 v41, 1.0, v37
	v_add_f32_e32 v39, 1.0, v38
	v_add_f32_e32 v42, -1.0, v41
	v_sub_f32_e32 v39, v37, v39
	v_sub_f32_e32 v37, v37, v42
	v_add_f32_e32 v39, v34, v39
	v_add_f32_e32 v34, v34, v37
	;; [unrolled: 1-line block ×3, first 2 shown]
	v_rcp_f32_e32 v42, v37
	v_add_f32_e32 v40, v38, v39
	v_sub_f32_e32 v38, v38, v40
	v_add_f32_e32 v38, v39, v38
	v_sub_f32_e32 v39, v41, v37
	v_add_f32_e32 v34, v34, v39
	v_mul_f32_e32 v39, v40, v42
	v_mul_f32_e32 v41, v37, v39
	v_fma_f32 v43, v39, v37, -v41
	v_fmac_f32_e32 v43, v39, v34
	v_add_f32_e32 v44, v41, v43
	v_sub_f32_e32 v45, v40, v44
	v_sub_f32_e32 v40, v40, v45
	;; [unrolled: 1-line block ×4, first 2 shown]
	v_add_f32_e32 v38, v38, v40
	v_sub_f32_e32 v40, v41, v43
	v_add_f32_e32 v38, v40, v38
	v_add_f32_e32 v40, v45, v38
	v_mul_f32_e32 v41, v42, v40
	v_mul_f32_e32 v43, v37, v41
	v_fma_f32 v37, v41, v37, -v43
	v_fmac_f32_e32 v37, v41, v34
	v_sub_f32_e32 v34, v45, v40
	v_add_f32_e32 v34, v38, v34
	v_add_f32_e32 v38, v43, v37
	v_sub_f32_e32 v44, v40, v38
	v_sub_f32_e32 v40, v40, v44
	;; [unrolled: 1-line block ×4, first 2 shown]
	v_add_f32_e32 v34, v34, v38
	v_sub_f32_e32 v37, v43, v37
	v_add_f32_e32 v34, v37, v34
	v_add_f32_e32 v37, v39, v41
	;; [unrolled: 1-line block ×3, first 2 shown]
	v_sub_f32_e32 v38, v37, v39
	v_mul_f32_e32 v34, v42, v34
	v_sub_f32_e32 v38, v41, v38
	v_add_f32_e32 v34, v38, v34
	v_cvt_f32_i32_e32 v33, v33
	v_add_f32_e32 v38, v37, v34
	v_mul_f32_e32 v39, v38, v38
	v_mov_b32_e32 v40, 0x3ecc95a3
	v_fmac_f32_e32 v40, 0x3e9b6dac, v39
	v_mov_b32_e32 v41, 0x3f2aaada
	v_fmac_f32_e32 v41, v39, v40
	v_mul_f32_e32 v40, 0x3f317218, v33
	v_fma_f32 v42, v33, s9, -v40
	v_fmac_f32_e32 v42, 0xb102e308, v33
	v_sub_f32_e32 v33, v38, v37
	v_sub_f32_e32 v33, v34, v33
	v_add_f32_e32 v34, v40, v42
	v_sub_f32_e32 v37, v34, v40
	v_ldexp_f32 v40, v38, 1
	v_mul_f32_e32 v38, v38, v39
	v_mul_f32_e32 v38, v38, v41
	v_add_f32_e32 v39, v40, v38
	v_sub_f32_e32 v40, v39, v40
	v_ldexp_f32 v33, v33, 1
	v_sub_f32_e32 v38, v38, v40
	v_add_f32_e32 v33, v33, v38
	v_add_f32_e32 v38, v39, v33
	v_sub_f32_e32 v39, v38, v39
	v_sub_f32_e32 v33, v33, v39
	v_add_f32_e32 v39, v34, v38
	v_sub_f32_e32 v40, v39, v34
	v_sub_f32_e32 v41, v39, v40
	;; [unrolled: 1-line block ×5, first 2 shown]
	v_add_f32_e32 v34, v38, v34
	v_add_f32_e32 v38, v37, v33
	v_sub_f32_e32 v40, v38, v37
	v_sub_f32_e32 v41, v38, v40
	;; [unrolled: 1-line block ×4, first 2 shown]
	v_add_f32_e32 v34, v38, v34
	v_add_f32_e32 v33, v33, v37
	;; [unrolled: 1-line block ×3, first 2 shown]
	v_sub_f32_e32 v38, v37, v39
	v_sub_f32_e32 v34, v34, v38
	v_add_f32_e32 v33, v33, v34
	v_add_f32_e32 v33, v37, v33
	v_cmp_neq_f32_e32 vcc, s8, v36
	s_mov_b32 s8, 0x33800000
	v_cndmask_b32_e32 v33, v35, v33, vcc
	v_cmp_lt_f32_e64 vcc, |v36|, s8
	v_cndmask_b32_e32 v33, v33, v36, vcc
	v_add_f32_e32 v32, v32, v33
	v_cvt_f16_f32_e32 v34, v32
	v_cvt_f32_f16_e32 v33, v34
.LBB391_99:
	s_or_b64 exec, exec, s[2:3]
	ds_read_u16 v32, v8 offset:6
	v_max_f32_e32 v36, v33, v33
	v_cmp_u_f16_e32 vcc, v34, v34
	s_movk_i32 s2, 0x1f8
	s_waitcnt lgkmcnt(0)
	v_cvt_f32_f16_e32 v35, v32
	v_min_f32_e32 v37, v36, v35
	v_max_f32_e32 v36, v36, v35
	v_cndmask_b32_e32 v37, v37, v33, vcc
	v_cndmask_b32_e32 v36, v36, v33, vcc
	v_cmp_u_f16_e32 vcc, v32, v32
	v_cndmask_b32_e32 v33, v37, v35, vcc
	v_cndmask_b32_e32 v32, v36, v35, vcc
	v_cmp_neq_f32_e32 vcc, v33, v32
	v_cmp_class_f32_e64 s[2:3], v33, s2
	s_or_b64 s[8:9], vcc, s[2:3]
	s_and_saveexec_b64 s[2:3], s[8:9]
	s_cbranch_execz .LBB391_101
; %bb.100:
	v_sub_f32_e32 v33, v33, v32
	s_mov_b32 s8, 0x3fb8aa3b
	v_mul_f32_e32 v34, 0x3fb8aa3b, v33
	v_fma_f32 v35, v33, s8, -v34
	v_rndne_f32_e32 v36, v34
	v_fmac_f32_e32 v35, 0x32a5705f, v33
	v_sub_f32_e32 v34, v34, v36
	v_add_f32_e32 v34, v34, v35
	v_exp_f32_e32 v34, v34
	v_cvt_i32_f32_e32 v35, v36
	s_mov_b32 s8, 0xc2ce8ed0
	v_cmp_ngt_f32_e32 vcc, s8, v33
	s_mov_b32 s8, 0x42b17218
	v_ldexp_f32 v34, v34, v35
	v_cndmask_b32_e32 v34, 0, v34, vcc
	v_mov_b32_e32 v35, 0x7f800000
	v_cmp_nlt_f32_e32 vcc, s8, v33
	v_cndmask_b32_e32 v36, v35, v34, vcc
	v_add_f32_e32 v37, 1.0, v36
	v_cvt_f64_f32_e32 v[33:34], v37
	v_add_f32_e32 v38, -1.0, v37
	v_sub_f32_e32 v39, v38, v37
	v_sub_f32_e32 v38, v36, v38
	v_frexp_exp_i32_f64_e32 v33, v[33:34]
	v_add_f32_e32 v34, 1.0, v39
	v_add_f32_e32 v34, v38, v34
	v_frexp_mant_f32_e32 v38, v37
	s_mov_b32 s9, 0x3f2aaaab
	v_cmp_gt_f32_e32 vcc, s9, v38
	s_mov_b32 s9, 0x3f317218
	s_mov_b32 s8, 0x7f800000
	v_subbrev_co_u32_e32 v33, vcc, 0, v33, vcc
	v_sub_u32_e32 v38, 0, v33
	v_ldexp_f32 v37, v37, v38
	v_ldexp_f32 v34, v34, v38
	v_add_f32_e32 v38, -1.0, v37
	v_add_f32_e32 v41, 1.0, v37
	v_add_f32_e32 v39, 1.0, v38
	v_add_f32_e32 v42, -1.0, v41
	v_sub_f32_e32 v39, v37, v39
	v_sub_f32_e32 v37, v37, v42
	v_add_f32_e32 v39, v34, v39
	v_add_f32_e32 v34, v34, v37
	;; [unrolled: 1-line block ×3, first 2 shown]
	v_rcp_f32_e32 v42, v37
	v_add_f32_e32 v40, v38, v39
	v_sub_f32_e32 v38, v38, v40
	v_add_f32_e32 v38, v39, v38
	v_sub_f32_e32 v39, v41, v37
	v_add_f32_e32 v34, v34, v39
	v_mul_f32_e32 v39, v40, v42
	v_mul_f32_e32 v41, v37, v39
	v_fma_f32 v43, v39, v37, -v41
	v_fmac_f32_e32 v43, v39, v34
	v_add_f32_e32 v44, v41, v43
	v_sub_f32_e32 v45, v40, v44
	v_sub_f32_e32 v40, v40, v45
	;; [unrolled: 1-line block ×4, first 2 shown]
	v_add_f32_e32 v38, v38, v40
	v_sub_f32_e32 v40, v41, v43
	v_add_f32_e32 v38, v40, v38
	v_add_f32_e32 v40, v45, v38
	v_mul_f32_e32 v41, v42, v40
	v_mul_f32_e32 v43, v37, v41
	v_fma_f32 v37, v41, v37, -v43
	v_fmac_f32_e32 v37, v41, v34
	v_sub_f32_e32 v34, v45, v40
	v_add_f32_e32 v34, v38, v34
	v_add_f32_e32 v38, v43, v37
	v_sub_f32_e32 v44, v40, v38
	v_sub_f32_e32 v40, v40, v44
	;; [unrolled: 1-line block ×4, first 2 shown]
	v_add_f32_e32 v34, v34, v38
	v_sub_f32_e32 v37, v43, v37
	v_add_f32_e32 v34, v37, v34
	v_add_f32_e32 v37, v39, v41
	;; [unrolled: 1-line block ×3, first 2 shown]
	v_sub_f32_e32 v38, v37, v39
	v_mul_f32_e32 v34, v42, v34
	v_sub_f32_e32 v38, v41, v38
	v_add_f32_e32 v34, v38, v34
	v_cvt_f32_i32_e32 v33, v33
	v_add_f32_e32 v38, v37, v34
	v_mul_f32_e32 v39, v38, v38
	v_mov_b32_e32 v40, 0x3ecc95a3
	v_fmac_f32_e32 v40, 0x3e9b6dac, v39
	v_mov_b32_e32 v41, 0x3f2aaada
	v_fmac_f32_e32 v41, v39, v40
	v_mul_f32_e32 v40, 0x3f317218, v33
	v_fma_f32 v42, v33, s9, -v40
	v_fmac_f32_e32 v42, 0xb102e308, v33
	v_sub_f32_e32 v33, v38, v37
	v_sub_f32_e32 v33, v34, v33
	v_add_f32_e32 v34, v40, v42
	v_sub_f32_e32 v37, v34, v40
	v_ldexp_f32 v40, v38, 1
	v_mul_f32_e32 v38, v38, v39
	v_mul_f32_e32 v38, v38, v41
	v_add_f32_e32 v39, v40, v38
	v_sub_f32_e32 v40, v39, v40
	v_ldexp_f32 v33, v33, 1
	v_sub_f32_e32 v38, v38, v40
	v_add_f32_e32 v33, v33, v38
	v_add_f32_e32 v38, v39, v33
	v_sub_f32_e32 v39, v38, v39
	v_sub_f32_e32 v33, v33, v39
	v_add_f32_e32 v39, v34, v38
	v_sub_f32_e32 v40, v39, v34
	v_sub_f32_e32 v41, v39, v40
	;; [unrolled: 1-line block ×5, first 2 shown]
	v_add_f32_e32 v34, v38, v34
	v_add_f32_e32 v38, v37, v33
	v_sub_f32_e32 v40, v38, v37
	v_sub_f32_e32 v41, v38, v40
	v_sub_f32_e32 v37, v37, v41
	v_sub_f32_e32 v33, v33, v40
	v_add_f32_e32 v34, v38, v34
	v_add_f32_e32 v33, v33, v37
	v_add_f32_e32 v37, v39, v34
	v_sub_f32_e32 v38, v37, v39
	v_sub_f32_e32 v34, v34, v38
	v_add_f32_e32 v33, v33, v34
	v_add_f32_e32 v33, v37, v33
	v_cmp_neq_f32_e32 vcc, s8, v36
	s_mov_b32 s8, 0x33800000
	v_cndmask_b32_e32 v33, v35, v33, vcc
	v_cmp_lt_f32_e64 vcc, |v36|, s8
	v_cndmask_b32_e32 v33, v33, v36, vcc
	v_add_f32_e32 v32, v32, v33
	v_cvt_f16_f32_e32 v34, v32
.LBB391_101:
	s_or_b64 exec, exec, s[2:3]
	v_mbcnt_lo_u32_b32 v32, -1, 0
	v_mbcnt_hi_u32_b32 v32, -1, v32
	v_and_b32_e32 v33, 15, v32
	v_and_b32_e32 v35, 0xffff, v34
	v_cmp_ne_u32_e32 vcc, 0, v33
	s_nop 0
	v_mov_b32_dpp v36, v35 row_shr:1 row_mask:0xf bank_mask:0xf
	s_and_saveexec_b64 s[2:3], vcc
	s_xor_b64 s[8:9], exec, s[2:3]
	s_cbranch_execz .LBB391_105
; %bb.102:
	v_cvt_f32_f16_e32 v37, v36
	v_cvt_f32_f16_e32 v38, v34
	v_cmp_u_f16_e64 s[2:3], v36, v36
	v_cmp_u_f16_e32 vcc, v34, v34
	v_min_f32_e32 v35, v37, v38
	v_max_f32_e32 v34, v37, v38
	v_cndmask_b32_e64 v35, v35, v37, s[2:3]
	v_cndmask_b32_e64 v34, v34, v37, s[2:3]
	v_cndmask_b32_e32 v35, v35, v38, vcc
	v_cndmask_b32_e32 v34, v34, v38, vcc
	s_movk_i32 s2, 0x1f8
	v_cmp_neq_f32_e32 vcc, v35, v34
	v_cmp_class_f32_e64 s[2:3], v35, s2
	s_or_b64 vcc, vcc, s[2:3]
	s_and_saveexec_b64 s[2:3], vcc
	s_cbranch_execz .LBB391_104
; %bb.103:
	v_sub_f32_e32 v35, v35, v34
	s_mov_b32 s33, 0x3fb8aa3b
	v_mul_f32_e32 v36, 0x3fb8aa3b, v35
	v_fma_f32 v37, v35, s33, -v36
	v_rndne_f32_e32 v38, v36
	v_fmac_f32_e32 v37, 0x32a5705f, v35
	v_sub_f32_e32 v36, v36, v38
	v_add_f32_e32 v36, v36, v37
	v_exp_f32_e32 v36, v36
	v_cvt_i32_f32_e32 v37, v38
	s_mov_b32 s33, 0xc2ce8ed0
	v_cmp_ngt_f32_e32 vcc, s33, v35
	s_mov_b32 s33, 0x42b17218
	v_ldexp_f32 v36, v36, v37
	v_cndmask_b32_e32 v36, 0, v36, vcc
	v_mov_b32_e32 v37, 0x7f800000
	v_cmp_nlt_f32_e32 vcc, s33, v35
	v_cndmask_b32_e32 v38, v37, v36, vcc
	v_add_f32_e32 v39, 1.0, v38
	v_cvt_f64_f32_e32 v[35:36], v39
	v_add_f32_e32 v40, -1.0, v39
	v_sub_f32_e32 v41, v40, v39
	v_sub_f32_e32 v40, v38, v40
	v_frexp_exp_i32_f64_e32 v35, v[35:36]
	v_add_f32_e32 v36, 1.0, v41
	v_add_f32_e32 v36, v40, v36
	v_frexp_mant_f32_e32 v40, v39
	s_mov_b32 s10, 0x3f2aaaab
	v_cmp_gt_f32_e32 vcc, s10, v40
	s_mov_b32 s10, 0x3f317218
	s_mov_b32 s33, 0x7f800000
	v_subbrev_co_u32_e32 v35, vcc, 0, v35, vcc
	v_sub_u32_e32 v40, 0, v35
	v_ldexp_f32 v39, v39, v40
	v_ldexp_f32 v36, v36, v40
	v_add_f32_e32 v40, -1.0, v39
	v_add_f32_e32 v43, 1.0, v39
	v_add_f32_e32 v41, 1.0, v40
	v_add_f32_e32 v44, -1.0, v43
	v_sub_f32_e32 v41, v39, v41
	v_sub_f32_e32 v39, v39, v44
	v_add_f32_e32 v41, v36, v41
	v_add_f32_e32 v36, v36, v39
	;; [unrolled: 1-line block ×3, first 2 shown]
	v_rcp_f32_e32 v44, v39
	v_add_f32_e32 v42, v40, v41
	v_sub_f32_e32 v40, v40, v42
	v_add_f32_e32 v40, v41, v40
	v_sub_f32_e32 v41, v43, v39
	v_add_f32_e32 v36, v36, v41
	v_mul_f32_e32 v41, v42, v44
	v_mul_f32_e32 v43, v39, v41
	v_fma_f32 v45, v41, v39, -v43
	v_fmac_f32_e32 v45, v41, v36
	v_add_f32_e32 v46, v43, v45
	v_sub_f32_e32 v47, v42, v46
	v_sub_f32_e32 v42, v42, v47
	;; [unrolled: 1-line block ×4, first 2 shown]
	v_add_f32_e32 v40, v40, v42
	v_sub_f32_e32 v42, v43, v45
	v_add_f32_e32 v40, v42, v40
	v_add_f32_e32 v42, v47, v40
	v_mul_f32_e32 v43, v44, v42
	v_mul_f32_e32 v45, v39, v43
	v_fma_f32 v39, v43, v39, -v45
	v_fmac_f32_e32 v39, v43, v36
	v_sub_f32_e32 v36, v47, v42
	v_add_f32_e32 v36, v40, v36
	v_add_f32_e32 v40, v45, v39
	v_sub_f32_e32 v46, v42, v40
	v_sub_f32_e32 v42, v42, v46
	;; [unrolled: 1-line block ×4, first 2 shown]
	v_add_f32_e32 v36, v36, v40
	v_sub_f32_e32 v39, v45, v39
	v_add_f32_e32 v36, v39, v36
	v_add_f32_e32 v39, v41, v43
	v_add_f32_e32 v36, v46, v36
	v_sub_f32_e32 v40, v39, v41
	v_mul_f32_e32 v36, v44, v36
	v_sub_f32_e32 v40, v43, v40
	v_add_f32_e32 v36, v40, v36
	v_cvt_f32_i32_e32 v35, v35
	v_add_f32_e32 v40, v39, v36
	v_mul_f32_e32 v41, v40, v40
	v_mov_b32_e32 v42, 0x3ecc95a3
	v_fmac_f32_e32 v42, 0x3e9b6dac, v41
	v_mov_b32_e32 v43, 0x3f2aaada
	v_fmac_f32_e32 v43, v41, v42
	v_mul_f32_e32 v42, 0x3f317218, v35
	v_fma_f32 v44, v35, s10, -v42
	v_fmac_f32_e32 v44, 0xb102e308, v35
	v_sub_f32_e32 v35, v40, v39
	v_sub_f32_e32 v35, v36, v35
	v_add_f32_e32 v36, v42, v44
	v_sub_f32_e32 v39, v36, v42
	v_ldexp_f32 v42, v40, 1
	v_mul_f32_e32 v40, v40, v41
	v_mul_f32_e32 v40, v40, v43
	v_add_f32_e32 v41, v42, v40
	v_sub_f32_e32 v42, v41, v42
	v_ldexp_f32 v35, v35, 1
	v_sub_f32_e32 v40, v40, v42
	v_add_f32_e32 v35, v35, v40
	v_add_f32_e32 v40, v41, v35
	v_sub_f32_e32 v41, v40, v41
	v_sub_f32_e32 v35, v35, v41
	v_add_f32_e32 v41, v36, v40
	v_sub_f32_e32 v42, v41, v36
	v_sub_f32_e32 v43, v41, v42
	;; [unrolled: 1-line block ×5, first 2 shown]
	v_add_f32_e32 v36, v40, v36
	v_add_f32_e32 v40, v39, v35
	v_sub_f32_e32 v42, v40, v39
	v_sub_f32_e32 v43, v40, v42
	;; [unrolled: 1-line block ×4, first 2 shown]
	v_add_f32_e32 v36, v40, v36
	v_add_f32_e32 v35, v35, v39
	;; [unrolled: 1-line block ×3, first 2 shown]
	v_sub_f32_e32 v40, v39, v41
	v_sub_f32_e32 v36, v36, v40
	v_add_f32_e32 v35, v35, v36
	v_add_f32_e32 v35, v39, v35
	v_cmp_neq_f32_e32 vcc, s33, v38
	s_mov_b32 s10, 0x33800000
	v_cndmask_b32_e32 v35, v37, v35, vcc
	v_cmp_lt_f32_e64 vcc, |v38|, s10
	v_cndmask_b32_e32 v35, v35, v38, vcc
	v_add_f32_e32 v34, v34, v35
	v_cvt_f16_f32_e32 v36, v34
.LBB391_104:
	s_or_b64 exec, exec, s[2:3]
	v_and_b32_e32 v35, 0xffff, v36
	v_mov_b32_e32 v34, v36
.LBB391_105:
	s_or_b64 exec, exec, s[8:9]
	v_mov_b32_dpp v36, v35 row_shr:2 row_mask:0xf bank_mask:0xf
	v_cmp_lt_u32_e32 vcc, 1, v33
	s_and_saveexec_b64 s[8:9], vcc
	s_cbranch_execz .LBB391_109
; %bb.106:
	v_cvt_f32_f16_e32 v37, v36
	v_cvt_f32_f16_e32 v38, v34
	v_cmp_u_f16_e32 vcc, v36, v36
	v_cmp_u_f16_e64 s[2:3], v34, v34
	v_min_f32_e32 v35, v37, v38
	v_max_f32_e32 v34, v37, v38
	v_cndmask_b32_e32 v35, v35, v37, vcc
	v_cndmask_b32_e32 v34, v34, v37, vcc
	v_cndmask_b32_e64 v35, v35, v38, s[2:3]
	v_cndmask_b32_e64 v34, v34, v38, s[2:3]
	s_movk_i32 s2, 0x1f8
	v_cmp_neq_f32_e32 vcc, v35, v34
	v_cmp_class_f32_e64 s[2:3], v35, s2
	s_or_b64 vcc, vcc, s[2:3]
	s_and_saveexec_b64 s[2:3], vcc
	s_cbranch_execz .LBB391_108
; %bb.107:
	v_sub_f32_e32 v35, v35, v34
	s_mov_b32 s10, 0x3fb8aa3b
	v_mul_f32_e32 v36, 0x3fb8aa3b, v35
	v_fma_f32 v37, v35, s10, -v36
	v_rndne_f32_e32 v38, v36
	v_fmac_f32_e32 v37, 0x32a5705f, v35
	v_sub_f32_e32 v36, v36, v38
	v_add_f32_e32 v36, v36, v37
	v_exp_f32_e32 v36, v36
	v_cvt_i32_f32_e32 v37, v38
	s_mov_b32 s10, 0xc2ce8ed0
	v_cmp_ngt_f32_e32 vcc, s10, v35
	s_mov_b32 s10, 0x42b17218
	v_ldexp_f32 v36, v36, v37
	v_cndmask_b32_e32 v36, 0, v36, vcc
	v_mov_b32_e32 v37, 0x7f800000
	v_cmp_nlt_f32_e32 vcc, s10, v35
	v_cndmask_b32_e32 v38, v37, v36, vcc
	v_add_f32_e32 v39, 1.0, v38
	v_cvt_f64_f32_e32 v[35:36], v39
	v_add_f32_e32 v40, -1.0, v39
	v_sub_f32_e32 v41, v40, v39
	v_sub_f32_e32 v40, v38, v40
	v_frexp_exp_i32_f64_e32 v35, v[35:36]
	v_add_f32_e32 v36, 1.0, v41
	v_add_f32_e32 v36, v40, v36
	v_frexp_mant_f32_e32 v40, v39
	s_mov_b32 s11, 0x3f2aaaab
	v_cmp_gt_f32_e32 vcc, s11, v40
	s_mov_b32 s11, 0x3f317218
	s_mov_b32 s10, 0x7f800000
	v_subbrev_co_u32_e32 v35, vcc, 0, v35, vcc
	v_sub_u32_e32 v40, 0, v35
	v_ldexp_f32 v39, v39, v40
	v_ldexp_f32 v36, v36, v40
	v_add_f32_e32 v40, -1.0, v39
	v_add_f32_e32 v43, 1.0, v39
	v_add_f32_e32 v41, 1.0, v40
	v_add_f32_e32 v44, -1.0, v43
	v_sub_f32_e32 v41, v39, v41
	v_sub_f32_e32 v39, v39, v44
	v_add_f32_e32 v41, v36, v41
	v_add_f32_e32 v36, v36, v39
	;; [unrolled: 1-line block ×3, first 2 shown]
	v_rcp_f32_e32 v44, v39
	v_add_f32_e32 v42, v40, v41
	v_sub_f32_e32 v40, v40, v42
	v_add_f32_e32 v40, v41, v40
	v_sub_f32_e32 v41, v43, v39
	v_add_f32_e32 v36, v36, v41
	v_mul_f32_e32 v41, v42, v44
	v_mul_f32_e32 v43, v39, v41
	v_fma_f32 v45, v41, v39, -v43
	v_fmac_f32_e32 v45, v41, v36
	v_add_f32_e32 v46, v43, v45
	v_sub_f32_e32 v47, v42, v46
	v_sub_f32_e32 v42, v42, v47
	;; [unrolled: 1-line block ×4, first 2 shown]
	v_add_f32_e32 v40, v40, v42
	v_sub_f32_e32 v42, v43, v45
	v_add_f32_e32 v40, v42, v40
	v_add_f32_e32 v42, v47, v40
	v_mul_f32_e32 v43, v44, v42
	v_mul_f32_e32 v45, v39, v43
	v_fma_f32 v39, v43, v39, -v45
	v_fmac_f32_e32 v39, v43, v36
	v_sub_f32_e32 v36, v47, v42
	v_add_f32_e32 v36, v40, v36
	v_add_f32_e32 v40, v45, v39
	v_sub_f32_e32 v46, v42, v40
	v_sub_f32_e32 v42, v42, v46
	;; [unrolled: 1-line block ×4, first 2 shown]
	v_add_f32_e32 v36, v36, v40
	v_sub_f32_e32 v39, v45, v39
	v_add_f32_e32 v36, v39, v36
	v_add_f32_e32 v39, v41, v43
	;; [unrolled: 1-line block ×3, first 2 shown]
	v_sub_f32_e32 v40, v39, v41
	v_mul_f32_e32 v36, v44, v36
	v_sub_f32_e32 v40, v43, v40
	v_add_f32_e32 v36, v40, v36
	v_cvt_f32_i32_e32 v35, v35
	v_add_f32_e32 v40, v39, v36
	v_mul_f32_e32 v41, v40, v40
	v_mov_b32_e32 v42, 0x3ecc95a3
	v_fmac_f32_e32 v42, 0x3e9b6dac, v41
	v_mov_b32_e32 v43, 0x3f2aaada
	v_fmac_f32_e32 v43, v41, v42
	v_mul_f32_e32 v42, 0x3f317218, v35
	v_fma_f32 v44, v35, s11, -v42
	v_fmac_f32_e32 v44, 0xb102e308, v35
	v_sub_f32_e32 v35, v40, v39
	v_sub_f32_e32 v35, v36, v35
	v_add_f32_e32 v36, v42, v44
	v_sub_f32_e32 v39, v36, v42
	v_ldexp_f32 v42, v40, 1
	v_mul_f32_e32 v40, v40, v41
	v_mul_f32_e32 v40, v40, v43
	v_add_f32_e32 v41, v42, v40
	v_sub_f32_e32 v42, v41, v42
	v_ldexp_f32 v35, v35, 1
	v_sub_f32_e32 v40, v40, v42
	v_add_f32_e32 v35, v35, v40
	v_add_f32_e32 v40, v41, v35
	v_sub_f32_e32 v41, v40, v41
	v_sub_f32_e32 v35, v35, v41
	v_add_f32_e32 v41, v36, v40
	v_sub_f32_e32 v42, v41, v36
	v_sub_f32_e32 v43, v41, v42
	;; [unrolled: 1-line block ×5, first 2 shown]
	v_add_f32_e32 v36, v40, v36
	v_add_f32_e32 v40, v39, v35
	v_sub_f32_e32 v42, v40, v39
	v_sub_f32_e32 v43, v40, v42
	;; [unrolled: 1-line block ×4, first 2 shown]
	v_add_f32_e32 v36, v40, v36
	v_add_f32_e32 v35, v35, v39
	;; [unrolled: 1-line block ×3, first 2 shown]
	v_sub_f32_e32 v40, v39, v41
	v_sub_f32_e32 v36, v36, v40
	v_add_f32_e32 v35, v35, v36
	v_add_f32_e32 v35, v39, v35
	v_cmp_neq_f32_e32 vcc, s10, v38
	s_mov_b32 s10, 0x33800000
	v_cndmask_b32_e32 v35, v37, v35, vcc
	v_cmp_lt_f32_e64 vcc, |v38|, s10
	v_cndmask_b32_e32 v35, v35, v38, vcc
	v_add_f32_e32 v34, v34, v35
	v_cvt_f16_f32_e32 v36, v34
.LBB391_108:
	s_or_b64 exec, exec, s[2:3]
	v_and_b32_e32 v35, 0xffff, v36
	v_mov_b32_e32 v34, v36
.LBB391_109:
	s_or_b64 exec, exec, s[8:9]
	v_mov_b32_dpp v36, v35 row_shr:4 row_mask:0xf bank_mask:0xf
	v_cmp_lt_u32_e32 vcc, 3, v33
	s_and_saveexec_b64 s[8:9], vcc
	s_cbranch_execz .LBB391_113
; %bb.110:
	v_cvt_f32_f16_e32 v37, v36
	v_cvt_f32_f16_e32 v38, v34
	v_cmp_u_f16_e32 vcc, v36, v36
	v_cmp_u_f16_e64 s[2:3], v34, v34
	v_min_f32_e32 v35, v37, v38
	v_max_f32_e32 v34, v37, v38
	v_cndmask_b32_e32 v35, v35, v37, vcc
	v_cndmask_b32_e32 v34, v34, v37, vcc
	v_cndmask_b32_e64 v35, v35, v38, s[2:3]
	v_cndmask_b32_e64 v34, v34, v38, s[2:3]
	s_movk_i32 s2, 0x1f8
	v_cmp_neq_f32_e32 vcc, v35, v34
	v_cmp_class_f32_e64 s[2:3], v35, s2
	s_or_b64 vcc, vcc, s[2:3]
	s_and_saveexec_b64 s[2:3], vcc
	s_cbranch_execz .LBB391_112
; %bb.111:
	v_sub_f32_e32 v35, v35, v34
	s_mov_b32 s10, 0x3fb8aa3b
	v_mul_f32_e32 v36, 0x3fb8aa3b, v35
	v_fma_f32 v37, v35, s10, -v36
	v_rndne_f32_e32 v38, v36
	v_fmac_f32_e32 v37, 0x32a5705f, v35
	v_sub_f32_e32 v36, v36, v38
	v_add_f32_e32 v36, v36, v37
	v_exp_f32_e32 v36, v36
	v_cvt_i32_f32_e32 v37, v38
	s_mov_b32 s10, 0xc2ce8ed0
	v_cmp_ngt_f32_e32 vcc, s10, v35
	s_mov_b32 s10, 0x42b17218
	v_ldexp_f32 v36, v36, v37
	v_cndmask_b32_e32 v36, 0, v36, vcc
	v_mov_b32_e32 v37, 0x7f800000
	v_cmp_nlt_f32_e32 vcc, s10, v35
	v_cndmask_b32_e32 v38, v37, v36, vcc
	v_add_f32_e32 v39, 1.0, v38
	v_cvt_f64_f32_e32 v[35:36], v39
	v_add_f32_e32 v40, -1.0, v39
	v_sub_f32_e32 v41, v40, v39
	v_sub_f32_e32 v40, v38, v40
	v_frexp_exp_i32_f64_e32 v35, v[35:36]
	v_add_f32_e32 v36, 1.0, v41
	v_add_f32_e32 v36, v40, v36
	v_frexp_mant_f32_e32 v40, v39
	s_mov_b32 s11, 0x3f2aaaab
	v_cmp_gt_f32_e32 vcc, s11, v40
	s_mov_b32 s11, 0x3f317218
	s_mov_b32 s10, 0x7f800000
	v_subbrev_co_u32_e32 v35, vcc, 0, v35, vcc
	v_sub_u32_e32 v40, 0, v35
	v_ldexp_f32 v39, v39, v40
	v_ldexp_f32 v36, v36, v40
	v_add_f32_e32 v40, -1.0, v39
	v_add_f32_e32 v43, 1.0, v39
	v_add_f32_e32 v41, 1.0, v40
	v_add_f32_e32 v44, -1.0, v43
	v_sub_f32_e32 v41, v39, v41
	v_sub_f32_e32 v39, v39, v44
	v_add_f32_e32 v41, v36, v41
	v_add_f32_e32 v36, v36, v39
	;; [unrolled: 1-line block ×3, first 2 shown]
	v_rcp_f32_e32 v44, v39
	v_add_f32_e32 v42, v40, v41
	v_sub_f32_e32 v40, v40, v42
	v_add_f32_e32 v40, v41, v40
	v_sub_f32_e32 v41, v43, v39
	v_add_f32_e32 v36, v36, v41
	v_mul_f32_e32 v41, v42, v44
	v_mul_f32_e32 v43, v39, v41
	v_fma_f32 v45, v41, v39, -v43
	v_fmac_f32_e32 v45, v41, v36
	v_add_f32_e32 v46, v43, v45
	v_sub_f32_e32 v47, v42, v46
	v_sub_f32_e32 v42, v42, v47
	;; [unrolled: 1-line block ×4, first 2 shown]
	v_add_f32_e32 v40, v40, v42
	v_sub_f32_e32 v42, v43, v45
	v_add_f32_e32 v40, v42, v40
	v_add_f32_e32 v42, v47, v40
	v_mul_f32_e32 v43, v44, v42
	v_mul_f32_e32 v45, v39, v43
	v_fma_f32 v39, v43, v39, -v45
	v_fmac_f32_e32 v39, v43, v36
	v_sub_f32_e32 v36, v47, v42
	v_add_f32_e32 v36, v40, v36
	v_add_f32_e32 v40, v45, v39
	v_sub_f32_e32 v46, v42, v40
	v_sub_f32_e32 v42, v42, v46
	v_sub_f32_e32 v45, v40, v45
	v_sub_f32_e32 v40, v42, v40
	v_add_f32_e32 v36, v36, v40
	v_sub_f32_e32 v39, v45, v39
	v_add_f32_e32 v36, v39, v36
	v_add_f32_e32 v39, v41, v43
	;; [unrolled: 1-line block ×3, first 2 shown]
	v_sub_f32_e32 v40, v39, v41
	v_mul_f32_e32 v36, v44, v36
	v_sub_f32_e32 v40, v43, v40
	v_add_f32_e32 v36, v40, v36
	v_cvt_f32_i32_e32 v35, v35
	v_add_f32_e32 v40, v39, v36
	v_mul_f32_e32 v41, v40, v40
	v_mov_b32_e32 v42, 0x3ecc95a3
	v_fmac_f32_e32 v42, 0x3e9b6dac, v41
	v_mov_b32_e32 v43, 0x3f2aaada
	v_fmac_f32_e32 v43, v41, v42
	v_mul_f32_e32 v42, 0x3f317218, v35
	v_fma_f32 v44, v35, s11, -v42
	v_fmac_f32_e32 v44, 0xb102e308, v35
	v_sub_f32_e32 v35, v40, v39
	v_sub_f32_e32 v35, v36, v35
	v_add_f32_e32 v36, v42, v44
	v_sub_f32_e32 v39, v36, v42
	v_ldexp_f32 v42, v40, 1
	v_mul_f32_e32 v40, v40, v41
	v_mul_f32_e32 v40, v40, v43
	v_add_f32_e32 v41, v42, v40
	v_sub_f32_e32 v42, v41, v42
	v_ldexp_f32 v35, v35, 1
	v_sub_f32_e32 v40, v40, v42
	v_add_f32_e32 v35, v35, v40
	v_add_f32_e32 v40, v41, v35
	v_sub_f32_e32 v41, v40, v41
	v_sub_f32_e32 v35, v35, v41
	v_add_f32_e32 v41, v36, v40
	v_sub_f32_e32 v42, v41, v36
	v_sub_f32_e32 v43, v41, v42
	;; [unrolled: 1-line block ×5, first 2 shown]
	v_add_f32_e32 v36, v40, v36
	v_add_f32_e32 v40, v39, v35
	v_sub_f32_e32 v42, v40, v39
	v_sub_f32_e32 v43, v40, v42
	;; [unrolled: 1-line block ×4, first 2 shown]
	v_add_f32_e32 v36, v40, v36
	v_add_f32_e32 v35, v35, v39
	;; [unrolled: 1-line block ×3, first 2 shown]
	v_sub_f32_e32 v40, v39, v41
	v_sub_f32_e32 v36, v36, v40
	v_add_f32_e32 v35, v35, v36
	v_add_f32_e32 v35, v39, v35
	v_cmp_neq_f32_e32 vcc, s10, v38
	s_mov_b32 s10, 0x33800000
	v_cndmask_b32_e32 v35, v37, v35, vcc
	v_cmp_lt_f32_e64 vcc, |v38|, s10
	v_cndmask_b32_e32 v35, v35, v38, vcc
	v_add_f32_e32 v34, v34, v35
	v_cvt_f16_f32_e32 v36, v34
.LBB391_112:
	s_or_b64 exec, exec, s[2:3]
	v_and_b32_e32 v35, 0xffff, v36
	v_mov_b32_e32 v34, v36
.LBB391_113:
	s_or_b64 exec, exec, s[8:9]
	v_mov_b32_dpp v36, v35 row_shr:8 row_mask:0xf bank_mask:0xf
	v_cmp_lt_u32_e32 vcc, 7, v33
	s_and_saveexec_b64 s[8:9], vcc
	s_cbranch_execz .LBB391_117
; %bb.114:
	v_cvt_f32_f16_e32 v33, v36
	v_cvt_f32_f16_e32 v35, v34
	v_cmp_u_f16_e32 vcc, v36, v36
	v_cmp_u_f16_e64 s[2:3], v34, v34
	v_min_f32_e32 v37, v33, v35
	v_cndmask_b32_e32 v37, v37, v33, vcc
	v_cndmask_b32_e64 v34, v37, v35, s[2:3]
	v_max_f32_e32 v37, v33, v35
	v_cndmask_b32_e32 v33, v37, v33, vcc
	v_cndmask_b32_e64 v33, v33, v35, s[2:3]
	s_movk_i32 s2, 0x1f8
	v_cmp_neq_f32_e32 vcc, v34, v33
	v_cmp_class_f32_e64 s[2:3], v34, s2
	s_or_b64 vcc, vcc, s[2:3]
	s_and_saveexec_b64 s[2:3], vcc
	s_cbranch_execz .LBB391_116
; %bb.115:
	v_sub_f32_e32 v34, v34, v33
	s_mov_b32 s10, 0x3fb8aa3b
	v_mul_f32_e32 v35, 0x3fb8aa3b, v34
	v_fma_f32 v36, v34, s10, -v35
	v_rndne_f32_e32 v37, v35
	v_fmac_f32_e32 v36, 0x32a5705f, v34
	v_sub_f32_e32 v35, v35, v37
	v_add_f32_e32 v35, v35, v36
	v_exp_f32_e32 v35, v35
	v_cvt_i32_f32_e32 v36, v37
	s_mov_b32 s10, 0xc2ce8ed0
	v_cmp_ngt_f32_e32 vcc, s10, v34
	s_mov_b32 s10, 0x42b17218
	v_ldexp_f32 v35, v35, v36
	v_cndmask_b32_e32 v35, 0, v35, vcc
	v_mov_b32_e32 v36, 0x7f800000
	v_cmp_nlt_f32_e32 vcc, s10, v34
	v_cndmask_b32_e32 v37, v36, v35, vcc
	v_add_f32_e32 v38, 1.0, v37
	v_cvt_f64_f32_e32 v[34:35], v38
	v_add_f32_e32 v39, -1.0, v38
	v_sub_f32_e32 v40, v39, v38
	v_sub_f32_e32 v39, v37, v39
	v_frexp_exp_i32_f64_e32 v34, v[34:35]
	v_add_f32_e32 v35, 1.0, v40
	v_add_f32_e32 v35, v39, v35
	v_frexp_mant_f32_e32 v39, v38
	s_mov_b32 s11, 0x3f2aaaab
	v_cmp_gt_f32_e32 vcc, s11, v39
	s_mov_b32 s11, 0x3f317218
	s_mov_b32 s10, 0x7f800000
	v_subbrev_co_u32_e32 v34, vcc, 0, v34, vcc
	v_sub_u32_e32 v39, 0, v34
	v_ldexp_f32 v38, v38, v39
	v_ldexp_f32 v35, v35, v39
	v_add_f32_e32 v39, -1.0, v38
	v_add_f32_e32 v42, 1.0, v38
	v_add_f32_e32 v40, 1.0, v39
	v_add_f32_e32 v43, -1.0, v42
	v_sub_f32_e32 v40, v38, v40
	v_sub_f32_e32 v38, v38, v43
	v_add_f32_e32 v40, v35, v40
	v_add_f32_e32 v35, v35, v38
	;; [unrolled: 1-line block ×3, first 2 shown]
	v_rcp_f32_e32 v43, v38
	v_add_f32_e32 v41, v39, v40
	v_sub_f32_e32 v39, v39, v41
	v_add_f32_e32 v39, v40, v39
	v_sub_f32_e32 v40, v42, v38
	v_add_f32_e32 v35, v35, v40
	v_mul_f32_e32 v40, v41, v43
	v_mul_f32_e32 v42, v38, v40
	v_fma_f32 v44, v40, v38, -v42
	v_fmac_f32_e32 v44, v40, v35
	v_add_f32_e32 v45, v42, v44
	v_sub_f32_e32 v46, v41, v45
	v_sub_f32_e32 v41, v41, v46
	;; [unrolled: 1-line block ×4, first 2 shown]
	v_add_f32_e32 v39, v39, v41
	v_sub_f32_e32 v41, v42, v44
	v_add_f32_e32 v39, v41, v39
	v_add_f32_e32 v41, v46, v39
	v_mul_f32_e32 v42, v43, v41
	v_mul_f32_e32 v44, v38, v42
	v_fma_f32 v38, v42, v38, -v44
	v_fmac_f32_e32 v38, v42, v35
	v_sub_f32_e32 v35, v46, v41
	v_add_f32_e32 v35, v39, v35
	v_add_f32_e32 v39, v44, v38
	v_sub_f32_e32 v45, v41, v39
	v_sub_f32_e32 v41, v41, v45
	;; [unrolled: 1-line block ×4, first 2 shown]
	v_add_f32_e32 v35, v35, v39
	v_sub_f32_e32 v38, v44, v38
	v_add_f32_e32 v35, v38, v35
	v_add_f32_e32 v38, v40, v42
	;; [unrolled: 1-line block ×3, first 2 shown]
	v_sub_f32_e32 v39, v38, v40
	v_mul_f32_e32 v35, v43, v35
	v_sub_f32_e32 v39, v42, v39
	v_add_f32_e32 v35, v39, v35
	v_cvt_f32_i32_e32 v34, v34
	v_add_f32_e32 v39, v38, v35
	v_mul_f32_e32 v40, v39, v39
	v_mov_b32_e32 v41, 0x3ecc95a3
	v_fmac_f32_e32 v41, 0x3e9b6dac, v40
	v_mov_b32_e32 v42, 0x3f2aaada
	v_fmac_f32_e32 v42, v40, v41
	v_mul_f32_e32 v41, 0x3f317218, v34
	v_fma_f32 v43, v34, s11, -v41
	v_fmac_f32_e32 v43, 0xb102e308, v34
	v_sub_f32_e32 v34, v39, v38
	v_sub_f32_e32 v34, v35, v34
	v_add_f32_e32 v35, v41, v43
	v_sub_f32_e32 v38, v35, v41
	v_ldexp_f32 v41, v39, 1
	v_mul_f32_e32 v39, v39, v40
	v_mul_f32_e32 v39, v39, v42
	v_add_f32_e32 v40, v41, v39
	v_sub_f32_e32 v41, v40, v41
	v_ldexp_f32 v34, v34, 1
	v_sub_f32_e32 v39, v39, v41
	v_add_f32_e32 v34, v34, v39
	v_add_f32_e32 v39, v40, v34
	v_sub_f32_e32 v40, v39, v40
	v_sub_f32_e32 v34, v34, v40
	v_add_f32_e32 v40, v35, v39
	v_sub_f32_e32 v41, v40, v35
	v_sub_f32_e32 v42, v40, v41
	;; [unrolled: 1-line block ×5, first 2 shown]
	v_add_f32_e32 v35, v39, v35
	v_add_f32_e32 v39, v38, v34
	v_sub_f32_e32 v41, v39, v38
	v_sub_f32_e32 v42, v39, v41
	;; [unrolled: 1-line block ×4, first 2 shown]
	v_add_f32_e32 v35, v39, v35
	v_add_f32_e32 v34, v34, v38
	;; [unrolled: 1-line block ×3, first 2 shown]
	v_sub_f32_e32 v39, v38, v40
	v_sub_f32_e32 v35, v35, v39
	v_add_f32_e32 v34, v34, v35
	v_add_f32_e32 v34, v38, v34
	v_cmp_neq_f32_e32 vcc, s10, v37
	s_mov_b32 s10, 0x33800000
	v_cndmask_b32_e32 v34, v36, v34, vcc
	v_cmp_lt_f32_e64 vcc, |v37|, s10
	v_cndmask_b32_e32 v34, v34, v37, vcc
	v_add_f32_e32 v33, v33, v34
	v_cvt_f16_f32_e32 v36, v33
.LBB391_116:
	s_or_b64 exec, exec, s[2:3]
	v_and_b32_e32 v35, 0xffff, v36
	v_mov_b32_e32 v34, v36
.LBB391_117:
	s_or_b64 exec, exec, s[8:9]
	v_and_b32_e32 v33, 16, v32
	v_mov_b32_dpp v36, v35 row_bcast:15 row_mask:0xf bank_mask:0xf
	v_cmp_ne_u32_e32 vcc, 0, v33
	s_and_saveexec_b64 s[8:9], vcc
	s_cbranch_execz .LBB391_121
; %bb.118:
	v_cvt_f32_f16_e32 v33, v36
	v_cvt_f32_f16_e32 v35, v34
	v_cmp_u_f16_e32 vcc, v36, v36
	v_cmp_u_f16_e64 s[2:3], v34, v34
	v_min_f32_e32 v37, v33, v35
	v_cndmask_b32_e32 v37, v37, v33, vcc
	v_cndmask_b32_e64 v34, v37, v35, s[2:3]
	v_max_f32_e32 v37, v33, v35
	v_cndmask_b32_e32 v33, v37, v33, vcc
	v_cndmask_b32_e64 v33, v33, v35, s[2:3]
	s_movk_i32 s2, 0x1f8
	v_cmp_neq_f32_e32 vcc, v34, v33
	v_cmp_class_f32_e64 s[2:3], v34, s2
	s_or_b64 vcc, vcc, s[2:3]
	s_and_saveexec_b64 s[2:3], vcc
	s_cbranch_execz .LBB391_120
; %bb.119:
	v_sub_f32_e32 v34, v34, v33
	s_mov_b32 s10, 0x3fb8aa3b
	v_mul_f32_e32 v35, 0x3fb8aa3b, v34
	v_fma_f32 v36, v34, s10, -v35
	v_rndne_f32_e32 v37, v35
	v_fmac_f32_e32 v36, 0x32a5705f, v34
	v_sub_f32_e32 v35, v35, v37
	v_add_f32_e32 v35, v35, v36
	v_exp_f32_e32 v35, v35
	v_cvt_i32_f32_e32 v36, v37
	s_mov_b32 s10, 0xc2ce8ed0
	v_cmp_ngt_f32_e32 vcc, s10, v34
	s_mov_b32 s10, 0x42b17218
	v_ldexp_f32 v35, v35, v36
	v_cndmask_b32_e32 v35, 0, v35, vcc
	v_mov_b32_e32 v36, 0x7f800000
	v_cmp_nlt_f32_e32 vcc, s10, v34
	v_cndmask_b32_e32 v37, v36, v35, vcc
	v_add_f32_e32 v38, 1.0, v37
	v_cvt_f64_f32_e32 v[34:35], v38
	v_add_f32_e32 v39, -1.0, v38
	v_sub_f32_e32 v40, v39, v38
	v_sub_f32_e32 v39, v37, v39
	v_frexp_exp_i32_f64_e32 v34, v[34:35]
	v_add_f32_e32 v35, 1.0, v40
	v_add_f32_e32 v35, v39, v35
	v_frexp_mant_f32_e32 v39, v38
	s_mov_b32 s11, 0x3f2aaaab
	v_cmp_gt_f32_e32 vcc, s11, v39
	s_mov_b32 s11, 0x3f317218
	s_mov_b32 s10, 0x7f800000
	v_subbrev_co_u32_e32 v34, vcc, 0, v34, vcc
	v_sub_u32_e32 v39, 0, v34
	v_ldexp_f32 v38, v38, v39
	v_ldexp_f32 v35, v35, v39
	v_add_f32_e32 v39, -1.0, v38
	v_add_f32_e32 v42, 1.0, v38
	v_add_f32_e32 v40, 1.0, v39
	v_add_f32_e32 v43, -1.0, v42
	v_sub_f32_e32 v40, v38, v40
	v_sub_f32_e32 v38, v38, v43
	v_add_f32_e32 v40, v35, v40
	v_add_f32_e32 v35, v35, v38
	;; [unrolled: 1-line block ×3, first 2 shown]
	v_rcp_f32_e32 v43, v38
	v_add_f32_e32 v41, v39, v40
	v_sub_f32_e32 v39, v39, v41
	v_add_f32_e32 v39, v40, v39
	v_sub_f32_e32 v40, v42, v38
	v_add_f32_e32 v35, v35, v40
	v_mul_f32_e32 v40, v41, v43
	v_mul_f32_e32 v42, v38, v40
	v_fma_f32 v44, v40, v38, -v42
	v_fmac_f32_e32 v44, v40, v35
	v_add_f32_e32 v45, v42, v44
	v_sub_f32_e32 v46, v41, v45
	v_sub_f32_e32 v41, v41, v46
	;; [unrolled: 1-line block ×4, first 2 shown]
	v_add_f32_e32 v39, v39, v41
	v_sub_f32_e32 v41, v42, v44
	v_add_f32_e32 v39, v41, v39
	v_add_f32_e32 v41, v46, v39
	v_mul_f32_e32 v42, v43, v41
	v_mul_f32_e32 v44, v38, v42
	v_fma_f32 v38, v42, v38, -v44
	v_fmac_f32_e32 v38, v42, v35
	v_sub_f32_e32 v35, v46, v41
	v_add_f32_e32 v35, v39, v35
	v_add_f32_e32 v39, v44, v38
	v_sub_f32_e32 v45, v41, v39
	v_sub_f32_e32 v41, v41, v45
	;; [unrolled: 1-line block ×4, first 2 shown]
	v_add_f32_e32 v35, v35, v39
	v_sub_f32_e32 v38, v44, v38
	v_add_f32_e32 v35, v38, v35
	v_add_f32_e32 v38, v40, v42
	v_add_f32_e32 v35, v45, v35
	v_sub_f32_e32 v39, v38, v40
	v_mul_f32_e32 v35, v43, v35
	v_sub_f32_e32 v39, v42, v39
	v_add_f32_e32 v35, v39, v35
	v_cvt_f32_i32_e32 v34, v34
	v_add_f32_e32 v39, v38, v35
	v_mul_f32_e32 v40, v39, v39
	v_mov_b32_e32 v41, 0x3ecc95a3
	v_fmac_f32_e32 v41, 0x3e9b6dac, v40
	v_mov_b32_e32 v42, 0x3f2aaada
	v_fmac_f32_e32 v42, v40, v41
	v_mul_f32_e32 v41, 0x3f317218, v34
	v_fma_f32 v43, v34, s11, -v41
	v_fmac_f32_e32 v43, 0xb102e308, v34
	v_sub_f32_e32 v34, v39, v38
	v_sub_f32_e32 v34, v35, v34
	v_add_f32_e32 v35, v41, v43
	v_sub_f32_e32 v38, v35, v41
	v_ldexp_f32 v41, v39, 1
	v_mul_f32_e32 v39, v39, v40
	v_mul_f32_e32 v39, v39, v42
	v_add_f32_e32 v40, v41, v39
	v_sub_f32_e32 v41, v40, v41
	v_ldexp_f32 v34, v34, 1
	v_sub_f32_e32 v39, v39, v41
	v_add_f32_e32 v34, v34, v39
	v_add_f32_e32 v39, v40, v34
	v_sub_f32_e32 v40, v39, v40
	v_sub_f32_e32 v34, v34, v40
	v_add_f32_e32 v40, v35, v39
	v_sub_f32_e32 v41, v40, v35
	v_sub_f32_e32 v42, v40, v41
	;; [unrolled: 1-line block ×5, first 2 shown]
	v_add_f32_e32 v35, v39, v35
	v_add_f32_e32 v39, v38, v34
	v_sub_f32_e32 v41, v39, v38
	v_sub_f32_e32 v42, v39, v41
	;; [unrolled: 1-line block ×4, first 2 shown]
	v_add_f32_e32 v35, v39, v35
	v_add_f32_e32 v34, v34, v38
	;; [unrolled: 1-line block ×3, first 2 shown]
	v_sub_f32_e32 v39, v38, v40
	v_sub_f32_e32 v35, v35, v39
	v_add_f32_e32 v34, v34, v35
	v_add_f32_e32 v34, v38, v34
	v_cmp_neq_f32_e32 vcc, s10, v37
	s_mov_b32 s10, 0x33800000
	v_cndmask_b32_e32 v34, v36, v34, vcc
	v_cmp_lt_f32_e64 vcc, |v37|, s10
	v_cndmask_b32_e32 v34, v34, v37, vcc
	v_add_f32_e32 v33, v33, v34
	v_cvt_f16_f32_e32 v36, v33
.LBB391_120:
	s_or_b64 exec, exec, s[2:3]
	v_and_b32_e32 v35, 0xffff, v36
	v_mov_b32_e32 v34, v36
.LBB391_121:
	s_or_b64 exec, exec, s[8:9]
	v_mov_b32_dpp v35, v35 row_bcast:31 row_mask:0xf bank_mask:0xf
	v_cmp_lt_u32_e32 vcc, 31, v32
	s_and_saveexec_b64 s[8:9], vcc
	s_cbranch_execz .LBB391_125
; %bb.122:
	v_cvt_f32_f16_e32 v33, v35
	v_cvt_f32_f16_e32 v36, v34
	v_cmp_u_f16_e32 vcc, v35, v35
	v_cmp_u_f16_e64 s[2:3], v34, v34
	v_min_f32_e32 v37, v33, v36
	v_cndmask_b32_e32 v37, v37, v33, vcc
	v_cndmask_b32_e64 v34, v37, v36, s[2:3]
	v_max_f32_e32 v37, v33, v36
	v_cndmask_b32_e32 v33, v37, v33, vcc
	v_cndmask_b32_e64 v33, v33, v36, s[2:3]
	s_movk_i32 s2, 0x1f8
	v_cmp_neq_f32_e32 vcc, v34, v33
	v_cmp_class_f32_e64 s[2:3], v34, s2
	s_or_b64 vcc, vcc, s[2:3]
	s_and_saveexec_b64 s[2:3], vcc
	s_cbranch_execz .LBB391_124
; %bb.123:
	v_sub_f32_e32 v34, v34, v33
	s_mov_b32 s10, 0x3fb8aa3b
	v_mul_f32_e32 v35, 0x3fb8aa3b, v34
	v_fma_f32 v36, v34, s10, -v35
	v_rndne_f32_e32 v37, v35
	v_fmac_f32_e32 v36, 0x32a5705f, v34
	v_sub_f32_e32 v35, v35, v37
	v_add_f32_e32 v35, v35, v36
	v_exp_f32_e32 v35, v35
	v_cvt_i32_f32_e32 v36, v37
	s_mov_b32 s10, 0xc2ce8ed0
	v_cmp_ngt_f32_e32 vcc, s10, v34
	s_mov_b32 s10, 0x42b17218
	v_ldexp_f32 v35, v35, v36
	v_cndmask_b32_e32 v35, 0, v35, vcc
	v_mov_b32_e32 v36, 0x7f800000
	v_cmp_nlt_f32_e32 vcc, s10, v34
	v_cndmask_b32_e32 v37, v36, v35, vcc
	v_add_f32_e32 v38, 1.0, v37
	v_cvt_f64_f32_e32 v[34:35], v38
	v_add_f32_e32 v39, -1.0, v38
	v_sub_f32_e32 v40, v39, v38
	v_sub_f32_e32 v39, v37, v39
	v_frexp_exp_i32_f64_e32 v34, v[34:35]
	v_add_f32_e32 v35, 1.0, v40
	v_add_f32_e32 v35, v39, v35
	v_frexp_mant_f32_e32 v39, v38
	s_mov_b32 s11, 0x3f2aaaab
	v_cmp_gt_f32_e32 vcc, s11, v39
	s_mov_b32 s11, 0x3f317218
	s_mov_b32 s10, 0x7f800000
	v_subbrev_co_u32_e32 v34, vcc, 0, v34, vcc
	v_sub_u32_e32 v39, 0, v34
	v_ldexp_f32 v38, v38, v39
	v_ldexp_f32 v35, v35, v39
	v_add_f32_e32 v39, -1.0, v38
	v_add_f32_e32 v42, 1.0, v38
	v_add_f32_e32 v40, 1.0, v39
	v_add_f32_e32 v43, -1.0, v42
	v_sub_f32_e32 v40, v38, v40
	v_sub_f32_e32 v38, v38, v43
	v_add_f32_e32 v40, v35, v40
	v_add_f32_e32 v35, v35, v38
	;; [unrolled: 1-line block ×3, first 2 shown]
	v_rcp_f32_e32 v43, v38
	v_add_f32_e32 v41, v39, v40
	v_sub_f32_e32 v39, v39, v41
	v_add_f32_e32 v39, v40, v39
	v_sub_f32_e32 v40, v42, v38
	v_add_f32_e32 v35, v35, v40
	v_mul_f32_e32 v40, v41, v43
	v_mul_f32_e32 v42, v38, v40
	v_fma_f32 v44, v40, v38, -v42
	v_fmac_f32_e32 v44, v40, v35
	v_add_f32_e32 v45, v42, v44
	v_sub_f32_e32 v46, v41, v45
	v_sub_f32_e32 v41, v41, v46
	;; [unrolled: 1-line block ×4, first 2 shown]
	v_add_f32_e32 v39, v39, v41
	v_sub_f32_e32 v41, v42, v44
	v_add_f32_e32 v39, v41, v39
	v_add_f32_e32 v41, v46, v39
	v_mul_f32_e32 v42, v43, v41
	v_mul_f32_e32 v44, v38, v42
	v_fma_f32 v38, v42, v38, -v44
	v_fmac_f32_e32 v38, v42, v35
	v_sub_f32_e32 v35, v46, v41
	v_add_f32_e32 v35, v39, v35
	v_add_f32_e32 v39, v44, v38
	v_sub_f32_e32 v45, v41, v39
	v_sub_f32_e32 v41, v41, v45
	;; [unrolled: 1-line block ×4, first 2 shown]
	v_add_f32_e32 v35, v35, v39
	v_sub_f32_e32 v38, v44, v38
	v_add_f32_e32 v35, v38, v35
	v_add_f32_e32 v38, v40, v42
	;; [unrolled: 1-line block ×3, first 2 shown]
	v_sub_f32_e32 v39, v38, v40
	v_mul_f32_e32 v35, v43, v35
	v_sub_f32_e32 v39, v42, v39
	v_add_f32_e32 v35, v39, v35
	v_cvt_f32_i32_e32 v34, v34
	v_add_f32_e32 v39, v38, v35
	v_mul_f32_e32 v40, v39, v39
	v_mov_b32_e32 v41, 0x3ecc95a3
	v_fmac_f32_e32 v41, 0x3e9b6dac, v40
	v_mov_b32_e32 v42, 0x3f2aaada
	v_fmac_f32_e32 v42, v40, v41
	v_mul_f32_e32 v41, 0x3f317218, v34
	v_fma_f32 v43, v34, s11, -v41
	v_fmac_f32_e32 v43, 0xb102e308, v34
	v_sub_f32_e32 v34, v39, v38
	v_sub_f32_e32 v34, v35, v34
	v_add_f32_e32 v35, v41, v43
	v_sub_f32_e32 v38, v35, v41
	v_ldexp_f32 v41, v39, 1
	v_mul_f32_e32 v39, v39, v40
	v_mul_f32_e32 v39, v39, v42
	v_add_f32_e32 v40, v41, v39
	v_sub_f32_e32 v41, v40, v41
	v_ldexp_f32 v34, v34, 1
	v_sub_f32_e32 v39, v39, v41
	v_add_f32_e32 v34, v34, v39
	v_add_f32_e32 v39, v40, v34
	v_sub_f32_e32 v40, v39, v40
	v_sub_f32_e32 v34, v34, v40
	v_add_f32_e32 v40, v35, v39
	v_sub_f32_e32 v41, v40, v35
	v_sub_f32_e32 v42, v40, v41
	;; [unrolled: 1-line block ×5, first 2 shown]
	v_add_f32_e32 v35, v39, v35
	v_add_f32_e32 v39, v38, v34
	v_sub_f32_e32 v41, v39, v38
	v_sub_f32_e32 v42, v39, v41
	;; [unrolled: 1-line block ×4, first 2 shown]
	v_add_f32_e32 v35, v39, v35
	v_add_f32_e32 v34, v34, v38
	v_add_f32_e32 v38, v40, v35
	v_sub_f32_e32 v39, v38, v40
	v_sub_f32_e32 v35, v35, v39
	v_add_f32_e32 v34, v34, v35
	v_add_f32_e32 v34, v38, v34
	v_cmp_neq_f32_e32 vcc, s10, v37
	s_mov_b32 s10, 0x33800000
	v_cndmask_b32_e32 v34, v36, v34, vcc
	v_cmp_lt_f32_e64 vcc, |v37|, s10
	v_cndmask_b32_e32 v34, v34, v37, vcc
	v_add_f32_e32 v33, v33, v34
	v_cvt_f16_f32_e32 v35, v33
.LBB391_124:
	s_or_b64 exec, exec, s[2:3]
	v_mov_b32_e32 v34, v35
.LBB391_125:
	s_or_b64 exec, exec, s[8:9]
	v_add_u32_e32 v33, -1, v32
	v_and_b32_e32 v35, 64, v32
	v_cmp_lt_i32_e32 vcc, v33, v35
	v_cndmask_b32_e32 v32, v33, v32, vcc
	v_lshlrev_b32_e32 v32, 2, v32
	v_and_b32_e32 v33, 0xffff, v34
	ds_bpermute_b32 v32, v32, v33
	v_max_f32_e32 v34, v31, v31
	s_waitcnt lgkmcnt(0)
	v_cvt_f32_f16_e32 v33, v32
	v_cmp_u_f16_e32 vcc, v32, v32
	v_min_f32_e32 v35, v33, v34
	v_max_f32_e32 v34, v33, v34
	v_cndmask_b32_e32 v35, v35, v33, vcc
	v_cndmask_b32_e32 v34, v34, v33, vcc
	v_cndmask_b32_e64 v33, v35, v31, s[4:5]
	v_cndmask_b32_e64 v31, v34, v31, s[4:5]
	s_movk_i32 s4, 0x1f8
	v_cmp_neq_f32_e32 vcc, v33, v31
	v_cmp_class_f32_e64 s[2:3], v33, s4
	s_or_b64 s[8:9], vcc, s[2:3]
	s_and_saveexec_b64 s[2:3], s[8:9]
	s_cbranch_execz .LBB391_127
; %bb.126:
	v_sub_f32_e32 v32, v33, v31
	s_mov_b32 s5, 0x3fb8aa3b
	v_mul_f32_e32 v33, 0x3fb8aa3b, v32
	v_fma_f32 v34, v32, s5, -v33
	v_rndne_f32_e32 v35, v33
	v_fmac_f32_e32 v34, 0x32a5705f, v32
	v_sub_f32_e32 v33, v33, v35
	v_add_f32_e32 v33, v33, v34
	v_exp_f32_e32 v33, v33
	v_cvt_i32_f32_e32 v34, v35
	s_mov_b32 s5, 0xc2ce8ed0
	v_cmp_ngt_f32_e32 vcc, s5, v32
	s_mov_b32 s5, 0x42b17218
	v_ldexp_f32 v33, v33, v34
	v_cndmask_b32_e32 v33, 0, v33, vcc
	v_mov_b32_e32 v34, 0x7f800000
	v_cmp_nlt_f32_e32 vcc, s5, v32
	v_cndmask_b32_e32 v35, v34, v33, vcc
	v_add_f32_e32 v36, 1.0, v35
	v_cvt_f64_f32_e32 v[32:33], v36
	v_add_f32_e32 v37, -1.0, v36
	v_sub_f32_e32 v38, v37, v36
	v_sub_f32_e32 v37, v35, v37
	v_frexp_exp_i32_f64_e32 v32, v[32:33]
	v_add_f32_e32 v33, 1.0, v38
	v_add_f32_e32 v33, v37, v33
	v_frexp_mant_f32_e32 v37, v36
	s_mov_b32 s8, 0x3f2aaaab
	v_cmp_gt_f32_e32 vcc, s8, v37
	s_mov_b32 s8, 0x3f317218
	s_mov_b32 s5, 0x7f800000
	v_subbrev_co_u32_e32 v32, vcc, 0, v32, vcc
	v_sub_u32_e32 v37, 0, v32
	v_ldexp_f32 v36, v36, v37
	v_ldexp_f32 v33, v33, v37
	v_add_f32_e32 v37, -1.0, v36
	v_add_f32_e32 v40, 1.0, v36
	v_add_f32_e32 v38, 1.0, v37
	v_add_f32_e32 v41, -1.0, v40
	v_sub_f32_e32 v38, v36, v38
	v_sub_f32_e32 v36, v36, v41
	v_add_f32_e32 v38, v33, v38
	v_add_f32_e32 v33, v33, v36
	;; [unrolled: 1-line block ×3, first 2 shown]
	v_rcp_f32_e32 v41, v36
	v_add_f32_e32 v39, v37, v38
	v_sub_f32_e32 v37, v37, v39
	v_add_f32_e32 v37, v38, v37
	v_sub_f32_e32 v38, v40, v36
	v_add_f32_e32 v33, v33, v38
	v_mul_f32_e32 v38, v39, v41
	v_mul_f32_e32 v40, v36, v38
	v_fma_f32 v42, v38, v36, -v40
	v_fmac_f32_e32 v42, v38, v33
	v_add_f32_e32 v43, v40, v42
	v_sub_f32_e32 v44, v39, v43
	v_sub_f32_e32 v39, v39, v44
	;; [unrolled: 1-line block ×4, first 2 shown]
	v_add_f32_e32 v37, v37, v39
	v_sub_f32_e32 v39, v40, v42
	v_add_f32_e32 v37, v39, v37
	v_add_f32_e32 v39, v44, v37
	v_mul_f32_e32 v40, v41, v39
	v_mul_f32_e32 v42, v36, v40
	v_fma_f32 v36, v40, v36, -v42
	v_fmac_f32_e32 v36, v40, v33
	v_sub_f32_e32 v33, v44, v39
	v_add_f32_e32 v33, v37, v33
	v_add_f32_e32 v37, v42, v36
	v_sub_f32_e32 v43, v39, v37
	v_sub_f32_e32 v39, v39, v43
	;; [unrolled: 1-line block ×4, first 2 shown]
	v_add_f32_e32 v33, v33, v37
	v_sub_f32_e32 v36, v42, v36
	v_add_f32_e32 v33, v36, v33
	v_add_f32_e32 v36, v38, v40
	;; [unrolled: 1-line block ×3, first 2 shown]
	v_sub_f32_e32 v37, v36, v38
	v_mul_f32_e32 v33, v41, v33
	v_sub_f32_e32 v37, v40, v37
	v_add_f32_e32 v33, v37, v33
	v_cvt_f32_i32_e32 v32, v32
	v_add_f32_e32 v37, v36, v33
	v_mul_f32_e32 v38, v37, v37
	v_mov_b32_e32 v39, 0x3ecc95a3
	v_fmac_f32_e32 v39, 0x3e9b6dac, v38
	v_mov_b32_e32 v40, 0x3f2aaada
	v_fmac_f32_e32 v40, v38, v39
	v_mul_f32_e32 v39, 0x3f317218, v32
	v_fma_f32 v41, v32, s8, -v39
	v_fmac_f32_e32 v41, 0xb102e308, v32
	v_sub_f32_e32 v32, v37, v36
	v_sub_f32_e32 v32, v33, v32
	v_add_f32_e32 v33, v39, v41
	v_sub_f32_e32 v36, v33, v39
	v_ldexp_f32 v39, v37, 1
	v_mul_f32_e32 v37, v37, v38
	v_mul_f32_e32 v37, v37, v40
	v_add_f32_e32 v38, v39, v37
	v_sub_f32_e32 v39, v38, v39
	v_ldexp_f32 v32, v32, 1
	v_sub_f32_e32 v37, v37, v39
	v_add_f32_e32 v32, v32, v37
	v_add_f32_e32 v37, v38, v32
	v_sub_f32_e32 v38, v37, v38
	v_sub_f32_e32 v32, v32, v38
	v_add_f32_e32 v38, v33, v37
	v_sub_f32_e32 v39, v38, v33
	v_sub_f32_e32 v40, v38, v39
	;; [unrolled: 1-line block ×5, first 2 shown]
	v_add_f32_e32 v33, v37, v33
	v_add_f32_e32 v37, v36, v32
	v_sub_f32_e32 v39, v37, v36
	v_sub_f32_e32 v40, v37, v39
	;; [unrolled: 1-line block ×4, first 2 shown]
	v_add_f32_e32 v33, v37, v33
	v_add_f32_e32 v32, v32, v36
	;; [unrolled: 1-line block ×3, first 2 shown]
	v_sub_f32_e32 v37, v36, v38
	v_sub_f32_e32 v33, v33, v37
	v_add_f32_e32 v32, v32, v33
	v_add_f32_e32 v32, v36, v32
	v_cmp_neq_f32_e32 vcc, s5, v35
	s_mov_b32 s5, 0x33800000
	v_cndmask_b32_e32 v32, v34, v32, vcc
	v_cmp_lt_f32_e64 vcc, |v35|, s5
	v_cndmask_b32_e32 v32, v32, v35, vcc
	v_add_f32_e32 v31, v31, v32
	v_cvt_f16_f32_e32 v32, v31
.LBB391_127:
	s_or_b64 exec, exec, s[2:3]
	v_cmp_eq_u32_e32 vcc, 0, v0
	v_cndmask_b32_e32 v31, v32, v30, vcc
	; wave barrier
	ds_write_b16 v8, v31
	; wave barrier
	ds_read_u16 v30, v8 offset:2
	v_cvt_f32_f16_e32 v32, v31
	v_cmp_u_f16_e32 vcc, v31, v31
	s_waitcnt lgkmcnt(0)
	v_cvt_f32_f16_e32 v34, v30
	v_cmp_u_f16_e64 s[2:3], v30, v30
	v_min_f32_e32 v33, v32, v34
	v_max_f32_e32 v30, v32, v34
	v_cndmask_b32_e32 v33, v33, v32, vcc
	v_cndmask_b32_e32 v30, v30, v32, vcc
	v_cndmask_b32_e64 v33, v33, v34, s[2:3]
	v_cndmask_b32_e64 v30, v30, v34, s[2:3]
	v_cmp_neq_f32_e32 vcc, v33, v30
	v_cmp_class_f32_e64 s[2:3], v33, s4
	s_or_b64 s[4:5], vcc, s[2:3]
	s_and_saveexec_b64 s[2:3], s[4:5]
	s_cbranch_execz .LBB391_129
; %bb.128:
	v_sub_f32_e32 v31, v33, v30
	s_mov_b32 s4, 0x3fb8aa3b
	v_mul_f32_e32 v32, 0x3fb8aa3b, v31
	v_fma_f32 v33, v31, s4, -v32
	v_rndne_f32_e32 v34, v32
	v_fmac_f32_e32 v33, 0x32a5705f, v31
	v_sub_f32_e32 v32, v32, v34
	v_add_f32_e32 v32, v32, v33
	v_exp_f32_e32 v32, v32
	v_cvt_i32_f32_e32 v33, v34
	s_mov_b32 s4, 0xc2ce8ed0
	v_cmp_ngt_f32_e32 vcc, s4, v31
	s_mov_b32 s4, 0x42b17218
	v_ldexp_f32 v32, v32, v33
	v_cndmask_b32_e32 v32, 0, v32, vcc
	v_mov_b32_e32 v33, 0x7f800000
	v_cmp_nlt_f32_e32 vcc, s4, v31
	v_cndmask_b32_e32 v34, v33, v32, vcc
	v_add_f32_e32 v35, 1.0, v34
	v_cvt_f64_f32_e32 v[31:32], v35
	v_add_f32_e32 v36, -1.0, v35
	v_sub_f32_e32 v37, v36, v35
	v_sub_f32_e32 v36, v34, v36
	v_frexp_exp_i32_f64_e32 v31, v[31:32]
	v_add_f32_e32 v32, 1.0, v37
	v_add_f32_e32 v32, v36, v32
	v_frexp_mant_f32_e32 v36, v35
	s_mov_b32 s5, 0x3f2aaaab
	v_cmp_gt_f32_e32 vcc, s5, v36
	s_mov_b32 s5, 0x3f317218
	s_mov_b32 s4, 0x7f800000
	v_subbrev_co_u32_e32 v31, vcc, 0, v31, vcc
	v_sub_u32_e32 v36, 0, v31
	v_ldexp_f32 v35, v35, v36
	v_ldexp_f32 v32, v32, v36
	v_add_f32_e32 v36, -1.0, v35
	v_add_f32_e32 v39, 1.0, v35
	v_add_f32_e32 v37, 1.0, v36
	v_add_f32_e32 v40, -1.0, v39
	v_sub_f32_e32 v37, v35, v37
	v_sub_f32_e32 v35, v35, v40
	v_add_f32_e32 v37, v32, v37
	v_add_f32_e32 v32, v32, v35
	;; [unrolled: 1-line block ×3, first 2 shown]
	v_rcp_f32_e32 v40, v35
	v_add_f32_e32 v38, v36, v37
	v_sub_f32_e32 v36, v36, v38
	v_add_f32_e32 v36, v37, v36
	v_sub_f32_e32 v37, v39, v35
	v_add_f32_e32 v32, v32, v37
	v_mul_f32_e32 v37, v38, v40
	v_mul_f32_e32 v39, v35, v37
	v_fma_f32 v41, v37, v35, -v39
	v_fmac_f32_e32 v41, v37, v32
	v_add_f32_e32 v42, v39, v41
	v_sub_f32_e32 v43, v38, v42
	v_sub_f32_e32 v38, v38, v43
	;; [unrolled: 1-line block ×4, first 2 shown]
	v_add_f32_e32 v36, v36, v38
	v_sub_f32_e32 v38, v39, v41
	v_add_f32_e32 v36, v38, v36
	v_add_f32_e32 v38, v43, v36
	v_mul_f32_e32 v39, v40, v38
	v_mul_f32_e32 v41, v35, v39
	v_fma_f32 v35, v39, v35, -v41
	v_fmac_f32_e32 v35, v39, v32
	v_sub_f32_e32 v32, v43, v38
	v_add_f32_e32 v32, v36, v32
	v_add_f32_e32 v36, v41, v35
	v_sub_f32_e32 v42, v38, v36
	v_sub_f32_e32 v38, v38, v42
	;; [unrolled: 1-line block ×4, first 2 shown]
	v_add_f32_e32 v32, v32, v36
	v_sub_f32_e32 v35, v41, v35
	v_add_f32_e32 v32, v35, v32
	v_add_f32_e32 v35, v37, v39
	;; [unrolled: 1-line block ×3, first 2 shown]
	v_sub_f32_e32 v36, v35, v37
	v_mul_f32_e32 v32, v40, v32
	v_sub_f32_e32 v36, v39, v36
	v_add_f32_e32 v32, v36, v32
	v_cvt_f32_i32_e32 v31, v31
	v_add_f32_e32 v36, v35, v32
	v_mul_f32_e32 v37, v36, v36
	v_mov_b32_e32 v38, 0x3ecc95a3
	v_fmac_f32_e32 v38, 0x3e9b6dac, v37
	v_mov_b32_e32 v39, 0x3f2aaada
	v_fmac_f32_e32 v39, v37, v38
	v_mul_f32_e32 v38, 0x3f317218, v31
	v_fma_f32 v40, v31, s5, -v38
	v_fmac_f32_e32 v40, 0xb102e308, v31
	v_sub_f32_e32 v31, v36, v35
	v_sub_f32_e32 v31, v32, v31
	v_add_f32_e32 v32, v38, v40
	v_sub_f32_e32 v35, v32, v38
	v_ldexp_f32 v38, v36, 1
	v_mul_f32_e32 v36, v36, v37
	v_mul_f32_e32 v36, v36, v39
	v_add_f32_e32 v37, v38, v36
	v_sub_f32_e32 v38, v37, v38
	v_ldexp_f32 v31, v31, 1
	v_sub_f32_e32 v36, v36, v38
	v_add_f32_e32 v31, v31, v36
	v_add_f32_e32 v36, v37, v31
	v_sub_f32_e32 v37, v36, v37
	v_sub_f32_e32 v31, v31, v37
	v_add_f32_e32 v37, v32, v36
	v_sub_f32_e32 v38, v37, v32
	v_sub_f32_e32 v39, v37, v38
	v_sub_f32_e32 v35, v40, v35
	v_sub_f32_e32 v32, v32, v39
	v_sub_f32_e32 v36, v36, v38
	v_add_f32_e32 v32, v36, v32
	v_add_f32_e32 v36, v35, v31
	v_sub_f32_e32 v38, v36, v35
	v_sub_f32_e32 v39, v36, v38
	;; [unrolled: 1-line block ×4, first 2 shown]
	v_add_f32_e32 v32, v36, v32
	v_add_f32_e32 v31, v31, v35
	;; [unrolled: 1-line block ×3, first 2 shown]
	v_sub_f32_e32 v36, v35, v37
	v_sub_f32_e32 v32, v32, v36
	v_add_f32_e32 v31, v31, v32
	v_add_f32_e32 v31, v35, v31
	v_cmp_neq_f32_e32 vcc, s4, v34
	s_mov_b32 s4, 0x33800000
	v_cndmask_b32_e32 v31, v33, v31, vcc
	v_cmp_lt_f32_e64 vcc, |v34|, s4
	v_cndmask_b32_e32 v31, v31, v34, vcc
	v_add_f32_e32 v30, v30, v31
	v_cvt_f16_f32_e32 v31, v30
	v_cvt_f32_f16_e32 v32, v31
.LBB391_129:
	s_or_b64 exec, exec, s[2:3]
	ds_read_u16 v30, v8 offset:4
	v_max_f32_e32 v33, v32, v32
	v_cmp_u_f16_e32 vcc, v31, v31
	s_movk_i32 s4, 0x1f8
	ds_write_b16 v8, v31 offset:2
	s_waitcnt lgkmcnt(1)
	v_cvt_f32_f16_e32 v34, v30
	v_min_f32_e32 v35, v33, v34
	v_max_f32_e32 v33, v33, v34
	v_cndmask_b32_e32 v35, v35, v32, vcc
	v_cndmask_b32_e32 v36, v33, v32, vcc
	v_cmp_u_f16_e32 vcc, v30, v30
	v_cndmask_b32_e32 v33, v35, v34, vcc
	v_cndmask_b32_e32 v30, v36, v34, vcc
	v_cmp_neq_f32_e32 vcc, v33, v30
	v_cmp_class_f32_e64 s[2:3], v33, s4
	s_or_b64 s[8:9], vcc, s[2:3]
	s_and_saveexec_b64 s[2:3], s[8:9]
	s_cbranch_execz .LBB391_131
; %bb.130:
	v_sub_f32_e32 v31, v33, v30
	s_mov_b32 s5, 0x3fb8aa3b
	v_mul_f32_e32 v32, 0x3fb8aa3b, v31
	v_fma_f32 v33, v31, s5, -v32
	v_rndne_f32_e32 v34, v32
	v_fmac_f32_e32 v33, 0x32a5705f, v31
	v_sub_f32_e32 v32, v32, v34
	v_add_f32_e32 v32, v32, v33
	v_exp_f32_e32 v32, v32
	v_cvt_i32_f32_e32 v33, v34
	s_mov_b32 s5, 0xc2ce8ed0
	v_cmp_ngt_f32_e32 vcc, s5, v31
	s_mov_b32 s5, 0x42b17218
	v_ldexp_f32 v32, v32, v33
	v_cndmask_b32_e32 v32, 0, v32, vcc
	v_mov_b32_e32 v33, 0x7f800000
	v_cmp_nlt_f32_e32 vcc, s5, v31
	v_cndmask_b32_e32 v34, v33, v32, vcc
	v_add_f32_e32 v35, 1.0, v34
	v_cvt_f64_f32_e32 v[31:32], v35
	v_add_f32_e32 v36, -1.0, v35
	v_sub_f32_e32 v37, v36, v35
	v_sub_f32_e32 v36, v34, v36
	v_frexp_exp_i32_f64_e32 v31, v[31:32]
	v_add_f32_e32 v32, 1.0, v37
	v_add_f32_e32 v32, v36, v32
	v_frexp_mant_f32_e32 v36, v35
	s_mov_b32 s8, 0x3f2aaaab
	v_cmp_gt_f32_e32 vcc, s8, v36
	s_mov_b32 s8, 0x3f317218
	s_mov_b32 s5, 0x7f800000
	v_subbrev_co_u32_e32 v31, vcc, 0, v31, vcc
	v_sub_u32_e32 v36, 0, v31
	v_ldexp_f32 v35, v35, v36
	v_ldexp_f32 v32, v32, v36
	v_add_f32_e32 v36, -1.0, v35
	v_add_f32_e32 v39, 1.0, v35
	v_add_f32_e32 v37, 1.0, v36
	v_add_f32_e32 v40, -1.0, v39
	v_sub_f32_e32 v37, v35, v37
	v_sub_f32_e32 v35, v35, v40
	v_add_f32_e32 v37, v32, v37
	v_add_f32_e32 v32, v32, v35
	;; [unrolled: 1-line block ×3, first 2 shown]
	v_rcp_f32_e32 v40, v35
	v_add_f32_e32 v38, v36, v37
	v_sub_f32_e32 v36, v36, v38
	v_add_f32_e32 v36, v37, v36
	v_sub_f32_e32 v37, v39, v35
	v_add_f32_e32 v32, v32, v37
	v_mul_f32_e32 v37, v38, v40
	v_mul_f32_e32 v39, v35, v37
	v_fma_f32 v41, v37, v35, -v39
	v_fmac_f32_e32 v41, v37, v32
	v_add_f32_e32 v42, v39, v41
	v_sub_f32_e32 v43, v38, v42
	v_sub_f32_e32 v38, v38, v43
	;; [unrolled: 1-line block ×4, first 2 shown]
	v_add_f32_e32 v36, v36, v38
	v_sub_f32_e32 v38, v39, v41
	v_add_f32_e32 v36, v38, v36
	v_add_f32_e32 v38, v43, v36
	v_mul_f32_e32 v39, v40, v38
	v_mul_f32_e32 v41, v35, v39
	v_fma_f32 v35, v39, v35, -v41
	v_fmac_f32_e32 v35, v39, v32
	v_sub_f32_e32 v32, v43, v38
	v_add_f32_e32 v32, v36, v32
	v_add_f32_e32 v36, v41, v35
	v_sub_f32_e32 v42, v38, v36
	v_sub_f32_e32 v38, v38, v42
	;; [unrolled: 1-line block ×4, first 2 shown]
	v_add_f32_e32 v32, v32, v36
	v_sub_f32_e32 v35, v41, v35
	v_add_f32_e32 v32, v35, v32
	v_add_f32_e32 v35, v37, v39
	;; [unrolled: 1-line block ×3, first 2 shown]
	v_sub_f32_e32 v36, v35, v37
	v_mul_f32_e32 v32, v40, v32
	v_sub_f32_e32 v36, v39, v36
	v_add_f32_e32 v32, v36, v32
	v_cvt_f32_i32_e32 v31, v31
	v_add_f32_e32 v36, v35, v32
	v_mul_f32_e32 v37, v36, v36
	v_mov_b32_e32 v38, 0x3ecc95a3
	v_fmac_f32_e32 v38, 0x3e9b6dac, v37
	v_mov_b32_e32 v39, 0x3f2aaada
	v_fmac_f32_e32 v39, v37, v38
	v_mul_f32_e32 v38, 0x3f317218, v31
	v_fma_f32 v40, v31, s8, -v38
	v_fmac_f32_e32 v40, 0xb102e308, v31
	v_sub_f32_e32 v31, v36, v35
	v_sub_f32_e32 v31, v32, v31
	v_add_f32_e32 v32, v38, v40
	v_sub_f32_e32 v35, v32, v38
	v_ldexp_f32 v38, v36, 1
	v_mul_f32_e32 v36, v36, v37
	v_mul_f32_e32 v36, v36, v39
	v_add_f32_e32 v37, v38, v36
	v_sub_f32_e32 v38, v37, v38
	v_ldexp_f32 v31, v31, 1
	v_sub_f32_e32 v36, v36, v38
	v_add_f32_e32 v31, v31, v36
	v_add_f32_e32 v36, v37, v31
	v_sub_f32_e32 v37, v36, v37
	v_sub_f32_e32 v31, v31, v37
	v_add_f32_e32 v37, v32, v36
	v_sub_f32_e32 v38, v37, v32
	v_sub_f32_e32 v39, v37, v38
	;; [unrolled: 1-line block ×5, first 2 shown]
	v_add_f32_e32 v32, v36, v32
	v_add_f32_e32 v36, v35, v31
	v_sub_f32_e32 v38, v36, v35
	v_sub_f32_e32 v39, v36, v38
	;; [unrolled: 1-line block ×4, first 2 shown]
	v_add_f32_e32 v32, v36, v32
	v_add_f32_e32 v31, v31, v35
	;; [unrolled: 1-line block ×3, first 2 shown]
	v_sub_f32_e32 v36, v35, v37
	v_sub_f32_e32 v32, v32, v36
	v_add_f32_e32 v31, v31, v32
	v_add_f32_e32 v31, v35, v31
	v_cmp_neq_f32_e32 vcc, s5, v34
	s_mov_b32 s5, 0x33800000
	v_cndmask_b32_e32 v31, v33, v31, vcc
	v_cmp_lt_f32_e64 vcc, |v34|, s5
	v_cndmask_b32_e32 v31, v31, v34, vcc
	v_add_f32_e32 v30, v30, v31
	v_cvt_f16_f32_e32 v31, v30
	v_cvt_f32_f16_e32 v32, v31
.LBB391_131:
	s_or_b64 exec, exec, s[2:3]
	ds_read_u16 v30, v8 offset:6
	v_max_f32_e32 v34, v32, v32
	v_cmp_u_f16_e32 vcc, v31, v31
	ds_write_b16 v8, v31 offset:4
	s_waitcnt lgkmcnt(1)
	v_cvt_f32_f16_e32 v33, v30
	v_min_f32_e32 v35, v34, v33
	v_max_f32_e32 v34, v34, v33
	v_cndmask_b32_e32 v35, v35, v32, vcc
	v_cndmask_b32_e32 v34, v34, v32, vcc
	v_cmp_u_f16_e32 vcc, v30, v30
	v_cndmask_b32_e32 v32, v35, v33, vcc
	v_cndmask_b32_e32 v30, v34, v33, vcc
	v_cmp_neq_f32_e32 vcc, v32, v30
	v_cmp_class_f32_e64 s[2:3], v32, s4
	s_or_b64 s[4:5], vcc, s[2:3]
	s_and_saveexec_b64 s[2:3], s[4:5]
	s_cbranch_execz .LBB391_133
; %bb.132:
	v_sub_f32_e32 v31, v32, v30
	s_mov_b32 s4, 0x3fb8aa3b
	v_mul_f32_e32 v32, 0x3fb8aa3b, v31
	v_fma_f32 v33, v31, s4, -v32
	v_rndne_f32_e32 v34, v32
	v_fmac_f32_e32 v33, 0x32a5705f, v31
	v_sub_f32_e32 v32, v32, v34
	v_add_f32_e32 v32, v32, v33
	v_exp_f32_e32 v32, v32
	v_cvt_i32_f32_e32 v33, v34
	s_mov_b32 s4, 0xc2ce8ed0
	v_cmp_ngt_f32_e32 vcc, s4, v31
	s_mov_b32 s4, 0x42b17218
	v_ldexp_f32 v32, v32, v33
	v_cndmask_b32_e32 v32, 0, v32, vcc
	v_mov_b32_e32 v33, 0x7f800000
	v_cmp_nlt_f32_e32 vcc, s4, v31
	v_cndmask_b32_e32 v34, v33, v32, vcc
	v_add_f32_e32 v35, 1.0, v34
	v_cvt_f64_f32_e32 v[31:32], v35
	v_add_f32_e32 v36, -1.0, v35
	v_sub_f32_e32 v37, v36, v35
	v_sub_f32_e32 v36, v34, v36
	v_frexp_exp_i32_f64_e32 v31, v[31:32]
	v_add_f32_e32 v32, 1.0, v37
	v_add_f32_e32 v32, v36, v32
	v_frexp_mant_f32_e32 v36, v35
	s_mov_b32 s5, 0x3f2aaaab
	v_cmp_gt_f32_e32 vcc, s5, v36
	s_mov_b32 s5, 0x3f317218
	s_mov_b32 s4, 0x7f800000
	v_subbrev_co_u32_e32 v31, vcc, 0, v31, vcc
	v_sub_u32_e32 v36, 0, v31
	v_ldexp_f32 v35, v35, v36
	v_ldexp_f32 v32, v32, v36
	v_add_f32_e32 v36, -1.0, v35
	v_add_f32_e32 v39, 1.0, v35
	v_add_f32_e32 v37, 1.0, v36
	v_add_f32_e32 v40, -1.0, v39
	v_sub_f32_e32 v37, v35, v37
	v_sub_f32_e32 v35, v35, v40
	v_add_f32_e32 v37, v32, v37
	v_add_f32_e32 v32, v32, v35
	;; [unrolled: 1-line block ×3, first 2 shown]
	v_rcp_f32_e32 v40, v35
	v_add_f32_e32 v38, v36, v37
	v_sub_f32_e32 v36, v36, v38
	v_add_f32_e32 v36, v37, v36
	v_sub_f32_e32 v37, v39, v35
	v_add_f32_e32 v32, v32, v37
	v_mul_f32_e32 v37, v38, v40
	v_mul_f32_e32 v39, v35, v37
	v_fma_f32 v41, v37, v35, -v39
	v_fmac_f32_e32 v41, v37, v32
	v_add_f32_e32 v42, v39, v41
	v_sub_f32_e32 v43, v38, v42
	v_sub_f32_e32 v38, v38, v43
	v_sub_f32_e32 v39, v42, v39
	v_sub_f32_e32 v38, v38, v42
	v_add_f32_e32 v36, v36, v38
	v_sub_f32_e32 v38, v39, v41
	v_add_f32_e32 v36, v38, v36
	v_add_f32_e32 v38, v43, v36
	v_mul_f32_e32 v39, v40, v38
	v_mul_f32_e32 v41, v35, v39
	v_fma_f32 v35, v39, v35, -v41
	v_fmac_f32_e32 v35, v39, v32
	v_sub_f32_e32 v32, v43, v38
	v_add_f32_e32 v32, v36, v32
	v_add_f32_e32 v36, v41, v35
	v_sub_f32_e32 v42, v38, v36
	v_sub_f32_e32 v38, v38, v42
	v_sub_f32_e32 v41, v36, v41
	v_sub_f32_e32 v36, v38, v36
	v_add_f32_e32 v32, v32, v36
	v_sub_f32_e32 v35, v41, v35
	v_add_f32_e32 v32, v35, v32
	v_add_f32_e32 v35, v37, v39
	;; [unrolled: 1-line block ×3, first 2 shown]
	v_sub_f32_e32 v36, v35, v37
	v_mul_f32_e32 v32, v40, v32
	v_sub_f32_e32 v36, v39, v36
	v_add_f32_e32 v32, v36, v32
	v_cvt_f32_i32_e32 v31, v31
	v_add_f32_e32 v36, v35, v32
	v_mul_f32_e32 v37, v36, v36
	v_mov_b32_e32 v38, 0x3ecc95a3
	v_fmac_f32_e32 v38, 0x3e9b6dac, v37
	v_mov_b32_e32 v39, 0x3f2aaada
	v_fmac_f32_e32 v39, v37, v38
	v_mul_f32_e32 v38, 0x3f317218, v31
	v_fma_f32 v40, v31, s5, -v38
	v_fmac_f32_e32 v40, 0xb102e308, v31
	v_sub_f32_e32 v31, v36, v35
	v_sub_f32_e32 v31, v32, v31
	v_add_f32_e32 v32, v38, v40
	v_sub_f32_e32 v35, v32, v38
	v_ldexp_f32 v38, v36, 1
	v_mul_f32_e32 v36, v36, v37
	v_mul_f32_e32 v36, v36, v39
	v_add_f32_e32 v37, v38, v36
	v_sub_f32_e32 v38, v37, v38
	v_ldexp_f32 v31, v31, 1
	v_sub_f32_e32 v36, v36, v38
	v_add_f32_e32 v31, v31, v36
	v_add_f32_e32 v36, v37, v31
	v_sub_f32_e32 v37, v36, v37
	v_sub_f32_e32 v31, v31, v37
	v_add_f32_e32 v37, v32, v36
	v_sub_f32_e32 v38, v37, v32
	v_sub_f32_e32 v39, v37, v38
	;; [unrolled: 1-line block ×5, first 2 shown]
	v_add_f32_e32 v32, v36, v32
	v_add_f32_e32 v36, v35, v31
	v_sub_f32_e32 v38, v36, v35
	v_sub_f32_e32 v39, v36, v38
	;; [unrolled: 1-line block ×4, first 2 shown]
	v_add_f32_e32 v32, v36, v32
	v_add_f32_e32 v31, v31, v35
	;; [unrolled: 1-line block ×3, first 2 shown]
	v_sub_f32_e32 v36, v35, v37
	v_sub_f32_e32 v32, v32, v36
	v_add_f32_e32 v31, v31, v32
	v_add_f32_e32 v31, v35, v31
	v_cmp_neq_f32_e32 vcc, s4, v34
	s_mov_b32 s4, 0x33800000
	v_cndmask_b32_e32 v31, v33, v31, vcc
	v_cmp_lt_f32_e64 vcc, |v34|, s4
	v_cndmask_b32_e32 v31, v31, v34, vcc
	v_add_f32_e32 v30, v30, v31
	v_cvt_f16_f32_e32 v31, v30
.LBB391_133:
	s_or_b64 exec, exec, s[2:3]
	ds_write_b16 v8, v31 offset:6
.LBB391_134:
	s_or_b64 exec, exec, s[6:7]
	v_mul_u32_u24_e32 v8, 46, v0
	v_cmp_ne_u32_e32 vcc, 0, v0
	v_mov_b32_e32 v30, v1
	s_waitcnt lgkmcnt(0)
	s_barrier
	s_and_saveexec_b64 s[2:3], vcc
	s_cbranch_execz .LBB391_138
; %bb.135:
	v_add_u32_e32 v0, -1, v0
	v_lshrrev_b32_e32 v1, 4, v0
	v_and_b32_e32 v1, 0xffffffe, v1
	v_lshl_add_u32 v0, v0, 1, v1
	ds_read_u16 v1, v0
	v_max_f32_e32 v0, v14, v14
	s_movk_i32 s4, 0x1f8
	s_waitcnt lgkmcnt(0)
	v_cvt_f32_f16_e32 v31, v1
	v_cmp_u_f16_e32 vcc, v1, v1
	v_min_f32_e32 v28, v31, v0
	v_max_f32_e32 v0, v31, v0
	v_cndmask_b32_e32 v28, v28, v31, vcc
	v_cndmask_b32_e32 v0, v0, v31, vcc
	v_cndmask_b32_e64 v28, v28, v14, s[94:95]
	v_cndmask_b32_e64 v0, v0, v14, s[94:95]
	v_cmp_neq_f32_e32 vcc, v28, v0
	v_cmp_class_f32_e64 s[4:5], v28, s4
	s_or_b64 s[6:7], vcc, s[4:5]
	s_and_saveexec_b64 s[4:5], s[6:7]
	s_cbranch_execz .LBB391_137
; %bb.136:
	v_sub_f32_e32 v1, v28, v0
	s_mov_b32 s6, 0x3fb8aa3b
	v_mul_f32_e32 v14, 0x3fb8aa3b, v1
	v_fma_f32 v28, v1, s6, -v14
	v_rndne_f32_e32 v29, v14
	v_fmac_f32_e32 v28, 0x32a5705f, v1
	v_sub_f32_e32 v14, v14, v29
	v_add_f32_e32 v14, v14, v28
	v_exp_f32_e32 v14, v14
	v_cvt_i32_f32_e32 v28, v29
	s_mov_b32 s6, 0xc2ce8ed0
	v_cmp_ngt_f32_e32 vcc, s6, v1
	s_mov_b32 s6, 0x42b17218
	v_ldexp_f32 v14, v14, v28
	v_cndmask_b32_e32 v14, 0, v14, vcc
	v_mov_b32_e32 v30, 0x7f800000
	v_cmp_nlt_f32_e32 vcc, s6, v1
	v_cndmask_b32_e32 v1, v30, v14, vcc
	v_add_f32_e32 v14, 1.0, v1
	v_cvt_f64_f32_e32 v[28:29], v14
	v_add_f32_e32 v31, -1.0, v14
	v_sub_f32_e32 v32, v31, v14
	v_sub_f32_e32 v31, v1, v31
	v_frexp_exp_i32_f64_e32 v28, v[28:29]
	v_add_f32_e32 v29, 1.0, v32
	v_add_f32_e32 v29, v31, v29
	v_frexp_mant_f32_e32 v31, v14
	s_mov_b32 s7, 0x3f2aaaab
	v_cmp_gt_f32_e32 vcc, s7, v31
	s_mov_b32 s7, 0x3f317218
	s_mov_b32 s6, 0x7f800000
	v_subbrev_co_u32_e32 v28, vcc, 0, v28, vcc
	v_sub_u32_e32 v31, 0, v28
	v_ldexp_f32 v14, v14, v31
	v_ldexp_f32 v29, v29, v31
	v_add_f32_e32 v31, -1.0, v14
	v_add_f32_e32 v34, 1.0, v14
	v_add_f32_e32 v32, 1.0, v31
	v_add_f32_e32 v35, -1.0, v34
	v_sub_f32_e32 v32, v14, v32
	v_sub_f32_e32 v14, v14, v35
	v_add_f32_e32 v14, v29, v14
	v_add_f32_e32 v32, v29, v32
	;; [unrolled: 1-line block ×3, first 2 shown]
	v_rcp_f32_e32 v35, v29
	v_add_f32_e32 v33, v31, v32
	v_sub_f32_e32 v31, v31, v33
	v_add_f32_e32 v31, v32, v31
	v_sub_f32_e32 v32, v34, v29
	v_add_f32_e32 v14, v14, v32
	v_mul_f32_e32 v32, v33, v35
	v_mul_f32_e32 v34, v29, v32
	v_fma_f32 v36, v32, v29, -v34
	v_fmac_f32_e32 v36, v32, v14
	v_add_f32_e32 v37, v34, v36
	v_sub_f32_e32 v38, v33, v37
	v_sub_f32_e32 v33, v33, v38
	;; [unrolled: 1-line block ×4, first 2 shown]
	v_add_f32_e32 v31, v31, v33
	v_sub_f32_e32 v33, v34, v36
	v_add_f32_e32 v31, v33, v31
	v_add_f32_e32 v33, v38, v31
	v_mul_f32_e32 v34, v35, v33
	v_mul_f32_e32 v36, v29, v34
	v_fma_f32 v29, v34, v29, -v36
	v_fmac_f32_e32 v29, v34, v14
	v_sub_f32_e32 v14, v38, v33
	v_add_f32_e32 v14, v31, v14
	v_add_f32_e32 v31, v36, v29
	v_sub_f32_e32 v37, v33, v31
	v_sub_f32_e32 v33, v33, v37
	;; [unrolled: 1-line block ×4, first 2 shown]
	v_add_f32_e32 v14, v14, v31
	v_sub_f32_e32 v29, v36, v29
	v_add_f32_e32 v14, v29, v14
	v_add_f32_e32 v29, v32, v34
	;; [unrolled: 1-line block ×3, first 2 shown]
	v_sub_f32_e32 v31, v29, v32
	v_mul_f32_e32 v14, v35, v14
	v_sub_f32_e32 v31, v34, v31
	v_add_f32_e32 v14, v31, v14
	v_cvt_f32_i32_e32 v28, v28
	v_add_f32_e32 v31, v29, v14
	v_mul_f32_e32 v32, v31, v31
	v_mov_b32_e32 v33, 0x3ecc95a3
	v_fmac_f32_e32 v33, 0x3e9b6dac, v32
	v_mov_b32_e32 v34, 0x3f2aaada
	v_fmac_f32_e32 v34, v32, v33
	v_mul_f32_e32 v33, 0x3f317218, v28
	v_fma_f32 v35, v28, s7, -v33
	v_fmac_f32_e32 v35, 0xb102e308, v28
	v_sub_f32_e32 v28, v31, v29
	v_sub_f32_e32 v14, v14, v28
	v_add_f32_e32 v28, v33, v35
	v_sub_f32_e32 v29, v28, v33
	v_ldexp_f32 v33, v31, 1
	v_mul_f32_e32 v31, v31, v32
	v_mul_f32_e32 v31, v31, v34
	v_add_f32_e32 v32, v33, v31
	v_sub_f32_e32 v33, v32, v33
	v_ldexp_f32 v14, v14, 1
	v_sub_f32_e32 v31, v31, v33
	v_add_f32_e32 v14, v14, v31
	v_add_f32_e32 v31, v32, v14
	v_sub_f32_e32 v32, v31, v32
	v_sub_f32_e32 v14, v14, v32
	v_add_f32_e32 v32, v28, v31
	v_sub_f32_e32 v33, v32, v28
	v_sub_f32_e32 v34, v32, v33
	;; [unrolled: 1-line block ×5, first 2 shown]
	v_add_f32_e32 v28, v31, v28
	v_add_f32_e32 v31, v29, v14
	v_sub_f32_e32 v33, v31, v29
	v_sub_f32_e32 v34, v31, v33
	;; [unrolled: 1-line block ×4, first 2 shown]
	v_add_f32_e32 v28, v31, v28
	v_add_f32_e32 v14, v14, v29
	v_add_f32_e32 v29, v32, v28
	v_sub_f32_e32 v31, v29, v32
	v_sub_f32_e32 v28, v28, v31
	v_add_f32_e32 v14, v14, v28
	v_add_f32_e32 v14, v29, v14
	v_cmp_neq_f32_e32 vcc, s6, v1
	s_mov_b32 s6, 0x33800000
	v_cndmask_b32_e32 v14, v30, v14, vcc
	v_cmp_lt_f32_e64 vcc, |v1|, s6
	v_cndmask_b32_e32 v1, v14, v1, vcc
	v_add_f32_e32 v0, v0, v1
	v_cvt_f16_f32_e32 v1, v0
	v_cvt_f32_f16_e32 v31, v1
.LBB391_137:
	s_or_b64 exec, exec, s[4:5]
	v_max_f32_e32 v0, v15, v15
	v_max_f32_e32 v14, v31, v31
	v_min_f32_e32 v28, v14, v0
	v_max_f32_e32 v29, v14, v0
	v_mov_b32_e32 v30, v1
	v_mov_b32_e32 v14, v31
	;;#ASMSTART
	;;#ASMEND
.LBB391_138:
	s_or_b64 exec, exec, s[2:3]
	v_cmp_u_f16_e32 vcc, v30, v30
	v_cndmask_b32_e32 v0, v28, v14, vcc
	v_cndmask_b32_e64 v28, v0, v15, s[48:49]
	v_cndmask_b32_e32 v0, v29, v14, vcc
	v_cndmask_b32_e64 v15, v0, v15, s[48:49]
	s_movk_i32 s4, 0x1f8
	v_cmp_neq_f32_e32 vcc, v28, v15
	v_cmp_class_f32_e64 s[2:3], v28, s4
	s_or_b64 s[6:7], vcc, s[2:3]
	v_mov_b32_e32 v0, v1
	s_and_saveexec_b64 s[2:3], s[6:7]
	s_cbranch_execz .LBB391_140
; %bb.139:
	v_sub_f32_e32 v0, v28, v15
	s_mov_b32 s5, 0x3fb8aa3b
	v_mul_f32_e32 v14, 0x3fb8aa3b, v0
	v_fma_f32 v28, v0, s5, -v14
	v_rndne_f32_e32 v29, v14
	v_fmac_f32_e32 v28, 0x32a5705f, v0
	v_sub_f32_e32 v14, v14, v29
	v_add_f32_e32 v14, v14, v28
	v_exp_f32_e32 v14, v14
	v_cvt_i32_f32_e32 v28, v29
	s_mov_b32 s5, 0xc2ce8ed0
	v_cmp_ngt_f32_e32 vcc, s5, v0
	s_mov_b32 s5, 0x42b17218
	v_ldexp_f32 v14, v14, v28
	v_cndmask_b32_e32 v14, 0, v14, vcc
	v_mov_b32_e32 v30, 0x7f800000
	v_cmp_nlt_f32_e32 vcc, s5, v0
	v_cndmask_b32_e32 v0, v30, v14, vcc
	v_add_f32_e32 v14, 1.0, v0
	v_cvt_f64_f32_e32 v[28:29], v14
	v_add_f32_e32 v31, -1.0, v14
	v_sub_f32_e32 v32, v31, v14
	v_sub_f32_e32 v31, v0, v31
	v_frexp_exp_i32_f64_e32 v28, v[28:29]
	v_add_f32_e32 v29, 1.0, v32
	v_add_f32_e32 v29, v31, v29
	v_frexp_mant_f32_e32 v31, v14
	s_mov_b32 s6, 0x3f2aaaab
	v_cmp_gt_f32_e32 vcc, s6, v31
	s_mov_b32 s6, 0x3f317218
	s_mov_b32 s5, 0x7f800000
	v_subbrev_co_u32_e32 v28, vcc, 0, v28, vcc
	v_sub_u32_e32 v31, 0, v28
	v_ldexp_f32 v14, v14, v31
	v_ldexp_f32 v29, v29, v31
	v_add_f32_e32 v31, -1.0, v14
	v_add_f32_e32 v34, 1.0, v14
	v_add_f32_e32 v32, 1.0, v31
	v_add_f32_e32 v35, -1.0, v34
	v_sub_f32_e32 v32, v14, v32
	v_sub_f32_e32 v14, v14, v35
	v_add_f32_e32 v14, v29, v14
	v_add_f32_e32 v32, v29, v32
	;; [unrolled: 1-line block ×3, first 2 shown]
	v_rcp_f32_e32 v35, v29
	v_add_f32_e32 v33, v31, v32
	v_sub_f32_e32 v31, v31, v33
	v_add_f32_e32 v31, v32, v31
	v_sub_f32_e32 v32, v34, v29
	v_add_f32_e32 v14, v14, v32
	v_mul_f32_e32 v32, v33, v35
	v_mul_f32_e32 v34, v29, v32
	v_fma_f32 v36, v32, v29, -v34
	v_fmac_f32_e32 v36, v32, v14
	v_add_f32_e32 v37, v34, v36
	v_sub_f32_e32 v38, v33, v37
	v_sub_f32_e32 v33, v33, v38
	;; [unrolled: 1-line block ×4, first 2 shown]
	v_add_f32_e32 v31, v31, v33
	v_sub_f32_e32 v33, v34, v36
	v_add_f32_e32 v31, v33, v31
	v_add_f32_e32 v33, v38, v31
	v_mul_f32_e32 v34, v35, v33
	v_mul_f32_e32 v36, v29, v34
	v_fma_f32 v29, v34, v29, -v36
	v_fmac_f32_e32 v29, v34, v14
	v_sub_f32_e32 v14, v38, v33
	v_add_f32_e32 v14, v31, v14
	v_add_f32_e32 v31, v36, v29
	v_sub_f32_e32 v37, v33, v31
	v_sub_f32_e32 v33, v33, v37
	;; [unrolled: 1-line block ×4, first 2 shown]
	v_add_f32_e32 v14, v14, v31
	v_sub_f32_e32 v29, v36, v29
	v_add_f32_e32 v14, v29, v14
	v_add_f32_e32 v29, v32, v34
	;; [unrolled: 1-line block ×3, first 2 shown]
	v_sub_f32_e32 v31, v29, v32
	v_mul_f32_e32 v14, v35, v14
	v_sub_f32_e32 v31, v34, v31
	v_add_f32_e32 v14, v31, v14
	v_cvt_f32_i32_e32 v28, v28
	v_add_f32_e32 v31, v29, v14
	v_mul_f32_e32 v32, v31, v31
	v_mov_b32_e32 v33, 0x3ecc95a3
	v_fmac_f32_e32 v33, 0x3e9b6dac, v32
	v_mov_b32_e32 v34, 0x3f2aaada
	v_fmac_f32_e32 v34, v32, v33
	v_mul_f32_e32 v33, 0x3f317218, v28
	v_fma_f32 v35, v28, s6, -v33
	v_fmac_f32_e32 v35, 0xb102e308, v28
	v_sub_f32_e32 v28, v31, v29
	v_sub_f32_e32 v14, v14, v28
	v_add_f32_e32 v28, v33, v35
	v_sub_f32_e32 v29, v28, v33
	v_ldexp_f32 v33, v31, 1
	v_mul_f32_e32 v31, v31, v32
	v_mul_f32_e32 v31, v31, v34
	v_add_f32_e32 v32, v33, v31
	v_sub_f32_e32 v33, v32, v33
	v_ldexp_f32 v14, v14, 1
	v_sub_f32_e32 v31, v31, v33
	v_add_f32_e32 v14, v14, v31
	v_add_f32_e32 v31, v32, v14
	v_sub_f32_e32 v32, v31, v32
	v_sub_f32_e32 v14, v14, v32
	v_add_f32_e32 v32, v28, v31
	v_sub_f32_e32 v33, v32, v28
	v_sub_f32_e32 v34, v32, v33
	v_sub_f32_e32 v29, v35, v29
	v_sub_f32_e32 v28, v28, v34
	v_sub_f32_e32 v31, v31, v33
	v_add_f32_e32 v28, v31, v28
	v_add_f32_e32 v31, v29, v14
	v_sub_f32_e32 v33, v31, v29
	v_sub_f32_e32 v34, v31, v33
	;; [unrolled: 1-line block ×4, first 2 shown]
	v_add_f32_e32 v28, v31, v28
	v_add_f32_e32 v14, v14, v29
	;; [unrolled: 1-line block ×3, first 2 shown]
	v_sub_f32_e32 v31, v29, v32
	v_sub_f32_e32 v28, v28, v31
	v_add_f32_e32 v14, v14, v28
	v_add_f32_e32 v14, v29, v14
	v_cmp_neq_f32_e32 vcc, s5, v0
	s_mov_b32 s5, 0x33800000
	v_cndmask_b32_e32 v14, v30, v14, vcc
	v_cmp_lt_f32_e64 vcc, |v0|, s5
	v_cndmask_b32_e32 v0, v14, v0, vcc
	v_add_f32_e32 v0, v15, v0
	v_cvt_f16_f32_e32 v30, v0
	v_cvt_f32_f16_e32 v14, v30
	v_mov_b32_e32 v0, v30
.LBB391_140:
	s_or_b64 exec, exec, s[2:3]
	v_max_f32_e32 v15, v16, v16
	v_max_f32_e32 v29, v14, v14
	v_min_f32_e32 v28, v29, v15
	v_cmp_u_f16_e32 vcc, v30, v30
	v_max_f32_e32 v15, v29, v15
	v_cndmask_b32_e32 v28, v28, v14, vcc
	v_cndmask_b32_e32 v15, v15, v14, vcc
	v_cndmask_b32_e64 v28, v28, v16, s[50:51]
	v_cndmask_b32_e64 v16, v15, v16, s[50:51]
	v_cmp_neq_f32_e32 vcc, v28, v16
	v_cmp_class_f32_e64 s[2:3], v28, s4
	s_or_b64 s[4:5], vcc, s[2:3]
	v_mov_b32_e32 v15, v0
	s_and_saveexec_b64 s[2:3], s[4:5]
	s_cbranch_execz .LBB391_142
; %bb.141:
	v_sub_f32_e32 v14, v28, v16
	s_mov_b32 s4, 0x3fb8aa3b
	v_mul_f32_e32 v15, 0x3fb8aa3b, v14
	v_fma_f32 v28, v14, s4, -v15
	v_rndne_f32_e32 v29, v15
	v_fmac_f32_e32 v28, 0x32a5705f, v14
	v_sub_f32_e32 v15, v15, v29
	v_add_f32_e32 v15, v15, v28
	v_exp_f32_e32 v15, v15
	v_cvt_i32_f32_e32 v28, v29
	s_mov_b32 s4, 0xc2ce8ed0
	v_cmp_ngt_f32_e32 vcc, s4, v14
	s_mov_b32 s4, 0x42b17218
	v_ldexp_f32 v15, v15, v28
	v_cndmask_b32_e32 v15, 0, v15, vcc
	v_mov_b32_e32 v28, 0x7f800000
	v_cmp_nlt_f32_e32 vcc, s4, v14
	v_cndmask_b32_e32 v29, v28, v15, vcc
	v_add_f32_e32 v30, 1.0, v29
	v_cvt_f64_f32_e32 v[14:15], v30
	v_add_f32_e32 v31, -1.0, v30
	v_sub_f32_e32 v32, v31, v30
	v_sub_f32_e32 v31, v29, v31
	v_frexp_exp_i32_f64_e32 v14, v[14:15]
	v_add_f32_e32 v15, 1.0, v32
	v_add_f32_e32 v15, v31, v15
	v_frexp_mant_f32_e32 v31, v30
	s_mov_b32 s5, 0x3f2aaaab
	v_cmp_gt_f32_e32 vcc, s5, v31
	s_mov_b32 s5, 0x3f317218
	s_mov_b32 s4, 0x7f800000
	v_subbrev_co_u32_e32 v14, vcc, 0, v14, vcc
	v_sub_u32_e32 v31, 0, v14
	v_ldexp_f32 v30, v30, v31
	v_ldexp_f32 v15, v15, v31
	v_add_f32_e32 v31, -1.0, v30
	v_add_f32_e32 v34, 1.0, v30
	v_add_f32_e32 v32, 1.0, v31
	v_add_f32_e32 v35, -1.0, v34
	v_sub_f32_e32 v32, v30, v32
	v_sub_f32_e32 v30, v30, v35
	v_add_f32_e32 v32, v15, v32
	v_add_f32_e32 v15, v15, v30
	v_add_f32_e32 v30, v34, v15
	v_rcp_f32_e32 v35, v30
	v_add_f32_e32 v33, v31, v32
	v_sub_f32_e32 v31, v31, v33
	v_add_f32_e32 v31, v32, v31
	v_sub_f32_e32 v32, v34, v30
	v_add_f32_e32 v15, v15, v32
	v_mul_f32_e32 v32, v33, v35
	v_mul_f32_e32 v34, v30, v32
	v_fma_f32 v36, v32, v30, -v34
	v_fmac_f32_e32 v36, v32, v15
	v_add_f32_e32 v37, v34, v36
	v_sub_f32_e32 v38, v33, v37
	v_sub_f32_e32 v33, v33, v38
	;; [unrolled: 1-line block ×4, first 2 shown]
	v_add_f32_e32 v31, v31, v33
	v_sub_f32_e32 v33, v34, v36
	v_add_f32_e32 v31, v33, v31
	v_add_f32_e32 v33, v38, v31
	v_mul_f32_e32 v34, v35, v33
	v_mul_f32_e32 v36, v30, v34
	v_fma_f32 v30, v34, v30, -v36
	v_fmac_f32_e32 v30, v34, v15
	v_sub_f32_e32 v15, v38, v33
	v_add_f32_e32 v15, v31, v15
	v_add_f32_e32 v31, v36, v30
	v_sub_f32_e32 v37, v33, v31
	v_sub_f32_e32 v33, v33, v37
	;; [unrolled: 1-line block ×4, first 2 shown]
	v_add_f32_e32 v15, v15, v31
	v_sub_f32_e32 v30, v36, v30
	v_add_f32_e32 v15, v30, v15
	v_add_f32_e32 v30, v32, v34
	;; [unrolled: 1-line block ×3, first 2 shown]
	v_sub_f32_e32 v31, v30, v32
	v_mul_f32_e32 v15, v35, v15
	v_sub_f32_e32 v31, v34, v31
	v_add_f32_e32 v15, v31, v15
	v_cvt_f32_i32_e32 v14, v14
	v_add_f32_e32 v31, v30, v15
	v_mul_f32_e32 v32, v31, v31
	v_mov_b32_e32 v33, 0x3ecc95a3
	v_fmac_f32_e32 v33, 0x3e9b6dac, v32
	v_mov_b32_e32 v34, 0x3f2aaada
	v_fmac_f32_e32 v34, v32, v33
	v_mul_f32_e32 v33, 0x3f317218, v14
	v_fma_f32 v35, v14, s5, -v33
	v_fmac_f32_e32 v35, 0xb102e308, v14
	v_sub_f32_e32 v14, v31, v30
	v_sub_f32_e32 v14, v15, v14
	v_add_f32_e32 v15, v33, v35
	v_sub_f32_e32 v30, v15, v33
	v_ldexp_f32 v33, v31, 1
	v_mul_f32_e32 v31, v31, v32
	v_mul_f32_e32 v31, v31, v34
	v_add_f32_e32 v32, v33, v31
	v_sub_f32_e32 v33, v32, v33
	v_ldexp_f32 v14, v14, 1
	v_sub_f32_e32 v31, v31, v33
	v_add_f32_e32 v14, v14, v31
	v_add_f32_e32 v31, v32, v14
	v_sub_f32_e32 v32, v31, v32
	v_sub_f32_e32 v14, v14, v32
	v_add_f32_e32 v32, v15, v31
	v_sub_f32_e32 v33, v32, v15
	v_sub_f32_e32 v34, v32, v33
	;; [unrolled: 1-line block ×5, first 2 shown]
	v_add_f32_e32 v15, v31, v15
	v_add_f32_e32 v31, v30, v14
	v_sub_f32_e32 v33, v31, v30
	v_sub_f32_e32 v34, v31, v33
	;; [unrolled: 1-line block ×4, first 2 shown]
	v_add_f32_e32 v15, v31, v15
	v_add_f32_e32 v14, v14, v30
	;; [unrolled: 1-line block ×3, first 2 shown]
	v_sub_f32_e32 v31, v30, v32
	v_sub_f32_e32 v15, v15, v31
	v_add_f32_e32 v14, v14, v15
	v_add_f32_e32 v14, v30, v14
	v_cmp_neq_f32_e32 vcc, s4, v29
	s_mov_b32 s4, 0x33800000
	v_cndmask_b32_e32 v14, v28, v14, vcc
	v_cmp_lt_f32_e64 vcc, |v29|, s4
	v_cndmask_b32_e32 v14, v14, v29, vcc
	v_add_f32_e32 v14, v16, v14
	v_cvt_f16_f32_e32 v30, v14
	v_cvt_f32_f16_e32 v14, v30
	v_mov_b32_e32 v15, v30
.LBB391_142:
	s_or_b64 exec, exec, s[2:3]
	v_max_f32_e32 v16, v17, v17
	v_max_f32_e32 v29, v14, v14
	v_min_f32_e32 v28, v29, v16
	v_cmp_u_f16_e32 vcc, v30, v30
	v_max_f32_e32 v16, v29, v16
	v_cndmask_b32_e32 v28, v28, v14, vcc
	v_cndmask_b32_e32 v16, v16, v14, vcc
	v_cndmask_b32_e64 v28, v28, v17, s[52:53]
	v_cndmask_b32_e64 v17, v16, v17, s[52:53]
	s_movk_i32 s4, 0x1f8
	v_cmp_neq_f32_e32 vcc, v28, v17
	v_cmp_class_f32_e64 s[2:3], v28, s4
	s_or_b64 s[6:7], vcc, s[2:3]
	v_mov_b32_e32 v16, v15
	s_and_saveexec_b64 s[2:3], s[6:7]
	s_cbranch_execz .LBB391_144
; %bb.143:
	v_sub_f32_e32 v14, v28, v17
	s_mov_b32 s5, 0x3fb8aa3b
	v_mul_f32_e32 v16, 0x3fb8aa3b, v14
	v_fma_f32 v28, v14, s5, -v16
	v_rndne_f32_e32 v29, v16
	v_fmac_f32_e32 v28, 0x32a5705f, v14
	v_sub_f32_e32 v16, v16, v29
	v_add_f32_e32 v16, v16, v28
	v_exp_f32_e32 v16, v16
	v_cvt_i32_f32_e32 v28, v29
	s_mov_b32 s5, 0xc2ce8ed0
	v_cmp_ngt_f32_e32 vcc, s5, v14
	s_mov_b32 s5, 0x42b17218
	v_ldexp_f32 v16, v16, v28
	v_cndmask_b32_e32 v16, 0, v16, vcc
	v_mov_b32_e32 v30, 0x7f800000
	v_cmp_nlt_f32_e32 vcc, s5, v14
	v_cndmask_b32_e32 v14, v30, v16, vcc
	v_add_f32_e32 v16, 1.0, v14
	v_cvt_f64_f32_e32 v[28:29], v16
	v_add_f32_e32 v31, -1.0, v16
	v_sub_f32_e32 v32, v31, v16
	v_sub_f32_e32 v31, v14, v31
	v_frexp_exp_i32_f64_e32 v28, v[28:29]
	v_add_f32_e32 v29, 1.0, v32
	v_add_f32_e32 v29, v31, v29
	v_frexp_mant_f32_e32 v31, v16
	s_mov_b32 s6, 0x3f2aaaab
	v_cmp_gt_f32_e32 vcc, s6, v31
	s_mov_b32 s6, 0x3f317218
	s_mov_b32 s5, 0x7f800000
	v_subbrev_co_u32_e32 v28, vcc, 0, v28, vcc
	v_sub_u32_e32 v31, 0, v28
	v_ldexp_f32 v16, v16, v31
	v_ldexp_f32 v29, v29, v31
	v_add_f32_e32 v31, -1.0, v16
	v_add_f32_e32 v34, 1.0, v16
	v_add_f32_e32 v32, 1.0, v31
	v_add_f32_e32 v35, -1.0, v34
	v_sub_f32_e32 v32, v16, v32
	v_sub_f32_e32 v16, v16, v35
	v_add_f32_e32 v16, v29, v16
	v_add_f32_e32 v32, v29, v32
	;; [unrolled: 1-line block ×3, first 2 shown]
	v_rcp_f32_e32 v35, v29
	v_add_f32_e32 v33, v31, v32
	v_sub_f32_e32 v31, v31, v33
	v_add_f32_e32 v31, v32, v31
	v_sub_f32_e32 v32, v34, v29
	v_add_f32_e32 v16, v16, v32
	v_mul_f32_e32 v32, v33, v35
	v_mul_f32_e32 v34, v29, v32
	v_fma_f32 v36, v32, v29, -v34
	v_fmac_f32_e32 v36, v32, v16
	v_add_f32_e32 v37, v34, v36
	v_sub_f32_e32 v38, v33, v37
	v_sub_f32_e32 v33, v33, v38
	v_sub_f32_e32 v34, v37, v34
	v_sub_f32_e32 v33, v33, v37
	v_add_f32_e32 v31, v31, v33
	v_sub_f32_e32 v33, v34, v36
	v_add_f32_e32 v31, v33, v31
	v_add_f32_e32 v33, v38, v31
	v_mul_f32_e32 v34, v35, v33
	v_mul_f32_e32 v36, v29, v34
	v_fma_f32 v29, v34, v29, -v36
	v_fmac_f32_e32 v29, v34, v16
	v_sub_f32_e32 v16, v38, v33
	v_add_f32_e32 v16, v31, v16
	v_add_f32_e32 v31, v36, v29
	v_sub_f32_e32 v37, v33, v31
	v_sub_f32_e32 v33, v33, v37
	;; [unrolled: 1-line block ×4, first 2 shown]
	v_add_f32_e32 v16, v16, v31
	v_sub_f32_e32 v29, v36, v29
	v_add_f32_e32 v16, v29, v16
	v_add_f32_e32 v29, v32, v34
	v_add_f32_e32 v16, v37, v16
	v_sub_f32_e32 v31, v29, v32
	v_mul_f32_e32 v16, v35, v16
	v_sub_f32_e32 v31, v34, v31
	v_add_f32_e32 v16, v31, v16
	v_cvt_f32_i32_e32 v28, v28
	v_add_f32_e32 v31, v29, v16
	v_mul_f32_e32 v32, v31, v31
	v_mov_b32_e32 v33, 0x3ecc95a3
	v_fmac_f32_e32 v33, 0x3e9b6dac, v32
	v_mov_b32_e32 v34, 0x3f2aaada
	v_fmac_f32_e32 v34, v32, v33
	v_mul_f32_e32 v33, 0x3f317218, v28
	v_fma_f32 v35, v28, s6, -v33
	v_fmac_f32_e32 v35, 0xb102e308, v28
	v_sub_f32_e32 v28, v31, v29
	v_sub_f32_e32 v16, v16, v28
	v_add_f32_e32 v28, v33, v35
	v_sub_f32_e32 v29, v28, v33
	v_ldexp_f32 v33, v31, 1
	v_mul_f32_e32 v31, v31, v32
	v_mul_f32_e32 v31, v31, v34
	v_add_f32_e32 v32, v33, v31
	v_sub_f32_e32 v33, v32, v33
	v_ldexp_f32 v16, v16, 1
	v_sub_f32_e32 v31, v31, v33
	v_add_f32_e32 v16, v16, v31
	v_add_f32_e32 v31, v32, v16
	v_sub_f32_e32 v32, v31, v32
	v_sub_f32_e32 v16, v16, v32
	v_add_f32_e32 v32, v28, v31
	v_sub_f32_e32 v33, v32, v28
	v_sub_f32_e32 v34, v32, v33
	;; [unrolled: 1-line block ×5, first 2 shown]
	v_add_f32_e32 v28, v31, v28
	v_add_f32_e32 v31, v29, v16
	v_sub_f32_e32 v33, v31, v29
	v_sub_f32_e32 v34, v31, v33
	;; [unrolled: 1-line block ×4, first 2 shown]
	v_add_f32_e32 v28, v31, v28
	v_add_f32_e32 v16, v16, v29
	;; [unrolled: 1-line block ×3, first 2 shown]
	v_sub_f32_e32 v31, v29, v32
	v_sub_f32_e32 v28, v28, v31
	v_add_f32_e32 v16, v16, v28
	v_add_f32_e32 v16, v29, v16
	v_cmp_neq_f32_e32 vcc, s5, v14
	s_mov_b32 s5, 0x33800000
	v_cndmask_b32_e32 v16, v30, v16, vcc
	v_cmp_lt_f32_e64 vcc, |v14|, s5
	v_cndmask_b32_e32 v14, v16, v14, vcc
	v_add_f32_e32 v14, v17, v14
	v_cvt_f16_f32_e32 v30, v14
	v_cvt_f32_f16_e32 v14, v30
	v_mov_b32_e32 v16, v30
.LBB391_144:
	s_or_b64 exec, exec, s[2:3]
	v_max_f32_e32 v17, v2, v2
	v_max_f32_e32 v29, v14, v14
	v_min_f32_e32 v28, v29, v17
	v_cmp_u_f16_e32 vcc, v30, v30
	v_max_f32_e32 v17, v29, v17
	v_cndmask_b32_e32 v28, v28, v14, vcc
	v_cndmask_b32_e32 v17, v17, v14, vcc
	v_cndmask_b32_e64 v28, v28, v2, s[54:55]
	v_cndmask_b32_e64 v17, v17, v2, s[54:55]
	v_cmp_neq_f32_e32 vcc, v28, v17
	v_cmp_class_f32_e64 s[2:3], v28, s4
	s_or_b64 s[4:5], vcc, s[2:3]
	v_mov_b32_e32 v2, v16
	s_and_saveexec_b64 s[2:3], s[4:5]
	s_cbranch_execz .LBB391_146
; %bb.145:
	v_sub_f32_e32 v2, v28, v17
	s_mov_b32 s4, 0x3fb8aa3b
	v_mul_f32_e32 v14, 0x3fb8aa3b, v2
	v_fma_f32 v28, v2, s4, -v14
	v_rndne_f32_e32 v29, v14
	v_fmac_f32_e32 v28, 0x32a5705f, v2
	v_sub_f32_e32 v14, v14, v29
	v_add_f32_e32 v14, v14, v28
	v_exp_f32_e32 v14, v14
	v_cvt_i32_f32_e32 v28, v29
	s_mov_b32 s4, 0xc2ce8ed0
	v_cmp_ngt_f32_e32 vcc, s4, v2
	s_mov_b32 s4, 0x42b17218
	v_ldexp_f32 v14, v14, v28
	v_cndmask_b32_e32 v14, 0, v14, vcc
	v_mov_b32_e32 v30, 0x7f800000
	v_cmp_nlt_f32_e32 vcc, s4, v2
	v_cndmask_b32_e32 v2, v30, v14, vcc
	v_add_f32_e32 v14, 1.0, v2
	v_cvt_f64_f32_e32 v[28:29], v14
	v_add_f32_e32 v31, -1.0, v14
	v_sub_f32_e32 v32, v31, v14
	v_sub_f32_e32 v31, v2, v31
	v_frexp_exp_i32_f64_e32 v28, v[28:29]
	v_add_f32_e32 v29, 1.0, v32
	v_add_f32_e32 v29, v31, v29
	v_frexp_mant_f32_e32 v31, v14
	s_mov_b32 s5, 0x3f2aaaab
	v_cmp_gt_f32_e32 vcc, s5, v31
	s_mov_b32 s5, 0x3f317218
	s_mov_b32 s4, 0x7f800000
	v_subbrev_co_u32_e32 v28, vcc, 0, v28, vcc
	v_sub_u32_e32 v31, 0, v28
	v_ldexp_f32 v14, v14, v31
	v_ldexp_f32 v29, v29, v31
	v_add_f32_e32 v31, -1.0, v14
	v_add_f32_e32 v34, 1.0, v14
	v_add_f32_e32 v32, 1.0, v31
	v_add_f32_e32 v35, -1.0, v34
	v_sub_f32_e32 v32, v14, v32
	v_sub_f32_e32 v14, v14, v35
	v_add_f32_e32 v14, v29, v14
	v_add_f32_e32 v32, v29, v32
	;; [unrolled: 1-line block ×3, first 2 shown]
	v_rcp_f32_e32 v35, v29
	v_add_f32_e32 v33, v31, v32
	v_sub_f32_e32 v31, v31, v33
	v_add_f32_e32 v31, v32, v31
	v_sub_f32_e32 v32, v34, v29
	v_add_f32_e32 v14, v14, v32
	v_mul_f32_e32 v32, v33, v35
	v_mul_f32_e32 v34, v29, v32
	v_fma_f32 v36, v32, v29, -v34
	v_fmac_f32_e32 v36, v32, v14
	v_add_f32_e32 v37, v34, v36
	v_sub_f32_e32 v38, v33, v37
	v_sub_f32_e32 v33, v33, v38
	;; [unrolled: 1-line block ×4, first 2 shown]
	v_add_f32_e32 v31, v31, v33
	v_sub_f32_e32 v33, v34, v36
	v_add_f32_e32 v31, v33, v31
	v_add_f32_e32 v33, v38, v31
	v_mul_f32_e32 v34, v35, v33
	v_mul_f32_e32 v36, v29, v34
	v_fma_f32 v29, v34, v29, -v36
	v_fmac_f32_e32 v29, v34, v14
	v_sub_f32_e32 v14, v38, v33
	v_add_f32_e32 v14, v31, v14
	v_add_f32_e32 v31, v36, v29
	v_sub_f32_e32 v37, v33, v31
	v_sub_f32_e32 v33, v33, v37
	;; [unrolled: 1-line block ×4, first 2 shown]
	v_add_f32_e32 v14, v14, v31
	v_sub_f32_e32 v29, v36, v29
	v_add_f32_e32 v14, v29, v14
	v_add_f32_e32 v29, v32, v34
	;; [unrolled: 1-line block ×3, first 2 shown]
	v_sub_f32_e32 v31, v29, v32
	v_mul_f32_e32 v14, v35, v14
	v_sub_f32_e32 v31, v34, v31
	v_add_f32_e32 v14, v31, v14
	v_cvt_f32_i32_e32 v28, v28
	v_add_f32_e32 v31, v29, v14
	v_mul_f32_e32 v32, v31, v31
	v_mov_b32_e32 v33, 0x3ecc95a3
	v_fmac_f32_e32 v33, 0x3e9b6dac, v32
	v_mov_b32_e32 v34, 0x3f2aaada
	v_fmac_f32_e32 v34, v32, v33
	v_mul_f32_e32 v33, 0x3f317218, v28
	v_fma_f32 v35, v28, s5, -v33
	v_fmac_f32_e32 v35, 0xb102e308, v28
	v_sub_f32_e32 v28, v31, v29
	v_sub_f32_e32 v14, v14, v28
	v_add_f32_e32 v28, v33, v35
	v_sub_f32_e32 v29, v28, v33
	v_ldexp_f32 v33, v31, 1
	v_mul_f32_e32 v31, v31, v32
	v_mul_f32_e32 v31, v31, v34
	v_add_f32_e32 v32, v33, v31
	v_sub_f32_e32 v33, v32, v33
	v_ldexp_f32 v14, v14, 1
	v_sub_f32_e32 v31, v31, v33
	v_add_f32_e32 v14, v14, v31
	v_add_f32_e32 v31, v32, v14
	v_sub_f32_e32 v32, v31, v32
	v_sub_f32_e32 v14, v14, v32
	v_add_f32_e32 v32, v28, v31
	v_sub_f32_e32 v33, v32, v28
	v_sub_f32_e32 v34, v32, v33
	;; [unrolled: 1-line block ×5, first 2 shown]
	v_add_f32_e32 v28, v31, v28
	v_add_f32_e32 v31, v29, v14
	v_sub_f32_e32 v33, v31, v29
	v_sub_f32_e32 v34, v31, v33
	;; [unrolled: 1-line block ×4, first 2 shown]
	v_add_f32_e32 v28, v31, v28
	v_add_f32_e32 v14, v14, v29
	;; [unrolled: 1-line block ×3, first 2 shown]
	v_sub_f32_e32 v31, v29, v32
	v_sub_f32_e32 v28, v28, v31
	v_add_f32_e32 v14, v14, v28
	v_add_f32_e32 v14, v29, v14
	v_cmp_neq_f32_e32 vcc, s4, v2
	s_mov_b32 s4, 0x33800000
	v_cndmask_b32_e32 v14, v30, v14, vcc
	v_cmp_lt_f32_e64 vcc, |v2|, s4
	v_cndmask_b32_e32 v2, v14, v2, vcc
	v_add_f32_e32 v2, v17, v2
	v_cvt_f16_f32_e32 v30, v2
	v_cvt_f32_f16_e32 v14, v30
	v_mov_b32_e32 v2, v30
.LBB391_146:
	s_or_b64 exec, exec, s[2:3]
	v_max_f32_e32 v17, v18, v18
	v_max_f32_e32 v29, v14, v14
	v_min_f32_e32 v28, v29, v17
	v_cmp_u_f16_e32 vcc, v30, v30
	v_max_f32_e32 v17, v29, v17
	v_cndmask_b32_e32 v28, v28, v14, vcc
	v_cndmask_b32_e32 v17, v17, v14, vcc
	v_cndmask_b32_e64 v28, v28, v18, s[56:57]
	v_cndmask_b32_e64 v18, v17, v18, s[56:57]
	s_movk_i32 s4, 0x1f8
	v_cmp_neq_f32_e32 vcc, v28, v18
	v_cmp_class_f32_e64 s[2:3], v28, s4
	s_or_b64 s[6:7], vcc, s[2:3]
	v_mov_b32_e32 v17, v2
	s_and_saveexec_b64 s[2:3], s[6:7]
	s_cbranch_execz .LBB391_148
; %bb.147:
	v_sub_f32_e32 v14, v28, v18
	s_mov_b32 s5, 0x3fb8aa3b
	v_mul_f32_e32 v17, 0x3fb8aa3b, v14
	v_fma_f32 v28, v14, s5, -v17
	v_rndne_f32_e32 v29, v17
	v_fmac_f32_e32 v28, 0x32a5705f, v14
	v_sub_f32_e32 v17, v17, v29
	v_add_f32_e32 v17, v17, v28
	v_exp_f32_e32 v17, v17
	v_cvt_i32_f32_e32 v28, v29
	s_mov_b32 s5, 0xc2ce8ed0
	v_cmp_ngt_f32_e32 vcc, s5, v14
	s_mov_b32 s5, 0x42b17218
	v_ldexp_f32 v17, v17, v28
	v_cndmask_b32_e32 v17, 0, v17, vcc
	v_mov_b32_e32 v30, 0x7f800000
	v_cmp_nlt_f32_e32 vcc, s5, v14
	v_cndmask_b32_e32 v14, v30, v17, vcc
	v_add_f32_e32 v17, 1.0, v14
	v_cvt_f64_f32_e32 v[28:29], v17
	v_add_f32_e32 v31, -1.0, v17
	v_sub_f32_e32 v32, v31, v17
	v_sub_f32_e32 v31, v14, v31
	v_frexp_exp_i32_f64_e32 v28, v[28:29]
	v_add_f32_e32 v29, 1.0, v32
	v_add_f32_e32 v29, v31, v29
	v_frexp_mant_f32_e32 v31, v17
	s_mov_b32 s6, 0x3f2aaaab
	v_cmp_gt_f32_e32 vcc, s6, v31
	s_mov_b32 s6, 0x3f317218
	s_mov_b32 s5, 0x7f800000
	v_subbrev_co_u32_e32 v28, vcc, 0, v28, vcc
	v_sub_u32_e32 v31, 0, v28
	v_ldexp_f32 v17, v17, v31
	v_ldexp_f32 v29, v29, v31
	v_add_f32_e32 v31, -1.0, v17
	v_add_f32_e32 v34, 1.0, v17
	v_add_f32_e32 v32, 1.0, v31
	v_add_f32_e32 v35, -1.0, v34
	v_sub_f32_e32 v32, v17, v32
	v_sub_f32_e32 v17, v17, v35
	v_add_f32_e32 v17, v29, v17
	v_add_f32_e32 v32, v29, v32
	;; [unrolled: 1-line block ×3, first 2 shown]
	v_rcp_f32_e32 v35, v29
	v_add_f32_e32 v33, v31, v32
	v_sub_f32_e32 v31, v31, v33
	v_add_f32_e32 v31, v32, v31
	v_sub_f32_e32 v32, v34, v29
	v_add_f32_e32 v17, v17, v32
	v_mul_f32_e32 v32, v33, v35
	v_mul_f32_e32 v34, v29, v32
	v_fma_f32 v36, v32, v29, -v34
	v_fmac_f32_e32 v36, v32, v17
	v_add_f32_e32 v37, v34, v36
	v_sub_f32_e32 v38, v33, v37
	v_sub_f32_e32 v33, v33, v38
	;; [unrolled: 1-line block ×4, first 2 shown]
	v_add_f32_e32 v31, v31, v33
	v_sub_f32_e32 v33, v34, v36
	v_add_f32_e32 v31, v33, v31
	v_add_f32_e32 v33, v38, v31
	v_mul_f32_e32 v34, v35, v33
	v_mul_f32_e32 v36, v29, v34
	v_fma_f32 v29, v34, v29, -v36
	v_fmac_f32_e32 v29, v34, v17
	v_sub_f32_e32 v17, v38, v33
	v_add_f32_e32 v17, v31, v17
	v_add_f32_e32 v31, v36, v29
	v_sub_f32_e32 v37, v33, v31
	v_sub_f32_e32 v33, v33, v37
	;; [unrolled: 1-line block ×4, first 2 shown]
	v_add_f32_e32 v17, v17, v31
	v_sub_f32_e32 v29, v36, v29
	v_add_f32_e32 v17, v29, v17
	v_add_f32_e32 v29, v32, v34
	;; [unrolled: 1-line block ×3, first 2 shown]
	v_sub_f32_e32 v31, v29, v32
	v_mul_f32_e32 v17, v35, v17
	v_sub_f32_e32 v31, v34, v31
	v_add_f32_e32 v17, v31, v17
	v_cvt_f32_i32_e32 v28, v28
	v_add_f32_e32 v31, v29, v17
	v_mul_f32_e32 v32, v31, v31
	v_mov_b32_e32 v33, 0x3ecc95a3
	v_fmac_f32_e32 v33, 0x3e9b6dac, v32
	v_mov_b32_e32 v34, 0x3f2aaada
	v_fmac_f32_e32 v34, v32, v33
	v_mul_f32_e32 v33, 0x3f317218, v28
	v_fma_f32 v35, v28, s6, -v33
	v_fmac_f32_e32 v35, 0xb102e308, v28
	v_sub_f32_e32 v28, v31, v29
	v_sub_f32_e32 v17, v17, v28
	v_add_f32_e32 v28, v33, v35
	v_sub_f32_e32 v29, v28, v33
	v_ldexp_f32 v33, v31, 1
	v_mul_f32_e32 v31, v31, v32
	v_mul_f32_e32 v31, v31, v34
	v_add_f32_e32 v32, v33, v31
	v_sub_f32_e32 v33, v32, v33
	v_ldexp_f32 v17, v17, 1
	v_sub_f32_e32 v31, v31, v33
	v_add_f32_e32 v17, v17, v31
	v_add_f32_e32 v31, v32, v17
	v_sub_f32_e32 v32, v31, v32
	v_sub_f32_e32 v17, v17, v32
	v_add_f32_e32 v32, v28, v31
	v_sub_f32_e32 v33, v32, v28
	v_sub_f32_e32 v34, v32, v33
	;; [unrolled: 1-line block ×5, first 2 shown]
	v_add_f32_e32 v28, v31, v28
	v_add_f32_e32 v31, v29, v17
	v_sub_f32_e32 v33, v31, v29
	v_sub_f32_e32 v34, v31, v33
	;; [unrolled: 1-line block ×4, first 2 shown]
	v_add_f32_e32 v28, v31, v28
	v_add_f32_e32 v17, v17, v29
	;; [unrolled: 1-line block ×3, first 2 shown]
	v_sub_f32_e32 v31, v29, v32
	v_sub_f32_e32 v28, v28, v31
	v_add_f32_e32 v17, v17, v28
	v_add_f32_e32 v17, v29, v17
	v_cmp_neq_f32_e32 vcc, s5, v14
	s_mov_b32 s5, 0x33800000
	v_cndmask_b32_e32 v17, v30, v17, vcc
	v_cmp_lt_f32_e64 vcc, |v14|, s5
	v_cndmask_b32_e32 v14, v17, v14, vcc
	v_add_f32_e32 v14, v18, v14
	v_cvt_f16_f32_e32 v30, v14
	v_cvt_f32_f16_e32 v14, v30
	v_mov_b32_e32 v17, v30
.LBB391_148:
	s_or_b64 exec, exec, s[2:3]
	v_max_f32_e32 v18, v3, v3
	v_max_f32_e32 v29, v14, v14
	v_min_f32_e32 v28, v29, v18
	v_cmp_u_f16_e32 vcc, v30, v30
	v_max_f32_e32 v18, v29, v18
	v_cndmask_b32_e32 v28, v28, v14, vcc
	v_cndmask_b32_e32 v18, v18, v14, vcc
	v_cndmask_b32_e64 v28, v28, v3, s[58:59]
	v_cndmask_b32_e64 v18, v18, v3, s[58:59]
	v_cmp_neq_f32_e32 vcc, v28, v18
	v_cmp_class_f32_e64 s[2:3], v28, s4
	s_or_b64 s[4:5], vcc, s[2:3]
	v_mov_b32_e32 v3, v17
	s_and_saveexec_b64 s[2:3], s[4:5]
	s_cbranch_execz .LBB391_150
; %bb.149:
	v_sub_f32_e32 v3, v28, v18
	s_mov_b32 s4, 0x3fb8aa3b
	v_mul_f32_e32 v14, 0x3fb8aa3b, v3
	v_fma_f32 v28, v3, s4, -v14
	v_rndne_f32_e32 v29, v14
	v_fmac_f32_e32 v28, 0x32a5705f, v3
	v_sub_f32_e32 v14, v14, v29
	v_add_f32_e32 v14, v14, v28
	v_exp_f32_e32 v14, v14
	v_cvt_i32_f32_e32 v28, v29
	s_mov_b32 s4, 0xc2ce8ed0
	v_cmp_ngt_f32_e32 vcc, s4, v3
	s_mov_b32 s4, 0x42b17218
	v_ldexp_f32 v14, v14, v28
	v_cndmask_b32_e32 v14, 0, v14, vcc
	v_mov_b32_e32 v30, 0x7f800000
	v_cmp_nlt_f32_e32 vcc, s4, v3
	v_cndmask_b32_e32 v3, v30, v14, vcc
	v_add_f32_e32 v14, 1.0, v3
	v_cvt_f64_f32_e32 v[28:29], v14
	v_add_f32_e32 v31, -1.0, v14
	v_sub_f32_e32 v32, v31, v14
	v_sub_f32_e32 v31, v3, v31
	v_frexp_exp_i32_f64_e32 v28, v[28:29]
	v_add_f32_e32 v29, 1.0, v32
	v_add_f32_e32 v29, v31, v29
	v_frexp_mant_f32_e32 v31, v14
	s_mov_b32 s5, 0x3f2aaaab
	v_cmp_gt_f32_e32 vcc, s5, v31
	s_mov_b32 s5, 0x3f317218
	s_mov_b32 s4, 0x7f800000
	v_subbrev_co_u32_e32 v28, vcc, 0, v28, vcc
	v_sub_u32_e32 v31, 0, v28
	v_ldexp_f32 v14, v14, v31
	v_ldexp_f32 v29, v29, v31
	v_add_f32_e32 v31, -1.0, v14
	v_add_f32_e32 v34, 1.0, v14
	v_add_f32_e32 v32, 1.0, v31
	v_add_f32_e32 v35, -1.0, v34
	v_sub_f32_e32 v32, v14, v32
	v_sub_f32_e32 v14, v14, v35
	v_add_f32_e32 v14, v29, v14
	v_add_f32_e32 v32, v29, v32
	;; [unrolled: 1-line block ×3, first 2 shown]
	v_rcp_f32_e32 v35, v29
	v_add_f32_e32 v33, v31, v32
	v_sub_f32_e32 v31, v31, v33
	v_add_f32_e32 v31, v32, v31
	v_sub_f32_e32 v32, v34, v29
	v_add_f32_e32 v14, v14, v32
	v_mul_f32_e32 v32, v33, v35
	v_mul_f32_e32 v34, v29, v32
	v_fma_f32 v36, v32, v29, -v34
	v_fmac_f32_e32 v36, v32, v14
	v_add_f32_e32 v37, v34, v36
	v_sub_f32_e32 v38, v33, v37
	v_sub_f32_e32 v33, v33, v38
	v_sub_f32_e32 v34, v37, v34
	v_sub_f32_e32 v33, v33, v37
	v_add_f32_e32 v31, v31, v33
	v_sub_f32_e32 v33, v34, v36
	v_add_f32_e32 v31, v33, v31
	v_add_f32_e32 v33, v38, v31
	v_mul_f32_e32 v34, v35, v33
	v_mul_f32_e32 v36, v29, v34
	v_fma_f32 v29, v34, v29, -v36
	v_fmac_f32_e32 v29, v34, v14
	v_sub_f32_e32 v14, v38, v33
	v_add_f32_e32 v14, v31, v14
	v_add_f32_e32 v31, v36, v29
	v_sub_f32_e32 v37, v33, v31
	v_sub_f32_e32 v33, v33, v37
	;; [unrolled: 1-line block ×4, first 2 shown]
	v_add_f32_e32 v14, v14, v31
	v_sub_f32_e32 v29, v36, v29
	v_add_f32_e32 v14, v29, v14
	v_add_f32_e32 v29, v32, v34
	;; [unrolled: 1-line block ×3, first 2 shown]
	v_sub_f32_e32 v31, v29, v32
	v_mul_f32_e32 v14, v35, v14
	v_sub_f32_e32 v31, v34, v31
	v_add_f32_e32 v14, v31, v14
	v_cvt_f32_i32_e32 v28, v28
	v_add_f32_e32 v31, v29, v14
	v_mul_f32_e32 v32, v31, v31
	v_mov_b32_e32 v33, 0x3ecc95a3
	v_fmac_f32_e32 v33, 0x3e9b6dac, v32
	v_mov_b32_e32 v34, 0x3f2aaada
	v_fmac_f32_e32 v34, v32, v33
	v_mul_f32_e32 v33, 0x3f317218, v28
	v_fma_f32 v35, v28, s5, -v33
	v_fmac_f32_e32 v35, 0xb102e308, v28
	v_sub_f32_e32 v28, v31, v29
	v_sub_f32_e32 v14, v14, v28
	v_add_f32_e32 v28, v33, v35
	v_sub_f32_e32 v29, v28, v33
	v_ldexp_f32 v33, v31, 1
	v_mul_f32_e32 v31, v31, v32
	v_mul_f32_e32 v31, v31, v34
	v_add_f32_e32 v32, v33, v31
	v_sub_f32_e32 v33, v32, v33
	v_ldexp_f32 v14, v14, 1
	v_sub_f32_e32 v31, v31, v33
	v_add_f32_e32 v14, v14, v31
	v_add_f32_e32 v31, v32, v14
	v_sub_f32_e32 v32, v31, v32
	v_sub_f32_e32 v14, v14, v32
	v_add_f32_e32 v32, v28, v31
	v_sub_f32_e32 v33, v32, v28
	v_sub_f32_e32 v34, v32, v33
	;; [unrolled: 1-line block ×5, first 2 shown]
	v_add_f32_e32 v28, v31, v28
	v_add_f32_e32 v31, v29, v14
	v_sub_f32_e32 v33, v31, v29
	v_sub_f32_e32 v34, v31, v33
	;; [unrolled: 1-line block ×4, first 2 shown]
	v_add_f32_e32 v28, v31, v28
	v_add_f32_e32 v14, v14, v29
	;; [unrolled: 1-line block ×3, first 2 shown]
	v_sub_f32_e32 v31, v29, v32
	v_sub_f32_e32 v28, v28, v31
	v_add_f32_e32 v14, v14, v28
	v_add_f32_e32 v14, v29, v14
	v_cmp_neq_f32_e32 vcc, s4, v3
	s_mov_b32 s4, 0x33800000
	v_cndmask_b32_e32 v14, v30, v14, vcc
	v_cmp_lt_f32_e64 vcc, |v3|, s4
	v_cndmask_b32_e32 v3, v14, v3, vcc
	v_add_f32_e32 v3, v18, v3
	v_cvt_f16_f32_e32 v30, v3
	v_cvt_f32_f16_e32 v14, v30
	v_mov_b32_e32 v3, v30
.LBB391_150:
	s_or_b64 exec, exec, s[2:3]
	v_max_f32_e32 v18, v19, v19
	v_max_f32_e32 v29, v14, v14
	v_min_f32_e32 v28, v29, v18
	v_cmp_u_f16_e32 vcc, v30, v30
	v_max_f32_e32 v18, v29, v18
	v_cndmask_b32_e32 v28, v28, v14, vcc
	v_cndmask_b32_e32 v18, v18, v14, vcc
	v_cndmask_b32_e64 v28, v28, v19, s[60:61]
	v_cndmask_b32_e64 v19, v18, v19, s[60:61]
	s_movk_i32 s4, 0x1f8
	v_cmp_neq_f32_e32 vcc, v28, v19
	v_cmp_class_f32_e64 s[2:3], v28, s4
	s_or_b64 s[6:7], vcc, s[2:3]
	v_mov_b32_e32 v18, v3
	s_and_saveexec_b64 s[2:3], s[6:7]
	s_cbranch_execz .LBB391_152
; %bb.151:
	v_sub_f32_e32 v14, v28, v19
	s_mov_b32 s5, 0x3fb8aa3b
	v_mul_f32_e32 v18, 0x3fb8aa3b, v14
	v_fma_f32 v28, v14, s5, -v18
	v_rndne_f32_e32 v29, v18
	v_fmac_f32_e32 v28, 0x32a5705f, v14
	v_sub_f32_e32 v18, v18, v29
	v_add_f32_e32 v18, v18, v28
	v_exp_f32_e32 v18, v18
	v_cvt_i32_f32_e32 v28, v29
	s_mov_b32 s5, 0xc2ce8ed0
	v_cmp_ngt_f32_e32 vcc, s5, v14
	s_mov_b32 s5, 0x42b17218
	v_ldexp_f32 v18, v18, v28
	v_cndmask_b32_e32 v18, 0, v18, vcc
	v_mov_b32_e32 v30, 0x7f800000
	v_cmp_nlt_f32_e32 vcc, s5, v14
	v_cndmask_b32_e32 v14, v30, v18, vcc
	v_add_f32_e32 v18, 1.0, v14
	v_cvt_f64_f32_e32 v[28:29], v18
	v_add_f32_e32 v31, -1.0, v18
	v_sub_f32_e32 v32, v31, v18
	v_sub_f32_e32 v31, v14, v31
	v_frexp_exp_i32_f64_e32 v28, v[28:29]
	v_add_f32_e32 v29, 1.0, v32
	v_add_f32_e32 v29, v31, v29
	v_frexp_mant_f32_e32 v31, v18
	s_mov_b32 s6, 0x3f2aaaab
	v_cmp_gt_f32_e32 vcc, s6, v31
	s_mov_b32 s6, 0x3f317218
	s_mov_b32 s5, 0x7f800000
	v_subbrev_co_u32_e32 v28, vcc, 0, v28, vcc
	v_sub_u32_e32 v31, 0, v28
	v_ldexp_f32 v18, v18, v31
	v_ldexp_f32 v29, v29, v31
	v_add_f32_e32 v31, -1.0, v18
	v_add_f32_e32 v34, 1.0, v18
	v_add_f32_e32 v32, 1.0, v31
	v_add_f32_e32 v35, -1.0, v34
	v_sub_f32_e32 v32, v18, v32
	v_sub_f32_e32 v18, v18, v35
	v_add_f32_e32 v18, v29, v18
	v_add_f32_e32 v32, v29, v32
	;; [unrolled: 1-line block ×3, first 2 shown]
	v_rcp_f32_e32 v35, v29
	v_add_f32_e32 v33, v31, v32
	v_sub_f32_e32 v31, v31, v33
	v_add_f32_e32 v31, v32, v31
	v_sub_f32_e32 v32, v34, v29
	v_add_f32_e32 v18, v18, v32
	v_mul_f32_e32 v32, v33, v35
	v_mul_f32_e32 v34, v29, v32
	v_fma_f32 v36, v32, v29, -v34
	v_fmac_f32_e32 v36, v32, v18
	v_add_f32_e32 v37, v34, v36
	v_sub_f32_e32 v38, v33, v37
	v_sub_f32_e32 v33, v33, v38
	;; [unrolled: 1-line block ×4, first 2 shown]
	v_add_f32_e32 v31, v31, v33
	v_sub_f32_e32 v33, v34, v36
	v_add_f32_e32 v31, v33, v31
	v_add_f32_e32 v33, v38, v31
	v_mul_f32_e32 v34, v35, v33
	v_mul_f32_e32 v36, v29, v34
	v_fma_f32 v29, v34, v29, -v36
	v_fmac_f32_e32 v29, v34, v18
	v_sub_f32_e32 v18, v38, v33
	v_add_f32_e32 v18, v31, v18
	v_add_f32_e32 v31, v36, v29
	v_sub_f32_e32 v37, v33, v31
	v_sub_f32_e32 v33, v33, v37
	;; [unrolled: 1-line block ×4, first 2 shown]
	v_add_f32_e32 v18, v18, v31
	v_sub_f32_e32 v29, v36, v29
	v_add_f32_e32 v18, v29, v18
	v_add_f32_e32 v29, v32, v34
	;; [unrolled: 1-line block ×3, first 2 shown]
	v_sub_f32_e32 v31, v29, v32
	v_mul_f32_e32 v18, v35, v18
	v_sub_f32_e32 v31, v34, v31
	v_add_f32_e32 v18, v31, v18
	v_cvt_f32_i32_e32 v28, v28
	v_add_f32_e32 v31, v29, v18
	v_mul_f32_e32 v32, v31, v31
	v_mov_b32_e32 v33, 0x3ecc95a3
	v_fmac_f32_e32 v33, 0x3e9b6dac, v32
	v_mov_b32_e32 v34, 0x3f2aaada
	v_fmac_f32_e32 v34, v32, v33
	v_mul_f32_e32 v33, 0x3f317218, v28
	v_fma_f32 v35, v28, s6, -v33
	v_fmac_f32_e32 v35, 0xb102e308, v28
	v_sub_f32_e32 v28, v31, v29
	v_sub_f32_e32 v18, v18, v28
	v_add_f32_e32 v28, v33, v35
	v_sub_f32_e32 v29, v28, v33
	v_ldexp_f32 v33, v31, 1
	v_mul_f32_e32 v31, v31, v32
	v_mul_f32_e32 v31, v31, v34
	v_add_f32_e32 v32, v33, v31
	v_sub_f32_e32 v33, v32, v33
	v_ldexp_f32 v18, v18, 1
	v_sub_f32_e32 v31, v31, v33
	v_add_f32_e32 v18, v18, v31
	v_add_f32_e32 v31, v32, v18
	v_sub_f32_e32 v32, v31, v32
	v_sub_f32_e32 v18, v18, v32
	v_add_f32_e32 v32, v28, v31
	v_sub_f32_e32 v33, v32, v28
	v_sub_f32_e32 v34, v32, v33
	;; [unrolled: 1-line block ×5, first 2 shown]
	v_add_f32_e32 v28, v31, v28
	v_add_f32_e32 v31, v29, v18
	v_sub_f32_e32 v33, v31, v29
	v_sub_f32_e32 v34, v31, v33
	;; [unrolled: 1-line block ×4, first 2 shown]
	v_add_f32_e32 v28, v31, v28
	v_add_f32_e32 v18, v18, v29
	;; [unrolled: 1-line block ×3, first 2 shown]
	v_sub_f32_e32 v31, v29, v32
	v_sub_f32_e32 v28, v28, v31
	v_add_f32_e32 v18, v18, v28
	v_add_f32_e32 v18, v29, v18
	v_cmp_neq_f32_e32 vcc, s5, v14
	s_mov_b32 s5, 0x33800000
	v_cndmask_b32_e32 v18, v30, v18, vcc
	v_cmp_lt_f32_e64 vcc, |v14|, s5
	v_cndmask_b32_e32 v14, v18, v14, vcc
	v_add_f32_e32 v14, v19, v14
	v_cvt_f16_f32_e32 v30, v14
	v_cvt_f32_f16_e32 v14, v30
	v_mov_b32_e32 v18, v30
.LBB391_152:
	s_or_b64 exec, exec, s[2:3]
	v_max_f32_e32 v19, v4, v4
	v_max_f32_e32 v29, v14, v14
	v_min_f32_e32 v28, v29, v19
	v_cmp_u_f16_e32 vcc, v30, v30
	v_max_f32_e32 v19, v29, v19
	v_cndmask_b32_e32 v28, v28, v14, vcc
	v_cndmask_b32_e32 v19, v19, v14, vcc
	v_cndmask_b32_e64 v28, v28, v4, s[62:63]
	v_cndmask_b32_e64 v19, v19, v4, s[62:63]
	v_cmp_neq_f32_e32 vcc, v28, v19
	v_cmp_class_f32_e64 s[2:3], v28, s4
	s_or_b64 s[4:5], vcc, s[2:3]
	v_mov_b32_e32 v4, v18
	s_and_saveexec_b64 s[2:3], s[4:5]
	s_cbranch_execz .LBB391_154
; %bb.153:
	v_sub_f32_e32 v4, v28, v19
	s_mov_b32 s4, 0x3fb8aa3b
	v_mul_f32_e32 v14, 0x3fb8aa3b, v4
	v_fma_f32 v28, v4, s4, -v14
	v_rndne_f32_e32 v29, v14
	v_fmac_f32_e32 v28, 0x32a5705f, v4
	v_sub_f32_e32 v14, v14, v29
	v_add_f32_e32 v14, v14, v28
	v_exp_f32_e32 v14, v14
	v_cvt_i32_f32_e32 v28, v29
	s_mov_b32 s4, 0xc2ce8ed0
	v_cmp_ngt_f32_e32 vcc, s4, v4
	s_mov_b32 s4, 0x42b17218
	v_ldexp_f32 v14, v14, v28
	v_cndmask_b32_e32 v14, 0, v14, vcc
	v_mov_b32_e32 v30, 0x7f800000
	v_cmp_nlt_f32_e32 vcc, s4, v4
	v_cndmask_b32_e32 v4, v30, v14, vcc
	v_add_f32_e32 v14, 1.0, v4
	v_cvt_f64_f32_e32 v[28:29], v14
	v_add_f32_e32 v31, -1.0, v14
	v_sub_f32_e32 v32, v31, v14
	v_sub_f32_e32 v31, v4, v31
	v_frexp_exp_i32_f64_e32 v28, v[28:29]
	v_add_f32_e32 v29, 1.0, v32
	v_add_f32_e32 v29, v31, v29
	v_frexp_mant_f32_e32 v31, v14
	s_mov_b32 s5, 0x3f2aaaab
	v_cmp_gt_f32_e32 vcc, s5, v31
	s_mov_b32 s5, 0x3f317218
	s_mov_b32 s4, 0x7f800000
	v_subbrev_co_u32_e32 v28, vcc, 0, v28, vcc
	v_sub_u32_e32 v31, 0, v28
	v_ldexp_f32 v14, v14, v31
	v_ldexp_f32 v29, v29, v31
	v_add_f32_e32 v31, -1.0, v14
	v_add_f32_e32 v34, 1.0, v14
	v_add_f32_e32 v32, 1.0, v31
	v_add_f32_e32 v35, -1.0, v34
	v_sub_f32_e32 v32, v14, v32
	v_sub_f32_e32 v14, v14, v35
	v_add_f32_e32 v14, v29, v14
	v_add_f32_e32 v32, v29, v32
	;; [unrolled: 1-line block ×3, first 2 shown]
	v_rcp_f32_e32 v35, v29
	v_add_f32_e32 v33, v31, v32
	v_sub_f32_e32 v31, v31, v33
	v_add_f32_e32 v31, v32, v31
	v_sub_f32_e32 v32, v34, v29
	v_add_f32_e32 v14, v14, v32
	v_mul_f32_e32 v32, v33, v35
	v_mul_f32_e32 v34, v29, v32
	v_fma_f32 v36, v32, v29, -v34
	v_fmac_f32_e32 v36, v32, v14
	v_add_f32_e32 v37, v34, v36
	v_sub_f32_e32 v38, v33, v37
	v_sub_f32_e32 v33, v33, v38
	;; [unrolled: 1-line block ×4, first 2 shown]
	v_add_f32_e32 v31, v31, v33
	v_sub_f32_e32 v33, v34, v36
	v_add_f32_e32 v31, v33, v31
	v_add_f32_e32 v33, v38, v31
	v_mul_f32_e32 v34, v35, v33
	v_mul_f32_e32 v36, v29, v34
	v_fma_f32 v29, v34, v29, -v36
	v_fmac_f32_e32 v29, v34, v14
	v_sub_f32_e32 v14, v38, v33
	v_add_f32_e32 v14, v31, v14
	v_add_f32_e32 v31, v36, v29
	v_sub_f32_e32 v37, v33, v31
	v_sub_f32_e32 v33, v33, v37
	;; [unrolled: 1-line block ×4, first 2 shown]
	v_add_f32_e32 v14, v14, v31
	v_sub_f32_e32 v29, v36, v29
	v_add_f32_e32 v14, v29, v14
	v_add_f32_e32 v29, v32, v34
	;; [unrolled: 1-line block ×3, first 2 shown]
	v_sub_f32_e32 v31, v29, v32
	v_mul_f32_e32 v14, v35, v14
	v_sub_f32_e32 v31, v34, v31
	v_add_f32_e32 v14, v31, v14
	v_cvt_f32_i32_e32 v28, v28
	v_add_f32_e32 v31, v29, v14
	v_mul_f32_e32 v32, v31, v31
	v_mov_b32_e32 v33, 0x3ecc95a3
	v_fmac_f32_e32 v33, 0x3e9b6dac, v32
	v_mov_b32_e32 v34, 0x3f2aaada
	v_fmac_f32_e32 v34, v32, v33
	v_mul_f32_e32 v33, 0x3f317218, v28
	v_fma_f32 v35, v28, s5, -v33
	v_fmac_f32_e32 v35, 0xb102e308, v28
	v_sub_f32_e32 v28, v31, v29
	v_sub_f32_e32 v14, v14, v28
	v_add_f32_e32 v28, v33, v35
	v_sub_f32_e32 v29, v28, v33
	v_ldexp_f32 v33, v31, 1
	v_mul_f32_e32 v31, v31, v32
	v_mul_f32_e32 v31, v31, v34
	v_add_f32_e32 v32, v33, v31
	v_sub_f32_e32 v33, v32, v33
	v_ldexp_f32 v14, v14, 1
	v_sub_f32_e32 v31, v31, v33
	v_add_f32_e32 v14, v14, v31
	v_add_f32_e32 v31, v32, v14
	v_sub_f32_e32 v32, v31, v32
	v_sub_f32_e32 v14, v14, v32
	v_add_f32_e32 v32, v28, v31
	v_sub_f32_e32 v33, v32, v28
	v_sub_f32_e32 v34, v32, v33
	;; [unrolled: 1-line block ×5, first 2 shown]
	v_add_f32_e32 v28, v31, v28
	v_add_f32_e32 v31, v29, v14
	v_sub_f32_e32 v33, v31, v29
	v_sub_f32_e32 v34, v31, v33
	v_sub_f32_e32 v29, v29, v34
	v_sub_f32_e32 v14, v14, v33
	v_add_f32_e32 v28, v31, v28
	v_add_f32_e32 v14, v14, v29
	v_add_f32_e32 v29, v32, v28
	v_sub_f32_e32 v31, v29, v32
	v_sub_f32_e32 v28, v28, v31
	v_add_f32_e32 v14, v14, v28
	v_add_f32_e32 v14, v29, v14
	v_cmp_neq_f32_e32 vcc, s4, v4
	s_mov_b32 s4, 0x33800000
	v_cndmask_b32_e32 v14, v30, v14, vcc
	v_cmp_lt_f32_e64 vcc, |v4|, s4
	v_cndmask_b32_e32 v4, v14, v4, vcc
	v_add_f32_e32 v4, v19, v4
	v_cvt_f16_f32_e32 v30, v4
	v_cvt_f32_f16_e32 v14, v30
	v_mov_b32_e32 v4, v30
.LBB391_154:
	s_or_b64 exec, exec, s[2:3]
	v_max_f32_e32 v19, v20, v20
	v_max_f32_e32 v29, v14, v14
	v_min_f32_e32 v28, v29, v19
	v_cmp_u_f16_e32 vcc, v30, v30
	v_max_f32_e32 v19, v29, v19
	v_cndmask_b32_e32 v28, v28, v14, vcc
	v_cndmask_b32_e32 v19, v19, v14, vcc
	v_cndmask_b32_e64 v28, v28, v20, s[64:65]
	v_cndmask_b32_e64 v20, v19, v20, s[64:65]
	s_movk_i32 s4, 0x1f8
	v_cmp_neq_f32_e32 vcc, v28, v20
	v_cmp_class_f32_e64 s[2:3], v28, s4
	s_or_b64 s[6:7], vcc, s[2:3]
	v_mov_b32_e32 v19, v4
	s_and_saveexec_b64 s[2:3], s[6:7]
	s_cbranch_execz .LBB391_156
; %bb.155:
	v_sub_f32_e32 v14, v28, v20
	s_mov_b32 s5, 0x3fb8aa3b
	v_mul_f32_e32 v19, 0x3fb8aa3b, v14
	v_fma_f32 v28, v14, s5, -v19
	v_rndne_f32_e32 v29, v19
	v_fmac_f32_e32 v28, 0x32a5705f, v14
	v_sub_f32_e32 v19, v19, v29
	v_add_f32_e32 v19, v19, v28
	v_exp_f32_e32 v19, v19
	v_cvt_i32_f32_e32 v28, v29
	s_mov_b32 s5, 0xc2ce8ed0
	v_cmp_ngt_f32_e32 vcc, s5, v14
	s_mov_b32 s5, 0x42b17218
	v_ldexp_f32 v19, v19, v28
	v_cndmask_b32_e32 v19, 0, v19, vcc
	v_mov_b32_e32 v30, 0x7f800000
	v_cmp_nlt_f32_e32 vcc, s5, v14
	v_cndmask_b32_e32 v14, v30, v19, vcc
	v_add_f32_e32 v19, 1.0, v14
	v_cvt_f64_f32_e32 v[28:29], v19
	v_add_f32_e32 v31, -1.0, v19
	v_sub_f32_e32 v32, v31, v19
	v_sub_f32_e32 v31, v14, v31
	v_frexp_exp_i32_f64_e32 v28, v[28:29]
	v_add_f32_e32 v29, 1.0, v32
	v_add_f32_e32 v29, v31, v29
	v_frexp_mant_f32_e32 v31, v19
	s_mov_b32 s6, 0x3f2aaaab
	v_cmp_gt_f32_e32 vcc, s6, v31
	s_mov_b32 s6, 0x3f317218
	s_mov_b32 s5, 0x7f800000
	v_subbrev_co_u32_e32 v28, vcc, 0, v28, vcc
	v_sub_u32_e32 v31, 0, v28
	v_ldexp_f32 v19, v19, v31
	v_ldexp_f32 v29, v29, v31
	v_add_f32_e32 v31, -1.0, v19
	v_add_f32_e32 v34, 1.0, v19
	v_add_f32_e32 v32, 1.0, v31
	v_add_f32_e32 v35, -1.0, v34
	v_sub_f32_e32 v32, v19, v32
	v_sub_f32_e32 v19, v19, v35
	v_add_f32_e32 v19, v29, v19
	v_add_f32_e32 v32, v29, v32
	;; [unrolled: 1-line block ×3, first 2 shown]
	v_rcp_f32_e32 v35, v29
	v_add_f32_e32 v33, v31, v32
	v_sub_f32_e32 v31, v31, v33
	v_add_f32_e32 v31, v32, v31
	v_sub_f32_e32 v32, v34, v29
	v_add_f32_e32 v19, v19, v32
	v_mul_f32_e32 v32, v33, v35
	v_mul_f32_e32 v34, v29, v32
	v_fma_f32 v36, v32, v29, -v34
	v_fmac_f32_e32 v36, v32, v19
	v_add_f32_e32 v37, v34, v36
	v_sub_f32_e32 v38, v33, v37
	v_sub_f32_e32 v33, v33, v38
	;; [unrolled: 1-line block ×4, first 2 shown]
	v_add_f32_e32 v31, v31, v33
	v_sub_f32_e32 v33, v34, v36
	v_add_f32_e32 v31, v33, v31
	v_add_f32_e32 v33, v38, v31
	v_mul_f32_e32 v34, v35, v33
	v_mul_f32_e32 v36, v29, v34
	v_fma_f32 v29, v34, v29, -v36
	v_fmac_f32_e32 v29, v34, v19
	v_sub_f32_e32 v19, v38, v33
	v_add_f32_e32 v19, v31, v19
	v_add_f32_e32 v31, v36, v29
	v_sub_f32_e32 v37, v33, v31
	v_sub_f32_e32 v33, v33, v37
	;; [unrolled: 1-line block ×4, first 2 shown]
	v_add_f32_e32 v19, v19, v31
	v_sub_f32_e32 v29, v36, v29
	v_add_f32_e32 v19, v29, v19
	v_add_f32_e32 v29, v32, v34
	;; [unrolled: 1-line block ×3, first 2 shown]
	v_sub_f32_e32 v31, v29, v32
	v_mul_f32_e32 v19, v35, v19
	v_sub_f32_e32 v31, v34, v31
	v_add_f32_e32 v19, v31, v19
	v_cvt_f32_i32_e32 v28, v28
	v_add_f32_e32 v31, v29, v19
	v_mul_f32_e32 v32, v31, v31
	v_mov_b32_e32 v33, 0x3ecc95a3
	v_fmac_f32_e32 v33, 0x3e9b6dac, v32
	v_mov_b32_e32 v34, 0x3f2aaada
	v_fmac_f32_e32 v34, v32, v33
	v_mul_f32_e32 v33, 0x3f317218, v28
	v_fma_f32 v35, v28, s6, -v33
	v_fmac_f32_e32 v35, 0xb102e308, v28
	v_sub_f32_e32 v28, v31, v29
	v_sub_f32_e32 v19, v19, v28
	v_add_f32_e32 v28, v33, v35
	v_sub_f32_e32 v29, v28, v33
	v_ldexp_f32 v33, v31, 1
	v_mul_f32_e32 v31, v31, v32
	v_mul_f32_e32 v31, v31, v34
	v_add_f32_e32 v32, v33, v31
	v_sub_f32_e32 v33, v32, v33
	v_ldexp_f32 v19, v19, 1
	v_sub_f32_e32 v31, v31, v33
	v_add_f32_e32 v19, v19, v31
	v_add_f32_e32 v31, v32, v19
	v_sub_f32_e32 v32, v31, v32
	v_sub_f32_e32 v19, v19, v32
	v_add_f32_e32 v32, v28, v31
	v_sub_f32_e32 v33, v32, v28
	v_sub_f32_e32 v34, v32, v33
	;; [unrolled: 1-line block ×5, first 2 shown]
	v_add_f32_e32 v28, v31, v28
	v_add_f32_e32 v31, v29, v19
	v_sub_f32_e32 v33, v31, v29
	v_sub_f32_e32 v34, v31, v33
	;; [unrolled: 1-line block ×4, first 2 shown]
	v_add_f32_e32 v28, v31, v28
	v_add_f32_e32 v19, v19, v29
	;; [unrolled: 1-line block ×3, first 2 shown]
	v_sub_f32_e32 v31, v29, v32
	v_sub_f32_e32 v28, v28, v31
	v_add_f32_e32 v19, v19, v28
	v_add_f32_e32 v19, v29, v19
	v_cmp_neq_f32_e32 vcc, s5, v14
	s_mov_b32 s5, 0x33800000
	v_cndmask_b32_e32 v19, v30, v19, vcc
	v_cmp_lt_f32_e64 vcc, |v14|, s5
	v_cndmask_b32_e32 v14, v19, v14, vcc
	v_add_f32_e32 v14, v20, v14
	v_cvt_f16_f32_e32 v30, v14
	v_cvt_f32_f16_e32 v14, v30
	v_mov_b32_e32 v19, v30
.LBB391_156:
	s_or_b64 exec, exec, s[2:3]
	v_max_f32_e32 v20, v9, v9
	v_max_f32_e32 v29, v14, v14
	v_min_f32_e32 v28, v29, v20
	v_cmp_u_f16_e32 vcc, v30, v30
	v_max_f32_e32 v20, v29, v20
	v_cndmask_b32_e32 v28, v28, v14, vcc
	v_cndmask_b32_e32 v20, v20, v14, vcc
	v_cndmask_b32_e64 v28, v28, v9, s[66:67]
	v_cndmask_b32_e64 v20, v20, v9, s[66:67]
	v_cmp_neq_f32_e32 vcc, v28, v20
	v_cmp_class_f32_e64 s[2:3], v28, s4
	s_or_b64 s[4:5], vcc, s[2:3]
	v_mov_b32_e32 v9, v19
	s_and_saveexec_b64 s[2:3], s[4:5]
	s_cbranch_execz .LBB391_158
; %bb.157:
	v_sub_f32_e32 v9, v28, v20
	s_mov_b32 s4, 0x3fb8aa3b
	v_mul_f32_e32 v14, 0x3fb8aa3b, v9
	v_fma_f32 v28, v9, s4, -v14
	v_rndne_f32_e32 v29, v14
	v_fmac_f32_e32 v28, 0x32a5705f, v9
	v_sub_f32_e32 v14, v14, v29
	v_add_f32_e32 v14, v14, v28
	v_exp_f32_e32 v14, v14
	v_cvt_i32_f32_e32 v28, v29
	s_mov_b32 s4, 0xc2ce8ed0
	v_cmp_ngt_f32_e32 vcc, s4, v9
	s_mov_b32 s4, 0x42b17218
	v_ldexp_f32 v14, v14, v28
	v_cndmask_b32_e32 v14, 0, v14, vcc
	v_mov_b32_e32 v30, 0x7f800000
	v_cmp_nlt_f32_e32 vcc, s4, v9
	v_cndmask_b32_e32 v9, v30, v14, vcc
	v_add_f32_e32 v14, 1.0, v9
	v_cvt_f64_f32_e32 v[28:29], v14
	v_add_f32_e32 v31, -1.0, v14
	v_sub_f32_e32 v32, v31, v14
	v_sub_f32_e32 v31, v9, v31
	v_frexp_exp_i32_f64_e32 v28, v[28:29]
	v_add_f32_e32 v29, 1.0, v32
	v_add_f32_e32 v29, v31, v29
	v_frexp_mant_f32_e32 v31, v14
	s_mov_b32 s5, 0x3f2aaaab
	v_cmp_gt_f32_e32 vcc, s5, v31
	s_mov_b32 s5, 0x3f317218
	s_mov_b32 s4, 0x7f800000
	v_subbrev_co_u32_e32 v28, vcc, 0, v28, vcc
	v_sub_u32_e32 v31, 0, v28
	v_ldexp_f32 v14, v14, v31
	v_ldexp_f32 v29, v29, v31
	v_add_f32_e32 v31, -1.0, v14
	v_add_f32_e32 v34, 1.0, v14
	v_add_f32_e32 v32, 1.0, v31
	v_add_f32_e32 v35, -1.0, v34
	v_sub_f32_e32 v32, v14, v32
	v_sub_f32_e32 v14, v14, v35
	v_add_f32_e32 v14, v29, v14
	v_add_f32_e32 v32, v29, v32
	;; [unrolled: 1-line block ×3, first 2 shown]
	v_rcp_f32_e32 v35, v29
	v_add_f32_e32 v33, v31, v32
	v_sub_f32_e32 v31, v31, v33
	v_add_f32_e32 v31, v32, v31
	v_sub_f32_e32 v32, v34, v29
	v_add_f32_e32 v14, v14, v32
	v_mul_f32_e32 v32, v33, v35
	v_mul_f32_e32 v34, v29, v32
	v_fma_f32 v36, v32, v29, -v34
	v_fmac_f32_e32 v36, v32, v14
	v_add_f32_e32 v37, v34, v36
	v_sub_f32_e32 v38, v33, v37
	v_sub_f32_e32 v33, v33, v38
	;; [unrolled: 1-line block ×4, first 2 shown]
	v_add_f32_e32 v31, v31, v33
	v_sub_f32_e32 v33, v34, v36
	v_add_f32_e32 v31, v33, v31
	v_add_f32_e32 v33, v38, v31
	v_mul_f32_e32 v34, v35, v33
	v_mul_f32_e32 v36, v29, v34
	v_fma_f32 v29, v34, v29, -v36
	v_fmac_f32_e32 v29, v34, v14
	v_sub_f32_e32 v14, v38, v33
	v_add_f32_e32 v14, v31, v14
	v_add_f32_e32 v31, v36, v29
	v_sub_f32_e32 v37, v33, v31
	v_sub_f32_e32 v33, v33, v37
	;; [unrolled: 1-line block ×4, first 2 shown]
	v_add_f32_e32 v14, v14, v31
	v_sub_f32_e32 v29, v36, v29
	v_add_f32_e32 v14, v29, v14
	v_add_f32_e32 v29, v32, v34
	;; [unrolled: 1-line block ×3, first 2 shown]
	v_sub_f32_e32 v31, v29, v32
	v_mul_f32_e32 v14, v35, v14
	v_sub_f32_e32 v31, v34, v31
	v_add_f32_e32 v14, v31, v14
	v_cvt_f32_i32_e32 v28, v28
	v_add_f32_e32 v31, v29, v14
	v_mul_f32_e32 v32, v31, v31
	v_mov_b32_e32 v33, 0x3ecc95a3
	v_fmac_f32_e32 v33, 0x3e9b6dac, v32
	v_mov_b32_e32 v34, 0x3f2aaada
	v_fmac_f32_e32 v34, v32, v33
	v_mul_f32_e32 v33, 0x3f317218, v28
	v_fma_f32 v35, v28, s5, -v33
	v_fmac_f32_e32 v35, 0xb102e308, v28
	v_sub_f32_e32 v28, v31, v29
	v_sub_f32_e32 v14, v14, v28
	v_add_f32_e32 v28, v33, v35
	v_sub_f32_e32 v29, v28, v33
	v_ldexp_f32 v33, v31, 1
	v_mul_f32_e32 v31, v31, v32
	v_mul_f32_e32 v31, v31, v34
	v_add_f32_e32 v32, v33, v31
	v_sub_f32_e32 v33, v32, v33
	v_ldexp_f32 v14, v14, 1
	v_sub_f32_e32 v31, v31, v33
	v_add_f32_e32 v14, v14, v31
	v_add_f32_e32 v31, v32, v14
	v_sub_f32_e32 v32, v31, v32
	v_sub_f32_e32 v14, v14, v32
	v_add_f32_e32 v32, v28, v31
	v_sub_f32_e32 v33, v32, v28
	v_sub_f32_e32 v34, v32, v33
	v_sub_f32_e32 v29, v35, v29
	v_sub_f32_e32 v28, v28, v34
	v_sub_f32_e32 v31, v31, v33
	v_add_f32_e32 v28, v31, v28
	v_add_f32_e32 v31, v29, v14
	v_sub_f32_e32 v33, v31, v29
	v_sub_f32_e32 v34, v31, v33
	;; [unrolled: 1-line block ×4, first 2 shown]
	v_add_f32_e32 v28, v31, v28
	v_add_f32_e32 v14, v14, v29
	;; [unrolled: 1-line block ×3, first 2 shown]
	v_sub_f32_e32 v31, v29, v32
	v_sub_f32_e32 v28, v28, v31
	v_add_f32_e32 v14, v14, v28
	v_add_f32_e32 v14, v29, v14
	v_cmp_neq_f32_e32 vcc, s4, v9
	s_mov_b32 s4, 0x33800000
	v_cndmask_b32_e32 v14, v30, v14, vcc
	v_cmp_lt_f32_e64 vcc, |v9|, s4
	v_cndmask_b32_e32 v9, v14, v9, vcc
	v_add_f32_e32 v9, v20, v9
	v_cvt_f16_f32_e32 v30, v9
	v_cvt_f32_f16_e32 v14, v30
	v_mov_b32_e32 v9, v30
.LBB391_158:
	s_or_b64 exec, exec, s[2:3]
	v_max_f32_e32 v20, v21, v21
	v_max_f32_e32 v29, v14, v14
	v_min_f32_e32 v28, v29, v20
	v_cmp_u_f16_e32 vcc, v30, v30
	v_max_f32_e32 v20, v29, v20
	v_cndmask_b32_e32 v28, v28, v14, vcc
	v_cndmask_b32_e32 v20, v20, v14, vcc
	v_cndmask_b32_e64 v28, v28, v21, s[68:69]
	v_cndmask_b32_e64 v21, v20, v21, s[68:69]
	s_movk_i32 s4, 0x1f8
	v_cmp_neq_f32_e32 vcc, v28, v21
	v_cmp_class_f32_e64 s[2:3], v28, s4
	s_or_b64 s[6:7], vcc, s[2:3]
	v_mov_b32_e32 v20, v9
	s_and_saveexec_b64 s[2:3], s[6:7]
	s_cbranch_execz .LBB391_160
; %bb.159:
	v_sub_f32_e32 v14, v28, v21
	s_mov_b32 s5, 0x3fb8aa3b
	v_mul_f32_e32 v20, 0x3fb8aa3b, v14
	v_fma_f32 v28, v14, s5, -v20
	v_rndne_f32_e32 v29, v20
	v_fmac_f32_e32 v28, 0x32a5705f, v14
	v_sub_f32_e32 v20, v20, v29
	v_add_f32_e32 v20, v20, v28
	v_exp_f32_e32 v20, v20
	v_cvt_i32_f32_e32 v28, v29
	s_mov_b32 s5, 0xc2ce8ed0
	v_cmp_ngt_f32_e32 vcc, s5, v14
	s_mov_b32 s5, 0x42b17218
	v_ldexp_f32 v20, v20, v28
	v_cndmask_b32_e32 v20, 0, v20, vcc
	v_mov_b32_e32 v30, 0x7f800000
	v_cmp_nlt_f32_e32 vcc, s5, v14
	v_cndmask_b32_e32 v14, v30, v20, vcc
	v_add_f32_e32 v20, 1.0, v14
	v_cvt_f64_f32_e32 v[28:29], v20
	v_add_f32_e32 v31, -1.0, v20
	v_sub_f32_e32 v32, v31, v20
	v_sub_f32_e32 v31, v14, v31
	v_frexp_exp_i32_f64_e32 v28, v[28:29]
	v_add_f32_e32 v29, 1.0, v32
	v_add_f32_e32 v29, v31, v29
	v_frexp_mant_f32_e32 v31, v20
	s_mov_b32 s6, 0x3f2aaaab
	v_cmp_gt_f32_e32 vcc, s6, v31
	s_mov_b32 s6, 0x3f317218
	s_mov_b32 s5, 0x7f800000
	v_subbrev_co_u32_e32 v28, vcc, 0, v28, vcc
	v_sub_u32_e32 v31, 0, v28
	v_ldexp_f32 v20, v20, v31
	v_ldexp_f32 v29, v29, v31
	v_add_f32_e32 v31, -1.0, v20
	v_add_f32_e32 v34, 1.0, v20
	v_add_f32_e32 v32, 1.0, v31
	v_add_f32_e32 v35, -1.0, v34
	v_sub_f32_e32 v32, v20, v32
	v_sub_f32_e32 v20, v20, v35
	v_add_f32_e32 v20, v29, v20
	v_add_f32_e32 v32, v29, v32
	;; [unrolled: 1-line block ×3, first 2 shown]
	v_rcp_f32_e32 v35, v29
	v_add_f32_e32 v33, v31, v32
	v_sub_f32_e32 v31, v31, v33
	v_add_f32_e32 v31, v32, v31
	v_sub_f32_e32 v32, v34, v29
	v_add_f32_e32 v20, v20, v32
	v_mul_f32_e32 v32, v33, v35
	v_mul_f32_e32 v34, v29, v32
	v_fma_f32 v36, v32, v29, -v34
	v_fmac_f32_e32 v36, v32, v20
	v_add_f32_e32 v37, v34, v36
	v_sub_f32_e32 v38, v33, v37
	v_sub_f32_e32 v33, v33, v38
	;; [unrolled: 1-line block ×4, first 2 shown]
	v_add_f32_e32 v31, v31, v33
	v_sub_f32_e32 v33, v34, v36
	v_add_f32_e32 v31, v33, v31
	v_add_f32_e32 v33, v38, v31
	v_mul_f32_e32 v34, v35, v33
	v_mul_f32_e32 v36, v29, v34
	v_fma_f32 v29, v34, v29, -v36
	v_fmac_f32_e32 v29, v34, v20
	v_sub_f32_e32 v20, v38, v33
	v_add_f32_e32 v20, v31, v20
	v_add_f32_e32 v31, v36, v29
	v_sub_f32_e32 v37, v33, v31
	v_sub_f32_e32 v33, v33, v37
	;; [unrolled: 1-line block ×4, first 2 shown]
	v_add_f32_e32 v20, v20, v31
	v_sub_f32_e32 v29, v36, v29
	v_add_f32_e32 v20, v29, v20
	v_add_f32_e32 v29, v32, v34
	;; [unrolled: 1-line block ×3, first 2 shown]
	v_sub_f32_e32 v31, v29, v32
	v_mul_f32_e32 v20, v35, v20
	v_sub_f32_e32 v31, v34, v31
	v_add_f32_e32 v20, v31, v20
	v_cvt_f32_i32_e32 v28, v28
	v_add_f32_e32 v31, v29, v20
	v_mul_f32_e32 v32, v31, v31
	v_mov_b32_e32 v33, 0x3ecc95a3
	v_fmac_f32_e32 v33, 0x3e9b6dac, v32
	v_mov_b32_e32 v34, 0x3f2aaada
	v_fmac_f32_e32 v34, v32, v33
	v_mul_f32_e32 v33, 0x3f317218, v28
	v_fma_f32 v35, v28, s6, -v33
	v_fmac_f32_e32 v35, 0xb102e308, v28
	v_sub_f32_e32 v28, v31, v29
	v_sub_f32_e32 v20, v20, v28
	v_add_f32_e32 v28, v33, v35
	v_sub_f32_e32 v29, v28, v33
	v_ldexp_f32 v33, v31, 1
	v_mul_f32_e32 v31, v31, v32
	v_mul_f32_e32 v31, v31, v34
	v_add_f32_e32 v32, v33, v31
	v_sub_f32_e32 v33, v32, v33
	v_ldexp_f32 v20, v20, 1
	v_sub_f32_e32 v31, v31, v33
	v_add_f32_e32 v20, v20, v31
	v_add_f32_e32 v31, v32, v20
	v_sub_f32_e32 v32, v31, v32
	v_sub_f32_e32 v20, v20, v32
	v_add_f32_e32 v32, v28, v31
	v_sub_f32_e32 v33, v32, v28
	v_sub_f32_e32 v34, v32, v33
	;; [unrolled: 1-line block ×5, first 2 shown]
	v_add_f32_e32 v28, v31, v28
	v_add_f32_e32 v31, v29, v20
	v_sub_f32_e32 v33, v31, v29
	v_sub_f32_e32 v34, v31, v33
	;; [unrolled: 1-line block ×4, first 2 shown]
	v_add_f32_e32 v28, v31, v28
	v_add_f32_e32 v20, v20, v29
	;; [unrolled: 1-line block ×3, first 2 shown]
	v_sub_f32_e32 v31, v29, v32
	v_sub_f32_e32 v28, v28, v31
	v_add_f32_e32 v20, v20, v28
	v_add_f32_e32 v20, v29, v20
	v_cmp_neq_f32_e32 vcc, s5, v14
	s_mov_b32 s5, 0x33800000
	v_cndmask_b32_e32 v20, v30, v20, vcc
	v_cmp_lt_f32_e64 vcc, |v14|, s5
	v_cndmask_b32_e32 v14, v20, v14, vcc
	v_add_f32_e32 v14, v21, v14
	v_cvt_f16_f32_e32 v30, v14
	v_cvt_f32_f16_e32 v14, v30
	v_mov_b32_e32 v20, v30
.LBB391_160:
	s_or_b64 exec, exec, s[2:3]
	v_max_f32_e32 v21, v10, v10
	v_max_f32_e32 v29, v14, v14
	v_min_f32_e32 v28, v29, v21
	v_cmp_u_f16_e32 vcc, v30, v30
	v_max_f32_e32 v21, v29, v21
	v_cndmask_b32_e32 v28, v28, v14, vcc
	v_cndmask_b32_e32 v21, v21, v14, vcc
	v_cndmask_b32_e64 v28, v28, v10, s[70:71]
	v_cndmask_b32_e64 v21, v21, v10, s[70:71]
	v_cmp_neq_f32_e32 vcc, v28, v21
	v_cmp_class_f32_e64 s[2:3], v28, s4
	s_or_b64 s[4:5], vcc, s[2:3]
	v_mov_b32_e32 v10, v20
	s_and_saveexec_b64 s[2:3], s[4:5]
	s_cbranch_execz .LBB391_162
; %bb.161:
	v_sub_f32_e32 v10, v28, v21
	s_mov_b32 s4, 0x3fb8aa3b
	v_mul_f32_e32 v14, 0x3fb8aa3b, v10
	v_fma_f32 v28, v10, s4, -v14
	v_rndne_f32_e32 v29, v14
	v_fmac_f32_e32 v28, 0x32a5705f, v10
	v_sub_f32_e32 v14, v14, v29
	v_add_f32_e32 v14, v14, v28
	v_exp_f32_e32 v14, v14
	v_cvt_i32_f32_e32 v28, v29
	s_mov_b32 s4, 0xc2ce8ed0
	v_cmp_ngt_f32_e32 vcc, s4, v10
	s_mov_b32 s4, 0x42b17218
	v_ldexp_f32 v14, v14, v28
	v_cndmask_b32_e32 v14, 0, v14, vcc
	v_mov_b32_e32 v30, 0x7f800000
	v_cmp_nlt_f32_e32 vcc, s4, v10
	v_cndmask_b32_e32 v10, v30, v14, vcc
	v_add_f32_e32 v14, 1.0, v10
	v_cvt_f64_f32_e32 v[28:29], v14
	v_add_f32_e32 v31, -1.0, v14
	v_sub_f32_e32 v32, v31, v14
	v_sub_f32_e32 v31, v10, v31
	v_frexp_exp_i32_f64_e32 v28, v[28:29]
	v_add_f32_e32 v29, 1.0, v32
	v_add_f32_e32 v29, v31, v29
	v_frexp_mant_f32_e32 v31, v14
	s_mov_b32 s5, 0x3f2aaaab
	v_cmp_gt_f32_e32 vcc, s5, v31
	s_mov_b32 s5, 0x3f317218
	s_mov_b32 s4, 0x7f800000
	v_subbrev_co_u32_e32 v28, vcc, 0, v28, vcc
	v_sub_u32_e32 v31, 0, v28
	v_ldexp_f32 v14, v14, v31
	v_ldexp_f32 v29, v29, v31
	v_add_f32_e32 v31, -1.0, v14
	v_add_f32_e32 v34, 1.0, v14
	v_add_f32_e32 v32, 1.0, v31
	v_add_f32_e32 v35, -1.0, v34
	v_sub_f32_e32 v32, v14, v32
	v_sub_f32_e32 v14, v14, v35
	v_add_f32_e32 v14, v29, v14
	v_add_f32_e32 v32, v29, v32
	;; [unrolled: 1-line block ×3, first 2 shown]
	v_rcp_f32_e32 v35, v29
	v_add_f32_e32 v33, v31, v32
	v_sub_f32_e32 v31, v31, v33
	v_add_f32_e32 v31, v32, v31
	v_sub_f32_e32 v32, v34, v29
	v_add_f32_e32 v14, v14, v32
	v_mul_f32_e32 v32, v33, v35
	v_mul_f32_e32 v34, v29, v32
	v_fma_f32 v36, v32, v29, -v34
	v_fmac_f32_e32 v36, v32, v14
	v_add_f32_e32 v37, v34, v36
	v_sub_f32_e32 v38, v33, v37
	v_sub_f32_e32 v33, v33, v38
	;; [unrolled: 1-line block ×4, first 2 shown]
	v_add_f32_e32 v31, v31, v33
	v_sub_f32_e32 v33, v34, v36
	v_add_f32_e32 v31, v33, v31
	v_add_f32_e32 v33, v38, v31
	v_mul_f32_e32 v34, v35, v33
	v_mul_f32_e32 v36, v29, v34
	v_fma_f32 v29, v34, v29, -v36
	v_fmac_f32_e32 v29, v34, v14
	v_sub_f32_e32 v14, v38, v33
	v_add_f32_e32 v14, v31, v14
	v_add_f32_e32 v31, v36, v29
	v_sub_f32_e32 v37, v33, v31
	v_sub_f32_e32 v33, v33, v37
	;; [unrolled: 1-line block ×4, first 2 shown]
	v_add_f32_e32 v14, v14, v31
	v_sub_f32_e32 v29, v36, v29
	v_add_f32_e32 v14, v29, v14
	v_add_f32_e32 v29, v32, v34
	v_add_f32_e32 v14, v37, v14
	v_sub_f32_e32 v31, v29, v32
	v_mul_f32_e32 v14, v35, v14
	v_sub_f32_e32 v31, v34, v31
	v_add_f32_e32 v14, v31, v14
	v_cvt_f32_i32_e32 v28, v28
	v_add_f32_e32 v31, v29, v14
	v_mul_f32_e32 v32, v31, v31
	v_mov_b32_e32 v33, 0x3ecc95a3
	v_fmac_f32_e32 v33, 0x3e9b6dac, v32
	v_mov_b32_e32 v34, 0x3f2aaada
	v_fmac_f32_e32 v34, v32, v33
	v_mul_f32_e32 v33, 0x3f317218, v28
	v_fma_f32 v35, v28, s5, -v33
	v_fmac_f32_e32 v35, 0xb102e308, v28
	v_sub_f32_e32 v28, v31, v29
	v_sub_f32_e32 v14, v14, v28
	v_add_f32_e32 v28, v33, v35
	v_sub_f32_e32 v29, v28, v33
	v_ldexp_f32 v33, v31, 1
	v_mul_f32_e32 v31, v31, v32
	v_mul_f32_e32 v31, v31, v34
	v_add_f32_e32 v32, v33, v31
	v_sub_f32_e32 v33, v32, v33
	v_ldexp_f32 v14, v14, 1
	v_sub_f32_e32 v31, v31, v33
	v_add_f32_e32 v14, v14, v31
	v_add_f32_e32 v31, v32, v14
	v_sub_f32_e32 v32, v31, v32
	v_sub_f32_e32 v14, v14, v32
	v_add_f32_e32 v32, v28, v31
	v_sub_f32_e32 v33, v32, v28
	v_sub_f32_e32 v34, v32, v33
	;; [unrolled: 1-line block ×5, first 2 shown]
	v_add_f32_e32 v28, v31, v28
	v_add_f32_e32 v31, v29, v14
	v_sub_f32_e32 v33, v31, v29
	v_sub_f32_e32 v34, v31, v33
	v_sub_f32_e32 v29, v29, v34
	v_sub_f32_e32 v14, v14, v33
	v_add_f32_e32 v28, v31, v28
	v_add_f32_e32 v14, v14, v29
	;; [unrolled: 1-line block ×3, first 2 shown]
	v_sub_f32_e32 v31, v29, v32
	v_sub_f32_e32 v28, v28, v31
	v_add_f32_e32 v14, v14, v28
	v_add_f32_e32 v14, v29, v14
	v_cmp_neq_f32_e32 vcc, s4, v10
	s_mov_b32 s4, 0x33800000
	v_cndmask_b32_e32 v14, v30, v14, vcc
	v_cmp_lt_f32_e64 vcc, |v10|, s4
	v_cndmask_b32_e32 v10, v14, v10, vcc
	v_add_f32_e32 v10, v21, v10
	v_cvt_f16_f32_e32 v30, v10
	v_cvt_f32_f16_e32 v14, v30
	v_mov_b32_e32 v10, v30
.LBB391_162:
	s_or_b64 exec, exec, s[2:3]
	v_max_f32_e32 v21, v22, v22
	v_max_f32_e32 v29, v14, v14
	v_min_f32_e32 v28, v29, v21
	v_cmp_u_f16_e32 vcc, v30, v30
	v_max_f32_e32 v21, v29, v21
	v_cndmask_b32_e32 v28, v28, v14, vcc
	v_cndmask_b32_e32 v21, v21, v14, vcc
	v_cndmask_b32_e64 v28, v28, v22, s[72:73]
	v_cndmask_b32_e64 v22, v21, v22, s[72:73]
	s_movk_i32 s4, 0x1f8
	v_cmp_neq_f32_e32 vcc, v28, v22
	v_cmp_class_f32_e64 s[2:3], v28, s4
	s_or_b64 s[6:7], vcc, s[2:3]
	v_mov_b32_e32 v21, v10
	s_and_saveexec_b64 s[2:3], s[6:7]
	s_cbranch_execz .LBB391_164
; %bb.163:
	v_sub_f32_e32 v14, v28, v22
	s_mov_b32 s5, 0x3fb8aa3b
	v_mul_f32_e32 v21, 0x3fb8aa3b, v14
	v_fma_f32 v28, v14, s5, -v21
	v_rndne_f32_e32 v29, v21
	v_fmac_f32_e32 v28, 0x32a5705f, v14
	v_sub_f32_e32 v21, v21, v29
	v_add_f32_e32 v21, v21, v28
	v_exp_f32_e32 v21, v21
	v_cvt_i32_f32_e32 v28, v29
	s_mov_b32 s5, 0xc2ce8ed0
	v_cmp_ngt_f32_e32 vcc, s5, v14
	s_mov_b32 s5, 0x42b17218
	v_ldexp_f32 v21, v21, v28
	v_cndmask_b32_e32 v21, 0, v21, vcc
	v_mov_b32_e32 v30, 0x7f800000
	v_cmp_nlt_f32_e32 vcc, s5, v14
	v_cndmask_b32_e32 v14, v30, v21, vcc
	v_add_f32_e32 v21, 1.0, v14
	v_cvt_f64_f32_e32 v[28:29], v21
	v_add_f32_e32 v31, -1.0, v21
	v_sub_f32_e32 v32, v31, v21
	v_sub_f32_e32 v31, v14, v31
	v_frexp_exp_i32_f64_e32 v28, v[28:29]
	v_add_f32_e32 v29, 1.0, v32
	v_add_f32_e32 v29, v31, v29
	v_frexp_mant_f32_e32 v31, v21
	s_mov_b32 s6, 0x3f2aaaab
	v_cmp_gt_f32_e32 vcc, s6, v31
	s_mov_b32 s6, 0x3f317218
	s_mov_b32 s5, 0x7f800000
	v_subbrev_co_u32_e32 v28, vcc, 0, v28, vcc
	v_sub_u32_e32 v31, 0, v28
	v_ldexp_f32 v21, v21, v31
	v_ldexp_f32 v29, v29, v31
	v_add_f32_e32 v31, -1.0, v21
	v_add_f32_e32 v34, 1.0, v21
	v_add_f32_e32 v32, 1.0, v31
	v_add_f32_e32 v35, -1.0, v34
	v_sub_f32_e32 v32, v21, v32
	v_sub_f32_e32 v21, v21, v35
	v_add_f32_e32 v21, v29, v21
	v_add_f32_e32 v32, v29, v32
	;; [unrolled: 1-line block ×3, first 2 shown]
	v_rcp_f32_e32 v35, v29
	v_add_f32_e32 v33, v31, v32
	v_sub_f32_e32 v31, v31, v33
	v_add_f32_e32 v31, v32, v31
	v_sub_f32_e32 v32, v34, v29
	v_add_f32_e32 v21, v21, v32
	v_mul_f32_e32 v32, v33, v35
	v_mul_f32_e32 v34, v29, v32
	v_fma_f32 v36, v32, v29, -v34
	v_fmac_f32_e32 v36, v32, v21
	v_add_f32_e32 v37, v34, v36
	v_sub_f32_e32 v38, v33, v37
	v_sub_f32_e32 v33, v33, v38
	;; [unrolled: 1-line block ×4, first 2 shown]
	v_add_f32_e32 v31, v31, v33
	v_sub_f32_e32 v33, v34, v36
	v_add_f32_e32 v31, v33, v31
	v_add_f32_e32 v33, v38, v31
	v_mul_f32_e32 v34, v35, v33
	v_mul_f32_e32 v36, v29, v34
	v_fma_f32 v29, v34, v29, -v36
	v_fmac_f32_e32 v29, v34, v21
	v_sub_f32_e32 v21, v38, v33
	v_add_f32_e32 v21, v31, v21
	v_add_f32_e32 v31, v36, v29
	v_sub_f32_e32 v37, v33, v31
	v_sub_f32_e32 v33, v33, v37
	;; [unrolled: 1-line block ×4, first 2 shown]
	v_add_f32_e32 v21, v21, v31
	v_sub_f32_e32 v29, v36, v29
	v_add_f32_e32 v21, v29, v21
	v_add_f32_e32 v29, v32, v34
	;; [unrolled: 1-line block ×3, first 2 shown]
	v_sub_f32_e32 v31, v29, v32
	v_mul_f32_e32 v21, v35, v21
	v_sub_f32_e32 v31, v34, v31
	v_add_f32_e32 v21, v31, v21
	v_cvt_f32_i32_e32 v28, v28
	v_add_f32_e32 v31, v29, v21
	v_mul_f32_e32 v32, v31, v31
	v_mov_b32_e32 v33, 0x3ecc95a3
	v_fmac_f32_e32 v33, 0x3e9b6dac, v32
	v_mov_b32_e32 v34, 0x3f2aaada
	v_fmac_f32_e32 v34, v32, v33
	v_mul_f32_e32 v33, 0x3f317218, v28
	v_fma_f32 v35, v28, s6, -v33
	v_fmac_f32_e32 v35, 0xb102e308, v28
	v_sub_f32_e32 v28, v31, v29
	v_sub_f32_e32 v21, v21, v28
	v_add_f32_e32 v28, v33, v35
	v_sub_f32_e32 v29, v28, v33
	v_ldexp_f32 v33, v31, 1
	v_mul_f32_e32 v31, v31, v32
	v_mul_f32_e32 v31, v31, v34
	v_add_f32_e32 v32, v33, v31
	v_sub_f32_e32 v33, v32, v33
	v_ldexp_f32 v21, v21, 1
	v_sub_f32_e32 v31, v31, v33
	v_add_f32_e32 v21, v21, v31
	v_add_f32_e32 v31, v32, v21
	v_sub_f32_e32 v32, v31, v32
	v_sub_f32_e32 v21, v21, v32
	v_add_f32_e32 v32, v28, v31
	v_sub_f32_e32 v33, v32, v28
	v_sub_f32_e32 v34, v32, v33
	;; [unrolled: 1-line block ×5, first 2 shown]
	v_add_f32_e32 v28, v31, v28
	v_add_f32_e32 v31, v29, v21
	v_sub_f32_e32 v33, v31, v29
	v_sub_f32_e32 v34, v31, v33
	;; [unrolled: 1-line block ×4, first 2 shown]
	v_add_f32_e32 v28, v31, v28
	v_add_f32_e32 v21, v21, v29
	;; [unrolled: 1-line block ×3, first 2 shown]
	v_sub_f32_e32 v31, v29, v32
	v_sub_f32_e32 v28, v28, v31
	v_add_f32_e32 v21, v21, v28
	v_add_f32_e32 v21, v29, v21
	v_cmp_neq_f32_e32 vcc, s5, v14
	s_mov_b32 s5, 0x33800000
	v_cndmask_b32_e32 v21, v30, v21, vcc
	v_cmp_lt_f32_e64 vcc, |v14|, s5
	v_cndmask_b32_e32 v14, v21, v14, vcc
	v_add_f32_e32 v14, v22, v14
	v_cvt_f16_f32_e32 v30, v14
	v_cvt_f32_f16_e32 v14, v30
	v_mov_b32_e32 v21, v30
.LBB391_164:
	s_or_b64 exec, exec, s[2:3]
	v_max_f32_e32 v22, v11, v11
	v_max_f32_e32 v29, v14, v14
	v_min_f32_e32 v28, v29, v22
	v_cmp_u_f16_e32 vcc, v30, v30
	v_max_f32_e32 v22, v29, v22
	v_cndmask_b32_e32 v28, v28, v14, vcc
	v_cndmask_b32_e32 v22, v22, v14, vcc
	v_cndmask_b32_e64 v28, v28, v11, s[74:75]
	v_cndmask_b32_e64 v22, v22, v11, s[74:75]
	v_cmp_neq_f32_e32 vcc, v28, v22
	v_cmp_class_f32_e64 s[2:3], v28, s4
	s_or_b64 s[4:5], vcc, s[2:3]
	v_mov_b32_e32 v11, v21
	s_and_saveexec_b64 s[2:3], s[4:5]
	s_cbranch_execz .LBB391_166
; %bb.165:
	v_sub_f32_e32 v11, v28, v22
	s_mov_b32 s4, 0x3fb8aa3b
	v_mul_f32_e32 v14, 0x3fb8aa3b, v11
	v_fma_f32 v28, v11, s4, -v14
	v_rndne_f32_e32 v29, v14
	v_fmac_f32_e32 v28, 0x32a5705f, v11
	v_sub_f32_e32 v14, v14, v29
	v_add_f32_e32 v14, v14, v28
	v_exp_f32_e32 v14, v14
	v_cvt_i32_f32_e32 v28, v29
	s_mov_b32 s4, 0xc2ce8ed0
	v_cmp_ngt_f32_e32 vcc, s4, v11
	s_mov_b32 s4, 0x42b17218
	v_ldexp_f32 v14, v14, v28
	v_cndmask_b32_e32 v14, 0, v14, vcc
	v_mov_b32_e32 v30, 0x7f800000
	v_cmp_nlt_f32_e32 vcc, s4, v11
	v_cndmask_b32_e32 v11, v30, v14, vcc
	v_add_f32_e32 v14, 1.0, v11
	v_cvt_f64_f32_e32 v[28:29], v14
	v_add_f32_e32 v31, -1.0, v14
	v_sub_f32_e32 v32, v31, v14
	v_sub_f32_e32 v31, v11, v31
	v_frexp_exp_i32_f64_e32 v28, v[28:29]
	v_add_f32_e32 v29, 1.0, v32
	v_add_f32_e32 v29, v31, v29
	v_frexp_mant_f32_e32 v31, v14
	s_mov_b32 s5, 0x3f2aaaab
	v_cmp_gt_f32_e32 vcc, s5, v31
	s_mov_b32 s5, 0x3f317218
	s_mov_b32 s4, 0x7f800000
	v_subbrev_co_u32_e32 v28, vcc, 0, v28, vcc
	v_sub_u32_e32 v31, 0, v28
	v_ldexp_f32 v14, v14, v31
	v_ldexp_f32 v29, v29, v31
	v_add_f32_e32 v31, -1.0, v14
	v_add_f32_e32 v34, 1.0, v14
	v_add_f32_e32 v32, 1.0, v31
	v_add_f32_e32 v35, -1.0, v34
	v_sub_f32_e32 v32, v14, v32
	v_sub_f32_e32 v14, v14, v35
	v_add_f32_e32 v14, v29, v14
	v_add_f32_e32 v32, v29, v32
	;; [unrolled: 1-line block ×3, first 2 shown]
	v_rcp_f32_e32 v35, v29
	v_add_f32_e32 v33, v31, v32
	v_sub_f32_e32 v31, v31, v33
	v_add_f32_e32 v31, v32, v31
	v_sub_f32_e32 v32, v34, v29
	v_add_f32_e32 v14, v14, v32
	v_mul_f32_e32 v32, v33, v35
	v_mul_f32_e32 v34, v29, v32
	v_fma_f32 v36, v32, v29, -v34
	v_fmac_f32_e32 v36, v32, v14
	v_add_f32_e32 v37, v34, v36
	v_sub_f32_e32 v38, v33, v37
	v_sub_f32_e32 v33, v33, v38
	;; [unrolled: 1-line block ×4, first 2 shown]
	v_add_f32_e32 v31, v31, v33
	v_sub_f32_e32 v33, v34, v36
	v_add_f32_e32 v31, v33, v31
	v_add_f32_e32 v33, v38, v31
	v_mul_f32_e32 v34, v35, v33
	v_mul_f32_e32 v36, v29, v34
	v_fma_f32 v29, v34, v29, -v36
	v_fmac_f32_e32 v29, v34, v14
	v_sub_f32_e32 v14, v38, v33
	v_add_f32_e32 v14, v31, v14
	v_add_f32_e32 v31, v36, v29
	v_sub_f32_e32 v37, v33, v31
	v_sub_f32_e32 v33, v33, v37
	;; [unrolled: 1-line block ×4, first 2 shown]
	v_add_f32_e32 v14, v14, v31
	v_sub_f32_e32 v29, v36, v29
	v_add_f32_e32 v14, v29, v14
	v_add_f32_e32 v29, v32, v34
	;; [unrolled: 1-line block ×3, first 2 shown]
	v_sub_f32_e32 v31, v29, v32
	v_mul_f32_e32 v14, v35, v14
	v_sub_f32_e32 v31, v34, v31
	v_add_f32_e32 v14, v31, v14
	v_cvt_f32_i32_e32 v28, v28
	v_add_f32_e32 v31, v29, v14
	v_mul_f32_e32 v32, v31, v31
	v_mov_b32_e32 v33, 0x3ecc95a3
	v_fmac_f32_e32 v33, 0x3e9b6dac, v32
	v_mov_b32_e32 v34, 0x3f2aaada
	v_fmac_f32_e32 v34, v32, v33
	v_mul_f32_e32 v33, 0x3f317218, v28
	v_fma_f32 v35, v28, s5, -v33
	v_fmac_f32_e32 v35, 0xb102e308, v28
	v_sub_f32_e32 v28, v31, v29
	v_sub_f32_e32 v14, v14, v28
	v_add_f32_e32 v28, v33, v35
	v_sub_f32_e32 v29, v28, v33
	v_ldexp_f32 v33, v31, 1
	v_mul_f32_e32 v31, v31, v32
	v_mul_f32_e32 v31, v31, v34
	v_add_f32_e32 v32, v33, v31
	v_sub_f32_e32 v33, v32, v33
	v_ldexp_f32 v14, v14, 1
	v_sub_f32_e32 v31, v31, v33
	v_add_f32_e32 v14, v14, v31
	v_add_f32_e32 v31, v32, v14
	v_sub_f32_e32 v32, v31, v32
	v_sub_f32_e32 v14, v14, v32
	v_add_f32_e32 v32, v28, v31
	v_sub_f32_e32 v33, v32, v28
	v_sub_f32_e32 v34, v32, v33
	;; [unrolled: 1-line block ×5, first 2 shown]
	v_add_f32_e32 v28, v31, v28
	v_add_f32_e32 v31, v29, v14
	v_sub_f32_e32 v33, v31, v29
	v_sub_f32_e32 v34, v31, v33
	;; [unrolled: 1-line block ×4, first 2 shown]
	v_add_f32_e32 v28, v31, v28
	v_add_f32_e32 v14, v14, v29
	;; [unrolled: 1-line block ×3, first 2 shown]
	v_sub_f32_e32 v31, v29, v32
	v_sub_f32_e32 v28, v28, v31
	v_add_f32_e32 v14, v14, v28
	v_add_f32_e32 v14, v29, v14
	v_cmp_neq_f32_e32 vcc, s4, v11
	s_mov_b32 s4, 0x33800000
	v_cndmask_b32_e32 v14, v30, v14, vcc
	v_cmp_lt_f32_e64 vcc, |v11|, s4
	v_cndmask_b32_e32 v11, v14, v11, vcc
	v_add_f32_e32 v11, v22, v11
	v_cvt_f16_f32_e32 v30, v11
	v_cvt_f32_f16_e32 v14, v30
	v_mov_b32_e32 v11, v30
.LBB391_166:
	s_or_b64 exec, exec, s[2:3]
	v_max_f32_e32 v22, v23, v23
	v_max_f32_e32 v29, v14, v14
	v_min_f32_e32 v28, v29, v22
	v_cmp_u_f16_e32 vcc, v30, v30
	v_max_f32_e32 v22, v29, v22
	v_cndmask_b32_e32 v28, v28, v14, vcc
	v_cndmask_b32_e32 v22, v22, v14, vcc
	v_cndmask_b32_e64 v28, v28, v23, s[76:77]
	v_cndmask_b32_e64 v23, v22, v23, s[76:77]
	s_movk_i32 s4, 0x1f8
	v_cmp_neq_f32_e32 vcc, v28, v23
	v_cmp_class_f32_e64 s[2:3], v28, s4
	s_or_b64 s[6:7], vcc, s[2:3]
	v_mov_b32_e32 v22, v11
	s_and_saveexec_b64 s[2:3], s[6:7]
	s_cbranch_execz .LBB391_168
; %bb.167:
	v_sub_f32_e32 v14, v28, v23
	s_mov_b32 s5, 0x3fb8aa3b
	v_mul_f32_e32 v22, 0x3fb8aa3b, v14
	v_fma_f32 v28, v14, s5, -v22
	v_rndne_f32_e32 v29, v22
	v_fmac_f32_e32 v28, 0x32a5705f, v14
	v_sub_f32_e32 v22, v22, v29
	v_add_f32_e32 v22, v22, v28
	v_exp_f32_e32 v22, v22
	v_cvt_i32_f32_e32 v28, v29
	s_mov_b32 s5, 0xc2ce8ed0
	v_cmp_ngt_f32_e32 vcc, s5, v14
	s_mov_b32 s5, 0x42b17218
	v_ldexp_f32 v22, v22, v28
	v_cndmask_b32_e32 v22, 0, v22, vcc
	v_mov_b32_e32 v30, 0x7f800000
	v_cmp_nlt_f32_e32 vcc, s5, v14
	v_cndmask_b32_e32 v14, v30, v22, vcc
	v_add_f32_e32 v22, 1.0, v14
	v_cvt_f64_f32_e32 v[28:29], v22
	v_add_f32_e32 v31, -1.0, v22
	v_sub_f32_e32 v32, v31, v22
	v_sub_f32_e32 v31, v14, v31
	v_frexp_exp_i32_f64_e32 v28, v[28:29]
	v_add_f32_e32 v29, 1.0, v32
	v_add_f32_e32 v29, v31, v29
	v_frexp_mant_f32_e32 v31, v22
	s_mov_b32 s6, 0x3f2aaaab
	v_cmp_gt_f32_e32 vcc, s6, v31
	s_mov_b32 s6, 0x3f317218
	s_mov_b32 s5, 0x7f800000
	v_subbrev_co_u32_e32 v28, vcc, 0, v28, vcc
	v_sub_u32_e32 v31, 0, v28
	v_ldexp_f32 v22, v22, v31
	v_ldexp_f32 v29, v29, v31
	v_add_f32_e32 v31, -1.0, v22
	v_add_f32_e32 v34, 1.0, v22
	v_add_f32_e32 v32, 1.0, v31
	v_add_f32_e32 v35, -1.0, v34
	v_sub_f32_e32 v32, v22, v32
	v_sub_f32_e32 v22, v22, v35
	v_add_f32_e32 v22, v29, v22
	v_add_f32_e32 v32, v29, v32
	;; [unrolled: 1-line block ×3, first 2 shown]
	v_rcp_f32_e32 v35, v29
	v_add_f32_e32 v33, v31, v32
	v_sub_f32_e32 v31, v31, v33
	v_add_f32_e32 v31, v32, v31
	v_sub_f32_e32 v32, v34, v29
	v_add_f32_e32 v22, v22, v32
	v_mul_f32_e32 v32, v33, v35
	v_mul_f32_e32 v34, v29, v32
	v_fma_f32 v36, v32, v29, -v34
	v_fmac_f32_e32 v36, v32, v22
	v_add_f32_e32 v37, v34, v36
	v_sub_f32_e32 v38, v33, v37
	v_sub_f32_e32 v33, v33, v38
	;; [unrolled: 1-line block ×4, first 2 shown]
	v_add_f32_e32 v31, v31, v33
	v_sub_f32_e32 v33, v34, v36
	v_add_f32_e32 v31, v33, v31
	v_add_f32_e32 v33, v38, v31
	v_mul_f32_e32 v34, v35, v33
	v_mul_f32_e32 v36, v29, v34
	v_fma_f32 v29, v34, v29, -v36
	v_fmac_f32_e32 v29, v34, v22
	v_sub_f32_e32 v22, v38, v33
	v_add_f32_e32 v22, v31, v22
	v_add_f32_e32 v31, v36, v29
	v_sub_f32_e32 v37, v33, v31
	v_sub_f32_e32 v33, v33, v37
	;; [unrolled: 1-line block ×4, first 2 shown]
	v_add_f32_e32 v22, v22, v31
	v_sub_f32_e32 v29, v36, v29
	v_add_f32_e32 v22, v29, v22
	v_add_f32_e32 v29, v32, v34
	v_add_f32_e32 v22, v37, v22
	v_sub_f32_e32 v31, v29, v32
	v_mul_f32_e32 v22, v35, v22
	v_sub_f32_e32 v31, v34, v31
	v_add_f32_e32 v22, v31, v22
	v_cvt_f32_i32_e32 v28, v28
	v_add_f32_e32 v31, v29, v22
	v_mul_f32_e32 v32, v31, v31
	v_mov_b32_e32 v33, 0x3ecc95a3
	v_fmac_f32_e32 v33, 0x3e9b6dac, v32
	v_mov_b32_e32 v34, 0x3f2aaada
	v_fmac_f32_e32 v34, v32, v33
	v_mul_f32_e32 v33, 0x3f317218, v28
	v_fma_f32 v35, v28, s6, -v33
	v_fmac_f32_e32 v35, 0xb102e308, v28
	v_sub_f32_e32 v28, v31, v29
	v_sub_f32_e32 v22, v22, v28
	v_add_f32_e32 v28, v33, v35
	v_sub_f32_e32 v29, v28, v33
	v_ldexp_f32 v33, v31, 1
	v_mul_f32_e32 v31, v31, v32
	v_mul_f32_e32 v31, v31, v34
	v_add_f32_e32 v32, v33, v31
	v_sub_f32_e32 v33, v32, v33
	v_ldexp_f32 v22, v22, 1
	v_sub_f32_e32 v31, v31, v33
	v_add_f32_e32 v22, v22, v31
	v_add_f32_e32 v31, v32, v22
	v_sub_f32_e32 v32, v31, v32
	v_sub_f32_e32 v22, v22, v32
	v_add_f32_e32 v32, v28, v31
	v_sub_f32_e32 v33, v32, v28
	v_sub_f32_e32 v34, v32, v33
	;; [unrolled: 1-line block ×5, first 2 shown]
	v_add_f32_e32 v28, v31, v28
	v_add_f32_e32 v31, v29, v22
	v_sub_f32_e32 v33, v31, v29
	v_sub_f32_e32 v34, v31, v33
	;; [unrolled: 1-line block ×4, first 2 shown]
	v_add_f32_e32 v28, v31, v28
	v_add_f32_e32 v22, v22, v29
	;; [unrolled: 1-line block ×3, first 2 shown]
	v_sub_f32_e32 v31, v29, v32
	v_sub_f32_e32 v28, v28, v31
	v_add_f32_e32 v22, v22, v28
	v_add_f32_e32 v22, v29, v22
	v_cmp_neq_f32_e32 vcc, s5, v14
	s_mov_b32 s5, 0x33800000
	v_cndmask_b32_e32 v22, v30, v22, vcc
	v_cmp_lt_f32_e64 vcc, |v14|, s5
	v_cndmask_b32_e32 v14, v22, v14, vcc
	v_add_f32_e32 v14, v23, v14
	v_cvt_f16_f32_e32 v30, v14
	v_cvt_f32_f16_e32 v14, v30
	v_mov_b32_e32 v22, v30
.LBB391_168:
	s_or_b64 exec, exec, s[2:3]
	v_max_f32_e32 v23, v12, v12
	v_max_f32_e32 v29, v14, v14
	v_min_f32_e32 v28, v29, v23
	v_cmp_u_f16_e32 vcc, v30, v30
	v_max_f32_e32 v23, v29, v23
	v_cndmask_b32_e32 v28, v28, v14, vcc
	v_cndmask_b32_e32 v23, v23, v14, vcc
	v_cndmask_b32_e64 v28, v28, v12, s[78:79]
	v_cndmask_b32_e64 v23, v23, v12, s[78:79]
	v_cmp_neq_f32_e32 vcc, v28, v23
	v_cmp_class_f32_e64 s[2:3], v28, s4
	s_or_b64 s[4:5], vcc, s[2:3]
	v_mov_b32_e32 v12, v22
	s_and_saveexec_b64 s[2:3], s[4:5]
	s_cbranch_execz .LBB391_170
; %bb.169:
	v_sub_f32_e32 v12, v28, v23
	s_mov_b32 s4, 0x3fb8aa3b
	v_mul_f32_e32 v14, 0x3fb8aa3b, v12
	v_fma_f32 v28, v12, s4, -v14
	v_rndne_f32_e32 v29, v14
	v_fmac_f32_e32 v28, 0x32a5705f, v12
	v_sub_f32_e32 v14, v14, v29
	v_add_f32_e32 v14, v14, v28
	v_exp_f32_e32 v14, v14
	v_cvt_i32_f32_e32 v28, v29
	s_mov_b32 s4, 0xc2ce8ed0
	v_cmp_ngt_f32_e32 vcc, s4, v12
	s_mov_b32 s4, 0x42b17218
	v_ldexp_f32 v14, v14, v28
	v_cndmask_b32_e32 v14, 0, v14, vcc
	v_mov_b32_e32 v30, 0x7f800000
	v_cmp_nlt_f32_e32 vcc, s4, v12
	v_cndmask_b32_e32 v12, v30, v14, vcc
	v_add_f32_e32 v14, 1.0, v12
	v_cvt_f64_f32_e32 v[28:29], v14
	v_add_f32_e32 v31, -1.0, v14
	v_sub_f32_e32 v32, v31, v14
	v_sub_f32_e32 v31, v12, v31
	v_frexp_exp_i32_f64_e32 v28, v[28:29]
	v_add_f32_e32 v29, 1.0, v32
	v_add_f32_e32 v29, v31, v29
	v_frexp_mant_f32_e32 v31, v14
	s_mov_b32 s5, 0x3f2aaaab
	v_cmp_gt_f32_e32 vcc, s5, v31
	s_mov_b32 s5, 0x3f317218
	s_mov_b32 s4, 0x7f800000
	v_subbrev_co_u32_e32 v28, vcc, 0, v28, vcc
	v_sub_u32_e32 v31, 0, v28
	v_ldexp_f32 v14, v14, v31
	v_ldexp_f32 v29, v29, v31
	v_add_f32_e32 v31, -1.0, v14
	v_add_f32_e32 v34, 1.0, v14
	v_add_f32_e32 v32, 1.0, v31
	v_add_f32_e32 v35, -1.0, v34
	v_sub_f32_e32 v32, v14, v32
	v_sub_f32_e32 v14, v14, v35
	v_add_f32_e32 v14, v29, v14
	v_add_f32_e32 v32, v29, v32
	v_add_f32_e32 v29, v34, v14
	v_rcp_f32_e32 v35, v29
	v_add_f32_e32 v33, v31, v32
	v_sub_f32_e32 v31, v31, v33
	v_add_f32_e32 v31, v32, v31
	v_sub_f32_e32 v32, v34, v29
	v_add_f32_e32 v14, v14, v32
	v_mul_f32_e32 v32, v33, v35
	v_mul_f32_e32 v34, v29, v32
	v_fma_f32 v36, v32, v29, -v34
	v_fmac_f32_e32 v36, v32, v14
	v_add_f32_e32 v37, v34, v36
	v_sub_f32_e32 v38, v33, v37
	v_sub_f32_e32 v33, v33, v38
	;; [unrolled: 1-line block ×4, first 2 shown]
	v_add_f32_e32 v31, v31, v33
	v_sub_f32_e32 v33, v34, v36
	v_add_f32_e32 v31, v33, v31
	v_add_f32_e32 v33, v38, v31
	v_mul_f32_e32 v34, v35, v33
	v_mul_f32_e32 v36, v29, v34
	v_fma_f32 v29, v34, v29, -v36
	v_fmac_f32_e32 v29, v34, v14
	v_sub_f32_e32 v14, v38, v33
	v_add_f32_e32 v14, v31, v14
	v_add_f32_e32 v31, v36, v29
	v_sub_f32_e32 v37, v33, v31
	v_sub_f32_e32 v33, v33, v37
	;; [unrolled: 1-line block ×4, first 2 shown]
	v_add_f32_e32 v14, v14, v31
	v_sub_f32_e32 v29, v36, v29
	v_add_f32_e32 v14, v29, v14
	v_add_f32_e32 v29, v32, v34
	;; [unrolled: 1-line block ×3, first 2 shown]
	v_sub_f32_e32 v31, v29, v32
	v_mul_f32_e32 v14, v35, v14
	v_sub_f32_e32 v31, v34, v31
	v_add_f32_e32 v14, v31, v14
	v_cvt_f32_i32_e32 v28, v28
	v_add_f32_e32 v31, v29, v14
	v_mul_f32_e32 v32, v31, v31
	v_mov_b32_e32 v33, 0x3ecc95a3
	v_fmac_f32_e32 v33, 0x3e9b6dac, v32
	v_mov_b32_e32 v34, 0x3f2aaada
	v_fmac_f32_e32 v34, v32, v33
	v_mul_f32_e32 v33, 0x3f317218, v28
	v_fma_f32 v35, v28, s5, -v33
	v_fmac_f32_e32 v35, 0xb102e308, v28
	v_sub_f32_e32 v28, v31, v29
	v_sub_f32_e32 v14, v14, v28
	v_add_f32_e32 v28, v33, v35
	v_sub_f32_e32 v29, v28, v33
	v_ldexp_f32 v33, v31, 1
	v_mul_f32_e32 v31, v31, v32
	v_mul_f32_e32 v31, v31, v34
	v_add_f32_e32 v32, v33, v31
	v_sub_f32_e32 v33, v32, v33
	v_ldexp_f32 v14, v14, 1
	v_sub_f32_e32 v31, v31, v33
	v_add_f32_e32 v14, v14, v31
	v_add_f32_e32 v31, v32, v14
	v_sub_f32_e32 v32, v31, v32
	v_sub_f32_e32 v14, v14, v32
	v_add_f32_e32 v32, v28, v31
	v_sub_f32_e32 v33, v32, v28
	v_sub_f32_e32 v34, v32, v33
	;; [unrolled: 1-line block ×5, first 2 shown]
	v_add_f32_e32 v28, v31, v28
	v_add_f32_e32 v31, v29, v14
	v_sub_f32_e32 v33, v31, v29
	v_sub_f32_e32 v34, v31, v33
	;; [unrolled: 1-line block ×4, first 2 shown]
	v_add_f32_e32 v28, v31, v28
	v_add_f32_e32 v14, v14, v29
	;; [unrolled: 1-line block ×3, first 2 shown]
	v_sub_f32_e32 v31, v29, v32
	v_sub_f32_e32 v28, v28, v31
	v_add_f32_e32 v14, v14, v28
	v_add_f32_e32 v14, v29, v14
	v_cmp_neq_f32_e32 vcc, s4, v12
	s_mov_b32 s4, 0x33800000
	v_cndmask_b32_e32 v14, v30, v14, vcc
	v_cmp_lt_f32_e64 vcc, |v12|, s4
	v_cndmask_b32_e32 v12, v14, v12, vcc
	v_add_f32_e32 v12, v23, v12
	v_cvt_f16_f32_e32 v30, v12
	v_cvt_f32_f16_e32 v14, v30
	v_mov_b32_e32 v12, v30
.LBB391_170:
	s_or_b64 exec, exec, s[2:3]
	v_max_f32_e32 v23, v24, v24
	v_max_f32_e32 v29, v14, v14
	v_min_f32_e32 v28, v29, v23
	v_cmp_u_f16_e32 vcc, v30, v30
	v_max_f32_e32 v23, v29, v23
	v_cndmask_b32_e32 v28, v28, v14, vcc
	v_cndmask_b32_e32 v23, v23, v14, vcc
	v_cndmask_b32_e64 v28, v28, v24, s[80:81]
	v_cndmask_b32_e64 v24, v23, v24, s[80:81]
	s_movk_i32 s4, 0x1f8
	v_cmp_neq_f32_e32 vcc, v28, v24
	v_cmp_class_f32_e64 s[2:3], v28, s4
	s_or_b64 s[6:7], vcc, s[2:3]
	v_mov_b32_e32 v23, v12
	s_and_saveexec_b64 s[2:3], s[6:7]
	s_cbranch_execz .LBB391_172
; %bb.171:
	v_sub_f32_e32 v14, v28, v24
	s_mov_b32 s5, 0x3fb8aa3b
	v_mul_f32_e32 v23, 0x3fb8aa3b, v14
	v_fma_f32 v28, v14, s5, -v23
	v_rndne_f32_e32 v29, v23
	v_fmac_f32_e32 v28, 0x32a5705f, v14
	v_sub_f32_e32 v23, v23, v29
	v_add_f32_e32 v23, v23, v28
	v_exp_f32_e32 v23, v23
	v_cvt_i32_f32_e32 v28, v29
	s_mov_b32 s5, 0xc2ce8ed0
	v_cmp_ngt_f32_e32 vcc, s5, v14
	s_mov_b32 s5, 0x42b17218
	v_ldexp_f32 v23, v23, v28
	v_cndmask_b32_e32 v23, 0, v23, vcc
	v_mov_b32_e32 v30, 0x7f800000
	v_cmp_nlt_f32_e32 vcc, s5, v14
	v_cndmask_b32_e32 v14, v30, v23, vcc
	v_add_f32_e32 v23, 1.0, v14
	v_cvt_f64_f32_e32 v[28:29], v23
	v_add_f32_e32 v31, -1.0, v23
	v_sub_f32_e32 v32, v31, v23
	v_sub_f32_e32 v31, v14, v31
	v_frexp_exp_i32_f64_e32 v28, v[28:29]
	v_add_f32_e32 v29, 1.0, v32
	v_add_f32_e32 v29, v31, v29
	v_frexp_mant_f32_e32 v31, v23
	s_mov_b32 s6, 0x3f2aaaab
	v_cmp_gt_f32_e32 vcc, s6, v31
	s_mov_b32 s6, 0x3f317218
	s_mov_b32 s5, 0x7f800000
	v_subbrev_co_u32_e32 v28, vcc, 0, v28, vcc
	v_sub_u32_e32 v31, 0, v28
	v_ldexp_f32 v23, v23, v31
	v_ldexp_f32 v29, v29, v31
	v_add_f32_e32 v31, -1.0, v23
	v_add_f32_e32 v34, 1.0, v23
	v_add_f32_e32 v32, 1.0, v31
	v_add_f32_e32 v35, -1.0, v34
	v_sub_f32_e32 v32, v23, v32
	v_sub_f32_e32 v23, v23, v35
	v_add_f32_e32 v23, v29, v23
	v_add_f32_e32 v32, v29, v32
	;; [unrolled: 1-line block ×3, first 2 shown]
	v_rcp_f32_e32 v35, v29
	v_add_f32_e32 v33, v31, v32
	v_sub_f32_e32 v31, v31, v33
	v_add_f32_e32 v31, v32, v31
	v_sub_f32_e32 v32, v34, v29
	v_add_f32_e32 v23, v23, v32
	v_mul_f32_e32 v32, v33, v35
	v_mul_f32_e32 v34, v29, v32
	v_fma_f32 v36, v32, v29, -v34
	v_fmac_f32_e32 v36, v32, v23
	v_add_f32_e32 v37, v34, v36
	v_sub_f32_e32 v38, v33, v37
	v_sub_f32_e32 v33, v33, v38
	v_sub_f32_e32 v34, v37, v34
	v_sub_f32_e32 v33, v33, v37
	v_add_f32_e32 v31, v31, v33
	v_sub_f32_e32 v33, v34, v36
	v_add_f32_e32 v31, v33, v31
	v_add_f32_e32 v33, v38, v31
	v_mul_f32_e32 v34, v35, v33
	v_mul_f32_e32 v36, v29, v34
	v_fma_f32 v29, v34, v29, -v36
	v_fmac_f32_e32 v29, v34, v23
	v_sub_f32_e32 v23, v38, v33
	v_add_f32_e32 v23, v31, v23
	v_add_f32_e32 v31, v36, v29
	v_sub_f32_e32 v37, v33, v31
	v_sub_f32_e32 v33, v33, v37
	;; [unrolled: 1-line block ×4, first 2 shown]
	v_add_f32_e32 v23, v23, v31
	v_sub_f32_e32 v29, v36, v29
	v_add_f32_e32 v23, v29, v23
	v_add_f32_e32 v29, v32, v34
	;; [unrolled: 1-line block ×3, first 2 shown]
	v_sub_f32_e32 v31, v29, v32
	v_mul_f32_e32 v23, v35, v23
	v_sub_f32_e32 v31, v34, v31
	v_add_f32_e32 v23, v31, v23
	v_cvt_f32_i32_e32 v28, v28
	v_add_f32_e32 v31, v29, v23
	v_mul_f32_e32 v32, v31, v31
	v_mov_b32_e32 v33, 0x3ecc95a3
	v_fmac_f32_e32 v33, 0x3e9b6dac, v32
	v_mov_b32_e32 v34, 0x3f2aaada
	v_fmac_f32_e32 v34, v32, v33
	v_mul_f32_e32 v33, 0x3f317218, v28
	v_fma_f32 v35, v28, s6, -v33
	v_fmac_f32_e32 v35, 0xb102e308, v28
	v_sub_f32_e32 v28, v31, v29
	v_sub_f32_e32 v23, v23, v28
	v_add_f32_e32 v28, v33, v35
	v_sub_f32_e32 v29, v28, v33
	v_ldexp_f32 v33, v31, 1
	v_mul_f32_e32 v31, v31, v32
	v_mul_f32_e32 v31, v31, v34
	v_add_f32_e32 v32, v33, v31
	v_sub_f32_e32 v33, v32, v33
	v_ldexp_f32 v23, v23, 1
	v_sub_f32_e32 v31, v31, v33
	v_add_f32_e32 v23, v23, v31
	v_add_f32_e32 v31, v32, v23
	v_sub_f32_e32 v32, v31, v32
	v_sub_f32_e32 v23, v23, v32
	v_add_f32_e32 v32, v28, v31
	v_sub_f32_e32 v33, v32, v28
	v_sub_f32_e32 v34, v32, v33
	;; [unrolled: 1-line block ×5, first 2 shown]
	v_add_f32_e32 v28, v31, v28
	v_add_f32_e32 v31, v29, v23
	v_sub_f32_e32 v33, v31, v29
	v_sub_f32_e32 v34, v31, v33
	;; [unrolled: 1-line block ×4, first 2 shown]
	v_add_f32_e32 v28, v31, v28
	v_add_f32_e32 v23, v23, v29
	;; [unrolled: 1-line block ×3, first 2 shown]
	v_sub_f32_e32 v31, v29, v32
	v_sub_f32_e32 v28, v28, v31
	v_add_f32_e32 v23, v23, v28
	v_add_f32_e32 v23, v29, v23
	v_cmp_neq_f32_e32 vcc, s5, v14
	s_mov_b32 s5, 0x33800000
	v_cndmask_b32_e32 v23, v30, v23, vcc
	v_cmp_lt_f32_e64 vcc, |v14|, s5
	v_cndmask_b32_e32 v14, v23, v14, vcc
	v_add_f32_e32 v14, v24, v14
	v_cvt_f16_f32_e32 v30, v14
	v_cvt_f32_f16_e32 v14, v30
	v_mov_b32_e32 v23, v30
.LBB391_172:
	s_or_b64 exec, exec, s[2:3]
	v_max_f32_e32 v24, v5, v5
	v_max_f32_e32 v29, v14, v14
	v_min_f32_e32 v28, v29, v24
	v_cmp_u_f16_e32 vcc, v30, v30
	v_max_f32_e32 v24, v29, v24
	v_cndmask_b32_e32 v28, v28, v14, vcc
	v_cndmask_b32_e32 v24, v24, v14, vcc
	v_cndmask_b32_e64 v28, v28, v5, s[82:83]
	v_cndmask_b32_e64 v24, v24, v5, s[82:83]
	v_cmp_neq_f32_e32 vcc, v28, v24
	v_cmp_class_f32_e64 s[2:3], v28, s4
	s_or_b64 s[4:5], vcc, s[2:3]
	v_mov_b32_e32 v5, v23
	s_and_saveexec_b64 s[2:3], s[4:5]
	s_cbranch_execz .LBB391_174
; %bb.173:
	v_sub_f32_e32 v5, v28, v24
	s_mov_b32 s4, 0x3fb8aa3b
	v_mul_f32_e32 v14, 0x3fb8aa3b, v5
	v_fma_f32 v28, v5, s4, -v14
	v_rndne_f32_e32 v29, v14
	v_fmac_f32_e32 v28, 0x32a5705f, v5
	v_sub_f32_e32 v14, v14, v29
	v_add_f32_e32 v14, v14, v28
	v_exp_f32_e32 v14, v14
	v_cvt_i32_f32_e32 v28, v29
	s_mov_b32 s4, 0xc2ce8ed0
	v_cmp_ngt_f32_e32 vcc, s4, v5
	s_mov_b32 s4, 0x42b17218
	v_ldexp_f32 v14, v14, v28
	v_cndmask_b32_e32 v14, 0, v14, vcc
	v_mov_b32_e32 v30, 0x7f800000
	v_cmp_nlt_f32_e32 vcc, s4, v5
	v_cndmask_b32_e32 v5, v30, v14, vcc
	v_add_f32_e32 v14, 1.0, v5
	v_cvt_f64_f32_e32 v[28:29], v14
	v_add_f32_e32 v31, -1.0, v14
	v_sub_f32_e32 v32, v31, v14
	v_sub_f32_e32 v31, v5, v31
	v_frexp_exp_i32_f64_e32 v28, v[28:29]
	v_add_f32_e32 v29, 1.0, v32
	v_add_f32_e32 v29, v31, v29
	v_frexp_mant_f32_e32 v31, v14
	s_mov_b32 s5, 0x3f2aaaab
	v_cmp_gt_f32_e32 vcc, s5, v31
	s_mov_b32 s5, 0x3f317218
	s_mov_b32 s4, 0x7f800000
	v_subbrev_co_u32_e32 v28, vcc, 0, v28, vcc
	v_sub_u32_e32 v31, 0, v28
	v_ldexp_f32 v14, v14, v31
	v_ldexp_f32 v29, v29, v31
	v_add_f32_e32 v31, -1.0, v14
	v_add_f32_e32 v34, 1.0, v14
	v_add_f32_e32 v32, 1.0, v31
	v_add_f32_e32 v35, -1.0, v34
	v_sub_f32_e32 v32, v14, v32
	v_sub_f32_e32 v14, v14, v35
	v_add_f32_e32 v14, v29, v14
	v_add_f32_e32 v32, v29, v32
	;; [unrolled: 1-line block ×3, first 2 shown]
	v_rcp_f32_e32 v35, v29
	v_add_f32_e32 v33, v31, v32
	v_sub_f32_e32 v31, v31, v33
	v_add_f32_e32 v31, v32, v31
	v_sub_f32_e32 v32, v34, v29
	v_add_f32_e32 v14, v14, v32
	v_mul_f32_e32 v32, v33, v35
	v_mul_f32_e32 v34, v29, v32
	v_fma_f32 v36, v32, v29, -v34
	v_fmac_f32_e32 v36, v32, v14
	v_add_f32_e32 v37, v34, v36
	v_sub_f32_e32 v38, v33, v37
	v_sub_f32_e32 v33, v33, v38
	v_sub_f32_e32 v34, v37, v34
	v_sub_f32_e32 v33, v33, v37
	v_add_f32_e32 v31, v31, v33
	v_sub_f32_e32 v33, v34, v36
	v_add_f32_e32 v31, v33, v31
	v_add_f32_e32 v33, v38, v31
	v_mul_f32_e32 v34, v35, v33
	v_mul_f32_e32 v36, v29, v34
	v_fma_f32 v29, v34, v29, -v36
	v_fmac_f32_e32 v29, v34, v14
	v_sub_f32_e32 v14, v38, v33
	v_add_f32_e32 v14, v31, v14
	v_add_f32_e32 v31, v36, v29
	v_sub_f32_e32 v37, v33, v31
	v_sub_f32_e32 v33, v33, v37
	;; [unrolled: 1-line block ×4, first 2 shown]
	v_add_f32_e32 v14, v14, v31
	v_sub_f32_e32 v29, v36, v29
	v_add_f32_e32 v14, v29, v14
	v_add_f32_e32 v29, v32, v34
	;; [unrolled: 1-line block ×3, first 2 shown]
	v_sub_f32_e32 v31, v29, v32
	v_mul_f32_e32 v14, v35, v14
	v_sub_f32_e32 v31, v34, v31
	v_add_f32_e32 v14, v31, v14
	v_cvt_f32_i32_e32 v28, v28
	v_add_f32_e32 v31, v29, v14
	v_mul_f32_e32 v32, v31, v31
	v_mov_b32_e32 v33, 0x3ecc95a3
	v_fmac_f32_e32 v33, 0x3e9b6dac, v32
	v_mov_b32_e32 v34, 0x3f2aaada
	v_fmac_f32_e32 v34, v32, v33
	v_mul_f32_e32 v33, 0x3f317218, v28
	v_fma_f32 v35, v28, s5, -v33
	v_fmac_f32_e32 v35, 0xb102e308, v28
	v_sub_f32_e32 v28, v31, v29
	v_sub_f32_e32 v14, v14, v28
	v_add_f32_e32 v28, v33, v35
	v_sub_f32_e32 v29, v28, v33
	v_ldexp_f32 v33, v31, 1
	v_mul_f32_e32 v31, v31, v32
	v_mul_f32_e32 v31, v31, v34
	v_add_f32_e32 v32, v33, v31
	v_sub_f32_e32 v33, v32, v33
	v_ldexp_f32 v14, v14, 1
	v_sub_f32_e32 v31, v31, v33
	v_add_f32_e32 v14, v14, v31
	v_add_f32_e32 v31, v32, v14
	v_sub_f32_e32 v32, v31, v32
	v_sub_f32_e32 v14, v14, v32
	v_add_f32_e32 v32, v28, v31
	v_sub_f32_e32 v33, v32, v28
	v_sub_f32_e32 v34, v32, v33
	v_sub_f32_e32 v29, v35, v29
	v_sub_f32_e32 v28, v28, v34
	v_sub_f32_e32 v31, v31, v33
	v_add_f32_e32 v28, v31, v28
	v_add_f32_e32 v31, v29, v14
	v_sub_f32_e32 v33, v31, v29
	v_sub_f32_e32 v34, v31, v33
	;; [unrolled: 1-line block ×4, first 2 shown]
	v_add_f32_e32 v28, v31, v28
	v_add_f32_e32 v14, v14, v29
	v_add_f32_e32 v29, v32, v28
	v_sub_f32_e32 v31, v29, v32
	v_sub_f32_e32 v28, v28, v31
	v_add_f32_e32 v14, v14, v28
	v_add_f32_e32 v14, v29, v14
	v_cmp_neq_f32_e32 vcc, s4, v5
	s_mov_b32 s4, 0x33800000
	v_cndmask_b32_e32 v14, v30, v14, vcc
	v_cmp_lt_f32_e64 vcc, |v5|, s4
	v_cndmask_b32_e32 v5, v14, v5, vcc
	v_add_f32_e32 v5, v24, v5
	v_cvt_f16_f32_e32 v30, v5
	v_cvt_f32_f16_e32 v14, v30
	v_mov_b32_e32 v5, v30
.LBB391_174:
	s_or_b64 exec, exec, s[2:3]
	v_max_f32_e32 v24, v25, v25
	v_max_f32_e32 v29, v14, v14
	v_min_f32_e32 v28, v29, v24
	v_cmp_u_f16_e32 vcc, v30, v30
	v_max_f32_e32 v24, v29, v24
	v_cndmask_b32_e32 v28, v28, v14, vcc
	v_cndmask_b32_e32 v24, v24, v14, vcc
	v_cndmask_b32_e64 v28, v28, v25, s[84:85]
	v_cndmask_b32_e64 v25, v24, v25, s[84:85]
	s_movk_i32 s4, 0x1f8
	v_cmp_neq_f32_e32 vcc, v28, v25
	v_cmp_class_f32_e64 s[2:3], v28, s4
	s_or_b64 s[6:7], vcc, s[2:3]
	v_mov_b32_e32 v24, v5
	s_and_saveexec_b64 s[2:3], s[6:7]
	s_cbranch_execz .LBB391_176
; %bb.175:
	v_sub_f32_e32 v14, v28, v25
	s_mov_b32 s5, 0x3fb8aa3b
	v_mul_f32_e32 v24, 0x3fb8aa3b, v14
	v_fma_f32 v28, v14, s5, -v24
	v_rndne_f32_e32 v29, v24
	v_fmac_f32_e32 v28, 0x32a5705f, v14
	v_sub_f32_e32 v24, v24, v29
	v_add_f32_e32 v24, v24, v28
	v_exp_f32_e32 v24, v24
	v_cvt_i32_f32_e32 v28, v29
	s_mov_b32 s5, 0xc2ce8ed0
	v_cmp_ngt_f32_e32 vcc, s5, v14
	s_mov_b32 s5, 0x42b17218
	v_ldexp_f32 v24, v24, v28
	v_cndmask_b32_e32 v24, 0, v24, vcc
	v_mov_b32_e32 v30, 0x7f800000
	v_cmp_nlt_f32_e32 vcc, s5, v14
	v_cndmask_b32_e32 v14, v30, v24, vcc
	v_add_f32_e32 v24, 1.0, v14
	v_cvt_f64_f32_e32 v[28:29], v24
	v_add_f32_e32 v31, -1.0, v24
	v_sub_f32_e32 v32, v31, v24
	v_sub_f32_e32 v31, v14, v31
	v_frexp_exp_i32_f64_e32 v28, v[28:29]
	v_add_f32_e32 v29, 1.0, v32
	v_add_f32_e32 v29, v31, v29
	v_frexp_mant_f32_e32 v31, v24
	s_mov_b32 s6, 0x3f2aaaab
	v_cmp_gt_f32_e32 vcc, s6, v31
	s_mov_b32 s6, 0x3f317218
	s_mov_b32 s5, 0x7f800000
	v_subbrev_co_u32_e32 v28, vcc, 0, v28, vcc
	v_sub_u32_e32 v31, 0, v28
	v_ldexp_f32 v24, v24, v31
	v_ldexp_f32 v29, v29, v31
	v_add_f32_e32 v31, -1.0, v24
	v_add_f32_e32 v34, 1.0, v24
	v_add_f32_e32 v32, 1.0, v31
	v_add_f32_e32 v35, -1.0, v34
	v_sub_f32_e32 v32, v24, v32
	v_sub_f32_e32 v24, v24, v35
	v_add_f32_e32 v24, v29, v24
	v_add_f32_e32 v32, v29, v32
	;; [unrolled: 1-line block ×3, first 2 shown]
	v_rcp_f32_e32 v35, v29
	v_add_f32_e32 v33, v31, v32
	v_sub_f32_e32 v31, v31, v33
	v_add_f32_e32 v31, v32, v31
	v_sub_f32_e32 v32, v34, v29
	v_add_f32_e32 v24, v24, v32
	v_mul_f32_e32 v32, v33, v35
	v_mul_f32_e32 v34, v29, v32
	v_fma_f32 v36, v32, v29, -v34
	v_fmac_f32_e32 v36, v32, v24
	v_add_f32_e32 v37, v34, v36
	v_sub_f32_e32 v38, v33, v37
	v_sub_f32_e32 v33, v33, v38
	;; [unrolled: 1-line block ×4, first 2 shown]
	v_add_f32_e32 v31, v31, v33
	v_sub_f32_e32 v33, v34, v36
	v_add_f32_e32 v31, v33, v31
	v_add_f32_e32 v33, v38, v31
	v_mul_f32_e32 v34, v35, v33
	v_mul_f32_e32 v36, v29, v34
	v_fma_f32 v29, v34, v29, -v36
	v_fmac_f32_e32 v29, v34, v24
	v_sub_f32_e32 v24, v38, v33
	v_add_f32_e32 v24, v31, v24
	v_add_f32_e32 v31, v36, v29
	v_sub_f32_e32 v37, v33, v31
	v_sub_f32_e32 v33, v33, v37
	;; [unrolled: 1-line block ×4, first 2 shown]
	v_add_f32_e32 v24, v24, v31
	v_sub_f32_e32 v29, v36, v29
	v_add_f32_e32 v24, v29, v24
	v_add_f32_e32 v29, v32, v34
	;; [unrolled: 1-line block ×3, first 2 shown]
	v_sub_f32_e32 v31, v29, v32
	v_mul_f32_e32 v24, v35, v24
	v_sub_f32_e32 v31, v34, v31
	v_add_f32_e32 v24, v31, v24
	v_cvt_f32_i32_e32 v28, v28
	v_add_f32_e32 v31, v29, v24
	v_mul_f32_e32 v32, v31, v31
	v_mov_b32_e32 v33, 0x3ecc95a3
	v_fmac_f32_e32 v33, 0x3e9b6dac, v32
	v_mov_b32_e32 v34, 0x3f2aaada
	v_fmac_f32_e32 v34, v32, v33
	v_mul_f32_e32 v33, 0x3f317218, v28
	v_fma_f32 v35, v28, s6, -v33
	v_fmac_f32_e32 v35, 0xb102e308, v28
	v_sub_f32_e32 v28, v31, v29
	v_sub_f32_e32 v24, v24, v28
	v_add_f32_e32 v28, v33, v35
	v_sub_f32_e32 v29, v28, v33
	v_ldexp_f32 v33, v31, 1
	v_mul_f32_e32 v31, v31, v32
	v_mul_f32_e32 v31, v31, v34
	v_add_f32_e32 v32, v33, v31
	v_sub_f32_e32 v33, v32, v33
	v_ldexp_f32 v24, v24, 1
	v_sub_f32_e32 v31, v31, v33
	v_add_f32_e32 v24, v24, v31
	v_add_f32_e32 v31, v32, v24
	v_sub_f32_e32 v32, v31, v32
	v_sub_f32_e32 v24, v24, v32
	v_add_f32_e32 v32, v28, v31
	v_sub_f32_e32 v33, v32, v28
	v_sub_f32_e32 v34, v32, v33
	;; [unrolled: 1-line block ×5, first 2 shown]
	v_add_f32_e32 v28, v31, v28
	v_add_f32_e32 v31, v29, v24
	v_sub_f32_e32 v33, v31, v29
	v_sub_f32_e32 v34, v31, v33
	;; [unrolled: 1-line block ×4, first 2 shown]
	v_add_f32_e32 v28, v31, v28
	v_add_f32_e32 v24, v24, v29
	;; [unrolled: 1-line block ×3, first 2 shown]
	v_sub_f32_e32 v31, v29, v32
	v_sub_f32_e32 v28, v28, v31
	v_add_f32_e32 v24, v24, v28
	v_add_f32_e32 v24, v29, v24
	v_cmp_neq_f32_e32 vcc, s5, v14
	s_mov_b32 s5, 0x33800000
	v_cndmask_b32_e32 v24, v30, v24, vcc
	v_cmp_lt_f32_e64 vcc, |v14|, s5
	v_cndmask_b32_e32 v14, v24, v14, vcc
	v_add_f32_e32 v14, v25, v14
	v_cvt_f16_f32_e32 v30, v14
	v_cvt_f32_f16_e32 v14, v30
	v_mov_b32_e32 v24, v30
.LBB391_176:
	s_or_b64 exec, exec, s[2:3]
	v_max_f32_e32 v25, v6, v6
	v_max_f32_e32 v29, v14, v14
	v_min_f32_e32 v28, v29, v25
	v_cmp_u_f16_e32 vcc, v30, v30
	v_max_f32_e32 v25, v29, v25
	v_cndmask_b32_e32 v28, v28, v14, vcc
	v_cndmask_b32_e32 v25, v25, v14, vcc
	v_cndmask_b32_e64 v28, v28, v6, s[86:87]
	v_cndmask_b32_e64 v25, v25, v6, s[86:87]
	v_cmp_neq_f32_e32 vcc, v28, v25
	v_cmp_class_f32_e64 s[2:3], v28, s4
	s_or_b64 s[4:5], vcc, s[2:3]
	v_mov_b32_e32 v6, v24
	s_and_saveexec_b64 s[2:3], s[4:5]
	s_cbranch_execz .LBB391_178
; %bb.177:
	v_sub_f32_e32 v6, v28, v25
	s_mov_b32 s4, 0x3fb8aa3b
	v_mul_f32_e32 v14, 0x3fb8aa3b, v6
	v_fma_f32 v28, v6, s4, -v14
	v_rndne_f32_e32 v29, v14
	v_fmac_f32_e32 v28, 0x32a5705f, v6
	v_sub_f32_e32 v14, v14, v29
	v_add_f32_e32 v14, v14, v28
	v_exp_f32_e32 v14, v14
	v_cvt_i32_f32_e32 v28, v29
	s_mov_b32 s4, 0xc2ce8ed0
	v_cmp_ngt_f32_e32 vcc, s4, v6
	s_mov_b32 s4, 0x42b17218
	v_ldexp_f32 v14, v14, v28
	v_cndmask_b32_e32 v14, 0, v14, vcc
	v_mov_b32_e32 v30, 0x7f800000
	v_cmp_nlt_f32_e32 vcc, s4, v6
	v_cndmask_b32_e32 v6, v30, v14, vcc
	v_add_f32_e32 v14, 1.0, v6
	v_cvt_f64_f32_e32 v[28:29], v14
	v_add_f32_e32 v31, -1.0, v14
	v_sub_f32_e32 v32, v31, v14
	v_sub_f32_e32 v31, v6, v31
	v_frexp_exp_i32_f64_e32 v28, v[28:29]
	v_add_f32_e32 v29, 1.0, v32
	v_add_f32_e32 v29, v31, v29
	v_frexp_mant_f32_e32 v31, v14
	s_mov_b32 s5, 0x3f2aaaab
	v_cmp_gt_f32_e32 vcc, s5, v31
	s_mov_b32 s5, 0x3f317218
	s_mov_b32 s4, 0x7f800000
	v_subbrev_co_u32_e32 v28, vcc, 0, v28, vcc
	v_sub_u32_e32 v31, 0, v28
	v_ldexp_f32 v14, v14, v31
	v_ldexp_f32 v29, v29, v31
	v_add_f32_e32 v31, -1.0, v14
	v_add_f32_e32 v34, 1.0, v14
	v_add_f32_e32 v32, 1.0, v31
	v_add_f32_e32 v35, -1.0, v34
	v_sub_f32_e32 v32, v14, v32
	v_sub_f32_e32 v14, v14, v35
	v_add_f32_e32 v14, v29, v14
	v_add_f32_e32 v32, v29, v32
	;; [unrolled: 1-line block ×3, first 2 shown]
	v_rcp_f32_e32 v35, v29
	v_add_f32_e32 v33, v31, v32
	v_sub_f32_e32 v31, v31, v33
	v_add_f32_e32 v31, v32, v31
	v_sub_f32_e32 v32, v34, v29
	v_add_f32_e32 v14, v14, v32
	v_mul_f32_e32 v32, v33, v35
	v_mul_f32_e32 v34, v29, v32
	v_fma_f32 v36, v32, v29, -v34
	v_fmac_f32_e32 v36, v32, v14
	v_add_f32_e32 v37, v34, v36
	v_sub_f32_e32 v38, v33, v37
	v_sub_f32_e32 v33, v33, v38
	;; [unrolled: 1-line block ×4, first 2 shown]
	v_add_f32_e32 v31, v31, v33
	v_sub_f32_e32 v33, v34, v36
	v_add_f32_e32 v31, v33, v31
	v_add_f32_e32 v33, v38, v31
	v_mul_f32_e32 v34, v35, v33
	v_mul_f32_e32 v36, v29, v34
	v_fma_f32 v29, v34, v29, -v36
	v_fmac_f32_e32 v29, v34, v14
	v_sub_f32_e32 v14, v38, v33
	v_add_f32_e32 v14, v31, v14
	v_add_f32_e32 v31, v36, v29
	v_sub_f32_e32 v37, v33, v31
	v_sub_f32_e32 v33, v33, v37
	;; [unrolled: 1-line block ×4, first 2 shown]
	v_add_f32_e32 v14, v14, v31
	v_sub_f32_e32 v29, v36, v29
	v_add_f32_e32 v14, v29, v14
	v_add_f32_e32 v29, v32, v34
	;; [unrolled: 1-line block ×3, first 2 shown]
	v_sub_f32_e32 v31, v29, v32
	v_mul_f32_e32 v14, v35, v14
	v_sub_f32_e32 v31, v34, v31
	v_add_f32_e32 v14, v31, v14
	v_cvt_f32_i32_e32 v28, v28
	v_add_f32_e32 v31, v29, v14
	v_mul_f32_e32 v32, v31, v31
	v_mov_b32_e32 v33, 0x3ecc95a3
	v_fmac_f32_e32 v33, 0x3e9b6dac, v32
	v_mov_b32_e32 v34, 0x3f2aaada
	v_fmac_f32_e32 v34, v32, v33
	v_mul_f32_e32 v33, 0x3f317218, v28
	v_fma_f32 v35, v28, s5, -v33
	v_fmac_f32_e32 v35, 0xb102e308, v28
	v_sub_f32_e32 v28, v31, v29
	v_sub_f32_e32 v14, v14, v28
	v_add_f32_e32 v28, v33, v35
	v_sub_f32_e32 v29, v28, v33
	v_ldexp_f32 v33, v31, 1
	v_mul_f32_e32 v31, v31, v32
	v_mul_f32_e32 v31, v31, v34
	v_add_f32_e32 v32, v33, v31
	v_sub_f32_e32 v33, v32, v33
	v_ldexp_f32 v14, v14, 1
	v_sub_f32_e32 v31, v31, v33
	v_add_f32_e32 v14, v14, v31
	v_add_f32_e32 v31, v32, v14
	v_sub_f32_e32 v32, v31, v32
	v_sub_f32_e32 v14, v14, v32
	v_add_f32_e32 v32, v28, v31
	v_sub_f32_e32 v33, v32, v28
	v_sub_f32_e32 v34, v32, v33
	;; [unrolled: 1-line block ×5, first 2 shown]
	v_add_f32_e32 v28, v31, v28
	v_add_f32_e32 v31, v29, v14
	v_sub_f32_e32 v33, v31, v29
	v_sub_f32_e32 v34, v31, v33
	;; [unrolled: 1-line block ×4, first 2 shown]
	v_add_f32_e32 v28, v31, v28
	v_add_f32_e32 v14, v14, v29
	v_add_f32_e32 v29, v32, v28
	v_sub_f32_e32 v31, v29, v32
	v_sub_f32_e32 v28, v28, v31
	v_add_f32_e32 v14, v14, v28
	v_add_f32_e32 v14, v29, v14
	v_cmp_neq_f32_e32 vcc, s4, v6
	s_mov_b32 s4, 0x33800000
	v_cndmask_b32_e32 v14, v30, v14, vcc
	v_cmp_lt_f32_e64 vcc, |v6|, s4
	v_cndmask_b32_e32 v6, v14, v6, vcc
	v_add_f32_e32 v6, v25, v6
	v_cvt_f16_f32_e32 v30, v6
	v_cvt_f32_f16_e32 v14, v30
	v_mov_b32_e32 v6, v30
.LBB391_178:
	s_or_b64 exec, exec, s[2:3]
	v_max_f32_e32 v25, v26, v26
	v_max_f32_e32 v29, v14, v14
	v_min_f32_e32 v28, v29, v25
	v_cmp_u_f16_e32 vcc, v30, v30
	v_max_f32_e32 v25, v29, v25
	v_cndmask_b32_e32 v28, v28, v14, vcc
	v_cndmask_b32_e32 v25, v25, v14, vcc
	v_cndmask_b32_e64 v28, v28, v26, s[88:89]
	v_cndmask_b32_e64 v26, v25, v26, s[88:89]
	s_movk_i32 s4, 0x1f8
	v_cmp_neq_f32_e32 vcc, v28, v26
	v_cmp_class_f32_e64 s[2:3], v28, s4
	s_or_b64 s[6:7], vcc, s[2:3]
	v_mov_b32_e32 v25, v6
	s_and_saveexec_b64 s[2:3], s[6:7]
	s_cbranch_execz .LBB391_180
; %bb.179:
	v_sub_f32_e32 v14, v28, v26
	s_mov_b32 s5, 0x3fb8aa3b
	v_mul_f32_e32 v25, 0x3fb8aa3b, v14
	v_fma_f32 v28, v14, s5, -v25
	v_rndne_f32_e32 v29, v25
	v_fmac_f32_e32 v28, 0x32a5705f, v14
	v_sub_f32_e32 v25, v25, v29
	v_add_f32_e32 v25, v25, v28
	v_exp_f32_e32 v25, v25
	v_cvt_i32_f32_e32 v28, v29
	s_mov_b32 s5, 0xc2ce8ed0
	v_cmp_ngt_f32_e32 vcc, s5, v14
	s_mov_b32 s5, 0x42b17218
	v_ldexp_f32 v25, v25, v28
	v_cndmask_b32_e32 v25, 0, v25, vcc
	v_mov_b32_e32 v30, 0x7f800000
	v_cmp_nlt_f32_e32 vcc, s5, v14
	v_cndmask_b32_e32 v14, v30, v25, vcc
	v_add_f32_e32 v25, 1.0, v14
	v_cvt_f64_f32_e32 v[28:29], v25
	v_add_f32_e32 v31, -1.0, v25
	v_sub_f32_e32 v32, v31, v25
	v_sub_f32_e32 v31, v14, v31
	v_frexp_exp_i32_f64_e32 v28, v[28:29]
	v_add_f32_e32 v29, 1.0, v32
	v_add_f32_e32 v29, v31, v29
	v_frexp_mant_f32_e32 v31, v25
	s_mov_b32 s6, 0x3f2aaaab
	v_cmp_gt_f32_e32 vcc, s6, v31
	s_mov_b32 s6, 0x3f317218
	s_mov_b32 s5, 0x7f800000
	v_subbrev_co_u32_e32 v28, vcc, 0, v28, vcc
	v_sub_u32_e32 v31, 0, v28
	v_ldexp_f32 v25, v25, v31
	v_ldexp_f32 v29, v29, v31
	v_add_f32_e32 v31, -1.0, v25
	v_add_f32_e32 v34, 1.0, v25
	v_add_f32_e32 v32, 1.0, v31
	v_add_f32_e32 v35, -1.0, v34
	v_sub_f32_e32 v32, v25, v32
	v_sub_f32_e32 v25, v25, v35
	v_add_f32_e32 v25, v29, v25
	v_add_f32_e32 v32, v29, v32
	v_add_f32_e32 v29, v34, v25
	v_rcp_f32_e32 v35, v29
	v_add_f32_e32 v33, v31, v32
	v_sub_f32_e32 v31, v31, v33
	v_add_f32_e32 v31, v32, v31
	v_sub_f32_e32 v32, v34, v29
	v_add_f32_e32 v25, v25, v32
	v_mul_f32_e32 v32, v33, v35
	v_mul_f32_e32 v34, v29, v32
	v_fma_f32 v36, v32, v29, -v34
	v_fmac_f32_e32 v36, v32, v25
	v_add_f32_e32 v37, v34, v36
	v_sub_f32_e32 v38, v33, v37
	v_sub_f32_e32 v33, v33, v38
	;; [unrolled: 1-line block ×4, first 2 shown]
	v_add_f32_e32 v31, v31, v33
	v_sub_f32_e32 v33, v34, v36
	v_add_f32_e32 v31, v33, v31
	v_add_f32_e32 v33, v38, v31
	v_mul_f32_e32 v34, v35, v33
	v_mul_f32_e32 v36, v29, v34
	v_fma_f32 v29, v34, v29, -v36
	v_fmac_f32_e32 v29, v34, v25
	v_sub_f32_e32 v25, v38, v33
	v_add_f32_e32 v25, v31, v25
	v_add_f32_e32 v31, v36, v29
	v_sub_f32_e32 v37, v33, v31
	v_sub_f32_e32 v33, v33, v37
	v_sub_f32_e32 v36, v31, v36
	v_sub_f32_e32 v31, v33, v31
	v_add_f32_e32 v25, v25, v31
	v_sub_f32_e32 v29, v36, v29
	v_add_f32_e32 v25, v29, v25
	v_add_f32_e32 v29, v32, v34
	;; [unrolled: 1-line block ×3, first 2 shown]
	v_sub_f32_e32 v31, v29, v32
	v_mul_f32_e32 v25, v35, v25
	v_sub_f32_e32 v31, v34, v31
	v_add_f32_e32 v25, v31, v25
	v_cvt_f32_i32_e32 v28, v28
	v_add_f32_e32 v31, v29, v25
	v_mul_f32_e32 v32, v31, v31
	v_mov_b32_e32 v33, 0x3ecc95a3
	v_fmac_f32_e32 v33, 0x3e9b6dac, v32
	v_mov_b32_e32 v34, 0x3f2aaada
	v_fmac_f32_e32 v34, v32, v33
	v_mul_f32_e32 v33, 0x3f317218, v28
	v_fma_f32 v35, v28, s6, -v33
	v_fmac_f32_e32 v35, 0xb102e308, v28
	v_sub_f32_e32 v28, v31, v29
	v_sub_f32_e32 v25, v25, v28
	v_add_f32_e32 v28, v33, v35
	v_sub_f32_e32 v29, v28, v33
	v_ldexp_f32 v33, v31, 1
	v_mul_f32_e32 v31, v31, v32
	v_mul_f32_e32 v31, v31, v34
	v_add_f32_e32 v32, v33, v31
	v_sub_f32_e32 v33, v32, v33
	v_ldexp_f32 v25, v25, 1
	v_sub_f32_e32 v31, v31, v33
	v_add_f32_e32 v25, v25, v31
	v_add_f32_e32 v31, v32, v25
	v_sub_f32_e32 v32, v31, v32
	v_sub_f32_e32 v25, v25, v32
	v_add_f32_e32 v32, v28, v31
	v_sub_f32_e32 v33, v32, v28
	v_sub_f32_e32 v34, v32, v33
	;; [unrolled: 1-line block ×5, first 2 shown]
	v_add_f32_e32 v28, v31, v28
	v_add_f32_e32 v31, v29, v25
	v_sub_f32_e32 v33, v31, v29
	v_sub_f32_e32 v34, v31, v33
	;; [unrolled: 1-line block ×4, first 2 shown]
	v_add_f32_e32 v28, v31, v28
	v_add_f32_e32 v25, v25, v29
	v_add_f32_e32 v29, v32, v28
	v_sub_f32_e32 v31, v29, v32
	v_sub_f32_e32 v28, v28, v31
	v_add_f32_e32 v25, v25, v28
	v_add_f32_e32 v25, v29, v25
	v_cmp_neq_f32_e32 vcc, s5, v14
	s_mov_b32 s5, 0x33800000
	v_cndmask_b32_e32 v25, v30, v25, vcc
	v_cmp_lt_f32_e64 vcc, |v14|, s5
	v_cndmask_b32_e32 v14, v25, v14, vcc
	v_add_f32_e32 v14, v26, v14
	v_cvt_f16_f32_e32 v30, v14
	v_cvt_f32_f16_e32 v14, v30
	v_mov_b32_e32 v25, v30
.LBB391_180:
	s_or_b64 exec, exec, s[2:3]
	v_max_f32_e32 v26, v7, v7
	v_max_f32_e32 v29, v14, v14
	v_min_f32_e32 v28, v29, v26
	v_cmp_u_f16_e32 vcc, v30, v30
	v_max_f32_e32 v26, v29, v26
	v_cndmask_b32_e32 v28, v28, v14, vcc
	v_cndmask_b32_e32 v26, v26, v14, vcc
	v_cndmask_b32_e64 v28, v28, v7, s[90:91]
	v_cndmask_b32_e64 v26, v26, v7, s[90:91]
	v_cmp_neq_f32_e32 vcc, v28, v26
	v_cmp_class_f32_e64 s[2:3], v28, s4
	s_or_b64 s[4:5], vcc, s[2:3]
	v_mov_b32_e32 v7, v25
	s_and_saveexec_b64 s[2:3], s[4:5]
	s_cbranch_execz .LBB391_182
; %bb.181:
	v_sub_f32_e32 v7, v28, v26
	s_mov_b32 s4, 0x3fb8aa3b
	v_mul_f32_e32 v14, 0x3fb8aa3b, v7
	v_fma_f32 v28, v7, s4, -v14
	v_rndne_f32_e32 v29, v14
	v_fmac_f32_e32 v28, 0x32a5705f, v7
	v_sub_f32_e32 v14, v14, v29
	v_add_f32_e32 v14, v14, v28
	v_exp_f32_e32 v14, v14
	v_cvt_i32_f32_e32 v28, v29
	s_mov_b32 s4, 0xc2ce8ed0
	v_cmp_ngt_f32_e32 vcc, s4, v7
	s_mov_b32 s4, 0x42b17218
	v_ldexp_f32 v14, v14, v28
	v_cndmask_b32_e32 v14, 0, v14, vcc
	v_mov_b32_e32 v30, 0x7f800000
	v_cmp_nlt_f32_e32 vcc, s4, v7
	v_cndmask_b32_e32 v7, v30, v14, vcc
	v_add_f32_e32 v14, 1.0, v7
	v_cvt_f64_f32_e32 v[28:29], v14
	v_add_f32_e32 v31, -1.0, v14
	v_sub_f32_e32 v32, v31, v14
	v_sub_f32_e32 v31, v7, v31
	v_frexp_exp_i32_f64_e32 v28, v[28:29]
	v_add_f32_e32 v29, 1.0, v32
	v_add_f32_e32 v29, v31, v29
	v_frexp_mant_f32_e32 v31, v14
	s_mov_b32 s5, 0x3f2aaaab
	v_cmp_gt_f32_e32 vcc, s5, v31
	s_mov_b32 s5, 0x3f317218
	s_mov_b32 s4, 0x7f800000
	v_subbrev_co_u32_e32 v28, vcc, 0, v28, vcc
	v_sub_u32_e32 v31, 0, v28
	v_ldexp_f32 v14, v14, v31
	v_ldexp_f32 v29, v29, v31
	v_add_f32_e32 v31, -1.0, v14
	v_add_f32_e32 v34, 1.0, v14
	v_add_f32_e32 v32, 1.0, v31
	v_add_f32_e32 v35, -1.0, v34
	v_sub_f32_e32 v32, v14, v32
	v_sub_f32_e32 v14, v14, v35
	v_add_f32_e32 v14, v29, v14
	v_add_f32_e32 v32, v29, v32
	;; [unrolled: 1-line block ×3, first 2 shown]
	v_rcp_f32_e32 v35, v29
	v_add_f32_e32 v33, v31, v32
	v_sub_f32_e32 v31, v31, v33
	v_add_f32_e32 v31, v32, v31
	v_sub_f32_e32 v32, v34, v29
	v_add_f32_e32 v14, v14, v32
	v_mul_f32_e32 v32, v33, v35
	v_mul_f32_e32 v34, v29, v32
	v_fma_f32 v36, v32, v29, -v34
	v_fmac_f32_e32 v36, v32, v14
	v_add_f32_e32 v37, v34, v36
	v_sub_f32_e32 v38, v33, v37
	v_sub_f32_e32 v33, v33, v38
	;; [unrolled: 1-line block ×4, first 2 shown]
	v_add_f32_e32 v31, v31, v33
	v_sub_f32_e32 v33, v34, v36
	v_add_f32_e32 v31, v33, v31
	v_add_f32_e32 v33, v38, v31
	v_mul_f32_e32 v34, v35, v33
	v_mul_f32_e32 v36, v29, v34
	v_fma_f32 v29, v34, v29, -v36
	v_fmac_f32_e32 v29, v34, v14
	v_sub_f32_e32 v14, v38, v33
	v_add_f32_e32 v14, v31, v14
	v_add_f32_e32 v31, v36, v29
	v_sub_f32_e32 v37, v33, v31
	v_sub_f32_e32 v33, v33, v37
	;; [unrolled: 1-line block ×4, first 2 shown]
	v_add_f32_e32 v14, v14, v31
	v_sub_f32_e32 v29, v36, v29
	v_add_f32_e32 v14, v29, v14
	v_add_f32_e32 v29, v32, v34
	v_add_f32_e32 v14, v37, v14
	v_sub_f32_e32 v31, v29, v32
	v_mul_f32_e32 v14, v35, v14
	v_sub_f32_e32 v31, v34, v31
	v_add_f32_e32 v14, v31, v14
	v_cvt_f32_i32_e32 v28, v28
	v_add_f32_e32 v31, v29, v14
	v_mul_f32_e32 v32, v31, v31
	v_mov_b32_e32 v33, 0x3ecc95a3
	v_fmac_f32_e32 v33, 0x3e9b6dac, v32
	v_mov_b32_e32 v34, 0x3f2aaada
	v_fmac_f32_e32 v34, v32, v33
	v_mul_f32_e32 v33, 0x3f317218, v28
	v_fma_f32 v35, v28, s5, -v33
	v_fmac_f32_e32 v35, 0xb102e308, v28
	v_sub_f32_e32 v28, v31, v29
	v_sub_f32_e32 v14, v14, v28
	v_add_f32_e32 v28, v33, v35
	v_sub_f32_e32 v29, v28, v33
	v_ldexp_f32 v33, v31, 1
	v_mul_f32_e32 v31, v31, v32
	v_mul_f32_e32 v31, v31, v34
	v_add_f32_e32 v32, v33, v31
	v_sub_f32_e32 v33, v32, v33
	v_ldexp_f32 v14, v14, 1
	v_sub_f32_e32 v31, v31, v33
	v_add_f32_e32 v14, v14, v31
	v_add_f32_e32 v31, v32, v14
	v_sub_f32_e32 v32, v31, v32
	v_sub_f32_e32 v14, v14, v32
	v_add_f32_e32 v32, v28, v31
	v_sub_f32_e32 v33, v32, v28
	v_sub_f32_e32 v34, v32, v33
	;; [unrolled: 1-line block ×5, first 2 shown]
	v_add_f32_e32 v28, v31, v28
	v_add_f32_e32 v31, v29, v14
	v_sub_f32_e32 v33, v31, v29
	v_sub_f32_e32 v34, v31, v33
	;; [unrolled: 1-line block ×4, first 2 shown]
	v_add_f32_e32 v28, v31, v28
	v_add_f32_e32 v14, v14, v29
	;; [unrolled: 1-line block ×3, first 2 shown]
	v_sub_f32_e32 v31, v29, v32
	v_sub_f32_e32 v28, v28, v31
	v_add_f32_e32 v14, v14, v28
	v_add_f32_e32 v14, v29, v14
	v_cmp_neq_f32_e32 vcc, s4, v7
	s_mov_b32 s4, 0x33800000
	v_cndmask_b32_e32 v14, v30, v14, vcc
	v_cmp_lt_f32_e64 vcc, |v7|, s4
	v_cndmask_b32_e32 v7, v14, v7, vcc
	v_add_f32_e32 v7, v26, v7
	v_cvt_f16_f32_e32 v30, v7
	v_cvt_f32_f16_e32 v14, v30
	v_mov_b32_e32 v7, v30
.LBB391_182:
	s_or_b64 exec, exec, s[2:3]
	v_max_f32_e32 v26, v27, v27
	v_max_f32_e32 v29, v14, v14
	v_min_f32_e32 v28, v29, v26
	v_cmp_u_f16_e32 vcc, v30, v30
	v_max_f32_e32 v26, v29, v26
	v_cndmask_b32_e32 v28, v28, v14, vcc
	v_cndmask_b32_e32 v14, v26, v14, vcc
	v_cndmask_b32_e64 v28, v28, v27, s[92:93]
	v_cndmask_b32_e64 v14, v14, v27, s[92:93]
	s_movk_i32 s2, 0x1f8
	v_cmp_neq_f32_e32 vcc, v28, v14
	v_cmp_class_f32_e64 s[2:3], v28, s2
	s_or_b64 s[4:5], vcc, s[2:3]
	v_mov_b32_e32 v26, v7
	s_and_saveexec_b64 s[2:3], s[4:5]
	s_cbranch_execz .LBB391_184
; %bb.183:
	v_sub_f32_e32 v26, v28, v14
	s_mov_b32 s4, 0x3fb8aa3b
	v_mul_f32_e32 v27, 0x3fb8aa3b, v26
	v_fma_f32 v28, v26, s4, -v27
	v_rndne_f32_e32 v29, v27
	v_fmac_f32_e32 v28, 0x32a5705f, v26
	v_sub_f32_e32 v27, v27, v29
	v_add_f32_e32 v27, v27, v28
	v_exp_f32_e32 v27, v27
	v_cvt_i32_f32_e32 v28, v29
	s_mov_b32 s4, 0xc2ce8ed0
	v_cmp_ngt_f32_e32 vcc, s4, v26
	s_mov_b32 s4, 0x42b17218
	v_ldexp_f32 v27, v27, v28
	v_cndmask_b32_e32 v27, 0, v27, vcc
	v_mov_b32_e32 v28, 0x7f800000
	v_cmp_nlt_f32_e32 vcc, s4, v26
	v_cndmask_b32_e32 v29, v28, v27, vcc
	v_add_f32_e32 v30, 1.0, v29
	v_cvt_f64_f32_e32 v[26:27], v30
	v_add_f32_e32 v31, -1.0, v30
	v_sub_f32_e32 v32, v31, v30
	v_sub_f32_e32 v31, v29, v31
	v_frexp_exp_i32_f64_e32 v26, v[26:27]
	v_add_f32_e32 v27, 1.0, v32
	v_add_f32_e32 v27, v31, v27
	v_frexp_mant_f32_e32 v31, v30
	s_mov_b32 s5, 0x3f2aaaab
	v_cmp_gt_f32_e32 vcc, s5, v31
	s_mov_b32 s5, 0x3f317218
	s_mov_b32 s4, 0x7f800000
	v_subbrev_co_u32_e32 v26, vcc, 0, v26, vcc
	v_sub_u32_e32 v31, 0, v26
	v_ldexp_f32 v30, v30, v31
	v_ldexp_f32 v27, v27, v31
	v_add_f32_e32 v31, -1.0, v30
	v_add_f32_e32 v34, 1.0, v30
	v_add_f32_e32 v32, 1.0, v31
	v_add_f32_e32 v35, -1.0, v34
	v_sub_f32_e32 v32, v30, v32
	v_sub_f32_e32 v30, v30, v35
	v_add_f32_e32 v32, v27, v32
	v_add_f32_e32 v27, v27, v30
	;; [unrolled: 1-line block ×3, first 2 shown]
	v_rcp_f32_e32 v35, v30
	v_add_f32_e32 v33, v31, v32
	v_sub_f32_e32 v31, v31, v33
	v_add_f32_e32 v31, v32, v31
	v_sub_f32_e32 v32, v34, v30
	v_add_f32_e32 v27, v27, v32
	v_mul_f32_e32 v32, v33, v35
	v_mul_f32_e32 v34, v30, v32
	v_fma_f32 v36, v32, v30, -v34
	v_fmac_f32_e32 v36, v32, v27
	v_add_f32_e32 v37, v34, v36
	v_sub_f32_e32 v38, v33, v37
	v_sub_f32_e32 v33, v33, v38
	;; [unrolled: 1-line block ×4, first 2 shown]
	v_add_f32_e32 v31, v31, v33
	v_sub_f32_e32 v33, v34, v36
	v_add_f32_e32 v31, v33, v31
	v_add_f32_e32 v33, v38, v31
	v_mul_f32_e32 v34, v35, v33
	v_mul_f32_e32 v36, v30, v34
	v_fma_f32 v30, v34, v30, -v36
	v_fmac_f32_e32 v30, v34, v27
	v_sub_f32_e32 v27, v38, v33
	v_add_f32_e32 v27, v31, v27
	v_add_f32_e32 v31, v36, v30
	v_sub_f32_e32 v37, v33, v31
	v_sub_f32_e32 v33, v33, v37
	;; [unrolled: 1-line block ×4, first 2 shown]
	v_add_f32_e32 v27, v27, v31
	v_sub_f32_e32 v30, v36, v30
	v_add_f32_e32 v27, v30, v27
	v_add_f32_e32 v30, v32, v34
	;; [unrolled: 1-line block ×3, first 2 shown]
	v_sub_f32_e32 v31, v30, v32
	v_mul_f32_e32 v27, v35, v27
	v_sub_f32_e32 v31, v34, v31
	v_add_f32_e32 v27, v31, v27
	v_cvt_f32_i32_e32 v26, v26
	v_add_f32_e32 v31, v30, v27
	v_mul_f32_e32 v32, v31, v31
	v_mov_b32_e32 v33, 0x3ecc95a3
	v_fmac_f32_e32 v33, 0x3e9b6dac, v32
	v_mov_b32_e32 v34, 0x3f2aaada
	v_fmac_f32_e32 v34, v32, v33
	v_mul_f32_e32 v33, 0x3f317218, v26
	v_fma_f32 v35, v26, s5, -v33
	v_fmac_f32_e32 v35, 0xb102e308, v26
	v_sub_f32_e32 v26, v31, v30
	v_sub_f32_e32 v26, v27, v26
	v_add_f32_e32 v27, v33, v35
	v_sub_f32_e32 v30, v27, v33
	v_ldexp_f32 v33, v31, 1
	v_mul_f32_e32 v31, v31, v32
	v_mul_f32_e32 v31, v31, v34
	v_add_f32_e32 v32, v33, v31
	v_sub_f32_e32 v33, v32, v33
	v_ldexp_f32 v26, v26, 1
	v_sub_f32_e32 v31, v31, v33
	v_add_f32_e32 v26, v26, v31
	v_add_f32_e32 v31, v32, v26
	v_sub_f32_e32 v32, v31, v32
	v_sub_f32_e32 v26, v26, v32
	v_add_f32_e32 v32, v27, v31
	v_sub_f32_e32 v33, v32, v27
	v_sub_f32_e32 v34, v32, v33
	;; [unrolled: 1-line block ×5, first 2 shown]
	v_add_f32_e32 v27, v31, v27
	v_add_f32_e32 v31, v30, v26
	v_sub_f32_e32 v33, v31, v30
	v_sub_f32_e32 v34, v31, v33
	;; [unrolled: 1-line block ×4, first 2 shown]
	v_add_f32_e32 v27, v31, v27
	v_add_f32_e32 v26, v26, v30
	v_add_f32_e32 v30, v32, v27
	v_sub_f32_e32 v31, v30, v32
	v_sub_f32_e32 v27, v27, v31
	v_add_f32_e32 v26, v26, v27
	v_add_f32_e32 v26, v30, v26
	v_cmp_neq_f32_e32 vcc, s4, v29
	s_mov_b32 s4, 0x33800000
	v_cndmask_b32_e32 v26, v28, v26, vcc
	v_cmp_lt_f32_e64 vcc, |v29|, s4
	v_cndmask_b32_e32 v26, v26, v29, vcc
	v_add_f32_e32 v14, v14, v26
	v_cvt_f16_f32_e32 v26, v14
.LBB391_184:
	s_or_b64 exec, exec, s[2:3]
	s_mov_b32 s2, 0x5040100
	v_add_u32_e32 v8, v13, v8
	v_perm_b32 v18, v18, v3, s2
	v_perm_b32 v17, v17, v2, s2
	;; [unrolled: 1-line block ×8, first 2 shown]
	s_barrier
	ds_write_b128 v8, v[0:3] offset:16
	v_perm_b32 v3, v26, v7, s2
	v_perm_b32 v2, v25, v6, s2
	;; [unrolled: 1-line block ×4, first 2 shown]
	ds_write_b128 v8, v[15:18]
	ds_write_b128 v8, v[0:3] offset:32
	s_waitcnt lgkmcnt(0)
	s_barrier
	ds_read_u16 v25, v13 offset:512
	ds_read_u16 v24, v13 offset:1024
	;; [unrolled: 1-line block ×23, first 2 shown]
	v_mov_b32_e32 v1, s1
	v_add_co_u32_e32 v0, vcc, s0, v13
	v_addc_co_u32_e32 v1, vcc, 0, v1, vcc
	s_mov_b64 s[0:1], exec
	v_readlane_b32 s2, v48, 0
	v_readlane_b32 s3, v48, 1
	s_and_b64 s[2:3], s[0:1], s[2:3]
	s_mov_b64 exec, s[2:3]
	s_cbranch_execz .LBB391_186
; %bb.185:
	ds_read_u16 v13, v13
	s_waitcnt lgkmcnt(0)
	global_store_short v[0:1], v13, off
.LBB391_186:
	s_or_b64 exec, exec, s[0:1]
	s_mov_b64 s[0:1], exec
	v_readlane_b32 s2, v48, 2
	v_readlane_b32 s3, v48, 3
	s_and_b64 s[2:3], s[0:1], s[2:3]
	s_mov_b64 exec, s[2:3]
	s_cbranch_execz .LBB391_188
; %bb.187:
	s_waitcnt lgkmcnt(14)
	global_store_short v[0:1], v25, off offset:512
.LBB391_188:
	s_or_b64 exec, exec, s[0:1]
	s_mov_b64 s[0:1], exec
	v_readlane_b32 s2, v48, 4
	v_readlane_b32 s3, v48, 5
	s_and_b64 s[2:3], s[0:1], s[2:3]
	s_mov_b64 exec, s[2:3]
	s_cbranch_execz .LBB391_190
; %bb.189:
	s_waitcnt lgkmcnt(14)
	global_store_short v[0:1], v24, off offset:1024
.LBB391_190:
	;; [unrolled: 11-line block ×5, first 2 shown]
	s_or_b64 exec, exec, s[0:1]
	s_mov_b64 s[0:1], exec
	v_readlane_b32 s2, v48, 12
	v_readlane_b32 s3, v48, 13
	s_and_b64 s[2:3], s[0:1], s[2:3]
	s_mov_b64 exec, s[2:3]
	s_cbranch_execnz .LBB391_215
; %bb.197:
	s_or_b64 exec, exec, s[0:1]
	s_and_saveexec_b64 s[0:1], s[12:13]
	s_cbranch_execnz .LBB391_216
.LBB391_198:
	s_or_b64 exec, exec, s[0:1]
	s_and_saveexec_b64 s[0:1], s[14:15]
	s_cbranch_execnz .LBB391_217
.LBB391_199:
	s_or_b64 exec, exec, s[0:1]
	s_and_saveexec_b64 s[0:1], s[16:17]
	s_cbranch_execnz .LBB391_218
.LBB391_200:
	s_or_b64 exec, exec, s[0:1]
	s_and_saveexec_b64 s[0:1], s[18:19]
	s_cbranch_execnz .LBB391_219
.LBB391_201:
	s_or_b64 exec, exec, s[0:1]
	s_and_saveexec_b64 s[0:1], s[20:21]
	s_cbranch_execnz .LBB391_220
.LBB391_202:
	s_or_b64 exec, exec, s[0:1]
	s_and_saveexec_b64 s[0:1], s[22:23]
	s_cbranch_execnz .LBB391_221
.LBB391_203:
	s_or_b64 exec, exec, s[0:1]
	s_and_saveexec_b64 s[0:1], s[24:25]
	s_cbranch_execnz .LBB391_222
.LBB391_204:
	s_or_b64 exec, exec, s[0:1]
	s_and_saveexec_b64 s[0:1], s[26:27]
	s_cbranch_execnz .LBB391_223
.LBB391_205:
	s_or_b64 exec, exec, s[0:1]
	s_and_saveexec_b64 s[0:1], s[28:29]
	s_cbranch_execnz .LBB391_224
.LBB391_206:
	s_or_b64 exec, exec, s[0:1]
	s_and_saveexec_b64 s[0:1], s[30:31]
	s_cbranch_execnz .LBB391_225
.LBB391_207:
	s_or_b64 exec, exec, s[0:1]
	s_and_saveexec_b64 s[0:1], s[34:35]
	s_cbranch_execnz .LBB391_226
.LBB391_208:
	s_or_b64 exec, exec, s[0:1]
	s_and_saveexec_b64 s[0:1], s[36:37]
	s_cbranch_execnz .LBB391_227
.LBB391_209:
	s_or_b64 exec, exec, s[0:1]
	s_and_saveexec_b64 s[0:1], s[38:39]
	s_cbranch_execnz .LBB391_228
.LBB391_210:
	s_or_b64 exec, exec, s[0:1]
	s_and_saveexec_b64 s[0:1], s[40:41]
	s_cbranch_execnz .LBB391_229
.LBB391_211:
	s_or_b64 exec, exec, s[0:1]
	s_and_saveexec_b64 s[0:1], s[42:43]
	s_cbranch_execnz .LBB391_230
.LBB391_212:
	s_or_b64 exec, exec, s[0:1]
	s_and_saveexec_b64 s[0:1], s[44:45]
	s_cbranch_execnz .LBB391_231
.LBB391_213:
	s_or_b64 exec, exec, s[0:1]
	s_and_saveexec_b64 s[0:1], s[46:47]
	s_cbranch_execnz .LBB391_232
.LBB391_214:
	s_endpgm
.LBB391_215:
	s_waitcnt lgkmcnt(14)
	global_store_short v[0:1], v20, off offset:3072
	s_or_b64 exec, exec, s[0:1]
	s_and_saveexec_b64 s[0:1], s[12:13]
	s_cbranch_execz .LBB391_198
.LBB391_216:
	s_waitcnt lgkmcnt(14)
	global_store_short v[0:1], v19, off offset:3584
	s_or_b64 exec, exec, s[0:1]
	s_and_saveexec_b64 s[0:1], s[14:15]
	s_cbranch_execz .LBB391_199
.LBB391_217:
	s_waitcnt lgkmcnt(14)
	v_add_co_u32_e32 v19, vcc, 0x1000, v0
	v_addc_co_u32_e32 v20, vcc, 0, v1, vcc
	global_store_short v[19:20], v18, off
	s_or_b64 exec, exec, s[0:1]
	s_and_saveexec_b64 s[0:1], s[16:17]
	s_cbranch_execz .LBB391_200
.LBB391_218:
	s_waitcnt lgkmcnt(14)
	v_add_co_u32_e32 v18, vcc, 0x1000, v0
	v_addc_co_u32_e32 v19, vcc, 0, v1, vcc
	global_store_short v[18:19], v17, off offset:512
	s_or_b64 exec, exec, s[0:1]
	s_and_saveexec_b64 s[0:1], s[18:19]
	s_cbranch_execz .LBB391_201
.LBB391_219:
	s_waitcnt lgkmcnt(14)
	v_add_co_u32_e32 v17, vcc, 0x1000, v0
	v_addc_co_u32_e32 v18, vcc, 0, v1, vcc
	s_waitcnt lgkmcnt(13)
	global_store_short v[17:18], v16, off offset:1024
	s_or_b64 exec, exec, s[0:1]
	s_and_saveexec_b64 s[0:1], s[20:21]
	s_cbranch_execz .LBB391_202
.LBB391_220:
	s_waitcnt lgkmcnt(13)
	v_add_co_u32_e32 v16, vcc, 0x1000, v0
	v_addc_co_u32_e32 v17, vcc, 0, v1, vcc
	s_waitcnt lgkmcnt(12)
	global_store_short v[16:17], v15, off offset:1536
	s_or_b64 exec, exec, s[0:1]
	s_and_saveexec_b64 s[0:1], s[22:23]
	s_cbranch_execz .LBB391_203
.LBB391_221:
	s_waitcnt lgkmcnt(12)
	v_add_co_u32_e32 v15, vcc, 0x1000, v0
	v_addc_co_u32_e32 v16, vcc, 0, v1, vcc
	s_waitcnt lgkmcnt(11)
	global_store_short v[15:16], v14, off offset:2048
	s_or_b64 exec, exec, s[0:1]
	s_and_saveexec_b64 s[0:1], s[24:25]
	s_cbranch_execz .LBB391_204
.LBB391_222:
	v_add_co_u32_e32 v13, vcc, 0x1000, v0
	s_waitcnt lgkmcnt(11)
	v_addc_co_u32_e32 v14, vcc, 0, v1, vcc
	s_waitcnt lgkmcnt(10)
	global_store_short v[13:14], v12, off offset:2560
	s_or_b64 exec, exec, s[0:1]
	s_and_saveexec_b64 s[0:1], s[26:27]
	s_cbranch_execz .LBB391_205
.LBB391_223:
	s_waitcnt lgkmcnt(10)
	v_add_co_u32_e32 v12, vcc, 0x1000, v0
	v_addc_co_u32_e32 v13, vcc, 0, v1, vcc
	s_waitcnt lgkmcnt(9)
	global_store_short v[12:13], v11, off offset:3072
	s_or_b64 exec, exec, s[0:1]
	s_and_saveexec_b64 s[0:1], s[28:29]
	s_cbranch_execz .LBB391_206
.LBB391_224:
	s_waitcnt lgkmcnt(9)
	v_add_co_u32_e32 v11, vcc, 0x1000, v0
	v_addc_co_u32_e32 v12, vcc, 0, v1, vcc
	s_waitcnt lgkmcnt(8)
	global_store_short v[11:12], v10, off offset:3584
	s_or_b64 exec, exec, s[0:1]
	s_and_saveexec_b64 s[0:1], s[30:31]
	s_cbranch_execz .LBB391_207
.LBB391_225:
	s_waitcnt lgkmcnt(8)
	v_add_co_u32_e32 v10, vcc, 0x2000, v0
	v_addc_co_u32_e32 v11, vcc, 0, v1, vcc
	s_waitcnt lgkmcnt(7)
	global_store_short v[10:11], v9, off
	s_or_b64 exec, exec, s[0:1]
	s_and_saveexec_b64 s[0:1], s[34:35]
	s_cbranch_execz .LBB391_208
.LBB391_226:
	s_waitcnt lgkmcnt(7)
	v_add_co_u32_e32 v9, vcc, 0x2000, v0
	v_addc_co_u32_e32 v10, vcc, 0, v1, vcc
	s_waitcnt lgkmcnt(6)
	global_store_short v[9:10], v8, off offset:512
	s_or_b64 exec, exec, s[0:1]
	s_and_saveexec_b64 s[0:1], s[36:37]
	s_cbranch_execz .LBB391_209
.LBB391_227:
	s_waitcnt lgkmcnt(6)
	v_add_co_u32_e32 v8, vcc, 0x2000, v0
	v_addc_co_u32_e32 v9, vcc, 0, v1, vcc
	s_waitcnt lgkmcnt(5)
	global_store_short v[8:9], v7, off offset:1024
	s_or_b64 exec, exec, s[0:1]
	s_and_saveexec_b64 s[0:1], s[38:39]
	s_cbranch_execz .LBB391_210
.LBB391_228:
	s_waitcnt lgkmcnt(5)
	v_add_co_u32_e32 v7, vcc, 0x2000, v0
	v_addc_co_u32_e32 v8, vcc, 0, v1, vcc
	s_waitcnt lgkmcnt(4)
	global_store_short v[7:8], v6, off offset:1536
	s_or_b64 exec, exec, s[0:1]
	s_and_saveexec_b64 s[0:1], s[40:41]
	s_cbranch_execz .LBB391_211
.LBB391_229:
	s_waitcnt lgkmcnt(4)
	v_add_co_u32_e32 v6, vcc, 0x2000, v0
	v_addc_co_u32_e32 v7, vcc, 0, v1, vcc
	s_waitcnt lgkmcnt(3)
	global_store_short v[6:7], v5, off offset:2048
	s_or_b64 exec, exec, s[0:1]
	s_and_saveexec_b64 s[0:1], s[42:43]
	s_cbranch_execz .LBB391_212
.LBB391_230:
	s_waitcnt lgkmcnt(3)
	v_add_co_u32_e32 v5, vcc, 0x2000, v0
	v_addc_co_u32_e32 v6, vcc, 0, v1, vcc
	s_waitcnt lgkmcnt(2)
	global_store_short v[5:6], v4, off offset:2560
	s_or_b64 exec, exec, s[0:1]
	s_and_saveexec_b64 s[0:1], s[44:45]
	s_cbranch_execz .LBB391_213
.LBB391_231:
	s_waitcnt lgkmcnt(2)
	v_add_co_u32_e32 v4, vcc, 0x2000, v0
	v_addc_co_u32_e32 v5, vcc, 0, v1, vcc
	s_waitcnt lgkmcnt(1)
	global_store_short v[4:5], v3, off offset:3072
	s_or_b64 exec, exec, s[0:1]
	s_and_saveexec_b64 s[0:1], s[46:47]
	s_cbranch_execz .LBB391_214
.LBB391_232:
	v_add_co_u32_e32 v0, vcc, 0x2000, v0
	v_addc_co_u32_e32 v1, vcc, 0, v1, vcc
	s_waitcnt lgkmcnt(0)
	global_store_short v[0:1], v2, off offset:3584
	s_endpgm
	.section	.rodata,"a",@progbits
	.p2align	6, 0x0
	.amdhsa_kernel _ZN7rocprim17ROCPRIM_400000_NS6detail17trampoline_kernelINS0_14default_configENS1_20scan_config_selectorIN3c104HalfEEEZZNS1_9scan_implILNS1_25lookback_scan_determinismE0ELb0ELb0ES3_PKS6_PS6_S6_ZZZN2at6native31launch_logcumsumexp_cuda_kernelERKNSD_10TensorBaseESH_lENKUlvE_clEvENKUlvE3_clEvEUlS6_S6_E_S6_EEDaPvRmT3_T4_T5_mT6_P12ihipStream_tbENKUlT_T0_E_clISt17integral_constantIbLb1EESY_EEDaST_SU_EUlST_E0_NS1_11comp_targetILNS1_3genE2ELNS1_11target_archE906ELNS1_3gpuE6ELNS1_3repE0EEENS1_30default_config_static_selectorELNS0_4arch9wavefront6targetE1EEEvT1_
		.amdhsa_group_segment_fixed_size 12288
		.amdhsa_private_segment_fixed_size 0
		.amdhsa_kernarg_size 32
		.amdhsa_user_sgpr_count 6
		.amdhsa_user_sgpr_private_segment_buffer 1
		.amdhsa_user_sgpr_dispatch_ptr 0
		.amdhsa_user_sgpr_queue_ptr 0
		.amdhsa_user_sgpr_kernarg_segment_ptr 1
		.amdhsa_user_sgpr_dispatch_id 0
		.amdhsa_user_sgpr_flat_scratch_init 0
		.amdhsa_user_sgpr_private_segment_size 0
		.amdhsa_uses_dynamic_stack 0
		.amdhsa_system_sgpr_private_segment_wavefront_offset 0
		.amdhsa_system_sgpr_workgroup_id_x 1
		.amdhsa_system_sgpr_workgroup_id_y 0
		.amdhsa_system_sgpr_workgroup_id_z 0
		.amdhsa_system_sgpr_workgroup_info 0
		.amdhsa_system_vgpr_workitem_id 0
		.amdhsa_next_free_vgpr 49
		.amdhsa_next_free_sgpr 98
		.amdhsa_reserve_vcc 1
		.amdhsa_reserve_flat_scratch 0
		.amdhsa_float_round_mode_32 0
		.amdhsa_float_round_mode_16_64 0
		.amdhsa_float_denorm_mode_32 3
		.amdhsa_float_denorm_mode_16_64 3
		.amdhsa_dx10_clamp 1
		.amdhsa_ieee_mode 1
		.amdhsa_fp16_overflow 0
		.amdhsa_exception_fp_ieee_invalid_op 0
		.amdhsa_exception_fp_denorm_src 0
		.amdhsa_exception_fp_ieee_div_zero 0
		.amdhsa_exception_fp_ieee_overflow 0
		.amdhsa_exception_fp_ieee_underflow 0
		.amdhsa_exception_fp_ieee_inexact 0
		.amdhsa_exception_int_div_zero 0
	.end_amdhsa_kernel
	.section	.text._ZN7rocprim17ROCPRIM_400000_NS6detail17trampoline_kernelINS0_14default_configENS1_20scan_config_selectorIN3c104HalfEEEZZNS1_9scan_implILNS1_25lookback_scan_determinismE0ELb0ELb0ES3_PKS6_PS6_S6_ZZZN2at6native31launch_logcumsumexp_cuda_kernelERKNSD_10TensorBaseESH_lENKUlvE_clEvENKUlvE3_clEvEUlS6_S6_E_S6_EEDaPvRmT3_T4_T5_mT6_P12ihipStream_tbENKUlT_T0_E_clISt17integral_constantIbLb1EESY_EEDaST_SU_EUlST_E0_NS1_11comp_targetILNS1_3genE2ELNS1_11target_archE906ELNS1_3gpuE6ELNS1_3repE0EEENS1_30default_config_static_selectorELNS0_4arch9wavefront6targetE1EEEvT1_,"axG",@progbits,_ZN7rocprim17ROCPRIM_400000_NS6detail17trampoline_kernelINS0_14default_configENS1_20scan_config_selectorIN3c104HalfEEEZZNS1_9scan_implILNS1_25lookback_scan_determinismE0ELb0ELb0ES3_PKS6_PS6_S6_ZZZN2at6native31launch_logcumsumexp_cuda_kernelERKNSD_10TensorBaseESH_lENKUlvE_clEvENKUlvE3_clEvEUlS6_S6_E_S6_EEDaPvRmT3_T4_T5_mT6_P12ihipStream_tbENKUlT_T0_E_clISt17integral_constantIbLb1EESY_EEDaST_SU_EUlST_E0_NS1_11comp_targetILNS1_3genE2ELNS1_11target_archE906ELNS1_3gpuE6ELNS1_3repE0EEENS1_30default_config_static_selectorELNS0_4arch9wavefront6targetE1EEEvT1_,comdat
.Lfunc_end391:
	.size	_ZN7rocprim17ROCPRIM_400000_NS6detail17trampoline_kernelINS0_14default_configENS1_20scan_config_selectorIN3c104HalfEEEZZNS1_9scan_implILNS1_25lookback_scan_determinismE0ELb0ELb0ES3_PKS6_PS6_S6_ZZZN2at6native31launch_logcumsumexp_cuda_kernelERKNSD_10TensorBaseESH_lENKUlvE_clEvENKUlvE3_clEvEUlS6_S6_E_S6_EEDaPvRmT3_T4_T5_mT6_P12ihipStream_tbENKUlT_T0_E_clISt17integral_constantIbLb1EESY_EEDaST_SU_EUlST_E0_NS1_11comp_targetILNS1_3genE2ELNS1_11target_archE906ELNS1_3gpuE6ELNS1_3repE0EEENS1_30default_config_static_selectorELNS0_4arch9wavefront6targetE1EEEvT1_, .Lfunc_end391-_ZN7rocprim17ROCPRIM_400000_NS6detail17trampoline_kernelINS0_14default_configENS1_20scan_config_selectorIN3c104HalfEEEZZNS1_9scan_implILNS1_25lookback_scan_determinismE0ELb0ELb0ES3_PKS6_PS6_S6_ZZZN2at6native31launch_logcumsumexp_cuda_kernelERKNSD_10TensorBaseESH_lENKUlvE_clEvENKUlvE3_clEvEUlS6_S6_E_S6_EEDaPvRmT3_T4_T5_mT6_P12ihipStream_tbENKUlT_T0_E_clISt17integral_constantIbLb1EESY_EEDaST_SU_EUlST_E0_NS1_11comp_targetILNS1_3genE2ELNS1_11target_archE906ELNS1_3gpuE6ELNS1_3repE0EEENS1_30default_config_static_selectorELNS0_4arch9wavefront6targetE1EEEvT1_
                                        ; -- End function
	.set _ZN7rocprim17ROCPRIM_400000_NS6detail17trampoline_kernelINS0_14default_configENS1_20scan_config_selectorIN3c104HalfEEEZZNS1_9scan_implILNS1_25lookback_scan_determinismE0ELb0ELb0ES3_PKS6_PS6_S6_ZZZN2at6native31launch_logcumsumexp_cuda_kernelERKNSD_10TensorBaseESH_lENKUlvE_clEvENKUlvE3_clEvEUlS6_S6_E_S6_EEDaPvRmT3_T4_T5_mT6_P12ihipStream_tbENKUlT_T0_E_clISt17integral_constantIbLb1EESY_EEDaST_SU_EUlST_E0_NS1_11comp_targetILNS1_3genE2ELNS1_11target_archE906ELNS1_3gpuE6ELNS1_3repE0EEENS1_30default_config_static_selectorELNS0_4arch9wavefront6targetE1EEEvT1_.num_vgpr, 49
	.set _ZN7rocprim17ROCPRIM_400000_NS6detail17trampoline_kernelINS0_14default_configENS1_20scan_config_selectorIN3c104HalfEEEZZNS1_9scan_implILNS1_25lookback_scan_determinismE0ELb0ELb0ES3_PKS6_PS6_S6_ZZZN2at6native31launch_logcumsumexp_cuda_kernelERKNSD_10TensorBaseESH_lENKUlvE_clEvENKUlvE3_clEvEUlS6_S6_E_S6_EEDaPvRmT3_T4_T5_mT6_P12ihipStream_tbENKUlT_T0_E_clISt17integral_constantIbLb1EESY_EEDaST_SU_EUlST_E0_NS1_11comp_targetILNS1_3genE2ELNS1_11target_archE906ELNS1_3gpuE6ELNS1_3repE0EEENS1_30default_config_static_selectorELNS0_4arch9wavefront6targetE1EEEvT1_.num_agpr, 0
	.set _ZN7rocprim17ROCPRIM_400000_NS6detail17trampoline_kernelINS0_14default_configENS1_20scan_config_selectorIN3c104HalfEEEZZNS1_9scan_implILNS1_25lookback_scan_determinismE0ELb0ELb0ES3_PKS6_PS6_S6_ZZZN2at6native31launch_logcumsumexp_cuda_kernelERKNSD_10TensorBaseESH_lENKUlvE_clEvENKUlvE3_clEvEUlS6_S6_E_S6_EEDaPvRmT3_T4_T5_mT6_P12ihipStream_tbENKUlT_T0_E_clISt17integral_constantIbLb1EESY_EEDaST_SU_EUlST_E0_NS1_11comp_targetILNS1_3genE2ELNS1_11target_archE906ELNS1_3gpuE6ELNS1_3repE0EEENS1_30default_config_static_selectorELNS0_4arch9wavefront6targetE1EEEvT1_.numbered_sgpr, 96
	.set _ZN7rocprim17ROCPRIM_400000_NS6detail17trampoline_kernelINS0_14default_configENS1_20scan_config_selectorIN3c104HalfEEEZZNS1_9scan_implILNS1_25lookback_scan_determinismE0ELb0ELb0ES3_PKS6_PS6_S6_ZZZN2at6native31launch_logcumsumexp_cuda_kernelERKNSD_10TensorBaseESH_lENKUlvE_clEvENKUlvE3_clEvEUlS6_S6_E_S6_EEDaPvRmT3_T4_T5_mT6_P12ihipStream_tbENKUlT_T0_E_clISt17integral_constantIbLb1EESY_EEDaST_SU_EUlST_E0_NS1_11comp_targetILNS1_3genE2ELNS1_11target_archE906ELNS1_3gpuE6ELNS1_3repE0EEENS1_30default_config_static_selectorELNS0_4arch9wavefront6targetE1EEEvT1_.num_named_barrier, 0
	.set _ZN7rocprim17ROCPRIM_400000_NS6detail17trampoline_kernelINS0_14default_configENS1_20scan_config_selectorIN3c104HalfEEEZZNS1_9scan_implILNS1_25lookback_scan_determinismE0ELb0ELb0ES3_PKS6_PS6_S6_ZZZN2at6native31launch_logcumsumexp_cuda_kernelERKNSD_10TensorBaseESH_lENKUlvE_clEvENKUlvE3_clEvEUlS6_S6_E_S6_EEDaPvRmT3_T4_T5_mT6_P12ihipStream_tbENKUlT_T0_E_clISt17integral_constantIbLb1EESY_EEDaST_SU_EUlST_E0_NS1_11comp_targetILNS1_3genE2ELNS1_11target_archE906ELNS1_3gpuE6ELNS1_3repE0EEENS1_30default_config_static_selectorELNS0_4arch9wavefront6targetE1EEEvT1_.private_seg_size, 0
	.set _ZN7rocprim17ROCPRIM_400000_NS6detail17trampoline_kernelINS0_14default_configENS1_20scan_config_selectorIN3c104HalfEEEZZNS1_9scan_implILNS1_25lookback_scan_determinismE0ELb0ELb0ES3_PKS6_PS6_S6_ZZZN2at6native31launch_logcumsumexp_cuda_kernelERKNSD_10TensorBaseESH_lENKUlvE_clEvENKUlvE3_clEvEUlS6_S6_E_S6_EEDaPvRmT3_T4_T5_mT6_P12ihipStream_tbENKUlT_T0_E_clISt17integral_constantIbLb1EESY_EEDaST_SU_EUlST_E0_NS1_11comp_targetILNS1_3genE2ELNS1_11target_archE906ELNS1_3gpuE6ELNS1_3repE0EEENS1_30default_config_static_selectorELNS0_4arch9wavefront6targetE1EEEvT1_.uses_vcc, 1
	.set _ZN7rocprim17ROCPRIM_400000_NS6detail17trampoline_kernelINS0_14default_configENS1_20scan_config_selectorIN3c104HalfEEEZZNS1_9scan_implILNS1_25lookback_scan_determinismE0ELb0ELb0ES3_PKS6_PS6_S6_ZZZN2at6native31launch_logcumsumexp_cuda_kernelERKNSD_10TensorBaseESH_lENKUlvE_clEvENKUlvE3_clEvEUlS6_S6_E_S6_EEDaPvRmT3_T4_T5_mT6_P12ihipStream_tbENKUlT_T0_E_clISt17integral_constantIbLb1EESY_EEDaST_SU_EUlST_E0_NS1_11comp_targetILNS1_3genE2ELNS1_11target_archE906ELNS1_3gpuE6ELNS1_3repE0EEENS1_30default_config_static_selectorELNS0_4arch9wavefront6targetE1EEEvT1_.uses_flat_scratch, 0
	.set _ZN7rocprim17ROCPRIM_400000_NS6detail17trampoline_kernelINS0_14default_configENS1_20scan_config_selectorIN3c104HalfEEEZZNS1_9scan_implILNS1_25lookback_scan_determinismE0ELb0ELb0ES3_PKS6_PS6_S6_ZZZN2at6native31launch_logcumsumexp_cuda_kernelERKNSD_10TensorBaseESH_lENKUlvE_clEvENKUlvE3_clEvEUlS6_S6_E_S6_EEDaPvRmT3_T4_T5_mT6_P12ihipStream_tbENKUlT_T0_E_clISt17integral_constantIbLb1EESY_EEDaST_SU_EUlST_E0_NS1_11comp_targetILNS1_3genE2ELNS1_11target_archE906ELNS1_3gpuE6ELNS1_3repE0EEENS1_30default_config_static_selectorELNS0_4arch9wavefront6targetE1EEEvT1_.has_dyn_sized_stack, 0
	.set _ZN7rocprim17ROCPRIM_400000_NS6detail17trampoline_kernelINS0_14default_configENS1_20scan_config_selectorIN3c104HalfEEEZZNS1_9scan_implILNS1_25lookback_scan_determinismE0ELb0ELb0ES3_PKS6_PS6_S6_ZZZN2at6native31launch_logcumsumexp_cuda_kernelERKNSD_10TensorBaseESH_lENKUlvE_clEvENKUlvE3_clEvEUlS6_S6_E_S6_EEDaPvRmT3_T4_T5_mT6_P12ihipStream_tbENKUlT_T0_E_clISt17integral_constantIbLb1EESY_EEDaST_SU_EUlST_E0_NS1_11comp_targetILNS1_3genE2ELNS1_11target_archE906ELNS1_3gpuE6ELNS1_3repE0EEENS1_30default_config_static_selectorELNS0_4arch9wavefront6targetE1EEEvT1_.has_recursion, 0
	.set _ZN7rocprim17ROCPRIM_400000_NS6detail17trampoline_kernelINS0_14default_configENS1_20scan_config_selectorIN3c104HalfEEEZZNS1_9scan_implILNS1_25lookback_scan_determinismE0ELb0ELb0ES3_PKS6_PS6_S6_ZZZN2at6native31launch_logcumsumexp_cuda_kernelERKNSD_10TensorBaseESH_lENKUlvE_clEvENKUlvE3_clEvEUlS6_S6_E_S6_EEDaPvRmT3_T4_T5_mT6_P12ihipStream_tbENKUlT_T0_E_clISt17integral_constantIbLb1EESY_EEDaST_SU_EUlST_E0_NS1_11comp_targetILNS1_3genE2ELNS1_11target_archE906ELNS1_3gpuE6ELNS1_3repE0EEENS1_30default_config_static_selectorELNS0_4arch9wavefront6targetE1EEEvT1_.has_indirect_call, 0
	.section	.AMDGPU.csdata,"",@progbits
; Kernel info:
; codeLenInByte = 48084
; TotalNumSgprs: 100
; NumVgprs: 49
; ScratchSize: 0
; MemoryBound: 0
; FloatMode: 240
; IeeeMode: 1
; LDSByteSize: 12288 bytes/workgroup (compile time only)
; SGPRBlocks: 12
; VGPRBlocks: 12
; NumSGPRsForWavesPerEU: 102
; NumVGPRsForWavesPerEU: 49
; Occupancy: 4
; WaveLimiterHint : 0
; COMPUTE_PGM_RSRC2:SCRATCH_EN: 0
; COMPUTE_PGM_RSRC2:USER_SGPR: 6
; COMPUTE_PGM_RSRC2:TRAP_HANDLER: 0
; COMPUTE_PGM_RSRC2:TGID_X_EN: 1
; COMPUTE_PGM_RSRC2:TGID_Y_EN: 0
; COMPUTE_PGM_RSRC2:TGID_Z_EN: 0
; COMPUTE_PGM_RSRC2:TIDIG_COMP_CNT: 0
	.section	.text._ZN7rocprim17ROCPRIM_400000_NS6detail17trampoline_kernelINS0_14default_configENS1_20scan_config_selectorIN3c104HalfEEEZZNS1_9scan_implILNS1_25lookback_scan_determinismE0ELb0ELb0ES3_PKS6_PS6_S6_ZZZN2at6native31launch_logcumsumexp_cuda_kernelERKNSD_10TensorBaseESH_lENKUlvE_clEvENKUlvE3_clEvEUlS6_S6_E_S6_EEDaPvRmT3_T4_T5_mT6_P12ihipStream_tbENKUlT_T0_E_clISt17integral_constantIbLb1EESY_EEDaST_SU_EUlST_E0_NS1_11comp_targetILNS1_3genE10ELNS1_11target_archE1201ELNS1_3gpuE5ELNS1_3repE0EEENS1_30default_config_static_selectorELNS0_4arch9wavefront6targetE1EEEvT1_,"axG",@progbits,_ZN7rocprim17ROCPRIM_400000_NS6detail17trampoline_kernelINS0_14default_configENS1_20scan_config_selectorIN3c104HalfEEEZZNS1_9scan_implILNS1_25lookback_scan_determinismE0ELb0ELb0ES3_PKS6_PS6_S6_ZZZN2at6native31launch_logcumsumexp_cuda_kernelERKNSD_10TensorBaseESH_lENKUlvE_clEvENKUlvE3_clEvEUlS6_S6_E_S6_EEDaPvRmT3_T4_T5_mT6_P12ihipStream_tbENKUlT_T0_E_clISt17integral_constantIbLb1EESY_EEDaST_SU_EUlST_E0_NS1_11comp_targetILNS1_3genE10ELNS1_11target_archE1201ELNS1_3gpuE5ELNS1_3repE0EEENS1_30default_config_static_selectorELNS0_4arch9wavefront6targetE1EEEvT1_,comdat
	.globl	_ZN7rocprim17ROCPRIM_400000_NS6detail17trampoline_kernelINS0_14default_configENS1_20scan_config_selectorIN3c104HalfEEEZZNS1_9scan_implILNS1_25lookback_scan_determinismE0ELb0ELb0ES3_PKS6_PS6_S6_ZZZN2at6native31launch_logcumsumexp_cuda_kernelERKNSD_10TensorBaseESH_lENKUlvE_clEvENKUlvE3_clEvEUlS6_S6_E_S6_EEDaPvRmT3_T4_T5_mT6_P12ihipStream_tbENKUlT_T0_E_clISt17integral_constantIbLb1EESY_EEDaST_SU_EUlST_E0_NS1_11comp_targetILNS1_3genE10ELNS1_11target_archE1201ELNS1_3gpuE5ELNS1_3repE0EEENS1_30default_config_static_selectorELNS0_4arch9wavefront6targetE1EEEvT1_ ; -- Begin function _ZN7rocprim17ROCPRIM_400000_NS6detail17trampoline_kernelINS0_14default_configENS1_20scan_config_selectorIN3c104HalfEEEZZNS1_9scan_implILNS1_25lookback_scan_determinismE0ELb0ELb0ES3_PKS6_PS6_S6_ZZZN2at6native31launch_logcumsumexp_cuda_kernelERKNSD_10TensorBaseESH_lENKUlvE_clEvENKUlvE3_clEvEUlS6_S6_E_S6_EEDaPvRmT3_T4_T5_mT6_P12ihipStream_tbENKUlT_T0_E_clISt17integral_constantIbLb1EESY_EEDaST_SU_EUlST_E0_NS1_11comp_targetILNS1_3genE10ELNS1_11target_archE1201ELNS1_3gpuE5ELNS1_3repE0EEENS1_30default_config_static_selectorELNS0_4arch9wavefront6targetE1EEEvT1_
	.p2align	8
	.type	_ZN7rocprim17ROCPRIM_400000_NS6detail17trampoline_kernelINS0_14default_configENS1_20scan_config_selectorIN3c104HalfEEEZZNS1_9scan_implILNS1_25lookback_scan_determinismE0ELb0ELb0ES3_PKS6_PS6_S6_ZZZN2at6native31launch_logcumsumexp_cuda_kernelERKNSD_10TensorBaseESH_lENKUlvE_clEvENKUlvE3_clEvEUlS6_S6_E_S6_EEDaPvRmT3_T4_T5_mT6_P12ihipStream_tbENKUlT_T0_E_clISt17integral_constantIbLb1EESY_EEDaST_SU_EUlST_E0_NS1_11comp_targetILNS1_3genE10ELNS1_11target_archE1201ELNS1_3gpuE5ELNS1_3repE0EEENS1_30default_config_static_selectorELNS0_4arch9wavefront6targetE1EEEvT1_,@function
_ZN7rocprim17ROCPRIM_400000_NS6detail17trampoline_kernelINS0_14default_configENS1_20scan_config_selectorIN3c104HalfEEEZZNS1_9scan_implILNS1_25lookback_scan_determinismE0ELb0ELb0ES3_PKS6_PS6_S6_ZZZN2at6native31launch_logcumsumexp_cuda_kernelERKNSD_10TensorBaseESH_lENKUlvE_clEvENKUlvE3_clEvEUlS6_S6_E_S6_EEDaPvRmT3_T4_T5_mT6_P12ihipStream_tbENKUlT_T0_E_clISt17integral_constantIbLb1EESY_EEDaST_SU_EUlST_E0_NS1_11comp_targetILNS1_3genE10ELNS1_11target_archE1201ELNS1_3gpuE5ELNS1_3repE0EEENS1_30default_config_static_selectorELNS0_4arch9wavefront6targetE1EEEvT1_: ; @_ZN7rocprim17ROCPRIM_400000_NS6detail17trampoline_kernelINS0_14default_configENS1_20scan_config_selectorIN3c104HalfEEEZZNS1_9scan_implILNS1_25lookback_scan_determinismE0ELb0ELb0ES3_PKS6_PS6_S6_ZZZN2at6native31launch_logcumsumexp_cuda_kernelERKNSD_10TensorBaseESH_lENKUlvE_clEvENKUlvE3_clEvEUlS6_S6_E_S6_EEDaPvRmT3_T4_T5_mT6_P12ihipStream_tbENKUlT_T0_E_clISt17integral_constantIbLb1EESY_EEDaST_SU_EUlST_E0_NS1_11comp_targetILNS1_3genE10ELNS1_11target_archE1201ELNS1_3gpuE5ELNS1_3repE0EEENS1_30default_config_static_selectorELNS0_4arch9wavefront6targetE1EEEvT1_
; %bb.0:
	.section	.rodata,"a",@progbits
	.p2align	6, 0x0
	.amdhsa_kernel _ZN7rocprim17ROCPRIM_400000_NS6detail17trampoline_kernelINS0_14default_configENS1_20scan_config_selectorIN3c104HalfEEEZZNS1_9scan_implILNS1_25lookback_scan_determinismE0ELb0ELb0ES3_PKS6_PS6_S6_ZZZN2at6native31launch_logcumsumexp_cuda_kernelERKNSD_10TensorBaseESH_lENKUlvE_clEvENKUlvE3_clEvEUlS6_S6_E_S6_EEDaPvRmT3_T4_T5_mT6_P12ihipStream_tbENKUlT_T0_E_clISt17integral_constantIbLb1EESY_EEDaST_SU_EUlST_E0_NS1_11comp_targetILNS1_3genE10ELNS1_11target_archE1201ELNS1_3gpuE5ELNS1_3repE0EEENS1_30default_config_static_selectorELNS0_4arch9wavefront6targetE1EEEvT1_
		.amdhsa_group_segment_fixed_size 0
		.amdhsa_private_segment_fixed_size 0
		.amdhsa_kernarg_size 32
		.amdhsa_user_sgpr_count 6
		.amdhsa_user_sgpr_private_segment_buffer 1
		.amdhsa_user_sgpr_dispatch_ptr 0
		.amdhsa_user_sgpr_queue_ptr 0
		.amdhsa_user_sgpr_kernarg_segment_ptr 1
		.amdhsa_user_sgpr_dispatch_id 0
		.amdhsa_user_sgpr_flat_scratch_init 0
		.amdhsa_user_sgpr_private_segment_size 0
		.amdhsa_uses_dynamic_stack 0
		.amdhsa_system_sgpr_private_segment_wavefront_offset 0
		.amdhsa_system_sgpr_workgroup_id_x 1
		.amdhsa_system_sgpr_workgroup_id_y 0
		.amdhsa_system_sgpr_workgroup_id_z 0
		.amdhsa_system_sgpr_workgroup_info 0
		.amdhsa_system_vgpr_workitem_id 0
		.amdhsa_next_free_vgpr 1
		.amdhsa_next_free_sgpr 0
		.amdhsa_reserve_vcc 0
		.amdhsa_reserve_flat_scratch 0
		.amdhsa_float_round_mode_32 0
		.amdhsa_float_round_mode_16_64 0
		.amdhsa_float_denorm_mode_32 3
		.amdhsa_float_denorm_mode_16_64 3
		.amdhsa_dx10_clamp 1
		.amdhsa_ieee_mode 1
		.amdhsa_fp16_overflow 0
		.amdhsa_exception_fp_ieee_invalid_op 0
		.amdhsa_exception_fp_denorm_src 0
		.amdhsa_exception_fp_ieee_div_zero 0
		.amdhsa_exception_fp_ieee_overflow 0
		.amdhsa_exception_fp_ieee_underflow 0
		.amdhsa_exception_fp_ieee_inexact 0
		.amdhsa_exception_int_div_zero 0
	.end_amdhsa_kernel
	.section	.text._ZN7rocprim17ROCPRIM_400000_NS6detail17trampoline_kernelINS0_14default_configENS1_20scan_config_selectorIN3c104HalfEEEZZNS1_9scan_implILNS1_25lookback_scan_determinismE0ELb0ELb0ES3_PKS6_PS6_S6_ZZZN2at6native31launch_logcumsumexp_cuda_kernelERKNSD_10TensorBaseESH_lENKUlvE_clEvENKUlvE3_clEvEUlS6_S6_E_S6_EEDaPvRmT3_T4_T5_mT6_P12ihipStream_tbENKUlT_T0_E_clISt17integral_constantIbLb1EESY_EEDaST_SU_EUlST_E0_NS1_11comp_targetILNS1_3genE10ELNS1_11target_archE1201ELNS1_3gpuE5ELNS1_3repE0EEENS1_30default_config_static_selectorELNS0_4arch9wavefront6targetE1EEEvT1_,"axG",@progbits,_ZN7rocprim17ROCPRIM_400000_NS6detail17trampoline_kernelINS0_14default_configENS1_20scan_config_selectorIN3c104HalfEEEZZNS1_9scan_implILNS1_25lookback_scan_determinismE0ELb0ELb0ES3_PKS6_PS6_S6_ZZZN2at6native31launch_logcumsumexp_cuda_kernelERKNSD_10TensorBaseESH_lENKUlvE_clEvENKUlvE3_clEvEUlS6_S6_E_S6_EEDaPvRmT3_T4_T5_mT6_P12ihipStream_tbENKUlT_T0_E_clISt17integral_constantIbLb1EESY_EEDaST_SU_EUlST_E0_NS1_11comp_targetILNS1_3genE10ELNS1_11target_archE1201ELNS1_3gpuE5ELNS1_3repE0EEENS1_30default_config_static_selectorELNS0_4arch9wavefront6targetE1EEEvT1_,comdat
.Lfunc_end392:
	.size	_ZN7rocprim17ROCPRIM_400000_NS6detail17trampoline_kernelINS0_14default_configENS1_20scan_config_selectorIN3c104HalfEEEZZNS1_9scan_implILNS1_25lookback_scan_determinismE0ELb0ELb0ES3_PKS6_PS6_S6_ZZZN2at6native31launch_logcumsumexp_cuda_kernelERKNSD_10TensorBaseESH_lENKUlvE_clEvENKUlvE3_clEvEUlS6_S6_E_S6_EEDaPvRmT3_T4_T5_mT6_P12ihipStream_tbENKUlT_T0_E_clISt17integral_constantIbLb1EESY_EEDaST_SU_EUlST_E0_NS1_11comp_targetILNS1_3genE10ELNS1_11target_archE1201ELNS1_3gpuE5ELNS1_3repE0EEENS1_30default_config_static_selectorELNS0_4arch9wavefront6targetE1EEEvT1_, .Lfunc_end392-_ZN7rocprim17ROCPRIM_400000_NS6detail17trampoline_kernelINS0_14default_configENS1_20scan_config_selectorIN3c104HalfEEEZZNS1_9scan_implILNS1_25lookback_scan_determinismE0ELb0ELb0ES3_PKS6_PS6_S6_ZZZN2at6native31launch_logcumsumexp_cuda_kernelERKNSD_10TensorBaseESH_lENKUlvE_clEvENKUlvE3_clEvEUlS6_S6_E_S6_EEDaPvRmT3_T4_T5_mT6_P12ihipStream_tbENKUlT_T0_E_clISt17integral_constantIbLb1EESY_EEDaST_SU_EUlST_E0_NS1_11comp_targetILNS1_3genE10ELNS1_11target_archE1201ELNS1_3gpuE5ELNS1_3repE0EEENS1_30default_config_static_selectorELNS0_4arch9wavefront6targetE1EEEvT1_
                                        ; -- End function
	.set _ZN7rocprim17ROCPRIM_400000_NS6detail17trampoline_kernelINS0_14default_configENS1_20scan_config_selectorIN3c104HalfEEEZZNS1_9scan_implILNS1_25lookback_scan_determinismE0ELb0ELb0ES3_PKS6_PS6_S6_ZZZN2at6native31launch_logcumsumexp_cuda_kernelERKNSD_10TensorBaseESH_lENKUlvE_clEvENKUlvE3_clEvEUlS6_S6_E_S6_EEDaPvRmT3_T4_T5_mT6_P12ihipStream_tbENKUlT_T0_E_clISt17integral_constantIbLb1EESY_EEDaST_SU_EUlST_E0_NS1_11comp_targetILNS1_3genE10ELNS1_11target_archE1201ELNS1_3gpuE5ELNS1_3repE0EEENS1_30default_config_static_selectorELNS0_4arch9wavefront6targetE1EEEvT1_.num_vgpr, 0
	.set _ZN7rocprim17ROCPRIM_400000_NS6detail17trampoline_kernelINS0_14default_configENS1_20scan_config_selectorIN3c104HalfEEEZZNS1_9scan_implILNS1_25lookback_scan_determinismE0ELb0ELb0ES3_PKS6_PS6_S6_ZZZN2at6native31launch_logcumsumexp_cuda_kernelERKNSD_10TensorBaseESH_lENKUlvE_clEvENKUlvE3_clEvEUlS6_S6_E_S6_EEDaPvRmT3_T4_T5_mT6_P12ihipStream_tbENKUlT_T0_E_clISt17integral_constantIbLb1EESY_EEDaST_SU_EUlST_E0_NS1_11comp_targetILNS1_3genE10ELNS1_11target_archE1201ELNS1_3gpuE5ELNS1_3repE0EEENS1_30default_config_static_selectorELNS0_4arch9wavefront6targetE1EEEvT1_.num_agpr, 0
	.set _ZN7rocprim17ROCPRIM_400000_NS6detail17trampoline_kernelINS0_14default_configENS1_20scan_config_selectorIN3c104HalfEEEZZNS1_9scan_implILNS1_25lookback_scan_determinismE0ELb0ELb0ES3_PKS6_PS6_S6_ZZZN2at6native31launch_logcumsumexp_cuda_kernelERKNSD_10TensorBaseESH_lENKUlvE_clEvENKUlvE3_clEvEUlS6_S6_E_S6_EEDaPvRmT3_T4_T5_mT6_P12ihipStream_tbENKUlT_T0_E_clISt17integral_constantIbLb1EESY_EEDaST_SU_EUlST_E0_NS1_11comp_targetILNS1_3genE10ELNS1_11target_archE1201ELNS1_3gpuE5ELNS1_3repE0EEENS1_30default_config_static_selectorELNS0_4arch9wavefront6targetE1EEEvT1_.numbered_sgpr, 0
	.set _ZN7rocprim17ROCPRIM_400000_NS6detail17trampoline_kernelINS0_14default_configENS1_20scan_config_selectorIN3c104HalfEEEZZNS1_9scan_implILNS1_25lookback_scan_determinismE0ELb0ELb0ES3_PKS6_PS6_S6_ZZZN2at6native31launch_logcumsumexp_cuda_kernelERKNSD_10TensorBaseESH_lENKUlvE_clEvENKUlvE3_clEvEUlS6_S6_E_S6_EEDaPvRmT3_T4_T5_mT6_P12ihipStream_tbENKUlT_T0_E_clISt17integral_constantIbLb1EESY_EEDaST_SU_EUlST_E0_NS1_11comp_targetILNS1_3genE10ELNS1_11target_archE1201ELNS1_3gpuE5ELNS1_3repE0EEENS1_30default_config_static_selectorELNS0_4arch9wavefront6targetE1EEEvT1_.num_named_barrier, 0
	.set _ZN7rocprim17ROCPRIM_400000_NS6detail17trampoline_kernelINS0_14default_configENS1_20scan_config_selectorIN3c104HalfEEEZZNS1_9scan_implILNS1_25lookback_scan_determinismE0ELb0ELb0ES3_PKS6_PS6_S6_ZZZN2at6native31launch_logcumsumexp_cuda_kernelERKNSD_10TensorBaseESH_lENKUlvE_clEvENKUlvE3_clEvEUlS6_S6_E_S6_EEDaPvRmT3_T4_T5_mT6_P12ihipStream_tbENKUlT_T0_E_clISt17integral_constantIbLb1EESY_EEDaST_SU_EUlST_E0_NS1_11comp_targetILNS1_3genE10ELNS1_11target_archE1201ELNS1_3gpuE5ELNS1_3repE0EEENS1_30default_config_static_selectorELNS0_4arch9wavefront6targetE1EEEvT1_.private_seg_size, 0
	.set _ZN7rocprim17ROCPRIM_400000_NS6detail17trampoline_kernelINS0_14default_configENS1_20scan_config_selectorIN3c104HalfEEEZZNS1_9scan_implILNS1_25lookback_scan_determinismE0ELb0ELb0ES3_PKS6_PS6_S6_ZZZN2at6native31launch_logcumsumexp_cuda_kernelERKNSD_10TensorBaseESH_lENKUlvE_clEvENKUlvE3_clEvEUlS6_S6_E_S6_EEDaPvRmT3_T4_T5_mT6_P12ihipStream_tbENKUlT_T0_E_clISt17integral_constantIbLb1EESY_EEDaST_SU_EUlST_E0_NS1_11comp_targetILNS1_3genE10ELNS1_11target_archE1201ELNS1_3gpuE5ELNS1_3repE0EEENS1_30default_config_static_selectorELNS0_4arch9wavefront6targetE1EEEvT1_.uses_vcc, 0
	.set _ZN7rocprim17ROCPRIM_400000_NS6detail17trampoline_kernelINS0_14default_configENS1_20scan_config_selectorIN3c104HalfEEEZZNS1_9scan_implILNS1_25lookback_scan_determinismE0ELb0ELb0ES3_PKS6_PS6_S6_ZZZN2at6native31launch_logcumsumexp_cuda_kernelERKNSD_10TensorBaseESH_lENKUlvE_clEvENKUlvE3_clEvEUlS6_S6_E_S6_EEDaPvRmT3_T4_T5_mT6_P12ihipStream_tbENKUlT_T0_E_clISt17integral_constantIbLb1EESY_EEDaST_SU_EUlST_E0_NS1_11comp_targetILNS1_3genE10ELNS1_11target_archE1201ELNS1_3gpuE5ELNS1_3repE0EEENS1_30default_config_static_selectorELNS0_4arch9wavefront6targetE1EEEvT1_.uses_flat_scratch, 0
	.set _ZN7rocprim17ROCPRIM_400000_NS6detail17trampoline_kernelINS0_14default_configENS1_20scan_config_selectorIN3c104HalfEEEZZNS1_9scan_implILNS1_25lookback_scan_determinismE0ELb0ELb0ES3_PKS6_PS6_S6_ZZZN2at6native31launch_logcumsumexp_cuda_kernelERKNSD_10TensorBaseESH_lENKUlvE_clEvENKUlvE3_clEvEUlS6_S6_E_S6_EEDaPvRmT3_T4_T5_mT6_P12ihipStream_tbENKUlT_T0_E_clISt17integral_constantIbLb1EESY_EEDaST_SU_EUlST_E0_NS1_11comp_targetILNS1_3genE10ELNS1_11target_archE1201ELNS1_3gpuE5ELNS1_3repE0EEENS1_30default_config_static_selectorELNS0_4arch9wavefront6targetE1EEEvT1_.has_dyn_sized_stack, 0
	.set _ZN7rocprim17ROCPRIM_400000_NS6detail17trampoline_kernelINS0_14default_configENS1_20scan_config_selectorIN3c104HalfEEEZZNS1_9scan_implILNS1_25lookback_scan_determinismE0ELb0ELb0ES3_PKS6_PS6_S6_ZZZN2at6native31launch_logcumsumexp_cuda_kernelERKNSD_10TensorBaseESH_lENKUlvE_clEvENKUlvE3_clEvEUlS6_S6_E_S6_EEDaPvRmT3_T4_T5_mT6_P12ihipStream_tbENKUlT_T0_E_clISt17integral_constantIbLb1EESY_EEDaST_SU_EUlST_E0_NS1_11comp_targetILNS1_3genE10ELNS1_11target_archE1201ELNS1_3gpuE5ELNS1_3repE0EEENS1_30default_config_static_selectorELNS0_4arch9wavefront6targetE1EEEvT1_.has_recursion, 0
	.set _ZN7rocprim17ROCPRIM_400000_NS6detail17trampoline_kernelINS0_14default_configENS1_20scan_config_selectorIN3c104HalfEEEZZNS1_9scan_implILNS1_25lookback_scan_determinismE0ELb0ELb0ES3_PKS6_PS6_S6_ZZZN2at6native31launch_logcumsumexp_cuda_kernelERKNSD_10TensorBaseESH_lENKUlvE_clEvENKUlvE3_clEvEUlS6_S6_E_S6_EEDaPvRmT3_T4_T5_mT6_P12ihipStream_tbENKUlT_T0_E_clISt17integral_constantIbLb1EESY_EEDaST_SU_EUlST_E0_NS1_11comp_targetILNS1_3genE10ELNS1_11target_archE1201ELNS1_3gpuE5ELNS1_3repE0EEENS1_30default_config_static_selectorELNS0_4arch9wavefront6targetE1EEEvT1_.has_indirect_call, 0
	.section	.AMDGPU.csdata,"",@progbits
; Kernel info:
; codeLenInByte = 0
; TotalNumSgprs: 4
; NumVgprs: 0
; ScratchSize: 0
; MemoryBound: 0
; FloatMode: 240
; IeeeMode: 1
; LDSByteSize: 0 bytes/workgroup (compile time only)
; SGPRBlocks: 0
; VGPRBlocks: 0
; NumSGPRsForWavesPerEU: 4
; NumVGPRsForWavesPerEU: 1
; Occupancy: 10
; WaveLimiterHint : 0
; COMPUTE_PGM_RSRC2:SCRATCH_EN: 0
; COMPUTE_PGM_RSRC2:USER_SGPR: 6
; COMPUTE_PGM_RSRC2:TRAP_HANDLER: 0
; COMPUTE_PGM_RSRC2:TGID_X_EN: 1
; COMPUTE_PGM_RSRC2:TGID_Y_EN: 0
; COMPUTE_PGM_RSRC2:TGID_Z_EN: 0
; COMPUTE_PGM_RSRC2:TIDIG_COMP_CNT: 0
	.section	.text._ZN7rocprim17ROCPRIM_400000_NS6detail17trampoline_kernelINS0_14default_configENS1_20scan_config_selectorIN3c104HalfEEEZZNS1_9scan_implILNS1_25lookback_scan_determinismE0ELb0ELb0ES3_PKS6_PS6_S6_ZZZN2at6native31launch_logcumsumexp_cuda_kernelERKNSD_10TensorBaseESH_lENKUlvE_clEvENKUlvE3_clEvEUlS6_S6_E_S6_EEDaPvRmT3_T4_T5_mT6_P12ihipStream_tbENKUlT_T0_E_clISt17integral_constantIbLb1EESY_EEDaST_SU_EUlST_E0_NS1_11comp_targetILNS1_3genE10ELNS1_11target_archE1200ELNS1_3gpuE4ELNS1_3repE0EEENS1_30default_config_static_selectorELNS0_4arch9wavefront6targetE1EEEvT1_,"axG",@progbits,_ZN7rocprim17ROCPRIM_400000_NS6detail17trampoline_kernelINS0_14default_configENS1_20scan_config_selectorIN3c104HalfEEEZZNS1_9scan_implILNS1_25lookback_scan_determinismE0ELb0ELb0ES3_PKS6_PS6_S6_ZZZN2at6native31launch_logcumsumexp_cuda_kernelERKNSD_10TensorBaseESH_lENKUlvE_clEvENKUlvE3_clEvEUlS6_S6_E_S6_EEDaPvRmT3_T4_T5_mT6_P12ihipStream_tbENKUlT_T0_E_clISt17integral_constantIbLb1EESY_EEDaST_SU_EUlST_E0_NS1_11comp_targetILNS1_3genE10ELNS1_11target_archE1200ELNS1_3gpuE4ELNS1_3repE0EEENS1_30default_config_static_selectorELNS0_4arch9wavefront6targetE1EEEvT1_,comdat
	.globl	_ZN7rocprim17ROCPRIM_400000_NS6detail17trampoline_kernelINS0_14default_configENS1_20scan_config_selectorIN3c104HalfEEEZZNS1_9scan_implILNS1_25lookback_scan_determinismE0ELb0ELb0ES3_PKS6_PS6_S6_ZZZN2at6native31launch_logcumsumexp_cuda_kernelERKNSD_10TensorBaseESH_lENKUlvE_clEvENKUlvE3_clEvEUlS6_S6_E_S6_EEDaPvRmT3_T4_T5_mT6_P12ihipStream_tbENKUlT_T0_E_clISt17integral_constantIbLb1EESY_EEDaST_SU_EUlST_E0_NS1_11comp_targetILNS1_3genE10ELNS1_11target_archE1200ELNS1_3gpuE4ELNS1_3repE0EEENS1_30default_config_static_selectorELNS0_4arch9wavefront6targetE1EEEvT1_ ; -- Begin function _ZN7rocprim17ROCPRIM_400000_NS6detail17trampoline_kernelINS0_14default_configENS1_20scan_config_selectorIN3c104HalfEEEZZNS1_9scan_implILNS1_25lookback_scan_determinismE0ELb0ELb0ES3_PKS6_PS6_S6_ZZZN2at6native31launch_logcumsumexp_cuda_kernelERKNSD_10TensorBaseESH_lENKUlvE_clEvENKUlvE3_clEvEUlS6_S6_E_S6_EEDaPvRmT3_T4_T5_mT6_P12ihipStream_tbENKUlT_T0_E_clISt17integral_constantIbLb1EESY_EEDaST_SU_EUlST_E0_NS1_11comp_targetILNS1_3genE10ELNS1_11target_archE1200ELNS1_3gpuE4ELNS1_3repE0EEENS1_30default_config_static_selectorELNS0_4arch9wavefront6targetE1EEEvT1_
	.p2align	8
	.type	_ZN7rocprim17ROCPRIM_400000_NS6detail17trampoline_kernelINS0_14default_configENS1_20scan_config_selectorIN3c104HalfEEEZZNS1_9scan_implILNS1_25lookback_scan_determinismE0ELb0ELb0ES3_PKS6_PS6_S6_ZZZN2at6native31launch_logcumsumexp_cuda_kernelERKNSD_10TensorBaseESH_lENKUlvE_clEvENKUlvE3_clEvEUlS6_S6_E_S6_EEDaPvRmT3_T4_T5_mT6_P12ihipStream_tbENKUlT_T0_E_clISt17integral_constantIbLb1EESY_EEDaST_SU_EUlST_E0_NS1_11comp_targetILNS1_3genE10ELNS1_11target_archE1200ELNS1_3gpuE4ELNS1_3repE0EEENS1_30default_config_static_selectorELNS0_4arch9wavefront6targetE1EEEvT1_,@function
_ZN7rocprim17ROCPRIM_400000_NS6detail17trampoline_kernelINS0_14default_configENS1_20scan_config_selectorIN3c104HalfEEEZZNS1_9scan_implILNS1_25lookback_scan_determinismE0ELb0ELb0ES3_PKS6_PS6_S6_ZZZN2at6native31launch_logcumsumexp_cuda_kernelERKNSD_10TensorBaseESH_lENKUlvE_clEvENKUlvE3_clEvEUlS6_S6_E_S6_EEDaPvRmT3_T4_T5_mT6_P12ihipStream_tbENKUlT_T0_E_clISt17integral_constantIbLb1EESY_EEDaST_SU_EUlST_E0_NS1_11comp_targetILNS1_3genE10ELNS1_11target_archE1200ELNS1_3gpuE4ELNS1_3repE0EEENS1_30default_config_static_selectorELNS0_4arch9wavefront6targetE1EEEvT1_: ; @_ZN7rocprim17ROCPRIM_400000_NS6detail17trampoline_kernelINS0_14default_configENS1_20scan_config_selectorIN3c104HalfEEEZZNS1_9scan_implILNS1_25lookback_scan_determinismE0ELb0ELb0ES3_PKS6_PS6_S6_ZZZN2at6native31launch_logcumsumexp_cuda_kernelERKNSD_10TensorBaseESH_lENKUlvE_clEvENKUlvE3_clEvEUlS6_S6_E_S6_EEDaPvRmT3_T4_T5_mT6_P12ihipStream_tbENKUlT_T0_E_clISt17integral_constantIbLb1EESY_EEDaST_SU_EUlST_E0_NS1_11comp_targetILNS1_3genE10ELNS1_11target_archE1200ELNS1_3gpuE4ELNS1_3repE0EEENS1_30default_config_static_selectorELNS0_4arch9wavefront6targetE1EEEvT1_
; %bb.0:
	.section	.rodata,"a",@progbits
	.p2align	6, 0x0
	.amdhsa_kernel _ZN7rocprim17ROCPRIM_400000_NS6detail17trampoline_kernelINS0_14default_configENS1_20scan_config_selectorIN3c104HalfEEEZZNS1_9scan_implILNS1_25lookback_scan_determinismE0ELb0ELb0ES3_PKS6_PS6_S6_ZZZN2at6native31launch_logcumsumexp_cuda_kernelERKNSD_10TensorBaseESH_lENKUlvE_clEvENKUlvE3_clEvEUlS6_S6_E_S6_EEDaPvRmT3_T4_T5_mT6_P12ihipStream_tbENKUlT_T0_E_clISt17integral_constantIbLb1EESY_EEDaST_SU_EUlST_E0_NS1_11comp_targetILNS1_3genE10ELNS1_11target_archE1200ELNS1_3gpuE4ELNS1_3repE0EEENS1_30default_config_static_selectorELNS0_4arch9wavefront6targetE1EEEvT1_
		.amdhsa_group_segment_fixed_size 0
		.amdhsa_private_segment_fixed_size 0
		.amdhsa_kernarg_size 32
		.amdhsa_user_sgpr_count 6
		.amdhsa_user_sgpr_private_segment_buffer 1
		.amdhsa_user_sgpr_dispatch_ptr 0
		.amdhsa_user_sgpr_queue_ptr 0
		.amdhsa_user_sgpr_kernarg_segment_ptr 1
		.amdhsa_user_sgpr_dispatch_id 0
		.amdhsa_user_sgpr_flat_scratch_init 0
		.amdhsa_user_sgpr_private_segment_size 0
		.amdhsa_uses_dynamic_stack 0
		.amdhsa_system_sgpr_private_segment_wavefront_offset 0
		.amdhsa_system_sgpr_workgroup_id_x 1
		.amdhsa_system_sgpr_workgroup_id_y 0
		.amdhsa_system_sgpr_workgroup_id_z 0
		.amdhsa_system_sgpr_workgroup_info 0
		.amdhsa_system_vgpr_workitem_id 0
		.amdhsa_next_free_vgpr 1
		.amdhsa_next_free_sgpr 0
		.amdhsa_reserve_vcc 0
		.amdhsa_reserve_flat_scratch 0
		.amdhsa_float_round_mode_32 0
		.amdhsa_float_round_mode_16_64 0
		.amdhsa_float_denorm_mode_32 3
		.amdhsa_float_denorm_mode_16_64 3
		.amdhsa_dx10_clamp 1
		.amdhsa_ieee_mode 1
		.amdhsa_fp16_overflow 0
		.amdhsa_exception_fp_ieee_invalid_op 0
		.amdhsa_exception_fp_denorm_src 0
		.amdhsa_exception_fp_ieee_div_zero 0
		.amdhsa_exception_fp_ieee_overflow 0
		.amdhsa_exception_fp_ieee_underflow 0
		.amdhsa_exception_fp_ieee_inexact 0
		.amdhsa_exception_int_div_zero 0
	.end_amdhsa_kernel
	.section	.text._ZN7rocprim17ROCPRIM_400000_NS6detail17trampoline_kernelINS0_14default_configENS1_20scan_config_selectorIN3c104HalfEEEZZNS1_9scan_implILNS1_25lookback_scan_determinismE0ELb0ELb0ES3_PKS6_PS6_S6_ZZZN2at6native31launch_logcumsumexp_cuda_kernelERKNSD_10TensorBaseESH_lENKUlvE_clEvENKUlvE3_clEvEUlS6_S6_E_S6_EEDaPvRmT3_T4_T5_mT6_P12ihipStream_tbENKUlT_T0_E_clISt17integral_constantIbLb1EESY_EEDaST_SU_EUlST_E0_NS1_11comp_targetILNS1_3genE10ELNS1_11target_archE1200ELNS1_3gpuE4ELNS1_3repE0EEENS1_30default_config_static_selectorELNS0_4arch9wavefront6targetE1EEEvT1_,"axG",@progbits,_ZN7rocprim17ROCPRIM_400000_NS6detail17trampoline_kernelINS0_14default_configENS1_20scan_config_selectorIN3c104HalfEEEZZNS1_9scan_implILNS1_25lookback_scan_determinismE0ELb0ELb0ES3_PKS6_PS6_S6_ZZZN2at6native31launch_logcumsumexp_cuda_kernelERKNSD_10TensorBaseESH_lENKUlvE_clEvENKUlvE3_clEvEUlS6_S6_E_S6_EEDaPvRmT3_T4_T5_mT6_P12ihipStream_tbENKUlT_T0_E_clISt17integral_constantIbLb1EESY_EEDaST_SU_EUlST_E0_NS1_11comp_targetILNS1_3genE10ELNS1_11target_archE1200ELNS1_3gpuE4ELNS1_3repE0EEENS1_30default_config_static_selectorELNS0_4arch9wavefront6targetE1EEEvT1_,comdat
.Lfunc_end393:
	.size	_ZN7rocprim17ROCPRIM_400000_NS6detail17trampoline_kernelINS0_14default_configENS1_20scan_config_selectorIN3c104HalfEEEZZNS1_9scan_implILNS1_25lookback_scan_determinismE0ELb0ELb0ES3_PKS6_PS6_S6_ZZZN2at6native31launch_logcumsumexp_cuda_kernelERKNSD_10TensorBaseESH_lENKUlvE_clEvENKUlvE3_clEvEUlS6_S6_E_S6_EEDaPvRmT3_T4_T5_mT6_P12ihipStream_tbENKUlT_T0_E_clISt17integral_constantIbLb1EESY_EEDaST_SU_EUlST_E0_NS1_11comp_targetILNS1_3genE10ELNS1_11target_archE1200ELNS1_3gpuE4ELNS1_3repE0EEENS1_30default_config_static_selectorELNS0_4arch9wavefront6targetE1EEEvT1_, .Lfunc_end393-_ZN7rocprim17ROCPRIM_400000_NS6detail17trampoline_kernelINS0_14default_configENS1_20scan_config_selectorIN3c104HalfEEEZZNS1_9scan_implILNS1_25lookback_scan_determinismE0ELb0ELb0ES3_PKS6_PS6_S6_ZZZN2at6native31launch_logcumsumexp_cuda_kernelERKNSD_10TensorBaseESH_lENKUlvE_clEvENKUlvE3_clEvEUlS6_S6_E_S6_EEDaPvRmT3_T4_T5_mT6_P12ihipStream_tbENKUlT_T0_E_clISt17integral_constantIbLb1EESY_EEDaST_SU_EUlST_E0_NS1_11comp_targetILNS1_3genE10ELNS1_11target_archE1200ELNS1_3gpuE4ELNS1_3repE0EEENS1_30default_config_static_selectorELNS0_4arch9wavefront6targetE1EEEvT1_
                                        ; -- End function
	.set _ZN7rocprim17ROCPRIM_400000_NS6detail17trampoline_kernelINS0_14default_configENS1_20scan_config_selectorIN3c104HalfEEEZZNS1_9scan_implILNS1_25lookback_scan_determinismE0ELb0ELb0ES3_PKS6_PS6_S6_ZZZN2at6native31launch_logcumsumexp_cuda_kernelERKNSD_10TensorBaseESH_lENKUlvE_clEvENKUlvE3_clEvEUlS6_S6_E_S6_EEDaPvRmT3_T4_T5_mT6_P12ihipStream_tbENKUlT_T0_E_clISt17integral_constantIbLb1EESY_EEDaST_SU_EUlST_E0_NS1_11comp_targetILNS1_3genE10ELNS1_11target_archE1200ELNS1_3gpuE4ELNS1_3repE0EEENS1_30default_config_static_selectorELNS0_4arch9wavefront6targetE1EEEvT1_.num_vgpr, 0
	.set _ZN7rocprim17ROCPRIM_400000_NS6detail17trampoline_kernelINS0_14default_configENS1_20scan_config_selectorIN3c104HalfEEEZZNS1_9scan_implILNS1_25lookback_scan_determinismE0ELb0ELb0ES3_PKS6_PS6_S6_ZZZN2at6native31launch_logcumsumexp_cuda_kernelERKNSD_10TensorBaseESH_lENKUlvE_clEvENKUlvE3_clEvEUlS6_S6_E_S6_EEDaPvRmT3_T4_T5_mT6_P12ihipStream_tbENKUlT_T0_E_clISt17integral_constantIbLb1EESY_EEDaST_SU_EUlST_E0_NS1_11comp_targetILNS1_3genE10ELNS1_11target_archE1200ELNS1_3gpuE4ELNS1_3repE0EEENS1_30default_config_static_selectorELNS0_4arch9wavefront6targetE1EEEvT1_.num_agpr, 0
	.set _ZN7rocprim17ROCPRIM_400000_NS6detail17trampoline_kernelINS0_14default_configENS1_20scan_config_selectorIN3c104HalfEEEZZNS1_9scan_implILNS1_25lookback_scan_determinismE0ELb0ELb0ES3_PKS6_PS6_S6_ZZZN2at6native31launch_logcumsumexp_cuda_kernelERKNSD_10TensorBaseESH_lENKUlvE_clEvENKUlvE3_clEvEUlS6_S6_E_S6_EEDaPvRmT3_T4_T5_mT6_P12ihipStream_tbENKUlT_T0_E_clISt17integral_constantIbLb1EESY_EEDaST_SU_EUlST_E0_NS1_11comp_targetILNS1_3genE10ELNS1_11target_archE1200ELNS1_3gpuE4ELNS1_3repE0EEENS1_30default_config_static_selectorELNS0_4arch9wavefront6targetE1EEEvT1_.numbered_sgpr, 0
	.set _ZN7rocprim17ROCPRIM_400000_NS6detail17trampoline_kernelINS0_14default_configENS1_20scan_config_selectorIN3c104HalfEEEZZNS1_9scan_implILNS1_25lookback_scan_determinismE0ELb0ELb0ES3_PKS6_PS6_S6_ZZZN2at6native31launch_logcumsumexp_cuda_kernelERKNSD_10TensorBaseESH_lENKUlvE_clEvENKUlvE3_clEvEUlS6_S6_E_S6_EEDaPvRmT3_T4_T5_mT6_P12ihipStream_tbENKUlT_T0_E_clISt17integral_constantIbLb1EESY_EEDaST_SU_EUlST_E0_NS1_11comp_targetILNS1_3genE10ELNS1_11target_archE1200ELNS1_3gpuE4ELNS1_3repE0EEENS1_30default_config_static_selectorELNS0_4arch9wavefront6targetE1EEEvT1_.num_named_barrier, 0
	.set _ZN7rocprim17ROCPRIM_400000_NS6detail17trampoline_kernelINS0_14default_configENS1_20scan_config_selectorIN3c104HalfEEEZZNS1_9scan_implILNS1_25lookback_scan_determinismE0ELb0ELb0ES3_PKS6_PS6_S6_ZZZN2at6native31launch_logcumsumexp_cuda_kernelERKNSD_10TensorBaseESH_lENKUlvE_clEvENKUlvE3_clEvEUlS6_S6_E_S6_EEDaPvRmT3_T4_T5_mT6_P12ihipStream_tbENKUlT_T0_E_clISt17integral_constantIbLb1EESY_EEDaST_SU_EUlST_E0_NS1_11comp_targetILNS1_3genE10ELNS1_11target_archE1200ELNS1_3gpuE4ELNS1_3repE0EEENS1_30default_config_static_selectorELNS0_4arch9wavefront6targetE1EEEvT1_.private_seg_size, 0
	.set _ZN7rocprim17ROCPRIM_400000_NS6detail17trampoline_kernelINS0_14default_configENS1_20scan_config_selectorIN3c104HalfEEEZZNS1_9scan_implILNS1_25lookback_scan_determinismE0ELb0ELb0ES3_PKS6_PS6_S6_ZZZN2at6native31launch_logcumsumexp_cuda_kernelERKNSD_10TensorBaseESH_lENKUlvE_clEvENKUlvE3_clEvEUlS6_S6_E_S6_EEDaPvRmT3_T4_T5_mT6_P12ihipStream_tbENKUlT_T0_E_clISt17integral_constantIbLb1EESY_EEDaST_SU_EUlST_E0_NS1_11comp_targetILNS1_3genE10ELNS1_11target_archE1200ELNS1_3gpuE4ELNS1_3repE0EEENS1_30default_config_static_selectorELNS0_4arch9wavefront6targetE1EEEvT1_.uses_vcc, 0
	.set _ZN7rocprim17ROCPRIM_400000_NS6detail17trampoline_kernelINS0_14default_configENS1_20scan_config_selectorIN3c104HalfEEEZZNS1_9scan_implILNS1_25lookback_scan_determinismE0ELb0ELb0ES3_PKS6_PS6_S6_ZZZN2at6native31launch_logcumsumexp_cuda_kernelERKNSD_10TensorBaseESH_lENKUlvE_clEvENKUlvE3_clEvEUlS6_S6_E_S6_EEDaPvRmT3_T4_T5_mT6_P12ihipStream_tbENKUlT_T0_E_clISt17integral_constantIbLb1EESY_EEDaST_SU_EUlST_E0_NS1_11comp_targetILNS1_3genE10ELNS1_11target_archE1200ELNS1_3gpuE4ELNS1_3repE0EEENS1_30default_config_static_selectorELNS0_4arch9wavefront6targetE1EEEvT1_.uses_flat_scratch, 0
	.set _ZN7rocprim17ROCPRIM_400000_NS6detail17trampoline_kernelINS0_14default_configENS1_20scan_config_selectorIN3c104HalfEEEZZNS1_9scan_implILNS1_25lookback_scan_determinismE0ELb0ELb0ES3_PKS6_PS6_S6_ZZZN2at6native31launch_logcumsumexp_cuda_kernelERKNSD_10TensorBaseESH_lENKUlvE_clEvENKUlvE3_clEvEUlS6_S6_E_S6_EEDaPvRmT3_T4_T5_mT6_P12ihipStream_tbENKUlT_T0_E_clISt17integral_constantIbLb1EESY_EEDaST_SU_EUlST_E0_NS1_11comp_targetILNS1_3genE10ELNS1_11target_archE1200ELNS1_3gpuE4ELNS1_3repE0EEENS1_30default_config_static_selectorELNS0_4arch9wavefront6targetE1EEEvT1_.has_dyn_sized_stack, 0
	.set _ZN7rocprim17ROCPRIM_400000_NS6detail17trampoline_kernelINS0_14default_configENS1_20scan_config_selectorIN3c104HalfEEEZZNS1_9scan_implILNS1_25lookback_scan_determinismE0ELb0ELb0ES3_PKS6_PS6_S6_ZZZN2at6native31launch_logcumsumexp_cuda_kernelERKNSD_10TensorBaseESH_lENKUlvE_clEvENKUlvE3_clEvEUlS6_S6_E_S6_EEDaPvRmT3_T4_T5_mT6_P12ihipStream_tbENKUlT_T0_E_clISt17integral_constantIbLb1EESY_EEDaST_SU_EUlST_E0_NS1_11comp_targetILNS1_3genE10ELNS1_11target_archE1200ELNS1_3gpuE4ELNS1_3repE0EEENS1_30default_config_static_selectorELNS0_4arch9wavefront6targetE1EEEvT1_.has_recursion, 0
	.set _ZN7rocprim17ROCPRIM_400000_NS6detail17trampoline_kernelINS0_14default_configENS1_20scan_config_selectorIN3c104HalfEEEZZNS1_9scan_implILNS1_25lookback_scan_determinismE0ELb0ELb0ES3_PKS6_PS6_S6_ZZZN2at6native31launch_logcumsumexp_cuda_kernelERKNSD_10TensorBaseESH_lENKUlvE_clEvENKUlvE3_clEvEUlS6_S6_E_S6_EEDaPvRmT3_T4_T5_mT6_P12ihipStream_tbENKUlT_T0_E_clISt17integral_constantIbLb1EESY_EEDaST_SU_EUlST_E0_NS1_11comp_targetILNS1_3genE10ELNS1_11target_archE1200ELNS1_3gpuE4ELNS1_3repE0EEENS1_30default_config_static_selectorELNS0_4arch9wavefront6targetE1EEEvT1_.has_indirect_call, 0
	.section	.AMDGPU.csdata,"",@progbits
; Kernel info:
; codeLenInByte = 0
; TotalNumSgprs: 4
; NumVgprs: 0
; ScratchSize: 0
; MemoryBound: 0
; FloatMode: 240
; IeeeMode: 1
; LDSByteSize: 0 bytes/workgroup (compile time only)
; SGPRBlocks: 0
; VGPRBlocks: 0
; NumSGPRsForWavesPerEU: 4
; NumVGPRsForWavesPerEU: 1
; Occupancy: 10
; WaveLimiterHint : 0
; COMPUTE_PGM_RSRC2:SCRATCH_EN: 0
; COMPUTE_PGM_RSRC2:USER_SGPR: 6
; COMPUTE_PGM_RSRC2:TRAP_HANDLER: 0
; COMPUTE_PGM_RSRC2:TGID_X_EN: 1
; COMPUTE_PGM_RSRC2:TGID_Y_EN: 0
; COMPUTE_PGM_RSRC2:TGID_Z_EN: 0
; COMPUTE_PGM_RSRC2:TIDIG_COMP_CNT: 0
	.section	.text._ZN7rocprim17ROCPRIM_400000_NS6detail17trampoline_kernelINS0_14default_configENS1_20scan_config_selectorIN3c104HalfEEEZZNS1_9scan_implILNS1_25lookback_scan_determinismE0ELb0ELb0ES3_PKS6_PS6_S6_ZZZN2at6native31launch_logcumsumexp_cuda_kernelERKNSD_10TensorBaseESH_lENKUlvE_clEvENKUlvE3_clEvEUlS6_S6_E_S6_EEDaPvRmT3_T4_T5_mT6_P12ihipStream_tbENKUlT_T0_E_clISt17integral_constantIbLb1EESY_EEDaST_SU_EUlST_E0_NS1_11comp_targetILNS1_3genE9ELNS1_11target_archE1100ELNS1_3gpuE3ELNS1_3repE0EEENS1_30default_config_static_selectorELNS0_4arch9wavefront6targetE1EEEvT1_,"axG",@progbits,_ZN7rocprim17ROCPRIM_400000_NS6detail17trampoline_kernelINS0_14default_configENS1_20scan_config_selectorIN3c104HalfEEEZZNS1_9scan_implILNS1_25lookback_scan_determinismE0ELb0ELb0ES3_PKS6_PS6_S6_ZZZN2at6native31launch_logcumsumexp_cuda_kernelERKNSD_10TensorBaseESH_lENKUlvE_clEvENKUlvE3_clEvEUlS6_S6_E_S6_EEDaPvRmT3_T4_T5_mT6_P12ihipStream_tbENKUlT_T0_E_clISt17integral_constantIbLb1EESY_EEDaST_SU_EUlST_E0_NS1_11comp_targetILNS1_3genE9ELNS1_11target_archE1100ELNS1_3gpuE3ELNS1_3repE0EEENS1_30default_config_static_selectorELNS0_4arch9wavefront6targetE1EEEvT1_,comdat
	.globl	_ZN7rocprim17ROCPRIM_400000_NS6detail17trampoline_kernelINS0_14default_configENS1_20scan_config_selectorIN3c104HalfEEEZZNS1_9scan_implILNS1_25lookback_scan_determinismE0ELb0ELb0ES3_PKS6_PS6_S6_ZZZN2at6native31launch_logcumsumexp_cuda_kernelERKNSD_10TensorBaseESH_lENKUlvE_clEvENKUlvE3_clEvEUlS6_S6_E_S6_EEDaPvRmT3_T4_T5_mT6_P12ihipStream_tbENKUlT_T0_E_clISt17integral_constantIbLb1EESY_EEDaST_SU_EUlST_E0_NS1_11comp_targetILNS1_3genE9ELNS1_11target_archE1100ELNS1_3gpuE3ELNS1_3repE0EEENS1_30default_config_static_selectorELNS0_4arch9wavefront6targetE1EEEvT1_ ; -- Begin function _ZN7rocprim17ROCPRIM_400000_NS6detail17trampoline_kernelINS0_14default_configENS1_20scan_config_selectorIN3c104HalfEEEZZNS1_9scan_implILNS1_25lookback_scan_determinismE0ELb0ELb0ES3_PKS6_PS6_S6_ZZZN2at6native31launch_logcumsumexp_cuda_kernelERKNSD_10TensorBaseESH_lENKUlvE_clEvENKUlvE3_clEvEUlS6_S6_E_S6_EEDaPvRmT3_T4_T5_mT6_P12ihipStream_tbENKUlT_T0_E_clISt17integral_constantIbLb1EESY_EEDaST_SU_EUlST_E0_NS1_11comp_targetILNS1_3genE9ELNS1_11target_archE1100ELNS1_3gpuE3ELNS1_3repE0EEENS1_30default_config_static_selectorELNS0_4arch9wavefront6targetE1EEEvT1_
	.p2align	8
	.type	_ZN7rocprim17ROCPRIM_400000_NS6detail17trampoline_kernelINS0_14default_configENS1_20scan_config_selectorIN3c104HalfEEEZZNS1_9scan_implILNS1_25lookback_scan_determinismE0ELb0ELb0ES3_PKS6_PS6_S6_ZZZN2at6native31launch_logcumsumexp_cuda_kernelERKNSD_10TensorBaseESH_lENKUlvE_clEvENKUlvE3_clEvEUlS6_S6_E_S6_EEDaPvRmT3_T4_T5_mT6_P12ihipStream_tbENKUlT_T0_E_clISt17integral_constantIbLb1EESY_EEDaST_SU_EUlST_E0_NS1_11comp_targetILNS1_3genE9ELNS1_11target_archE1100ELNS1_3gpuE3ELNS1_3repE0EEENS1_30default_config_static_selectorELNS0_4arch9wavefront6targetE1EEEvT1_,@function
_ZN7rocprim17ROCPRIM_400000_NS6detail17trampoline_kernelINS0_14default_configENS1_20scan_config_selectorIN3c104HalfEEEZZNS1_9scan_implILNS1_25lookback_scan_determinismE0ELb0ELb0ES3_PKS6_PS6_S6_ZZZN2at6native31launch_logcumsumexp_cuda_kernelERKNSD_10TensorBaseESH_lENKUlvE_clEvENKUlvE3_clEvEUlS6_S6_E_S6_EEDaPvRmT3_T4_T5_mT6_P12ihipStream_tbENKUlT_T0_E_clISt17integral_constantIbLb1EESY_EEDaST_SU_EUlST_E0_NS1_11comp_targetILNS1_3genE9ELNS1_11target_archE1100ELNS1_3gpuE3ELNS1_3repE0EEENS1_30default_config_static_selectorELNS0_4arch9wavefront6targetE1EEEvT1_: ; @_ZN7rocprim17ROCPRIM_400000_NS6detail17trampoline_kernelINS0_14default_configENS1_20scan_config_selectorIN3c104HalfEEEZZNS1_9scan_implILNS1_25lookback_scan_determinismE0ELb0ELb0ES3_PKS6_PS6_S6_ZZZN2at6native31launch_logcumsumexp_cuda_kernelERKNSD_10TensorBaseESH_lENKUlvE_clEvENKUlvE3_clEvEUlS6_S6_E_S6_EEDaPvRmT3_T4_T5_mT6_P12ihipStream_tbENKUlT_T0_E_clISt17integral_constantIbLb1EESY_EEDaST_SU_EUlST_E0_NS1_11comp_targetILNS1_3genE9ELNS1_11target_archE1100ELNS1_3gpuE3ELNS1_3repE0EEENS1_30default_config_static_selectorELNS0_4arch9wavefront6targetE1EEEvT1_
; %bb.0:
	.section	.rodata,"a",@progbits
	.p2align	6, 0x0
	.amdhsa_kernel _ZN7rocprim17ROCPRIM_400000_NS6detail17trampoline_kernelINS0_14default_configENS1_20scan_config_selectorIN3c104HalfEEEZZNS1_9scan_implILNS1_25lookback_scan_determinismE0ELb0ELb0ES3_PKS6_PS6_S6_ZZZN2at6native31launch_logcumsumexp_cuda_kernelERKNSD_10TensorBaseESH_lENKUlvE_clEvENKUlvE3_clEvEUlS6_S6_E_S6_EEDaPvRmT3_T4_T5_mT6_P12ihipStream_tbENKUlT_T0_E_clISt17integral_constantIbLb1EESY_EEDaST_SU_EUlST_E0_NS1_11comp_targetILNS1_3genE9ELNS1_11target_archE1100ELNS1_3gpuE3ELNS1_3repE0EEENS1_30default_config_static_selectorELNS0_4arch9wavefront6targetE1EEEvT1_
		.amdhsa_group_segment_fixed_size 0
		.amdhsa_private_segment_fixed_size 0
		.amdhsa_kernarg_size 32
		.amdhsa_user_sgpr_count 6
		.amdhsa_user_sgpr_private_segment_buffer 1
		.amdhsa_user_sgpr_dispatch_ptr 0
		.amdhsa_user_sgpr_queue_ptr 0
		.amdhsa_user_sgpr_kernarg_segment_ptr 1
		.amdhsa_user_sgpr_dispatch_id 0
		.amdhsa_user_sgpr_flat_scratch_init 0
		.amdhsa_user_sgpr_private_segment_size 0
		.amdhsa_uses_dynamic_stack 0
		.amdhsa_system_sgpr_private_segment_wavefront_offset 0
		.amdhsa_system_sgpr_workgroup_id_x 1
		.amdhsa_system_sgpr_workgroup_id_y 0
		.amdhsa_system_sgpr_workgroup_id_z 0
		.amdhsa_system_sgpr_workgroup_info 0
		.amdhsa_system_vgpr_workitem_id 0
		.amdhsa_next_free_vgpr 1
		.amdhsa_next_free_sgpr 0
		.amdhsa_reserve_vcc 0
		.amdhsa_reserve_flat_scratch 0
		.amdhsa_float_round_mode_32 0
		.amdhsa_float_round_mode_16_64 0
		.amdhsa_float_denorm_mode_32 3
		.amdhsa_float_denorm_mode_16_64 3
		.amdhsa_dx10_clamp 1
		.amdhsa_ieee_mode 1
		.amdhsa_fp16_overflow 0
		.amdhsa_exception_fp_ieee_invalid_op 0
		.amdhsa_exception_fp_denorm_src 0
		.amdhsa_exception_fp_ieee_div_zero 0
		.amdhsa_exception_fp_ieee_overflow 0
		.amdhsa_exception_fp_ieee_underflow 0
		.amdhsa_exception_fp_ieee_inexact 0
		.amdhsa_exception_int_div_zero 0
	.end_amdhsa_kernel
	.section	.text._ZN7rocprim17ROCPRIM_400000_NS6detail17trampoline_kernelINS0_14default_configENS1_20scan_config_selectorIN3c104HalfEEEZZNS1_9scan_implILNS1_25lookback_scan_determinismE0ELb0ELb0ES3_PKS6_PS6_S6_ZZZN2at6native31launch_logcumsumexp_cuda_kernelERKNSD_10TensorBaseESH_lENKUlvE_clEvENKUlvE3_clEvEUlS6_S6_E_S6_EEDaPvRmT3_T4_T5_mT6_P12ihipStream_tbENKUlT_T0_E_clISt17integral_constantIbLb1EESY_EEDaST_SU_EUlST_E0_NS1_11comp_targetILNS1_3genE9ELNS1_11target_archE1100ELNS1_3gpuE3ELNS1_3repE0EEENS1_30default_config_static_selectorELNS0_4arch9wavefront6targetE1EEEvT1_,"axG",@progbits,_ZN7rocprim17ROCPRIM_400000_NS6detail17trampoline_kernelINS0_14default_configENS1_20scan_config_selectorIN3c104HalfEEEZZNS1_9scan_implILNS1_25lookback_scan_determinismE0ELb0ELb0ES3_PKS6_PS6_S6_ZZZN2at6native31launch_logcumsumexp_cuda_kernelERKNSD_10TensorBaseESH_lENKUlvE_clEvENKUlvE3_clEvEUlS6_S6_E_S6_EEDaPvRmT3_T4_T5_mT6_P12ihipStream_tbENKUlT_T0_E_clISt17integral_constantIbLb1EESY_EEDaST_SU_EUlST_E0_NS1_11comp_targetILNS1_3genE9ELNS1_11target_archE1100ELNS1_3gpuE3ELNS1_3repE0EEENS1_30default_config_static_selectorELNS0_4arch9wavefront6targetE1EEEvT1_,comdat
.Lfunc_end394:
	.size	_ZN7rocprim17ROCPRIM_400000_NS6detail17trampoline_kernelINS0_14default_configENS1_20scan_config_selectorIN3c104HalfEEEZZNS1_9scan_implILNS1_25lookback_scan_determinismE0ELb0ELb0ES3_PKS6_PS6_S6_ZZZN2at6native31launch_logcumsumexp_cuda_kernelERKNSD_10TensorBaseESH_lENKUlvE_clEvENKUlvE3_clEvEUlS6_S6_E_S6_EEDaPvRmT3_T4_T5_mT6_P12ihipStream_tbENKUlT_T0_E_clISt17integral_constantIbLb1EESY_EEDaST_SU_EUlST_E0_NS1_11comp_targetILNS1_3genE9ELNS1_11target_archE1100ELNS1_3gpuE3ELNS1_3repE0EEENS1_30default_config_static_selectorELNS0_4arch9wavefront6targetE1EEEvT1_, .Lfunc_end394-_ZN7rocprim17ROCPRIM_400000_NS6detail17trampoline_kernelINS0_14default_configENS1_20scan_config_selectorIN3c104HalfEEEZZNS1_9scan_implILNS1_25lookback_scan_determinismE0ELb0ELb0ES3_PKS6_PS6_S6_ZZZN2at6native31launch_logcumsumexp_cuda_kernelERKNSD_10TensorBaseESH_lENKUlvE_clEvENKUlvE3_clEvEUlS6_S6_E_S6_EEDaPvRmT3_T4_T5_mT6_P12ihipStream_tbENKUlT_T0_E_clISt17integral_constantIbLb1EESY_EEDaST_SU_EUlST_E0_NS1_11comp_targetILNS1_3genE9ELNS1_11target_archE1100ELNS1_3gpuE3ELNS1_3repE0EEENS1_30default_config_static_selectorELNS0_4arch9wavefront6targetE1EEEvT1_
                                        ; -- End function
	.set _ZN7rocprim17ROCPRIM_400000_NS6detail17trampoline_kernelINS0_14default_configENS1_20scan_config_selectorIN3c104HalfEEEZZNS1_9scan_implILNS1_25lookback_scan_determinismE0ELb0ELb0ES3_PKS6_PS6_S6_ZZZN2at6native31launch_logcumsumexp_cuda_kernelERKNSD_10TensorBaseESH_lENKUlvE_clEvENKUlvE3_clEvEUlS6_S6_E_S6_EEDaPvRmT3_T4_T5_mT6_P12ihipStream_tbENKUlT_T0_E_clISt17integral_constantIbLb1EESY_EEDaST_SU_EUlST_E0_NS1_11comp_targetILNS1_3genE9ELNS1_11target_archE1100ELNS1_3gpuE3ELNS1_3repE0EEENS1_30default_config_static_selectorELNS0_4arch9wavefront6targetE1EEEvT1_.num_vgpr, 0
	.set _ZN7rocprim17ROCPRIM_400000_NS6detail17trampoline_kernelINS0_14default_configENS1_20scan_config_selectorIN3c104HalfEEEZZNS1_9scan_implILNS1_25lookback_scan_determinismE0ELb0ELb0ES3_PKS6_PS6_S6_ZZZN2at6native31launch_logcumsumexp_cuda_kernelERKNSD_10TensorBaseESH_lENKUlvE_clEvENKUlvE3_clEvEUlS6_S6_E_S6_EEDaPvRmT3_T4_T5_mT6_P12ihipStream_tbENKUlT_T0_E_clISt17integral_constantIbLb1EESY_EEDaST_SU_EUlST_E0_NS1_11comp_targetILNS1_3genE9ELNS1_11target_archE1100ELNS1_3gpuE3ELNS1_3repE0EEENS1_30default_config_static_selectorELNS0_4arch9wavefront6targetE1EEEvT1_.num_agpr, 0
	.set _ZN7rocprim17ROCPRIM_400000_NS6detail17trampoline_kernelINS0_14default_configENS1_20scan_config_selectorIN3c104HalfEEEZZNS1_9scan_implILNS1_25lookback_scan_determinismE0ELb0ELb0ES3_PKS6_PS6_S6_ZZZN2at6native31launch_logcumsumexp_cuda_kernelERKNSD_10TensorBaseESH_lENKUlvE_clEvENKUlvE3_clEvEUlS6_S6_E_S6_EEDaPvRmT3_T4_T5_mT6_P12ihipStream_tbENKUlT_T0_E_clISt17integral_constantIbLb1EESY_EEDaST_SU_EUlST_E0_NS1_11comp_targetILNS1_3genE9ELNS1_11target_archE1100ELNS1_3gpuE3ELNS1_3repE0EEENS1_30default_config_static_selectorELNS0_4arch9wavefront6targetE1EEEvT1_.numbered_sgpr, 0
	.set _ZN7rocprim17ROCPRIM_400000_NS6detail17trampoline_kernelINS0_14default_configENS1_20scan_config_selectorIN3c104HalfEEEZZNS1_9scan_implILNS1_25lookback_scan_determinismE0ELb0ELb0ES3_PKS6_PS6_S6_ZZZN2at6native31launch_logcumsumexp_cuda_kernelERKNSD_10TensorBaseESH_lENKUlvE_clEvENKUlvE3_clEvEUlS6_S6_E_S6_EEDaPvRmT3_T4_T5_mT6_P12ihipStream_tbENKUlT_T0_E_clISt17integral_constantIbLb1EESY_EEDaST_SU_EUlST_E0_NS1_11comp_targetILNS1_3genE9ELNS1_11target_archE1100ELNS1_3gpuE3ELNS1_3repE0EEENS1_30default_config_static_selectorELNS0_4arch9wavefront6targetE1EEEvT1_.num_named_barrier, 0
	.set _ZN7rocprim17ROCPRIM_400000_NS6detail17trampoline_kernelINS0_14default_configENS1_20scan_config_selectorIN3c104HalfEEEZZNS1_9scan_implILNS1_25lookback_scan_determinismE0ELb0ELb0ES3_PKS6_PS6_S6_ZZZN2at6native31launch_logcumsumexp_cuda_kernelERKNSD_10TensorBaseESH_lENKUlvE_clEvENKUlvE3_clEvEUlS6_S6_E_S6_EEDaPvRmT3_T4_T5_mT6_P12ihipStream_tbENKUlT_T0_E_clISt17integral_constantIbLb1EESY_EEDaST_SU_EUlST_E0_NS1_11comp_targetILNS1_3genE9ELNS1_11target_archE1100ELNS1_3gpuE3ELNS1_3repE0EEENS1_30default_config_static_selectorELNS0_4arch9wavefront6targetE1EEEvT1_.private_seg_size, 0
	.set _ZN7rocprim17ROCPRIM_400000_NS6detail17trampoline_kernelINS0_14default_configENS1_20scan_config_selectorIN3c104HalfEEEZZNS1_9scan_implILNS1_25lookback_scan_determinismE0ELb0ELb0ES3_PKS6_PS6_S6_ZZZN2at6native31launch_logcumsumexp_cuda_kernelERKNSD_10TensorBaseESH_lENKUlvE_clEvENKUlvE3_clEvEUlS6_S6_E_S6_EEDaPvRmT3_T4_T5_mT6_P12ihipStream_tbENKUlT_T0_E_clISt17integral_constantIbLb1EESY_EEDaST_SU_EUlST_E0_NS1_11comp_targetILNS1_3genE9ELNS1_11target_archE1100ELNS1_3gpuE3ELNS1_3repE0EEENS1_30default_config_static_selectorELNS0_4arch9wavefront6targetE1EEEvT1_.uses_vcc, 0
	.set _ZN7rocprim17ROCPRIM_400000_NS6detail17trampoline_kernelINS0_14default_configENS1_20scan_config_selectorIN3c104HalfEEEZZNS1_9scan_implILNS1_25lookback_scan_determinismE0ELb0ELb0ES3_PKS6_PS6_S6_ZZZN2at6native31launch_logcumsumexp_cuda_kernelERKNSD_10TensorBaseESH_lENKUlvE_clEvENKUlvE3_clEvEUlS6_S6_E_S6_EEDaPvRmT3_T4_T5_mT6_P12ihipStream_tbENKUlT_T0_E_clISt17integral_constantIbLb1EESY_EEDaST_SU_EUlST_E0_NS1_11comp_targetILNS1_3genE9ELNS1_11target_archE1100ELNS1_3gpuE3ELNS1_3repE0EEENS1_30default_config_static_selectorELNS0_4arch9wavefront6targetE1EEEvT1_.uses_flat_scratch, 0
	.set _ZN7rocprim17ROCPRIM_400000_NS6detail17trampoline_kernelINS0_14default_configENS1_20scan_config_selectorIN3c104HalfEEEZZNS1_9scan_implILNS1_25lookback_scan_determinismE0ELb0ELb0ES3_PKS6_PS6_S6_ZZZN2at6native31launch_logcumsumexp_cuda_kernelERKNSD_10TensorBaseESH_lENKUlvE_clEvENKUlvE3_clEvEUlS6_S6_E_S6_EEDaPvRmT3_T4_T5_mT6_P12ihipStream_tbENKUlT_T0_E_clISt17integral_constantIbLb1EESY_EEDaST_SU_EUlST_E0_NS1_11comp_targetILNS1_3genE9ELNS1_11target_archE1100ELNS1_3gpuE3ELNS1_3repE0EEENS1_30default_config_static_selectorELNS0_4arch9wavefront6targetE1EEEvT1_.has_dyn_sized_stack, 0
	.set _ZN7rocprim17ROCPRIM_400000_NS6detail17trampoline_kernelINS0_14default_configENS1_20scan_config_selectorIN3c104HalfEEEZZNS1_9scan_implILNS1_25lookback_scan_determinismE0ELb0ELb0ES3_PKS6_PS6_S6_ZZZN2at6native31launch_logcumsumexp_cuda_kernelERKNSD_10TensorBaseESH_lENKUlvE_clEvENKUlvE3_clEvEUlS6_S6_E_S6_EEDaPvRmT3_T4_T5_mT6_P12ihipStream_tbENKUlT_T0_E_clISt17integral_constantIbLb1EESY_EEDaST_SU_EUlST_E0_NS1_11comp_targetILNS1_3genE9ELNS1_11target_archE1100ELNS1_3gpuE3ELNS1_3repE0EEENS1_30default_config_static_selectorELNS0_4arch9wavefront6targetE1EEEvT1_.has_recursion, 0
	.set _ZN7rocprim17ROCPRIM_400000_NS6detail17trampoline_kernelINS0_14default_configENS1_20scan_config_selectorIN3c104HalfEEEZZNS1_9scan_implILNS1_25lookback_scan_determinismE0ELb0ELb0ES3_PKS6_PS6_S6_ZZZN2at6native31launch_logcumsumexp_cuda_kernelERKNSD_10TensorBaseESH_lENKUlvE_clEvENKUlvE3_clEvEUlS6_S6_E_S6_EEDaPvRmT3_T4_T5_mT6_P12ihipStream_tbENKUlT_T0_E_clISt17integral_constantIbLb1EESY_EEDaST_SU_EUlST_E0_NS1_11comp_targetILNS1_3genE9ELNS1_11target_archE1100ELNS1_3gpuE3ELNS1_3repE0EEENS1_30default_config_static_selectorELNS0_4arch9wavefront6targetE1EEEvT1_.has_indirect_call, 0
	.section	.AMDGPU.csdata,"",@progbits
; Kernel info:
; codeLenInByte = 0
; TotalNumSgprs: 4
; NumVgprs: 0
; ScratchSize: 0
; MemoryBound: 0
; FloatMode: 240
; IeeeMode: 1
; LDSByteSize: 0 bytes/workgroup (compile time only)
; SGPRBlocks: 0
; VGPRBlocks: 0
; NumSGPRsForWavesPerEU: 4
; NumVGPRsForWavesPerEU: 1
; Occupancy: 10
; WaveLimiterHint : 0
; COMPUTE_PGM_RSRC2:SCRATCH_EN: 0
; COMPUTE_PGM_RSRC2:USER_SGPR: 6
; COMPUTE_PGM_RSRC2:TRAP_HANDLER: 0
; COMPUTE_PGM_RSRC2:TGID_X_EN: 1
; COMPUTE_PGM_RSRC2:TGID_Y_EN: 0
; COMPUTE_PGM_RSRC2:TGID_Z_EN: 0
; COMPUTE_PGM_RSRC2:TIDIG_COMP_CNT: 0
	.section	.text._ZN7rocprim17ROCPRIM_400000_NS6detail17trampoline_kernelINS0_14default_configENS1_20scan_config_selectorIN3c104HalfEEEZZNS1_9scan_implILNS1_25lookback_scan_determinismE0ELb0ELb0ES3_PKS6_PS6_S6_ZZZN2at6native31launch_logcumsumexp_cuda_kernelERKNSD_10TensorBaseESH_lENKUlvE_clEvENKUlvE3_clEvEUlS6_S6_E_S6_EEDaPvRmT3_T4_T5_mT6_P12ihipStream_tbENKUlT_T0_E_clISt17integral_constantIbLb1EESY_EEDaST_SU_EUlST_E0_NS1_11comp_targetILNS1_3genE8ELNS1_11target_archE1030ELNS1_3gpuE2ELNS1_3repE0EEENS1_30default_config_static_selectorELNS0_4arch9wavefront6targetE1EEEvT1_,"axG",@progbits,_ZN7rocprim17ROCPRIM_400000_NS6detail17trampoline_kernelINS0_14default_configENS1_20scan_config_selectorIN3c104HalfEEEZZNS1_9scan_implILNS1_25lookback_scan_determinismE0ELb0ELb0ES3_PKS6_PS6_S6_ZZZN2at6native31launch_logcumsumexp_cuda_kernelERKNSD_10TensorBaseESH_lENKUlvE_clEvENKUlvE3_clEvEUlS6_S6_E_S6_EEDaPvRmT3_T4_T5_mT6_P12ihipStream_tbENKUlT_T0_E_clISt17integral_constantIbLb1EESY_EEDaST_SU_EUlST_E0_NS1_11comp_targetILNS1_3genE8ELNS1_11target_archE1030ELNS1_3gpuE2ELNS1_3repE0EEENS1_30default_config_static_selectorELNS0_4arch9wavefront6targetE1EEEvT1_,comdat
	.globl	_ZN7rocprim17ROCPRIM_400000_NS6detail17trampoline_kernelINS0_14default_configENS1_20scan_config_selectorIN3c104HalfEEEZZNS1_9scan_implILNS1_25lookback_scan_determinismE0ELb0ELb0ES3_PKS6_PS6_S6_ZZZN2at6native31launch_logcumsumexp_cuda_kernelERKNSD_10TensorBaseESH_lENKUlvE_clEvENKUlvE3_clEvEUlS6_S6_E_S6_EEDaPvRmT3_T4_T5_mT6_P12ihipStream_tbENKUlT_T0_E_clISt17integral_constantIbLb1EESY_EEDaST_SU_EUlST_E0_NS1_11comp_targetILNS1_3genE8ELNS1_11target_archE1030ELNS1_3gpuE2ELNS1_3repE0EEENS1_30default_config_static_selectorELNS0_4arch9wavefront6targetE1EEEvT1_ ; -- Begin function _ZN7rocprim17ROCPRIM_400000_NS6detail17trampoline_kernelINS0_14default_configENS1_20scan_config_selectorIN3c104HalfEEEZZNS1_9scan_implILNS1_25lookback_scan_determinismE0ELb0ELb0ES3_PKS6_PS6_S6_ZZZN2at6native31launch_logcumsumexp_cuda_kernelERKNSD_10TensorBaseESH_lENKUlvE_clEvENKUlvE3_clEvEUlS6_S6_E_S6_EEDaPvRmT3_T4_T5_mT6_P12ihipStream_tbENKUlT_T0_E_clISt17integral_constantIbLb1EESY_EEDaST_SU_EUlST_E0_NS1_11comp_targetILNS1_3genE8ELNS1_11target_archE1030ELNS1_3gpuE2ELNS1_3repE0EEENS1_30default_config_static_selectorELNS0_4arch9wavefront6targetE1EEEvT1_
	.p2align	8
	.type	_ZN7rocprim17ROCPRIM_400000_NS6detail17trampoline_kernelINS0_14default_configENS1_20scan_config_selectorIN3c104HalfEEEZZNS1_9scan_implILNS1_25lookback_scan_determinismE0ELb0ELb0ES3_PKS6_PS6_S6_ZZZN2at6native31launch_logcumsumexp_cuda_kernelERKNSD_10TensorBaseESH_lENKUlvE_clEvENKUlvE3_clEvEUlS6_S6_E_S6_EEDaPvRmT3_T4_T5_mT6_P12ihipStream_tbENKUlT_T0_E_clISt17integral_constantIbLb1EESY_EEDaST_SU_EUlST_E0_NS1_11comp_targetILNS1_3genE8ELNS1_11target_archE1030ELNS1_3gpuE2ELNS1_3repE0EEENS1_30default_config_static_selectorELNS0_4arch9wavefront6targetE1EEEvT1_,@function
_ZN7rocprim17ROCPRIM_400000_NS6detail17trampoline_kernelINS0_14default_configENS1_20scan_config_selectorIN3c104HalfEEEZZNS1_9scan_implILNS1_25lookback_scan_determinismE0ELb0ELb0ES3_PKS6_PS6_S6_ZZZN2at6native31launch_logcumsumexp_cuda_kernelERKNSD_10TensorBaseESH_lENKUlvE_clEvENKUlvE3_clEvEUlS6_S6_E_S6_EEDaPvRmT3_T4_T5_mT6_P12ihipStream_tbENKUlT_T0_E_clISt17integral_constantIbLb1EESY_EEDaST_SU_EUlST_E0_NS1_11comp_targetILNS1_3genE8ELNS1_11target_archE1030ELNS1_3gpuE2ELNS1_3repE0EEENS1_30default_config_static_selectorELNS0_4arch9wavefront6targetE1EEEvT1_: ; @_ZN7rocprim17ROCPRIM_400000_NS6detail17trampoline_kernelINS0_14default_configENS1_20scan_config_selectorIN3c104HalfEEEZZNS1_9scan_implILNS1_25lookback_scan_determinismE0ELb0ELb0ES3_PKS6_PS6_S6_ZZZN2at6native31launch_logcumsumexp_cuda_kernelERKNSD_10TensorBaseESH_lENKUlvE_clEvENKUlvE3_clEvEUlS6_S6_E_S6_EEDaPvRmT3_T4_T5_mT6_P12ihipStream_tbENKUlT_T0_E_clISt17integral_constantIbLb1EESY_EEDaST_SU_EUlST_E0_NS1_11comp_targetILNS1_3genE8ELNS1_11target_archE1030ELNS1_3gpuE2ELNS1_3repE0EEENS1_30default_config_static_selectorELNS0_4arch9wavefront6targetE1EEEvT1_
; %bb.0:
	.section	.rodata,"a",@progbits
	.p2align	6, 0x0
	.amdhsa_kernel _ZN7rocprim17ROCPRIM_400000_NS6detail17trampoline_kernelINS0_14default_configENS1_20scan_config_selectorIN3c104HalfEEEZZNS1_9scan_implILNS1_25lookback_scan_determinismE0ELb0ELb0ES3_PKS6_PS6_S6_ZZZN2at6native31launch_logcumsumexp_cuda_kernelERKNSD_10TensorBaseESH_lENKUlvE_clEvENKUlvE3_clEvEUlS6_S6_E_S6_EEDaPvRmT3_T4_T5_mT6_P12ihipStream_tbENKUlT_T0_E_clISt17integral_constantIbLb1EESY_EEDaST_SU_EUlST_E0_NS1_11comp_targetILNS1_3genE8ELNS1_11target_archE1030ELNS1_3gpuE2ELNS1_3repE0EEENS1_30default_config_static_selectorELNS0_4arch9wavefront6targetE1EEEvT1_
		.amdhsa_group_segment_fixed_size 0
		.amdhsa_private_segment_fixed_size 0
		.amdhsa_kernarg_size 32
		.amdhsa_user_sgpr_count 6
		.amdhsa_user_sgpr_private_segment_buffer 1
		.amdhsa_user_sgpr_dispatch_ptr 0
		.amdhsa_user_sgpr_queue_ptr 0
		.amdhsa_user_sgpr_kernarg_segment_ptr 1
		.amdhsa_user_sgpr_dispatch_id 0
		.amdhsa_user_sgpr_flat_scratch_init 0
		.amdhsa_user_sgpr_private_segment_size 0
		.amdhsa_uses_dynamic_stack 0
		.amdhsa_system_sgpr_private_segment_wavefront_offset 0
		.amdhsa_system_sgpr_workgroup_id_x 1
		.amdhsa_system_sgpr_workgroup_id_y 0
		.amdhsa_system_sgpr_workgroup_id_z 0
		.amdhsa_system_sgpr_workgroup_info 0
		.amdhsa_system_vgpr_workitem_id 0
		.amdhsa_next_free_vgpr 1
		.amdhsa_next_free_sgpr 0
		.amdhsa_reserve_vcc 0
		.amdhsa_reserve_flat_scratch 0
		.amdhsa_float_round_mode_32 0
		.amdhsa_float_round_mode_16_64 0
		.amdhsa_float_denorm_mode_32 3
		.amdhsa_float_denorm_mode_16_64 3
		.amdhsa_dx10_clamp 1
		.amdhsa_ieee_mode 1
		.amdhsa_fp16_overflow 0
		.amdhsa_exception_fp_ieee_invalid_op 0
		.amdhsa_exception_fp_denorm_src 0
		.amdhsa_exception_fp_ieee_div_zero 0
		.amdhsa_exception_fp_ieee_overflow 0
		.amdhsa_exception_fp_ieee_underflow 0
		.amdhsa_exception_fp_ieee_inexact 0
		.amdhsa_exception_int_div_zero 0
	.end_amdhsa_kernel
	.section	.text._ZN7rocprim17ROCPRIM_400000_NS6detail17trampoline_kernelINS0_14default_configENS1_20scan_config_selectorIN3c104HalfEEEZZNS1_9scan_implILNS1_25lookback_scan_determinismE0ELb0ELb0ES3_PKS6_PS6_S6_ZZZN2at6native31launch_logcumsumexp_cuda_kernelERKNSD_10TensorBaseESH_lENKUlvE_clEvENKUlvE3_clEvEUlS6_S6_E_S6_EEDaPvRmT3_T4_T5_mT6_P12ihipStream_tbENKUlT_T0_E_clISt17integral_constantIbLb1EESY_EEDaST_SU_EUlST_E0_NS1_11comp_targetILNS1_3genE8ELNS1_11target_archE1030ELNS1_3gpuE2ELNS1_3repE0EEENS1_30default_config_static_selectorELNS0_4arch9wavefront6targetE1EEEvT1_,"axG",@progbits,_ZN7rocprim17ROCPRIM_400000_NS6detail17trampoline_kernelINS0_14default_configENS1_20scan_config_selectorIN3c104HalfEEEZZNS1_9scan_implILNS1_25lookback_scan_determinismE0ELb0ELb0ES3_PKS6_PS6_S6_ZZZN2at6native31launch_logcumsumexp_cuda_kernelERKNSD_10TensorBaseESH_lENKUlvE_clEvENKUlvE3_clEvEUlS6_S6_E_S6_EEDaPvRmT3_T4_T5_mT6_P12ihipStream_tbENKUlT_T0_E_clISt17integral_constantIbLb1EESY_EEDaST_SU_EUlST_E0_NS1_11comp_targetILNS1_3genE8ELNS1_11target_archE1030ELNS1_3gpuE2ELNS1_3repE0EEENS1_30default_config_static_selectorELNS0_4arch9wavefront6targetE1EEEvT1_,comdat
.Lfunc_end395:
	.size	_ZN7rocprim17ROCPRIM_400000_NS6detail17trampoline_kernelINS0_14default_configENS1_20scan_config_selectorIN3c104HalfEEEZZNS1_9scan_implILNS1_25lookback_scan_determinismE0ELb0ELb0ES3_PKS6_PS6_S6_ZZZN2at6native31launch_logcumsumexp_cuda_kernelERKNSD_10TensorBaseESH_lENKUlvE_clEvENKUlvE3_clEvEUlS6_S6_E_S6_EEDaPvRmT3_T4_T5_mT6_P12ihipStream_tbENKUlT_T0_E_clISt17integral_constantIbLb1EESY_EEDaST_SU_EUlST_E0_NS1_11comp_targetILNS1_3genE8ELNS1_11target_archE1030ELNS1_3gpuE2ELNS1_3repE0EEENS1_30default_config_static_selectorELNS0_4arch9wavefront6targetE1EEEvT1_, .Lfunc_end395-_ZN7rocprim17ROCPRIM_400000_NS6detail17trampoline_kernelINS0_14default_configENS1_20scan_config_selectorIN3c104HalfEEEZZNS1_9scan_implILNS1_25lookback_scan_determinismE0ELb0ELb0ES3_PKS6_PS6_S6_ZZZN2at6native31launch_logcumsumexp_cuda_kernelERKNSD_10TensorBaseESH_lENKUlvE_clEvENKUlvE3_clEvEUlS6_S6_E_S6_EEDaPvRmT3_T4_T5_mT6_P12ihipStream_tbENKUlT_T0_E_clISt17integral_constantIbLb1EESY_EEDaST_SU_EUlST_E0_NS1_11comp_targetILNS1_3genE8ELNS1_11target_archE1030ELNS1_3gpuE2ELNS1_3repE0EEENS1_30default_config_static_selectorELNS0_4arch9wavefront6targetE1EEEvT1_
                                        ; -- End function
	.set _ZN7rocprim17ROCPRIM_400000_NS6detail17trampoline_kernelINS0_14default_configENS1_20scan_config_selectorIN3c104HalfEEEZZNS1_9scan_implILNS1_25lookback_scan_determinismE0ELb0ELb0ES3_PKS6_PS6_S6_ZZZN2at6native31launch_logcumsumexp_cuda_kernelERKNSD_10TensorBaseESH_lENKUlvE_clEvENKUlvE3_clEvEUlS6_S6_E_S6_EEDaPvRmT3_T4_T5_mT6_P12ihipStream_tbENKUlT_T0_E_clISt17integral_constantIbLb1EESY_EEDaST_SU_EUlST_E0_NS1_11comp_targetILNS1_3genE8ELNS1_11target_archE1030ELNS1_3gpuE2ELNS1_3repE0EEENS1_30default_config_static_selectorELNS0_4arch9wavefront6targetE1EEEvT1_.num_vgpr, 0
	.set _ZN7rocprim17ROCPRIM_400000_NS6detail17trampoline_kernelINS0_14default_configENS1_20scan_config_selectorIN3c104HalfEEEZZNS1_9scan_implILNS1_25lookback_scan_determinismE0ELb0ELb0ES3_PKS6_PS6_S6_ZZZN2at6native31launch_logcumsumexp_cuda_kernelERKNSD_10TensorBaseESH_lENKUlvE_clEvENKUlvE3_clEvEUlS6_S6_E_S6_EEDaPvRmT3_T4_T5_mT6_P12ihipStream_tbENKUlT_T0_E_clISt17integral_constantIbLb1EESY_EEDaST_SU_EUlST_E0_NS1_11comp_targetILNS1_3genE8ELNS1_11target_archE1030ELNS1_3gpuE2ELNS1_3repE0EEENS1_30default_config_static_selectorELNS0_4arch9wavefront6targetE1EEEvT1_.num_agpr, 0
	.set _ZN7rocprim17ROCPRIM_400000_NS6detail17trampoline_kernelINS0_14default_configENS1_20scan_config_selectorIN3c104HalfEEEZZNS1_9scan_implILNS1_25lookback_scan_determinismE0ELb0ELb0ES3_PKS6_PS6_S6_ZZZN2at6native31launch_logcumsumexp_cuda_kernelERKNSD_10TensorBaseESH_lENKUlvE_clEvENKUlvE3_clEvEUlS6_S6_E_S6_EEDaPvRmT3_T4_T5_mT6_P12ihipStream_tbENKUlT_T0_E_clISt17integral_constantIbLb1EESY_EEDaST_SU_EUlST_E0_NS1_11comp_targetILNS1_3genE8ELNS1_11target_archE1030ELNS1_3gpuE2ELNS1_3repE0EEENS1_30default_config_static_selectorELNS0_4arch9wavefront6targetE1EEEvT1_.numbered_sgpr, 0
	.set _ZN7rocprim17ROCPRIM_400000_NS6detail17trampoline_kernelINS0_14default_configENS1_20scan_config_selectorIN3c104HalfEEEZZNS1_9scan_implILNS1_25lookback_scan_determinismE0ELb0ELb0ES3_PKS6_PS6_S6_ZZZN2at6native31launch_logcumsumexp_cuda_kernelERKNSD_10TensorBaseESH_lENKUlvE_clEvENKUlvE3_clEvEUlS6_S6_E_S6_EEDaPvRmT3_T4_T5_mT6_P12ihipStream_tbENKUlT_T0_E_clISt17integral_constantIbLb1EESY_EEDaST_SU_EUlST_E0_NS1_11comp_targetILNS1_3genE8ELNS1_11target_archE1030ELNS1_3gpuE2ELNS1_3repE0EEENS1_30default_config_static_selectorELNS0_4arch9wavefront6targetE1EEEvT1_.num_named_barrier, 0
	.set _ZN7rocprim17ROCPRIM_400000_NS6detail17trampoline_kernelINS0_14default_configENS1_20scan_config_selectorIN3c104HalfEEEZZNS1_9scan_implILNS1_25lookback_scan_determinismE0ELb0ELb0ES3_PKS6_PS6_S6_ZZZN2at6native31launch_logcumsumexp_cuda_kernelERKNSD_10TensorBaseESH_lENKUlvE_clEvENKUlvE3_clEvEUlS6_S6_E_S6_EEDaPvRmT3_T4_T5_mT6_P12ihipStream_tbENKUlT_T0_E_clISt17integral_constantIbLb1EESY_EEDaST_SU_EUlST_E0_NS1_11comp_targetILNS1_3genE8ELNS1_11target_archE1030ELNS1_3gpuE2ELNS1_3repE0EEENS1_30default_config_static_selectorELNS0_4arch9wavefront6targetE1EEEvT1_.private_seg_size, 0
	.set _ZN7rocprim17ROCPRIM_400000_NS6detail17trampoline_kernelINS0_14default_configENS1_20scan_config_selectorIN3c104HalfEEEZZNS1_9scan_implILNS1_25lookback_scan_determinismE0ELb0ELb0ES3_PKS6_PS6_S6_ZZZN2at6native31launch_logcumsumexp_cuda_kernelERKNSD_10TensorBaseESH_lENKUlvE_clEvENKUlvE3_clEvEUlS6_S6_E_S6_EEDaPvRmT3_T4_T5_mT6_P12ihipStream_tbENKUlT_T0_E_clISt17integral_constantIbLb1EESY_EEDaST_SU_EUlST_E0_NS1_11comp_targetILNS1_3genE8ELNS1_11target_archE1030ELNS1_3gpuE2ELNS1_3repE0EEENS1_30default_config_static_selectorELNS0_4arch9wavefront6targetE1EEEvT1_.uses_vcc, 0
	.set _ZN7rocprim17ROCPRIM_400000_NS6detail17trampoline_kernelINS0_14default_configENS1_20scan_config_selectorIN3c104HalfEEEZZNS1_9scan_implILNS1_25lookback_scan_determinismE0ELb0ELb0ES3_PKS6_PS6_S6_ZZZN2at6native31launch_logcumsumexp_cuda_kernelERKNSD_10TensorBaseESH_lENKUlvE_clEvENKUlvE3_clEvEUlS6_S6_E_S6_EEDaPvRmT3_T4_T5_mT6_P12ihipStream_tbENKUlT_T0_E_clISt17integral_constantIbLb1EESY_EEDaST_SU_EUlST_E0_NS1_11comp_targetILNS1_3genE8ELNS1_11target_archE1030ELNS1_3gpuE2ELNS1_3repE0EEENS1_30default_config_static_selectorELNS0_4arch9wavefront6targetE1EEEvT1_.uses_flat_scratch, 0
	.set _ZN7rocprim17ROCPRIM_400000_NS6detail17trampoline_kernelINS0_14default_configENS1_20scan_config_selectorIN3c104HalfEEEZZNS1_9scan_implILNS1_25lookback_scan_determinismE0ELb0ELb0ES3_PKS6_PS6_S6_ZZZN2at6native31launch_logcumsumexp_cuda_kernelERKNSD_10TensorBaseESH_lENKUlvE_clEvENKUlvE3_clEvEUlS6_S6_E_S6_EEDaPvRmT3_T4_T5_mT6_P12ihipStream_tbENKUlT_T0_E_clISt17integral_constantIbLb1EESY_EEDaST_SU_EUlST_E0_NS1_11comp_targetILNS1_3genE8ELNS1_11target_archE1030ELNS1_3gpuE2ELNS1_3repE0EEENS1_30default_config_static_selectorELNS0_4arch9wavefront6targetE1EEEvT1_.has_dyn_sized_stack, 0
	.set _ZN7rocprim17ROCPRIM_400000_NS6detail17trampoline_kernelINS0_14default_configENS1_20scan_config_selectorIN3c104HalfEEEZZNS1_9scan_implILNS1_25lookback_scan_determinismE0ELb0ELb0ES3_PKS6_PS6_S6_ZZZN2at6native31launch_logcumsumexp_cuda_kernelERKNSD_10TensorBaseESH_lENKUlvE_clEvENKUlvE3_clEvEUlS6_S6_E_S6_EEDaPvRmT3_T4_T5_mT6_P12ihipStream_tbENKUlT_T0_E_clISt17integral_constantIbLb1EESY_EEDaST_SU_EUlST_E0_NS1_11comp_targetILNS1_3genE8ELNS1_11target_archE1030ELNS1_3gpuE2ELNS1_3repE0EEENS1_30default_config_static_selectorELNS0_4arch9wavefront6targetE1EEEvT1_.has_recursion, 0
	.set _ZN7rocprim17ROCPRIM_400000_NS6detail17trampoline_kernelINS0_14default_configENS1_20scan_config_selectorIN3c104HalfEEEZZNS1_9scan_implILNS1_25lookback_scan_determinismE0ELb0ELb0ES3_PKS6_PS6_S6_ZZZN2at6native31launch_logcumsumexp_cuda_kernelERKNSD_10TensorBaseESH_lENKUlvE_clEvENKUlvE3_clEvEUlS6_S6_E_S6_EEDaPvRmT3_T4_T5_mT6_P12ihipStream_tbENKUlT_T0_E_clISt17integral_constantIbLb1EESY_EEDaST_SU_EUlST_E0_NS1_11comp_targetILNS1_3genE8ELNS1_11target_archE1030ELNS1_3gpuE2ELNS1_3repE0EEENS1_30default_config_static_selectorELNS0_4arch9wavefront6targetE1EEEvT1_.has_indirect_call, 0
	.section	.AMDGPU.csdata,"",@progbits
; Kernel info:
; codeLenInByte = 0
; TotalNumSgprs: 4
; NumVgprs: 0
; ScratchSize: 0
; MemoryBound: 0
; FloatMode: 240
; IeeeMode: 1
; LDSByteSize: 0 bytes/workgroup (compile time only)
; SGPRBlocks: 0
; VGPRBlocks: 0
; NumSGPRsForWavesPerEU: 4
; NumVGPRsForWavesPerEU: 1
; Occupancy: 10
; WaveLimiterHint : 0
; COMPUTE_PGM_RSRC2:SCRATCH_EN: 0
; COMPUTE_PGM_RSRC2:USER_SGPR: 6
; COMPUTE_PGM_RSRC2:TRAP_HANDLER: 0
; COMPUTE_PGM_RSRC2:TGID_X_EN: 1
; COMPUTE_PGM_RSRC2:TGID_Y_EN: 0
; COMPUTE_PGM_RSRC2:TGID_Z_EN: 0
; COMPUTE_PGM_RSRC2:TIDIG_COMP_CNT: 0
	.section	.text._ZN7rocprim17ROCPRIM_400000_NS6detail31init_lookback_scan_state_kernelINS1_19lookback_scan_stateIN3c104HalfELb1ELb1EEENS1_16block_id_wrapperIjLb0EEEEEvT_jT0_jPNS9_10value_typeE,"axG",@progbits,_ZN7rocprim17ROCPRIM_400000_NS6detail31init_lookback_scan_state_kernelINS1_19lookback_scan_stateIN3c104HalfELb1ELb1EEENS1_16block_id_wrapperIjLb0EEEEEvT_jT0_jPNS9_10value_typeE,comdat
	.protected	_ZN7rocprim17ROCPRIM_400000_NS6detail31init_lookback_scan_state_kernelINS1_19lookback_scan_stateIN3c104HalfELb1ELb1EEENS1_16block_id_wrapperIjLb0EEEEEvT_jT0_jPNS9_10value_typeE ; -- Begin function _ZN7rocprim17ROCPRIM_400000_NS6detail31init_lookback_scan_state_kernelINS1_19lookback_scan_stateIN3c104HalfELb1ELb1EEENS1_16block_id_wrapperIjLb0EEEEEvT_jT0_jPNS9_10value_typeE
	.globl	_ZN7rocprim17ROCPRIM_400000_NS6detail31init_lookback_scan_state_kernelINS1_19lookback_scan_stateIN3c104HalfELb1ELb1EEENS1_16block_id_wrapperIjLb0EEEEEvT_jT0_jPNS9_10value_typeE
	.p2align	8
	.type	_ZN7rocprim17ROCPRIM_400000_NS6detail31init_lookback_scan_state_kernelINS1_19lookback_scan_stateIN3c104HalfELb1ELb1EEENS1_16block_id_wrapperIjLb0EEEEEvT_jT0_jPNS9_10value_typeE,@function
_ZN7rocprim17ROCPRIM_400000_NS6detail31init_lookback_scan_state_kernelINS1_19lookback_scan_stateIN3c104HalfELb1ELb1EEENS1_16block_id_wrapperIjLb0EEEEEvT_jT0_jPNS9_10value_typeE: ; @_ZN7rocprim17ROCPRIM_400000_NS6detail31init_lookback_scan_state_kernelINS1_19lookback_scan_stateIN3c104HalfELb1ELb1EEENS1_16block_id_wrapperIjLb0EEEEEvT_jT0_jPNS9_10value_typeE
; %bb.0:
	s_load_dword s7, s[4:5], 0x2c
	s_load_dwordx2 s[2:3], s[4:5], 0x18
	s_load_dwordx2 s[0:1], s[4:5], 0x0
	s_load_dword s8, s[4:5], 0x8
	s_waitcnt lgkmcnt(0)
	s_and_b32 s7, s7, 0xffff
	s_mul_i32 s6, s6, s7
	s_cmp_eq_u64 s[2:3], 0
	v_add_u32_e32 v0, s6, v0
	s_cbranch_scc1 .LBB396_9
; %bb.1:
	s_load_dword s6, s[4:5], 0x10
	s_mov_b32 s7, 0
	s_waitcnt lgkmcnt(0)
	s_cmp_lt_u32 s6, s8
	s_cselect_b32 s4, s6, 0
	v_cmp_eq_u32_e32 vcc, s4, v0
	s_and_saveexec_b64 s[4:5], vcc
	s_cbranch_execz .LBB396_8
; %bb.2:
	s_add_i32 s6, s6, 64
	s_lshl_b64 s[6:7], s[6:7], 2
	s_add_u32 s6, s0, s6
	s_addc_u32 s7, s1, s7
	v_mov_b32_e32 v1, 0
	global_load_dword v2, v1, s[6:7] glc
	s_waitcnt vmcnt(0)
	v_and_b32_e32 v3, 0xff0000, v2
	v_cmp_ne_u32_e32 vcc, 0, v3
	s_cbranch_vccnz .LBB396_7
; %bb.3:
	s_mov_b32 s9, 1
.LBB396_4:                              ; =>This Loop Header: Depth=1
                                        ;     Child Loop BB396_5 Depth 2
	s_mov_b32 s10, s9
.LBB396_5:                              ;   Parent Loop BB396_4 Depth=1
                                        ; =>  This Inner Loop Header: Depth=2
	s_add_i32 s10, s10, -1
	s_cmp_eq_u32 s10, 0
	s_sleep 1
	s_cbranch_scc0 .LBB396_5
; %bb.6:                                ;   in Loop: Header=BB396_4 Depth=1
	global_load_dword v2, v1, s[6:7] glc
	s_cmp_lt_u32 s9, 32
	s_cselect_b64 s[10:11], -1, 0
	s_cmp_lg_u64 s[10:11], 0
	s_addc_u32 s9, s9, 0
	s_waitcnt vmcnt(0)
	v_and_b32_e32 v3, 0xff0000, v2
	v_cmp_ne_u32_e32 vcc, 0, v3
	s_cbranch_vccz .LBB396_4
.LBB396_7:
	v_mov_b32_e32 v1, 0
	global_store_short v1, v2, s[2:3]
.LBB396_8:
	s_or_b64 exec, exec, s[4:5]
.LBB396_9:
	v_cmp_gt_u32_e32 vcc, s8, v0
	s_and_saveexec_b64 s[2:3], vcc
	s_cbranch_execnz .LBB396_12
; %bb.10:
	s_or_b64 exec, exec, s[2:3]
	v_cmp_gt_u32_e32 vcc, 64, v0
	s_and_saveexec_b64 s[2:3], vcc
	s_cbranch_execnz .LBB396_13
.LBB396_11:
	s_endpgm
.LBB396_12:
	v_add_u32_e32 v1, 64, v0
	v_mov_b32_e32 v2, 0
	v_lshlrev_b64 v[3:4], 2, v[1:2]
	v_mov_b32_e32 v1, s1
	v_add_co_u32_e32 v3, vcc, s0, v3
	v_addc_co_u32_e32 v4, vcc, v1, v4, vcc
	global_store_dword v[3:4], v2, off
	s_or_b64 exec, exec, s[2:3]
	v_cmp_gt_u32_e32 vcc, 64, v0
	s_and_saveexec_b64 s[2:3], vcc
	s_cbranch_execz .LBB396_11
.LBB396_13:
	v_mov_b32_e32 v1, 0
	v_lshlrev_b64 v[0:1], 2, v[0:1]
	v_mov_b32_e32 v2, s1
	v_add_co_u32_e32 v0, vcc, s0, v0
	v_addc_co_u32_e32 v1, vcc, v2, v1, vcc
	v_mov_b32_e32 v2, 0xff0000
	global_store_dword v[0:1], v2, off
	s_endpgm
	.section	.rodata,"a",@progbits
	.p2align	6, 0x0
	.amdhsa_kernel _ZN7rocprim17ROCPRIM_400000_NS6detail31init_lookback_scan_state_kernelINS1_19lookback_scan_stateIN3c104HalfELb1ELb1EEENS1_16block_id_wrapperIjLb0EEEEEvT_jT0_jPNS9_10value_typeE
		.amdhsa_group_segment_fixed_size 0
		.amdhsa_private_segment_fixed_size 0
		.amdhsa_kernarg_size 288
		.amdhsa_user_sgpr_count 6
		.amdhsa_user_sgpr_private_segment_buffer 1
		.amdhsa_user_sgpr_dispatch_ptr 0
		.amdhsa_user_sgpr_queue_ptr 0
		.amdhsa_user_sgpr_kernarg_segment_ptr 1
		.amdhsa_user_sgpr_dispatch_id 0
		.amdhsa_user_sgpr_flat_scratch_init 0
		.amdhsa_user_sgpr_private_segment_size 0
		.amdhsa_uses_dynamic_stack 0
		.amdhsa_system_sgpr_private_segment_wavefront_offset 0
		.amdhsa_system_sgpr_workgroup_id_x 1
		.amdhsa_system_sgpr_workgroup_id_y 0
		.amdhsa_system_sgpr_workgroup_id_z 0
		.amdhsa_system_sgpr_workgroup_info 0
		.amdhsa_system_vgpr_workitem_id 0
		.amdhsa_next_free_vgpr 5
		.amdhsa_next_free_sgpr 12
		.amdhsa_reserve_vcc 1
		.amdhsa_reserve_flat_scratch 0
		.amdhsa_float_round_mode_32 0
		.amdhsa_float_round_mode_16_64 0
		.amdhsa_float_denorm_mode_32 3
		.amdhsa_float_denorm_mode_16_64 3
		.amdhsa_dx10_clamp 1
		.amdhsa_ieee_mode 1
		.amdhsa_fp16_overflow 0
		.amdhsa_exception_fp_ieee_invalid_op 0
		.amdhsa_exception_fp_denorm_src 0
		.amdhsa_exception_fp_ieee_div_zero 0
		.amdhsa_exception_fp_ieee_overflow 0
		.amdhsa_exception_fp_ieee_underflow 0
		.amdhsa_exception_fp_ieee_inexact 0
		.amdhsa_exception_int_div_zero 0
	.end_amdhsa_kernel
	.section	.text._ZN7rocprim17ROCPRIM_400000_NS6detail31init_lookback_scan_state_kernelINS1_19lookback_scan_stateIN3c104HalfELb1ELb1EEENS1_16block_id_wrapperIjLb0EEEEEvT_jT0_jPNS9_10value_typeE,"axG",@progbits,_ZN7rocprim17ROCPRIM_400000_NS6detail31init_lookback_scan_state_kernelINS1_19lookback_scan_stateIN3c104HalfELb1ELb1EEENS1_16block_id_wrapperIjLb0EEEEEvT_jT0_jPNS9_10value_typeE,comdat
.Lfunc_end396:
	.size	_ZN7rocprim17ROCPRIM_400000_NS6detail31init_lookback_scan_state_kernelINS1_19lookback_scan_stateIN3c104HalfELb1ELb1EEENS1_16block_id_wrapperIjLb0EEEEEvT_jT0_jPNS9_10value_typeE, .Lfunc_end396-_ZN7rocprim17ROCPRIM_400000_NS6detail31init_lookback_scan_state_kernelINS1_19lookback_scan_stateIN3c104HalfELb1ELb1EEENS1_16block_id_wrapperIjLb0EEEEEvT_jT0_jPNS9_10value_typeE
                                        ; -- End function
	.set _ZN7rocprim17ROCPRIM_400000_NS6detail31init_lookback_scan_state_kernelINS1_19lookback_scan_stateIN3c104HalfELb1ELb1EEENS1_16block_id_wrapperIjLb0EEEEEvT_jT0_jPNS9_10value_typeE.num_vgpr, 5
	.set _ZN7rocprim17ROCPRIM_400000_NS6detail31init_lookback_scan_state_kernelINS1_19lookback_scan_stateIN3c104HalfELb1ELb1EEENS1_16block_id_wrapperIjLb0EEEEEvT_jT0_jPNS9_10value_typeE.num_agpr, 0
	.set _ZN7rocprim17ROCPRIM_400000_NS6detail31init_lookback_scan_state_kernelINS1_19lookback_scan_stateIN3c104HalfELb1ELb1EEENS1_16block_id_wrapperIjLb0EEEEEvT_jT0_jPNS9_10value_typeE.numbered_sgpr, 12
	.set _ZN7rocprim17ROCPRIM_400000_NS6detail31init_lookback_scan_state_kernelINS1_19lookback_scan_stateIN3c104HalfELb1ELb1EEENS1_16block_id_wrapperIjLb0EEEEEvT_jT0_jPNS9_10value_typeE.num_named_barrier, 0
	.set _ZN7rocprim17ROCPRIM_400000_NS6detail31init_lookback_scan_state_kernelINS1_19lookback_scan_stateIN3c104HalfELb1ELb1EEENS1_16block_id_wrapperIjLb0EEEEEvT_jT0_jPNS9_10value_typeE.private_seg_size, 0
	.set _ZN7rocprim17ROCPRIM_400000_NS6detail31init_lookback_scan_state_kernelINS1_19lookback_scan_stateIN3c104HalfELb1ELb1EEENS1_16block_id_wrapperIjLb0EEEEEvT_jT0_jPNS9_10value_typeE.uses_vcc, 1
	.set _ZN7rocprim17ROCPRIM_400000_NS6detail31init_lookback_scan_state_kernelINS1_19lookback_scan_stateIN3c104HalfELb1ELb1EEENS1_16block_id_wrapperIjLb0EEEEEvT_jT0_jPNS9_10value_typeE.uses_flat_scratch, 0
	.set _ZN7rocprim17ROCPRIM_400000_NS6detail31init_lookback_scan_state_kernelINS1_19lookback_scan_stateIN3c104HalfELb1ELb1EEENS1_16block_id_wrapperIjLb0EEEEEvT_jT0_jPNS9_10value_typeE.has_dyn_sized_stack, 0
	.set _ZN7rocprim17ROCPRIM_400000_NS6detail31init_lookback_scan_state_kernelINS1_19lookback_scan_stateIN3c104HalfELb1ELb1EEENS1_16block_id_wrapperIjLb0EEEEEvT_jT0_jPNS9_10value_typeE.has_recursion, 0
	.set _ZN7rocprim17ROCPRIM_400000_NS6detail31init_lookback_scan_state_kernelINS1_19lookback_scan_stateIN3c104HalfELb1ELb1EEENS1_16block_id_wrapperIjLb0EEEEEvT_jT0_jPNS9_10value_typeE.has_indirect_call, 0
	.section	.AMDGPU.csdata,"",@progbits
; Kernel info:
; codeLenInByte = 356
; TotalNumSgprs: 16
; NumVgprs: 5
; ScratchSize: 0
; MemoryBound: 0
; FloatMode: 240
; IeeeMode: 1
; LDSByteSize: 0 bytes/workgroup (compile time only)
; SGPRBlocks: 1
; VGPRBlocks: 1
; NumSGPRsForWavesPerEU: 16
; NumVGPRsForWavesPerEU: 5
; Occupancy: 10
; WaveLimiterHint : 0
; COMPUTE_PGM_RSRC2:SCRATCH_EN: 0
; COMPUTE_PGM_RSRC2:USER_SGPR: 6
; COMPUTE_PGM_RSRC2:TRAP_HANDLER: 0
; COMPUTE_PGM_RSRC2:TGID_X_EN: 1
; COMPUTE_PGM_RSRC2:TGID_Y_EN: 0
; COMPUTE_PGM_RSRC2:TGID_Z_EN: 0
; COMPUTE_PGM_RSRC2:TIDIG_COMP_CNT: 0
	.section	.text._ZN7rocprim17ROCPRIM_400000_NS6detail17trampoline_kernelINS0_14default_configENS1_20scan_config_selectorIN3c104HalfEEEZZNS1_9scan_implILNS1_25lookback_scan_determinismE0ELb0ELb0ES3_PKS6_PS6_S6_ZZZN2at6native31launch_logcumsumexp_cuda_kernelERKNSD_10TensorBaseESH_lENKUlvE_clEvENKUlvE3_clEvEUlS6_S6_E_S6_EEDaPvRmT3_T4_T5_mT6_P12ihipStream_tbENKUlT_T0_E_clISt17integral_constantIbLb1EESX_IbLb0EEEEDaST_SU_EUlST_E_NS1_11comp_targetILNS1_3genE0ELNS1_11target_archE4294967295ELNS1_3gpuE0ELNS1_3repE0EEENS1_30default_config_static_selectorELNS0_4arch9wavefront6targetE1EEEvT1_,"axG",@progbits,_ZN7rocprim17ROCPRIM_400000_NS6detail17trampoline_kernelINS0_14default_configENS1_20scan_config_selectorIN3c104HalfEEEZZNS1_9scan_implILNS1_25lookback_scan_determinismE0ELb0ELb0ES3_PKS6_PS6_S6_ZZZN2at6native31launch_logcumsumexp_cuda_kernelERKNSD_10TensorBaseESH_lENKUlvE_clEvENKUlvE3_clEvEUlS6_S6_E_S6_EEDaPvRmT3_T4_T5_mT6_P12ihipStream_tbENKUlT_T0_E_clISt17integral_constantIbLb1EESX_IbLb0EEEEDaST_SU_EUlST_E_NS1_11comp_targetILNS1_3genE0ELNS1_11target_archE4294967295ELNS1_3gpuE0ELNS1_3repE0EEENS1_30default_config_static_selectorELNS0_4arch9wavefront6targetE1EEEvT1_,comdat
	.globl	_ZN7rocprim17ROCPRIM_400000_NS6detail17trampoline_kernelINS0_14default_configENS1_20scan_config_selectorIN3c104HalfEEEZZNS1_9scan_implILNS1_25lookback_scan_determinismE0ELb0ELb0ES3_PKS6_PS6_S6_ZZZN2at6native31launch_logcumsumexp_cuda_kernelERKNSD_10TensorBaseESH_lENKUlvE_clEvENKUlvE3_clEvEUlS6_S6_E_S6_EEDaPvRmT3_T4_T5_mT6_P12ihipStream_tbENKUlT_T0_E_clISt17integral_constantIbLb1EESX_IbLb0EEEEDaST_SU_EUlST_E_NS1_11comp_targetILNS1_3genE0ELNS1_11target_archE4294967295ELNS1_3gpuE0ELNS1_3repE0EEENS1_30default_config_static_selectorELNS0_4arch9wavefront6targetE1EEEvT1_ ; -- Begin function _ZN7rocprim17ROCPRIM_400000_NS6detail17trampoline_kernelINS0_14default_configENS1_20scan_config_selectorIN3c104HalfEEEZZNS1_9scan_implILNS1_25lookback_scan_determinismE0ELb0ELb0ES3_PKS6_PS6_S6_ZZZN2at6native31launch_logcumsumexp_cuda_kernelERKNSD_10TensorBaseESH_lENKUlvE_clEvENKUlvE3_clEvEUlS6_S6_E_S6_EEDaPvRmT3_T4_T5_mT6_P12ihipStream_tbENKUlT_T0_E_clISt17integral_constantIbLb1EESX_IbLb0EEEEDaST_SU_EUlST_E_NS1_11comp_targetILNS1_3genE0ELNS1_11target_archE4294967295ELNS1_3gpuE0ELNS1_3repE0EEENS1_30default_config_static_selectorELNS0_4arch9wavefront6targetE1EEEvT1_
	.p2align	8
	.type	_ZN7rocprim17ROCPRIM_400000_NS6detail17trampoline_kernelINS0_14default_configENS1_20scan_config_selectorIN3c104HalfEEEZZNS1_9scan_implILNS1_25lookback_scan_determinismE0ELb0ELb0ES3_PKS6_PS6_S6_ZZZN2at6native31launch_logcumsumexp_cuda_kernelERKNSD_10TensorBaseESH_lENKUlvE_clEvENKUlvE3_clEvEUlS6_S6_E_S6_EEDaPvRmT3_T4_T5_mT6_P12ihipStream_tbENKUlT_T0_E_clISt17integral_constantIbLb1EESX_IbLb0EEEEDaST_SU_EUlST_E_NS1_11comp_targetILNS1_3genE0ELNS1_11target_archE4294967295ELNS1_3gpuE0ELNS1_3repE0EEENS1_30default_config_static_selectorELNS0_4arch9wavefront6targetE1EEEvT1_,@function
_ZN7rocprim17ROCPRIM_400000_NS6detail17trampoline_kernelINS0_14default_configENS1_20scan_config_selectorIN3c104HalfEEEZZNS1_9scan_implILNS1_25lookback_scan_determinismE0ELb0ELb0ES3_PKS6_PS6_S6_ZZZN2at6native31launch_logcumsumexp_cuda_kernelERKNSD_10TensorBaseESH_lENKUlvE_clEvENKUlvE3_clEvEUlS6_S6_E_S6_EEDaPvRmT3_T4_T5_mT6_P12ihipStream_tbENKUlT_T0_E_clISt17integral_constantIbLb1EESX_IbLb0EEEEDaST_SU_EUlST_E_NS1_11comp_targetILNS1_3genE0ELNS1_11target_archE4294967295ELNS1_3gpuE0ELNS1_3repE0EEENS1_30default_config_static_selectorELNS0_4arch9wavefront6targetE1EEEvT1_: ; @_ZN7rocprim17ROCPRIM_400000_NS6detail17trampoline_kernelINS0_14default_configENS1_20scan_config_selectorIN3c104HalfEEEZZNS1_9scan_implILNS1_25lookback_scan_determinismE0ELb0ELb0ES3_PKS6_PS6_S6_ZZZN2at6native31launch_logcumsumexp_cuda_kernelERKNSD_10TensorBaseESH_lENKUlvE_clEvENKUlvE3_clEvEUlS6_S6_E_S6_EEDaPvRmT3_T4_T5_mT6_P12ihipStream_tbENKUlT_T0_E_clISt17integral_constantIbLb1EESX_IbLb0EEEEDaST_SU_EUlST_E_NS1_11comp_targetILNS1_3genE0ELNS1_11target_archE4294967295ELNS1_3gpuE0ELNS1_3repE0EEENS1_30default_config_static_selectorELNS0_4arch9wavefront6targetE1EEEvT1_
; %bb.0:
	.section	.rodata,"a",@progbits
	.p2align	6, 0x0
	.amdhsa_kernel _ZN7rocprim17ROCPRIM_400000_NS6detail17trampoline_kernelINS0_14default_configENS1_20scan_config_selectorIN3c104HalfEEEZZNS1_9scan_implILNS1_25lookback_scan_determinismE0ELb0ELb0ES3_PKS6_PS6_S6_ZZZN2at6native31launch_logcumsumexp_cuda_kernelERKNSD_10TensorBaseESH_lENKUlvE_clEvENKUlvE3_clEvEUlS6_S6_E_S6_EEDaPvRmT3_T4_T5_mT6_P12ihipStream_tbENKUlT_T0_E_clISt17integral_constantIbLb1EESX_IbLb0EEEEDaST_SU_EUlST_E_NS1_11comp_targetILNS1_3genE0ELNS1_11target_archE4294967295ELNS1_3gpuE0ELNS1_3repE0EEENS1_30default_config_static_selectorELNS0_4arch9wavefront6targetE1EEEvT1_
		.amdhsa_group_segment_fixed_size 0
		.amdhsa_private_segment_fixed_size 0
		.amdhsa_kernarg_size 96
		.amdhsa_user_sgpr_count 6
		.amdhsa_user_sgpr_private_segment_buffer 1
		.amdhsa_user_sgpr_dispatch_ptr 0
		.amdhsa_user_sgpr_queue_ptr 0
		.amdhsa_user_sgpr_kernarg_segment_ptr 1
		.amdhsa_user_sgpr_dispatch_id 0
		.amdhsa_user_sgpr_flat_scratch_init 0
		.amdhsa_user_sgpr_private_segment_size 0
		.amdhsa_uses_dynamic_stack 0
		.amdhsa_system_sgpr_private_segment_wavefront_offset 0
		.amdhsa_system_sgpr_workgroup_id_x 1
		.amdhsa_system_sgpr_workgroup_id_y 0
		.amdhsa_system_sgpr_workgroup_id_z 0
		.amdhsa_system_sgpr_workgroup_info 0
		.amdhsa_system_vgpr_workitem_id 0
		.amdhsa_next_free_vgpr 1
		.amdhsa_next_free_sgpr 0
		.amdhsa_reserve_vcc 0
		.amdhsa_reserve_flat_scratch 0
		.amdhsa_float_round_mode_32 0
		.amdhsa_float_round_mode_16_64 0
		.amdhsa_float_denorm_mode_32 3
		.amdhsa_float_denorm_mode_16_64 3
		.amdhsa_dx10_clamp 1
		.amdhsa_ieee_mode 1
		.amdhsa_fp16_overflow 0
		.amdhsa_exception_fp_ieee_invalid_op 0
		.amdhsa_exception_fp_denorm_src 0
		.amdhsa_exception_fp_ieee_div_zero 0
		.amdhsa_exception_fp_ieee_overflow 0
		.amdhsa_exception_fp_ieee_underflow 0
		.amdhsa_exception_fp_ieee_inexact 0
		.amdhsa_exception_int_div_zero 0
	.end_amdhsa_kernel
	.section	.text._ZN7rocprim17ROCPRIM_400000_NS6detail17trampoline_kernelINS0_14default_configENS1_20scan_config_selectorIN3c104HalfEEEZZNS1_9scan_implILNS1_25lookback_scan_determinismE0ELb0ELb0ES3_PKS6_PS6_S6_ZZZN2at6native31launch_logcumsumexp_cuda_kernelERKNSD_10TensorBaseESH_lENKUlvE_clEvENKUlvE3_clEvEUlS6_S6_E_S6_EEDaPvRmT3_T4_T5_mT6_P12ihipStream_tbENKUlT_T0_E_clISt17integral_constantIbLb1EESX_IbLb0EEEEDaST_SU_EUlST_E_NS1_11comp_targetILNS1_3genE0ELNS1_11target_archE4294967295ELNS1_3gpuE0ELNS1_3repE0EEENS1_30default_config_static_selectorELNS0_4arch9wavefront6targetE1EEEvT1_,"axG",@progbits,_ZN7rocprim17ROCPRIM_400000_NS6detail17trampoline_kernelINS0_14default_configENS1_20scan_config_selectorIN3c104HalfEEEZZNS1_9scan_implILNS1_25lookback_scan_determinismE0ELb0ELb0ES3_PKS6_PS6_S6_ZZZN2at6native31launch_logcumsumexp_cuda_kernelERKNSD_10TensorBaseESH_lENKUlvE_clEvENKUlvE3_clEvEUlS6_S6_E_S6_EEDaPvRmT3_T4_T5_mT6_P12ihipStream_tbENKUlT_T0_E_clISt17integral_constantIbLb1EESX_IbLb0EEEEDaST_SU_EUlST_E_NS1_11comp_targetILNS1_3genE0ELNS1_11target_archE4294967295ELNS1_3gpuE0ELNS1_3repE0EEENS1_30default_config_static_selectorELNS0_4arch9wavefront6targetE1EEEvT1_,comdat
.Lfunc_end397:
	.size	_ZN7rocprim17ROCPRIM_400000_NS6detail17trampoline_kernelINS0_14default_configENS1_20scan_config_selectorIN3c104HalfEEEZZNS1_9scan_implILNS1_25lookback_scan_determinismE0ELb0ELb0ES3_PKS6_PS6_S6_ZZZN2at6native31launch_logcumsumexp_cuda_kernelERKNSD_10TensorBaseESH_lENKUlvE_clEvENKUlvE3_clEvEUlS6_S6_E_S6_EEDaPvRmT3_T4_T5_mT6_P12ihipStream_tbENKUlT_T0_E_clISt17integral_constantIbLb1EESX_IbLb0EEEEDaST_SU_EUlST_E_NS1_11comp_targetILNS1_3genE0ELNS1_11target_archE4294967295ELNS1_3gpuE0ELNS1_3repE0EEENS1_30default_config_static_selectorELNS0_4arch9wavefront6targetE1EEEvT1_, .Lfunc_end397-_ZN7rocprim17ROCPRIM_400000_NS6detail17trampoline_kernelINS0_14default_configENS1_20scan_config_selectorIN3c104HalfEEEZZNS1_9scan_implILNS1_25lookback_scan_determinismE0ELb0ELb0ES3_PKS6_PS6_S6_ZZZN2at6native31launch_logcumsumexp_cuda_kernelERKNSD_10TensorBaseESH_lENKUlvE_clEvENKUlvE3_clEvEUlS6_S6_E_S6_EEDaPvRmT3_T4_T5_mT6_P12ihipStream_tbENKUlT_T0_E_clISt17integral_constantIbLb1EESX_IbLb0EEEEDaST_SU_EUlST_E_NS1_11comp_targetILNS1_3genE0ELNS1_11target_archE4294967295ELNS1_3gpuE0ELNS1_3repE0EEENS1_30default_config_static_selectorELNS0_4arch9wavefront6targetE1EEEvT1_
                                        ; -- End function
	.set _ZN7rocprim17ROCPRIM_400000_NS6detail17trampoline_kernelINS0_14default_configENS1_20scan_config_selectorIN3c104HalfEEEZZNS1_9scan_implILNS1_25lookback_scan_determinismE0ELb0ELb0ES3_PKS6_PS6_S6_ZZZN2at6native31launch_logcumsumexp_cuda_kernelERKNSD_10TensorBaseESH_lENKUlvE_clEvENKUlvE3_clEvEUlS6_S6_E_S6_EEDaPvRmT3_T4_T5_mT6_P12ihipStream_tbENKUlT_T0_E_clISt17integral_constantIbLb1EESX_IbLb0EEEEDaST_SU_EUlST_E_NS1_11comp_targetILNS1_3genE0ELNS1_11target_archE4294967295ELNS1_3gpuE0ELNS1_3repE0EEENS1_30default_config_static_selectorELNS0_4arch9wavefront6targetE1EEEvT1_.num_vgpr, 0
	.set _ZN7rocprim17ROCPRIM_400000_NS6detail17trampoline_kernelINS0_14default_configENS1_20scan_config_selectorIN3c104HalfEEEZZNS1_9scan_implILNS1_25lookback_scan_determinismE0ELb0ELb0ES3_PKS6_PS6_S6_ZZZN2at6native31launch_logcumsumexp_cuda_kernelERKNSD_10TensorBaseESH_lENKUlvE_clEvENKUlvE3_clEvEUlS6_S6_E_S6_EEDaPvRmT3_T4_T5_mT6_P12ihipStream_tbENKUlT_T0_E_clISt17integral_constantIbLb1EESX_IbLb0EEEEDaST_SU_EUlST_E_NS1_11comp_targetILNS1_3genE0ELNS1_11target_archE4294967295ELNS1_3gpuE0ELNS1_3repE0EEENS1_30default_config_static_selectorELNS0_4arch9wavefront6targetE1EEEvT1_.num_agpr, 0
	.set _ZN7rocprim17ROCPRIM_400000_NS6detail17trampoline_kernelINS0_14default_configENS1_20scan_config_selectorIN3c104HalfEEEZZNS1_9scan_implILNS1_25lookback_scan_determinismE0ELb0ELb0ES3_PKS6_PS6_S6_ZZZN2at6native31launch_logcumsumexp_cuda_kernelERKNSD_10TensorBaseESH_lENKUlvE_clEvENKUlvE3_clEvEUlS6_S6_E_S6_EEDaPvRmT3_T4_T5_mT6_P12ihipStream_tbENKUlT_T0_E_clISt17integral_constantIbLb1EESX_IbLb0EEEEDaST_SU_EUlST_E_NS1_11comp_targetILNS1_3genE0ELNS1_11target_archE4294967295ELNS1_3gpuE0ELNS1_3repE0EEENS1_30default_config_static_selectorELNS0_4arch9wavefront6targetE1EEEvT1_.numbered_sgpr, 0
	.set _ZN7rocprim17ROCPRIM_400000_NS6detail17trampoline_kernelINS0_14default_configENS1_20scan_config_selectorIN3c104HalfEEEZZNS1_9scan_implILNS1_25lookback_scan_determinismE0ELb0ELb0ES3_PKS6_PS6_S6_ZZZN2at6native31launch_logcumsumexp_cuda_kernelERKNSD_10TensorBaseESH_lENKUlvE_clEvENKUlvE3_clEvEUlS6_S6_E_S6_EEDaPvRmT3_T4_T5_mT6_P12ihipStream_tbENKUlT_T0_E_clISt17integral_constantIbLb1EESX_IbLb0EEEEDaST_SU_EUlST_E_NS1_11comp_targetILNS1_3genE0ELNS1_11target_archE4294967295ELNS1_3gpuE0ELNS1_3repE0EEENS1_30default_config_static_selectorELNS0_4arch9wavefront6targetE1EEEvT1_.num_named_barrier, 0
	.set _ZN7rocprim17ROCPRIM_400000_NS6detail17trampoline_kernelINS0_14default_configENS1_20scan_config_selectorIN3c104HalfEEEZZNS1_9scan_implILNS1_25lookback_scan_determinismE0ELb0ELb0ES3_PKS6_PS6_S6_ZZZN2at6native31launch_logcumsumexp_cuda_kernelERKNSD_10TensorBaseESH_lENKUlvE_clEvENKUlvE3_clEvEUlS6_S6_E_S6_EEDaPvRmT3_T4_T5_mT6_P12ihipStream_tbENKUlT_T0_E_clISt17integral_constantIbLb1EESX_IbLb0EEEEDaST_SU_EUlST_E_NS1_11comp_targetILNS1_3genE0ELNS1_11target_archE4294967295ELNS1_3gpuE0ELNS1_3repE0EEENS1_30default_config_static_selectorELNS0_4arch9wavefront6targetE1EEEvT1_.private_seg_size, 0
	.set _ZN7rocprim17ROCPRIM_400000_NS6detail17trampoline_kernelINS0_14default_configENS1_20scan_config_selectorIN3c104HalfEEEZZNS1_9scan_implILNS1_25lookback_scan_determinismE0ELb0ELb0ES3_PKS6_PS6_S6_ZZZN2at6native31launch_logcumsumexp_cuda_kernelERKNSD_10TensorBaseESH_lENKUlvE_clEvENKUlvE3_clEvEUlS6_S6_E_S6_EEDaPvRmT3_T4_T5_mT6_P12ihipStream_tbENKUlT_T0_E_clISt17integral_constantIbLb1EESX_IbLb0EEEEDaST_SU_EUlST_E_NS1_11comp_targetILNS1_3genE0ELNS1_11target_archE4294967295ELNS1_3gpuE0ELNS1_3repE0EEENS1_30default_config_static_selectorELNS0_4arch9wavefront6targetE1EEEvT1_.uses_vcc, 0
	.set _ZN7rocprim17ROCPRIM_400000_NS6detail17trampoline_kernelINS0_14default_configENS1_20scan_config_selectorIN3c104HalfEEEZZNS1_9scan_implILNS1_25lookback_scan_determinismE0ELb0ELb0ES3_PKS6_PS6_S6_ZZZN2at6native31launch_logcumsumexp_cuda_kernelERKNSD_10TensorBaseESH_lENKUlvE_clEvENKUlvE3_clEvEUlS6_S6_E_S6_EEDaPvRmT3_T4_T5_mT6_P12ihipStream_tbENKUlT_T0_E_clISt17integral_constantIbLb1EESX_IbLb0EEEEDaST_SU_EUlST_E_NS1_11comp_targetILNS1_3genE0ELNS1_11target_archE4294967295ELNS1_3gpuE0ELNS1_3repE0EEENS1_30default_config_static_selectorELNS0_4arch9wavefront6targetE1EEEvT1_.uses_flat_scratch, 0
	.set _ZN7rocprim17ROCPRIM_400000_NS6detail17trampoline_kernelINS0_14default_configENS1_20scan_config_selectorIN3c104HalfEEEZZNS1_9scan_implILNS1_25lookback_scan_determinismE0ELb0ELb0ES3_PKS6_PS6_S6_ZZZN2at6native31launch_logcumsumexp_cuda_kernelERKNSD_10TensorBaseESH_lENKUlvE_clEvENKUlvE3_clEvEUlS6_S6_E_S6_EEDaPvRmT3_T4_T5_mT6_P12ihipStream_tbENKUlT_T0_E_clISt17integral_constantIbLb1EESX_IbLb0EEEEDaST_SU_EUlST_E_NS1_11comp_targetILNS1_3genE0ELNS1_11target_archE4294967295ELNS1_3gpuE0ELNS1_3repE0EEENS1_30default_config_static_selectorELNS0_4arch9wavefront6targetE1EEEvT1_.has_dyn_sized_stack, 0
	.set _ZN7rocprim17ROCPRIM_400000_NS6detail17trampoline_kernelINS0_14default_configENS1_20scan_config_selectorIN3c104HalfEEEZZNS1_9scan_implILNS1_25lookback_scan_determinismE0ELb0ELb0ES3_PKS6_PS6_S6_ZZZN2at6native31launch_logcumsumexp_cuda_kernelERKNSD_10TensorBaseESH_lENKUlvE_clEvENKUlvE3_clEvEUlS6_S6_E_S6_EEDaPvRmT3_T4_T5_mT6_P12ihipStream_tbENKUlT_T0_E_clISt17integral_constantIbLb1EESX_IbLb0EEEEDaST_SU_EUlST_E_NS1_11comp_targetILNS1_3genE0ELNS1_11target_archE4294967295ELNS1_3gpuE0ELNS1_3repE0EEENS1_30default_config_static_selectorELNS0_4arch9wavefront6targetE1EEEvT1_.has_recursion, 0
	.set _ZN7rocprim17ROCPRIM_400000_NS6detail17trampoline_kernelINS0_14default_configENS1_20scan_config_selectorIN3c104HalfEEEZZNS1_9scan_implILNS1_25lookback_scan_determinismE0ELb0ELb0ES3_PKS6_PS6_S6_ZZZN2at6native31launch_logcumsumexp_cuda_kernelERKNSD_10TensorBaseESH_lENKUlvE_clEvENKUlvE3_clEvEUlS6_S6_E_S6_EEDaPvRmT3_T4_T5_mT6_P12ihipStream_tbENKUlT_T0_E_clISt17integral_constantIbLb1EESX_IbLb0EEEEDaST_SU_EUlST_E_NS1_11comp_targetILNS1_3genE0ELNS1_11target_archE4294967295ELNS1_3gpuE0ELNS1_3repE0EEENS1_30default_config_static_selectorELNS0_4arch9wavefront6targetE1EEEvT1_.has_indirect_call, 0
	.section	.AMDGPU.csdata,"",@progbits
; Kernel info:
; codeLenInByte = 0
; TotalNumSgprs: 4
; NumVgprs: 0
; ScratchSize: 0
; MemoryBound: 0
; FloatMode: 240
; IeeeMode: 1
; LDSByteSize: 0 bytes/workgroup (compile time only)
; SGPRBlocks: 0
; VGPRBlocks: 0
; NumSGPRsForWavesPerEU: 4
; NumVGPRsForWavesPerEU: 1
; Occupancy: 10
; WaveLimiterHint : 0
; COMPUTE_PGM_RSRC2:SCRATCH_EN: 0
; COMPUTE_PGM_RSRC2:USER_SGPR: 6
; COMPUTE_PGM_RSRC2:TRAP_HANDLER: 0
; COMPUTE_PGM_RSRC2:TGID_X_EN: 1
; COMPUTE_PGM_RSRC2:TGID_Y_EN: 0
; COMPUTE_PGM_RSRC2:TGID_Z_EN: 0
; COMPUTE_PGM_RSRC2:TIDIG_COMP_CNT: 0
	.section	.text._ZN7rocprim17ROCPRIM_400000_NS6detail17trampoline_kernelINS0_14default_configENS1_20scan_config_selectorIN3c104HalfEEEZZNS1_9scan_implILNS1_25lookback_scan_determinismE0ELb0ELb0ES3_PKS6_PS6_S6_ZZZN2at6native31launch_logcumsumexp_cuda_kernelERKNSD_10TensorBaseESH_lENKUlvE_clEvENKUlvE3_clEvEUlS6_S6_E_S6_EEDaPvRmT3_T4_T5_mT6_P12ihipStream_tbENKUlT_T0_E_clISt17integral_constantIbLb1EESX_IbLb0EEEEDaST_SU_EUlST_E_NS1_11comp_targetILNS1_3genE5ELNS1_11target_archE942ELNS1_3gpuE9ELNS1_3repE0EEENS1_30default_config_static_selectorELNS0_4arch9wavefront6targetE1EEEvT1_,"axG",@progbits,_ZN7rocprim17ROCPRIM_400000_NS6detail17trampoline_kernelINS0_14default_configENS1_20scan_config_selectorIN3c104HalfEEEZZNS1_9scan_implILNS1_25lookback_scan_determinismE0ELb0ELb0ES3_PKS6_PS6_S6_ZZZN2at6native31launch_logcumsumexp_cuda_kernelERKNSD_10TensorBaseESH_lENKUlvE_clEvENKUlvE3_clEvEUlS6_S6_E_S6_EEDaPvRmT3_T4_T5_mT6_P12ihipStream_tbENKUlT_T0_E_clISt17integral_constantIbLb1EESX_IbLb0EEEEDaST_SU_EUlST_E_NS1_11comp_targetILNS1_3genE5ELNS1_11target_archE942ELNS1_3gpuE9ELNS1_3repE0EEENS1_30default_config_static_selectorELNS0_4arch9wavefront6targetE1EEEvT1_,comdat
	.globl	_ZN7rocprim17ROCPRIM_400000_NS6detail17trampoline_kernelINS0_14default_configENS1_20scan_config_selectorIN3c104HalfEEEZZNS1_9scan_implILNS1_25lookback_scan_determinismE0ELb0ELb0ES3_PKS6_PS6_S6_ZZZN2at6native31launch_logcumsumexp_cuda_kernelERKNSD_10TensorBaseESH_lENKUlvE_clEvENKUlvE3_clEvEUlS6_S6_E_S6_EEDaPvRmT3_T4_T5_mT6_P12ihipStream_tbENKUlT_T0_E_clISt17integral_constantIbLb1EESX_IbLb0EEEEDaST_SU_EUlST_E_NS1_11comp_targetILNS1_3genE5ELNS1_11target_archE942ELNS1_3gpuE9ELNS1_3repE0EEENS1_30default_config_static_selectorELNS0_4arch9wavefront6targetE1EEEvT1_ ; -- Begin function _ZN7rocprim17ROCPRIM_400000_NS6detail17trampoline_kernelINS0_14default_configENS1_20scan_config_selectorIN3c104HalfEEEZZNS1_9scan_implILNS1_25lookback_scan_determinismE0ELb0ELb0ES3_PKS6_PS6_S6_ZZZN2at6native31launch_logcumsumexp_cuda_kernelERKNSD_10TensorBaseESH_lENKUlvE_clEvENKUlvE3_clEvEUlS6_S6_E_S6_EEDaPvRmT3_T4_T5_mT6_P12ihipStream_tbENKUlT_T0_E_clISt17integral_constantIbLb1EESX_IbLb0EEEEDaST_SU_EUlST_E_NS1_11comp_targetILNS1_3genE5ELNS1_11target_archE942ELNS1_3gpuE9ELNS1_3repE0EEENS1_30default_config_static_selectorELNS0_4arch9wavefront6targetE1EEEvT1_
	.p2align	8
	.type	_ZN7rocprim17ROCPRIM_400000_NS6detail17trampoline_kernelINS0_14default_configENS1_20scan_config_selectorIN3c104HalfEEEZZNS1_9scan_implILNS1_25lookback_scan_determinismE0ELb0ELb0ES3_PKS6_PS6_S6_ZZZN2at6native31launch_logcumsumexp_cuda_kernelERKNSD_10TensorBaseESH_lENKUlvE_clEvENKUlvE3_clEvEUlS6_S6_E_S6_EEDaPvRmT3_T4_T5_mT6_P12ihipStream_tbENKUlT_T0_E_clISt17integral_constantIbLb1EESX_IbLb0EEEEDaST_SU_EUlST_E_NS1_11comp_targetILNS1_3genE5ELNS1_11target_archE942ELNS1_3gpuE9ELNS1_3repE0EEENS1_30default_config_static_selectorELNS0_4arch9wavefront6targetE1EEEvT1_,@function
_ZN7rocprim17ROCPRIM_400000_NS6detail17trampoline_kernelINS0_14default_configENS1_20scan_config_selectorIN3c104HalfEEEZZNS1_9scan_implILNS1_25lookback_scan_determinismE0ELb0ELb0ES3_PKS6_PS6_S6_ZZZN2at6native31launch_logcumsumexp_cuda_kernelERKNSD_10TensorBaseESH_lENKUlvE_clEvENKUlvE3_clEvEUlS6_S6_E_S6_EEDaPvRmT3_T4_T5_mT6_P12ihipStream_tbENKUlT_T0_E_clISt17integral_constantIbLb1EESX_IbLb0EEEEDaST_SU_EUlST_E_NS1_11comp_targetILNS1_3genE5ELNS1_11target_archE942ELNS1_3gpuE9ELNS1_3repE0EEENS1_30default_config_static_selectorELNS0_4arch9wavefront6targetE1EEEvT1_: ; @_ZN7rocprim17ROCPRIM_400000_NS6detail17trampoline_kernelINS0_14default_configENS1_20scan_config_selectorIN3c104HalfEEEZZNS1_9scan_implILNS1_25lookback_scan_determinismE0ELb0ELb0ES3_PKS6_PS6_S6_ZZZN2at6native31launch_logcumsumexp_cuda_kernelERKNSD_10TensorBaseESH_lENKUlvE_clEvENKUlvE3_clEvEUlS6_S6_E_S6_EEDaPvRmT3_T4_T5_mT6_P12ihipStream_tbENKUlT_T0_E_clISt17integral_constantIbLb1EESX_IbLb0EEEEDaST_SU_EUlST_E_NS1_11comp_targetILNS1_3genE5ELNS1_11target_archE942ELNS1_3gpuE9ELNS1_3repE0EEENS1_30default_config_static_selectorELNS0_4arch9wavefront6targetE1EEEvT1_
; %bb.0:
	.section	.rodata,"a",@progbits
	.p2align	6, 0x0
	.amdhsa_kernel _ZN7rocprim17ROCPRIM_400000_NS6detail17trampoline_kernelINS0_14default_configENS1_20scan_config_selectorIN3c104HalfEEEZZNS1_9scan_implILNS1_25lookback_scan_determinismE0ELb0ELb0ES3_PKS6_PS6_S6_ZZZN2at6native31launch_logcumsumexp_cuda_kernelERKNSD_10TensorBaseESH_lENKUlvE_clEvENKUlvE3_clEvEUlS6_S6_E_S6_EEDaPvRmT3_T4_T5_mT6_P12ihipStream_tbENKUlT_T0_E_clISt17integral_constantIbLb1EESX_IbLb0EEEEDaST_SU_EUlST_E_NS1_11comp_targetILNS1_3genE5ELNS1_11target_archE942ELNS1_3gpuE9ELNS1_3repE0EEENS1_30default_config_static_selectorELNS0_4arch9wavefront6targetE1EEEvT1_
		.amdhsa_group_segment_fixed_size 0
		.amdhsa_private_segment_fixed_size 0
		.amdhsa_kernarg_size 96
		.amdhsa_user_sgpr_count 6
		.amdhsa_user_sgpr_private_segment_buffer 1
		.amdhsa_user_sgpr_dispatch_ptr 0
		.amdhsa_user_sgpr_queue_ptr 0
		.amdhsa_user_sgpr_kernarg_segment_ptr 1
		.amdhsa_user_sgpr_dispatch_id 0
		.amdhsa_user_sgpr_flat_scratch_init 0
		.amdhsa_user_sgpr_private_segment_size 0
		.amdhsa_uses_dynamic_stack 0
		.amdhsa_system_sgpr_private_segment_wavefront_offset 0
		.amdhsa_system_sgpr_workgroup_id_x 1
		.amdhsa_system_sgpr_workgroup_id_y 0
		.amdhsa_system_sgpr_workgroup_id_z 0
		.amdhsa_system_sgpr_workgroup_info 0
		.amdhsa_system_vgpr_workitem_id 0
		.amdhsa_next_free_vgpr 1
		.amdhsa_next_free_sgpr 0
		.amdhsa_reserve_vcc 0
		.amdhsa_reserve_flat_scratch 0
		.amdhsa_float_round_mode_32 0
		.amdhsa_float_round_mode_16_64 0
		.amdhsa_float_denorm_mode_32 3
		.amdhsa_float_denorm_mode_16_64 3
		.amdhsa_dx10_clamp 1
		.amdhsa_ieee_mode 1
		.amdhsa_fp16_overflow 0
		.amdhsa_exception_fp_ieee_invalid_op 0
		.amdhsa_exception_fp_denorm_src 0
		.amdhsa_exception_fp_ieee_div_zero 0
		.amdhsa_exception_fp_ieee_overflow 0
		.amdhsa_exception_fp_ieee_underflow 0
		.amdhsa_exception_fp_ieee_inexact 0
		.amdhsa_exception_int_div_zero 0
	.end_amdhsa_kernel
	.section	.text._ZN7rocprim17ROCPRIM_400000_NS6detail17trampoline_kernelINS0_14default_configENS1_20scan_config_selectorIN3c104HalfEEEZZNS1_9scan_implILNS1_25lookback_scan_determinismE0ELb0ELb0ES3_PKS6_PS6_S6_ZZZN2at6native31launch_logcumsumexp_cuda_kernelERKNSD_10TensorBaseESH_lENKUlvE_clEvENKUlvE3_clEvEUlS6_S6_E_S6_EEDaPvRmT3_T4_T5_mT6_P12ihipStream_tbENKUlT_T0_E_clISt17integral_constantIbLb1EESX_IbLb0EEEEDaST_SU_EUlST_E_NS1_11comp_targetILNS1_3genE5ELNS1_11target_archE942ELNS1_3gpuE9ELNS1_3repE0EEENS1_30default_config_static_selectorELNS0_4arch9wavefront6targetE1EEEvT1_,"axG",@progbits,_ZN7rocprim17ROCPRIM_400000_NS6detail17trampoline_kernelINS0_14default_configENS1_20scan_config_selectorIN3c104HalfEEEZZNS1_9scan_implILNS1_25lookback_scan_determinismE0ELb0ELb0ES3_PKS6_PS6_S6_ZZZN2at6native31launch_logcumsumexp_cuda_kernelERKNSD_10TensorBaseESH_lENKUlvE_clEvENKUlvE3_clEvEUlS6_S6_E_S6_EEDaPvRmT3_T4_T5_mT6_P12ihipStream_tbENKUlT_T0_E_clISt17integral_constantIbLb1EESX_IbLb0EEEEDaST_SU_EUlST_E_NS1_11comp_targetILNS1_3genE5ELNS1_11target_archE942ELNS1_3gpuE9ELNS1_3repE0EEENS1_30default_config_static_selectorELNS0_4arch9wavefront6targetE1EEEvT1_,comdat
.Lfunc_end398:
	.size	_ZN7rocprim17ROCPRIM_400000_NS6detail17trampoline_kernelINS0_14default_configENS1_20scan_config_selectorIN3c104HalfEEEZZNS1_9scan_implILNS1_25lookback_scan_determinismE0ELb0ELb0ES3_PKS6_PS6_S6_ZZZN2at6native31launch_logcumsumexp_cuda_kernelERKNSD_10TensorBaseESH_lENKUlvE_clEvENKUlvE3_clEvEUlS6_S6_E_S6_EEDaPvRmT3_T4_T5_mT6_P12ihipStream_tbENKUlT_T0_E_clISt17integral_constantIbLb1EESX_IbLb0EEEEDaST_SU_EUlST_E_NS1_11comp_targetILNS1_3genE5ELNS1_11target_archE942ELNS1_3gpuE9ELNS1_3repE0EEENS1_30default_config_static_selectorELNS0_4arch9wavefront6targetE1EEEvT1_, .Lfunc_end398-_ZN7rocprim17ROCPRIM_400000_NS6detail17trampoline_kernelINS0_14default_configENS1_20scan_config_selectorIN3c104HalfEEEZZNS1_9scan_implILNS1_25lookback_scan_determinismE0ELb0ELb0ES3_PKS6_PS6_S6_ZZZN2at6native31launch_logcumsumexp_cuda_kernelERKNSD_10TensorBaseESH_lENKUlvE_clEvENKUlvE3_clEvEUlS6_S6_E_S6_EEDaPvRmT3_T4_T5_mT6_P12ihipStream_tbENKUlT_T0_E_clISt17integral_constantIbLb1EESX_IbLb0EEEEDaST_SU_EUlST_E_NS1_11comp_targetILNS1_3genE5ELNS1_11target_archE942ELNS1_3gpuE9ELNS1_3repE0EEENS1_30default_config_static_selectorELNS0_4arch9wavefront6targetE1EEEvT1_
                                        ; -- End function
	.set _ZN7rocprim17ROCPRIM_400000_NS6detail17trampoline_kernelINS0_14default_configENS1_20scan_config_selectorIN3c104HalfEEEZZNS1_9scan_implILNS1_25lookback_scan_determinismE0ELb0ELb0ES3_PKS6_PS6_S6_ZZZN2at6native31launch_logcumsumexp_cuda_kernelERKNSD_10TensorBaseESH_lENKUlvE_clEvENKUlvE3_clEvEUlS6_S6_E_S6_EEDaPvRmT3_T4_T5_mT6_P12ihipStream_tbENKUlT_T0_E_clISt17integral_constantIbLb1EESX_IbLb0EEEEDaST_SU_EUlST_E_NS1_11comp_targetILNS1_3genE5ELNS1_11target_archE942ELNS1_3gpuE9ELNS1_3repE0EEENS1_30default_config_static_selectorELNS0_4arch9wavefront6targetE1EEEvT1_.num_vgpr, 0
	.set _ZN7rocprim17ROCPRIM_400000_NS6detail17trampoline_kernelINS0_14default_configENS1_20scan_config_selectorIN3c104HalfEEEZZNS1_9scan_implILNS1_25lookback_scan_determinismE0ELb0ELb0ES3_PKS6_PS6_S6_ZZZN2at6native31launch_logcumsumexp_cuda_kernelERKNSD_10TensorBaseESH_lENKUlvE_clEvENKUlvE3_clEvEUlS6_S6_E_S6_EEDaPvRmT3_T4_T5_mT6_P12ihipStream_tbENKUlT_T0_E_clISt17integral_constantIbLb1EESX_IbLb0EEEEDaST_SU_EUlST_E_NS1_11comp_targetILNS1_3genE5ELNS1_11target_archE942ELNS1_3gpuE9ELNS1_3repE0EEENS1_30default_config_static_selectorELNS0_4arch9wavefront6targetE1EEEvT1_.num_agpr, 0
	.set _ZN7rocprim17ROCPRIM_400000_NS6detail17trampoline_kernelINS0_14default_configENS1_20scan_config_selectorIN3c104HalfEEEZZNS1_9scan_implILNS1_25lookback_scan_determinismE0ELb0ELb0ES3_PKS6_PS6_S6_ZZZN2at6native31launch_logcumsumexp_cuda_kernelERKNSD_10TensorBaseESH_lENKUlvE_clEvENKUlvE3_clEvEUlS6_S6_E_S6_EEDaPvRmT3_T4_T5_mT6_P12ihipStream_tbENKUlT_T0_E_clISt17integral_constantIbLb1EESX_IbLb0EEEEDaST_SU_EUlST_E_NS1_11comp_targetILNS1_3genE5ELNS1_11target_archE942ELNS1_3gpuE9ELNS1_3repE0EEENS1_30default_config_static_selectorELNS0_4arch9wavefront6targetE1EEEvT1_.numbered_sgpr, 0
	.set _ZN7rocprim17ROCPRIM_400000_NS6detail17trampoline_kernelINS0_14default_configENS1_20scan_config_selectorIN3c104HalfEEEZZNS1_9scan_implILNS1_25lookback_scan_determinismE0ELb0ELb0ES3_PKS6_PS6_S6_ZZZN2at6native31launch_logcumsumexp_cuda_kernelERKNSD_10TensorBaseESH_lENKUlvE_clEvENKUlvE3_clEvEUlS6_S6_E_S6_EEDaPvRmT3_T4_T5_mT6_P12ihipStream_tbENKUlT_T0_E_clISt17integral_constantIbLb1EESX_IbLb0EEEEDaST_SU_EUlST_E_NS1_11comp_targetILNS1_3genE5ELNS1_11target_archE942ELNS1_3gpuE9ELNS1_3repE0EEENS1_30default_config_static_selectorELNS0_4arch9wavefront6targetE1EEEvT1_.num_named_barrier, 0
	.set _ZN7rocprim17ROCPRIM_400000_NS6detail17trampoline_kernelINS0_14default_configENS1_20scan_config_selectorIN3c104HalfEEEZZNS1_9scan_implILNS1_25lookback_scan_determinismE0ELb0ELb0ES3_PKS6_PS6_S6_ZZZN2at6native31launch_logcumsumexp_cuda_kernelERKNSD_10TensorBaseESH_lENKUlvE_clEvENKUlvE3_clEvEUlS6_S6_E_S6_EEDaPvRmT3_T4_T5_mT6_P12ihipStream_tbENKUlT_T0_E_clISt17integral_constantIbLb1EESX_IbLb0EEEEDaST_SU_EUlST_E_NS1_11comp_targetILNS1_3genE5ELNS1_11target_archE942ELNS1_3gpuE9ELNS1_3repE0EEENS1_30default_config_static_selectorELNS0_4arch9wavefront6targetE1EEEvT1_.private_seg_size, 0
	.set _ZN7rocprim17ROCPRIM_400000_NS6detail17trampoline_kernelINS0_14default_configENS1_20scan_config_selectorIN3c104HalfEEEZZNS1_9scan_implILNS1_25lookback_scan_determinismE0ELb0ELb0ES3_PKS6_PS6_S6_ZZZN2at6native31launch_logcumsumexp_cuda_kernelERKNSD_10TensorBaseESH_lENKUlvE_clEvENKUlvE3_clEvEUlS6_S6_E_S6_EEDaPvRmT3_T4_T5_mT6_P12ihipStream_tbENKUlT_T0_E_clISt17integral_constantIbLb1EESX_IbLb0EEEEDaST_SU_EUlST_E_NS1_11comp_targetILNS1_3genE5ELNS1_11target_archE942ELNS1_3gpuE9ELNS1_3repE0EEENS1_30default_config_static_selectorELNS0_4arch9wavefront6targetE1EEEvT1_.uses_vcc, 0
	.set _ZN7rocprim17ROCPRIM_400000_NS6detail17trampoline_kernelINS0_14default_configENS1_20scan_config_selectorIN3c104HalfEEEZZNS1_9scan_implILNS1_25lookback_scan_determinismE0ELb0ELb0ES3_PKS6_PS6_S6_ZZZN2at6native31launch_logcumsumexp_cuda_kernelERKNSD_10TensorBaseESH_lENKUlvE_clEvENKUlvE3_clEvEUlS6_S6_E_S6_EEDaPvRmT3_T4_T5_mT6_P12ihipStream_tbENKUlT_T0_E_clISt17integral_constantIbLb1EESX_IbLb0EEEEDaST_SU_EUlST_E_NS1_11comp_targetILNS1_3genE5ELNS1_11target_archE942ELNS1_3gpuE9ELNS1_3repE0EEENS1_30default_config_static_selectorELNS0_4arch9wavefront6targetE1EEEvT1_.uses_flat_scratch, 0
	.set _ZN7rocprim17ROCPRIM_400000_NS6detail17trampoline_kernelINS0_14default_configENS1_20scan_config_selectorIN3c104HalfEEEZZNS1_9scan_implILNS1_25lookback_scan_determinismE0ELb0ELb0ES3_PKS6_PS6_S6_ZZZN2at6native31launch_logcumsumexp_cuda_kernelERKNSD_10TensorBaseESH_lENKUlvE_clEvENKUlvE3_clEvEUlS6_S6_E_S6_EEDaPvRmT3_T4_T5_mT6_P12ihipStream_tbENKUlT_T0_E_clISt17integral_constantIbLb1EESX_IbLb0EEEEDaST_SU_EUlST_E_NS1_11comp_targetILNS1_3genE5ELNS1_11target_archE942ELNS1_3gpuE9ELNS1_3repE0EEENS1_30default_config_static_selectorELNS0_4arch9wavefront6targetE1EEEvT1_.has_dyn_sized_stack, 0
	.set _ZN7rocprim17ROCPRIM_400000_NS6detail17trampoline_kernelINS0_14default_configENS1_20scan_config_selectorIN3c104HalfEEEZZNS1_9scan_implILNS1_25lookback_scan_determinismE0ELb0ELb0ES3_PKS6_PS6_S6_ZZZN2at6native31launch_logcumsumexp_cuda_kernelERKNSD_10TensorBaseESH_lENKUlvE_clEvENKUlvE3_clEvEUlS6_S6_E_S6_EEDaPvRmT3_T4_T5_mT6_P12ihipStream_tbENKUlT_T0_E_clISt17integral_constantIbLb1EESX_IbLb0EEEEDaST_SU_EUlST_E_NS1_11comp_targetILNS1_3genE5ELNS1_11target_archE942ELNS1_3gpuE9ELNS1_3repE0EEENS1_30default_config_static_selectorELNS0_4arch9wavefront6targetE1EEEvT1_.has_recursion, 0
	.set _ZN7rocprim17ROCPRIM_400000_NS6detail17trampoline_kernelINS0_14default_configENS1_20scan_config_selectorIN3c104HalfEEEZZNS1_9scan_implILNS1_25lookback_scan_determinismE0ELb0ELb0ES3_PKS6_PS6_S6_ZZZN2at6native31launch_logcumsumexp_cuda_kernelERKNSD_10TensorBaseESH_lENKUlvE_clEvENKUlvE3_clEvEUlS6_S6_E_S6_EEDaPvRmT3_T4_T5_mT6_P12ihipStream_tbENKUlT_T0_E_clISt17integral_constantIbLb1EESX_IbLb0EEEEDaST_SU_EUlST_E_NS1_11comp_targetILNS1_3genE5ELNS1_11target_archE942ELNS1_3gpuE9ELNS1_3repE0EEENS1_30default_config_static_selectorELNS0_4arch9wavefront6targetE1EEEvT1_.has_indirect_call, 0
	.section	.AMDGPU.csdata,"",@progbits
; Kernel info:
; codeLenInByte = 0
; TotalNumSgprs: 4
; NumVgprs: 0
; ScratchSize: 0
; MemoryBound: 0
; FloatMode: 240
; IeeeMode: 1
; LDSByteSize: 0 bytes/workgroup (compile time only)
; SGPRBlocks: 0
; VGPRBlocks: 0
; NumSGPRsForWavesPerEU: 4
; NumVGPRsForWavesPerEU: 1
; Occupancy: 10
; WaveLimiterHint : 0
; COMPUTE_PGM_RSRC2:SCRATCH_EN: 0
; COMPUTE_PGM_RSRC2:USER_SGPR: 6
; COMPUTE_PGM_RSRC2:TRAP_HANDLER: 0
; COMPUTE_PGM_RSRC2:TGID_X_EN: 1
; COMPUTE_PGM_RSRC2:TGID_Y_EN: 0
; COMPUTE_PGM_RSRC2:TGID_Z_EN: 0
; COMPUTE_PGM_RSRC2:TIDIG_COMP_CNT: 0
	.section	.text._ZN7rocprim17ROCPRIM_400000_NS6detail17trampoline_kernelINS0_14default_configENS1_20scan_config_selectorIN3c104HalfEEEZZNS1_9scan_implILNS1_25lookback_scan_determinismE0ELb0ELb0ES3_PKS6_PS6_S6_ZZZN2at6native31launch_logcumsumexp_cuda_kernelERKNSD_10TensorBaseESH_lENKUlvE_clEvENKUlvE3_clEvEUlS6_S6_E_S6_EEDaPvRmT3_T4_T5_mT6_P12ihipStream_tbENKUlT_T0_E_clISt17integral_constantIbLb1EESX_IbLb0EEEEDaST_SU_EUlST_E_NS1_11comp_targetILNS1_3genE4ELNS1_11target_archE910ELNS1_3gpuE8ELNS1_3repE0EEENS1_30default_config_static_selectorELNS0_4arch9wavefront6targetE1EEEvT1_,"axG",@progbits,_ZN7rocprim17ROCPRIM_400000_NS6detail17trampoline_kernelINS0_14default_configENS1_20scan_config_selectorIN3c104HalfEEEZZNS1_9scan_implILNS1_25lookback_scan_determinismE0ELb0ELb0ES3_PKS6_PS6_S6_ZZZN2at6native31launch_logcumsumexp_cuda_kernelERKNSD_10TensorBaseESH_lENKUlvE_clEvENKUlvE3_clEvEUlS6_S6_E_S6_EEDaPvRmT3_T4_T5_mT6_P12ihipStream_tbENKUlT_T0_E_clISt17integral_constantIbLb1EESX_IbLb0EEEEDaST_SU_EUlST_E_NS1_11comp_targetILNS1_3genE4ELNS1_11target_archE910ELNS1_3gpuE8ELNS1_3repE0EEENS1_30default_config_static_selectorELNS0_4arch9wavefront6targetE1EEEvT1_,comdat
	.globl	_ZN7rocprim17ROCPRIM_400000_NS6detail17trampoline_kernelINS0_14default_configENS1_20scan_config_selectorIN3c104HalfEEEZZNS1_9scan_implILNS1_25lookback_scan_determinismE0ELb0ELb0ES3_PKS6_PS6_S6_ZZZN2at6native31launch_logcumsumexp_cuda_kernelERKNSD_10TensorBaseESH_lENKUlvE_clEvENKUlvE3_clEvEUlS6_S6_E_S6_EEDaPvRmT3_T4_T5_mT6_P12ihipStream_tbENKUlT_T0_E_clISt17integral_constantIbLb1EESX_IbLb0EEEEDaST_SU_EUlST_E_NS1_11comp_targetILNS1_3genE4ELNS1_11target_archE910ELNS1_3gpuE8ELNS1_3repE0EEENS1_30default_config_static_selectorELNS0_4arch9wavefront6targetE1EEEvT1_ ; -- Begin function _ZN7rocprim17ROCPRIM_400000_NS6detail17trampoline_kernelINS0_14default_configENS1_20scan_config_selectorIN3c104HalfEEEZZNS1_9scan_implILNS1_25lookback_scan_determinismE0ELb0ELb0ES3_PKS6_PS6_S6_ZZZN2at6native31launch_logcumsumexp_cuda_kernelERKNSD_10TensorBaseESH_lENKUlvE_clEvENKUlvE3_clEvEUlS6_S6_E_S6_EEDaPvRmT3_T4_T5_mT6_P12ihipStream_tbENKUlT_T0_E_clISt17integral_constantIbLb1EESX_IbLb0EEEEDaST_SU_EUlST_E_NS1_11comp_targetILNS1_3genE4ELNS1_11target_archE910ELNS1_3gpuE8ELNS1_3repE0EEENS1_30default_config_static_selectorELNS0_4arch9wavefront6targetE1EEEvT1_
	.p2align	8
	.type	_ZN7rocprim17ROCPRIM_400000_NS6detail17trampoline_kernelINS0_14default_configENS1_20scan_config_selectorIN3c104HalfEEEZZNS1_9scan_implILNS1_25lookback_scan_determinismE0ELb0ELb0ES3_PKS6_PS6_S6_ZZZN2at6native31launch_logcumsumexp_cuda_kernelERKNSD_10TensorBaseESH_lENKUlvE_clEvENKUlvE3_clEvEUlS6_S6_E_S6_EEDaPvRmT3_T4_T5_mT6_P12ihipStream_tbENKUlT_T0_E_clISt17integral_constantIbLb1EESX_IbLb0EEEEDaST_SU_EUlST_E_NS1_11comp_targetILNS1_3genE4ELNS1_11target_archE910ELNS1_3gpuE8ELNS1_3repE0EEENS1_30default_config_static_selectorELNS0_4arch9wavefront6targetE1EEEvT1_,@function
_ZN7rocprim17ROCPRIM_400000_NS6detail17trampoline_kernelINS0_14default_configENS1_20scan_config_selectorIN3c104HalfEEEZZNS1_9scan_implILNS1_25lookback_scan_determinismE0ELb0ELb0ES3_PKS6_PS6_S6_ZZZN2at6native31launch_logcumsumexp_cuda_kernelERKNSD_10TensorBaseESH_lENKUlvE_clEvENKUlvE3_clEvEUlS6_S6_E_S6_EEDaPvRmT3_T4_T5_mT6_P12ihipStream_tbENKUlT_T0_E_clISt17integral_constantIbLb1EESX_IbLb0EEEEDaST_SU_EUlST_E_NS1_11comp_targetILNS1_3genE4ELNS1_11target_archE910ELNS1_3gpuE8ELNS1_3repE0EEENS1_30default_config_static_selectorELNS0_4arch9wavefront6targetE1EEEvT1_: ; @_ZN7rocprim17ROCPRIM_400000_NS6detail17trampoline_kernelINS0_14default_configENS1_20scan_config_selectorIN3c104HalfEEEZZNS1_9scan_implILNS1_25lookback_scan_determinismE0ELb0ELb0ES3_PKS6_PS6_S6_ZZZN2at6native31launch_logcumsumexp_cuda_kernelERKNSD_10TensorBaseESH_lENKUlvE_clEvENKUlvE3_clEvEUlS6_S6_E_S6_EEDaPvRmT3_T4_T5_mT6_P12ihipStream_tbENKUlT_T0_E_clISt17integral_constantIbLb1EESX_IbLb0EEEEDaST_SU_EUlST_E_NS1_11comp_targetILNS1_3genE4ELNS1_11target_archE910ELNS1_3gpuE8ELNS1_3repE0EEENS1_30default_config_static_selectorELNS0_4arch9wavefront6targetE1EEEvT1_
; %bb.0:
	.section	.rodata,"a",@progbits
	.p2align	6, 0x0
	.amdhsa_kernel _ZN7rocprim17ROCPRIM_400000_NS6detail17trampoline_kernelINS0_14default_configENS1_20scan_config_selectorIN3c104HalfEEEZZNS1_9scan_implILNS1_25lookback_scan_determinismE0ELb0ELb0ES3_PKS6_PS6_S6_ZZZN2at6native31launch_logcumsumexp_cuda_kernelERKNSD_10TensorBaseESH_lENKUlvE_clEvENKUlvE3_clEvEUlS6_S6_E_S6_EEDaPvRmT3_T4_T5_mT6_P12ihipStream_tbENKUlT_T0_E_clISt17integral_constantIbLb1EESX_IbLb0EEEEDaST_SU_EUlST_E_NS1_11comp_targetILNS1_3genE4ELNS1_11target_archE910ELNS1_3gpuE8ELNS1_3repE0EEENS1_30default_config_static_selectorELNS0_4arch9wavefront6targetE1EEEvT1_
		.amdhsa_group_segment_fixed_size 0
		.amdhsa_private_segment_fixed_size 0
		.amdhsa_kernarg_size 96
		.amdhsa_user_sgpr_count 6
		.amdhsa_user_sgpr_private_segment_buffer 1
		.amdhsa_user_sgpr_dispatch_ptr 0
		.amdhsa_user_sgpr_queue_ptr 0
		.amdhsa_user_sgpr_kernarg_segment_ptr 1
		.amdhsa_user_sgpr_dispatch_id 0
		.amdhsa_user_sgpr_flat_scratch_init 0
		.amdhsa_user_sgpr_private_segment_size 0
		.amdhsa_uses_dynamic_stack 0
		.amdhsa_system_sgpr_private_segment_wavefront_offset 0
		.amdhsa_system_sgpr_workgroup_id_x 1
		.amdhsa_system_sgpr_workgroup_id_y 0
		.amdhsa_system_sgpr_workgroup_id_z 0
		.amdhsa_system_sgpr_workgroup_info 0
		.amdhsa_system_vgpr_workitem_id 0
		.amdhsa_next_free_vgpr 1
		.amdhsa_next_free_sgpr 0
		.amdhsa_reserve_vcc 0
		.amdhsa_reserve_flat_scratch 0
		.amdhsa_float_round_mode_32 0
		.amdhsa_float_round_mode_16_64 0
		.amdhsa_float_denorm_mode_32 3
		.amdhsa_float_denorm_mode_16_64 3
		.amdhsa_dx10_clamp 1
		.amdhsa_ieee_mode 1
		.amdhsa_fp16_overflow 0
		.amdhsa_exception_fp_ieee_invalid_op 0
		.amdhsa_exception_fp_denorm_src 0
		.amdhsa_exception_fp_ieee_div_zero 0
		.amdhsa_exception_fp_ieee_overflow 0
		.amdhsa_exception_fp_ieee_underflow 0
		.amdhsa_exception_fp_ieee_inexact 0
		.amdhsa_exception_int_div_zero 0
	.end_amdhsa_kernel
	.section	.text._ZN7rocprim17ROCPRIM_400000_NS6detail17trampoline_kernelINS0_14default_configENS1_20scan_config_selectorIN3c104HalfEEEZZNS1_9scan_implILNS1_25lookback_scan_determinismE0ELb0ELb0ES3_PKS6_PS6_S6_ZZZN2at6native31launch_logcumsumexp_cuda_kernelERKNSD_10TensorBaseESH_lENKUlvE_clEvENKUlvE3_clEvEUlS6_S6_E_S6_EEDaPvRmT3_T4_T5_mT6_P12ihipStream_tbENKUlT_T0_E_clISt17integral_constantIbLb1EESX_IbLb0EEEEDaST_SU_EUlST_E_NS1_11comp_targetILNS1_3genE4ELNS1_11target_archE910ELNS1_3gpuE8ELNS1_3repE0EEENS1_30default_config_static_selectorELNS0_4arch9wavefront6targetE1EEEvT1_,"axG",@progbits,_ZN7rocprim17ROCPRIM_400000_NS6detail17trampoline_kernelINS0_14default_configENS1_20scan_config_selectorIN3c104HalfEEEZZNS1_9scan_implILNS1_25lookback_scan_determinismE0ELb0ELb0ES3_PKS6_PS6_S6_ZZZN2at6native31launch_logcumsumexp_cuda_kernelERKNSD_10TensorBaseESH_lENKUlvE_clEvENKUlvE3_clEvEUlS6_S6_E_S6_EEDaPvRmT3_T4_T5_mT6_P12ihipStream_tbENKUlT_T0_E_clISt17integral_constantIbLb1EESX_IbLb0EEEEDaST_SU_EUlST_E_NS1_11comp_targetILNS1_3genE4ELNS1_11target_archE910ELNS1_3gpuE8ELNS1_3repE0EEENS1_30default_config_static_selectorELNS0_4arch9wavefront6targetE1EEEvT1_,comdat
.Lfunc_end399:
	.size	_ZN7rocprim17ROCPRIM_400000_NS6detail17trampoline_kernelINS0_14default_configENS1_20scan_config_selectorIN3c104HalfEEEZZNS1_9scan_implILNS1_25lookback_scan_determinismE0ELb0ELb0ES3_PKS6_PS6_S6_ZZZN2at6native31launch_logcumsumexp_cuda_kernelERKNSD_10TensorBaseESH_lENKUlvE_clEvENKUlvE3_clEvEUlS6_S6_E_S6_EEDaPvRmT3_T4_T5_mT6_P12ihipStream_tbENKUlT_T0_E_clISt17integral_constantIbLb1EESX_IbLb0EEEEDaST_SU_EUlST_E_NS1_11comp_targetILNS1_3genE4ELNS1_11target_archE910ELNS1_3gpuE8ELNS1_3repE0EEENS1_30default_config_static_selectorELNS0_4arch9wavefront6targetE1EEEvT1_, .Lfunc_end399-_ZN7rocprim17ROCPRIM_400000_NS6detail17trampoline_kernelINS0_14default_configENS1_20scan_config_selectorIN3c104HalfEEEZZNS1_9scan_implILNS1_25lookback_scan_determinismE0ELb0ELb0ES3_PKS6_PS6_S6_ZZZN2at6native31launch_logcumsumexp_cuda_kernelERKNSD_10TensorBaseESH_lENKUlvE_clEvENKUlvE3_clEvEUlS6_S6_E_S6_EEDaPvRmT3_T4_T5_mT6_P12ihipStream_tbENKUlT_T0_E_clISt17integral_constantIbLb1EESX_IbLb0EEEEDaST_SU_EUlST_E_NS1_11comp_targetILNS1_3genE4ELNS1_11target_archE910ELNS1_3gpuE8ELNS1_3repE0EEENS1_30default_config_static_selectorELNS0_4arch9wavefront6targetE1EEEvT1_
                                        ; -- End function
	.set _ZN7rocprim17ROCPRIM_400000_NS6detail17trampoline_kernelINS0_14default_configENS1_20scan_config_selectorIN3c104HalfEEEZZNS1_9scan_implILNS1_25lookback_scan_determinismE0ELb0ELb0ES3_PKS6_PS6_S6_ZZZN2at6native31launch_logcumsumexp_cuda_kernelERKNSD_10TensorBaseESH_lENKUlvE_clEvENKUlvE3_clEvEUlS6_S6_E_S6_EEDaPvRmT3_T4_T5_mT6_P12ihipStream_tbENKUlT_T0_E_clISt17integral_constantIbLb1EESX_IbLb0EEEEDaST_SU_EUlST_E_NS1_11comp_targetILNS1_3genE4ELNS1_11target_archE910ELNS1_3gpuE8ELNS1_3repE0EEENS1_30default_config_static_selectorELNS0_4arch9wavefront6targetE1EEEvT1_.num_vgpr, 0
	.set _ZN7rocprim17ROCPRIM_400000_NS6detail17trampoline_kernelINS0_14default_configENS1_20scan_config_selectorIN3c104HalfEEEZZNS1_9scan_implILNS1_25lookback_scan_determinismE0ELb0ELb0ES3_PKS6_PS6_S6_ZZZN2at6native31launch_logcumsumexp_cuda_kernelERKNSD_10TensorBaseESH_lENKUlvE_clEvENKUlvE3_clEvEUlS6_S6_E_S6_EEDaPvRmT3_T4_T5_mT6_P12ihipStream_tbENKUlT_T0_E_clISt17integral_constantIbLb1EESX_IbLb0EEEEDaST_SU_EUlST_E_NS1_11comp_targetILNS1_3genE4ELNS1_11target_archE910ELNS1_3gpuE8ELNS1_3repE0EEENS1_30default_config_static_selectorELNS0_4arch9wavefront6targetE1EEEvT1_.num_agpr, 0
	.set _ZN7rocprim17ROCPRIM_400000_NS6detail17trampoline_kernelINS0_14default_configENS1_20scan_config_selectorIN3c104HalfEEEZZNS1_9scan_implILNS1_25lookback_scan_determinismE0ELb0ELb0ES3_PKS6_PS6_S6_ZZZN2at6native31launch_logcumsumexp_cuda_kernelERKNSD_10TensorBaseESH_lENKUlvE_clEvENKUlvE3_clEvEUlS6_S6_E_S6_EEDaPvRmT3_T4_T5_mT6_P12ihipStream_tbENKUlT_T0_E_clISt17integral_constantIbLb1EESX_IbLb0EEEEDaST_SU_EUlST_E_NS1_11comp_targetILNS1_3genE4ELNS1_11target_archE910ELNS1_3gpuE8ELNS1_3repE0EEENS1_30default_config_static_selectorELNS0_4arch9wavefront6targetE1EEEvT1_.numbered_sgpr, 0
	.set _ZN7rocprim17ROCPRIM_400000_NS6detail17trampoline_kernelINS0_14default_configENS1_20scan_config_selectorIN3c104HalfEEEZZNS1_9scan_implILNS1_25lookback_scan_determinismE0ELb0ELb0ES3_PKS6_PS6_S6_ZZZN2at6native31launch_logcumsumexp_cuda_kernelERKNSD_10TensorBaseESH_lENKUlvE_clEvENKUlvE3_clEvEUlS6_S6_E_S6_EEDaPvRmT3_T4_T5_mT6_P12ihipStream_tbENKUlT_T0_E_clISt17integral_constantIbLb1EESX_IbLb0EEEEDaST_SU_EUlST_E_NS1_11comp_targetILNS1_3genE4ELNS1_11target_archE910ELNS1_3gpuE8ELNS1_3repE0EEENS1_30default_config_static_selectorELNS0_4arch9wavefront6targetE1EEEvT1_.num_named_barrier, 0
	.set _ZN7rocprim17ROCPRIM_400000_NS6detail17trampoline_kernelINS0_14default_configENS1_20scan_config_selectorIN3c104HalfEEEZZNS1_9scan_implILNS1_25lookback_scan_determinismE0ELb0ELb0ES3_PKS6_PS6_S6_ZZZN2at6native31launch_logcumsumexp_cuda_kernelERKNSD_10TensorBaseESH_lENKUlvE_clEvENKUlvE3_clEvEUlS6_S6_E_S6_EEDaPvRmT3_T4_T5_mT6_P12ihipStream_tbENKUlT_T0_E_clISt17integral_constantIbLb1EESX_IbLb0EEEEDaST_SU_EUlST_E_NS1_11comp_targetILNS1_3genE4ELNS1_11target_archE910ELNS1_3gpuE8ELNS1_3repE0EEENS1_30default_config_static_selectorELNS0_4arch9wavefront6targetE1EEEvT1_.private_seg_size, 0
	.set _ZN7rocprim17ROCPRIM_400000_NS6detail17trampoline_kernelINS0_14default_configENS1_20scan_config_selectorIN3c104HalfEEEZZNS1_9scan_implILNS1_25lookback_scan_determinismE0ELb0ELb0ES3_PKS6_PS6_S6_ZZZN2at6native31launch_logcumsumexp_cuda_kernelERKNSD_10TensorBaseESH_lENKUlvE_clEvENKUlvE3_clEvEUlS6_S6_E_S6_EEDaPvRmT3_T4_T5_mT6_P12ihipStream_tbENKUlT_T0_E_clISt17integral_constantIbLb1EESX_IbLb0EEEEDaST_SU_EUlST_E_NS1_11comp_targetILNS1_3genE4ELNS1_11target_archE910ELNS1_3gpuE8ELNS1_3repE0EEENS1_30default_config_static_selectorELNS0_4arch9wavefront6targetE1EEEvT1_.uses_vcc, 0
	.set _ZN7rocprim17ROCPRIM_400000_NS6detail17trampoline_kernelINS0_14default_configENS1_20scan_config_selectorIN3c104HalfEEEZZNS1_9scan_implILNS1_25lookback_scan_determinismE0ELb0ELb0ES3_PKS6_PS6_S6_ZZZN2at6native31launch_logcumsumexp_cuda_kernelERKNSD_10TensorBaseESH_lENKUlvE_clEvENKUlvE3_clEvEUlS6_S6_E_S6_EEDaPvRmT3_T4_T5_mT6_P12ihipStream_tbENKUlT_T0_E_clISt17integral_constantIbLb1EESX_IbLb0EEEEDaST_SU_EUlST_E_NS1_11comp_targetILNS1_3genE4ELNS1_11target_archE910ELNS1_3gpuE8ELNS1_3repE0EEENS1_30default_config_static_selectorELNS0_4arch9wavefront6targetE1EEEvT1_.uses_flat_scratch, 0
	.set _ZN7rocprim17ROCPRIM_400000_NS6detail17trampoline_kernelINS0_14default_configENS1_20scan_config_selectorIN3c104HalfEEEZZNS1_9scan_implILNS1_25lookback_scan_determinismE0ELb0ELb0ES3_PKS6_PS6_S6_ZZZN2at6native31launch_logcumsumexp_cuda_kernelERKNSD_10TensorBaseESH_lENKUlvE_clEvENKUlvE3_clEvEUlS6_S6_E_S6_EEDaPvRmT3_T4_T5_mT6_P12ihipStream_tbENKUlT_T0_E_clISt17integral_constantIbLb1EESX_IbLb0EEEEDaST_SU_EUlST_E_NS1_11comp_targetILNS1_3genE4ELNS1_11target_archE910ELNS1_3gpuE8ELNS1_3repE0EEENS1_30default_config_static_selectorELNS0_4arch9wavefront6targetE1EEEvT1_.has_dyn_sized_stack, 0
	.set _ZN7rocprim17ROCPRIM_400000_NS6detail17trampoline_kernelINS0_14default_configENS1_20scan_config_selectorIN3c104HalfEEEZZNS1_9scan_implILNS1_25lookback_scan_determinismE0ELb0ELb0ES3_PKS6_PS6_S6_ZZZN2at6native31launch_logcumsumexp_cuda_kernelERKNSD_10TensorBaseESH_lENKUlvE_clEvENKUlvE3_clEvEUlS6_S6_E_S6_EEDaPvRmT3_T4_T5_mT6_P12ihipStream_tbENKUlT_T0_E_clISt17integral_constantIbLb1EESX_IbLb0EEEEDaST_SU_EUlST_E_NS1_11comp_targetILNS1_3genE4ELNS1_11target_archE910ELNS1_3gpuE8ELNS1_3repE0EEENS1_30default_config_static_selectorELNS0_4arch9wavefront6targetE1EEEvT1_.has_recursion, 0
	.set _ZN7rocprim17ROCPRIM_400000_NS6detail17trampoline_kernelINS0_14default_configENS1_20scan_config_selectorIN3c104HalfEEEZZNS1_9scan_implILNS1_25lookback_scan_determinismE0ELb0ELb0ES3_PKS6_PS6_S6_ZZZN2at6native31launch_logcumsumexp_cuda_kernelERKNSD_10TensorBaseESH_lENKUlvE_clEvENKUlvE3_clEvEUlS6_S6_E_S6_EEDaPvRmT3_T4_T5_mT6_P12ihipStream_tbENKUlT_T0_E_clISt17integral_constantIbLb1EESX_IbLb0EEEEDaST_SU_EUlST_E_NS1_11comp_targetILNS1_3genE4ELNS1_11target_archE910ELNS1_3gpuE8ELNS1_3repE0EEENS1_30default_config_static_selectorELNS0_4arch9wavefront6targetE1EEEvT1_.has_indirect_call, 0
	.section	.AMDGPU.csdata,"",@progbits
; Kernel info:
; codeLenInByte = 0
; TotalNumSgprs: 4
; NumVgprs: 0
; ScratchSize: 0
; MemoryBound: 0
; FloatMode: 240
; IeeeMode: 1
; LDSByteSize: 0 bytes/workgroup (compile time only)
; SGPRBlocks: 0
; VGPRBlocks: 0
; NumSGPRsForWavesPerEU: 4
; NumVGPRsForWavesPerEU: 1
; Occupancy: 10
; WaveLimiterHint : 0
; COMPUTE_PGM_RSRC2:SCRATCH_EN: 0
; COMPUTE_PGM_RSRC2:USER_SGPR: 6
; COMPUTE_PGM_RSRC2:TRAP_HANDLER: 0
; COMPUTE_PGM_RSRC2:TGID_X_EN: 1
; COMPUTE_PGM_RSRC2:TGID_Y_EN: 0
; COMPUTE_PGM_RSRC2:TGID_Z_EN: 0
; COMPUTE_PGM_RSRC2:TIDIG_COMP_CNT: 0
	.section	.text._ZN7rocprim17ROCPRIM_400000_NS6detail17trampoline_kernelINS0_14default_configENS1_20scan_config_selectorIN3c104HalfEEEZZNS1_9scan_implILNS1_25lookback_scan_determinismE0ELb0ELb0ES3_PKS6_PS6_S6_ZZZN2at6native31launch_logcumsumexp_cuda_kernelERKNSD_10TensorBaseESH_lENKUlvE_clEvENKUlvE3_clEvEUlS6_S6_E_S6_EEDaPvRmT3_T4_T5_mT6_P12ihipStream_tbENKUlT_T0_E_clISt17integral_constantIbLb1EESX_IbLb0EEEEDaST_SU_EUlST_E_NS1_11comp_targetILNS1_3genE3ELNS1_11target_archE908ELNS1_3gpuE7ELNS1_3repE0EEENS1_30default_config_static_selectorELNS0_4arch9wavefront6targetE1EEEvT1_,"axG",@progbits,_ZN7rocprim17ROCPRIM_400000_NS6detail17trampoline_kernelINS0_14default_configENS1_20scan_config_selectorIN3c104HalfEEEZZNS1_9scan_implILNS1_25lookback_scan_determinismE0ELb0ELb0ES3_PKS6_PS6_S6_ZZZN2at6native31launch_logcumsumexp_cuda_kernelERKNSD_10TensorBaseESH_lENKUlvE_clEvENKUlvE3_clEvEUlS6_S6_E_S6_EEDaPvRmT3_T4_T5_mT6_P12ihipStream_tbENKUlT_T0_E_clISt17integral_constantIbLb1EESX_IbLb0EEEEDaST_SU_EUlST_E_NS1_11comp_targetILNS1_3genE3ELNS1_11target_archE908ELNS1_3gpuE7ELNS1_3repE0EEENS1_30default_config_static_selectorELNS0_4arch9wavefront6targetE1EEEvT1_,comdat
	.globl	_ZN7rocprim17ROCPRIM_400000_NS6detail17trampoline_kernelINS0_14default_configENS1_20scan_config_selectorIN3c104HalfEEEZZNS1_9scan_implILNS1_25lookback_scan_determinismE0ELb0ELb0ES3_PKS6_PS6_S6_ZZZN2at6native31launch_logcumsumexp_cuda_kernelERKNSD_10TensorBaseESH_lENKUlvE_clEvENKUlvE3_clEvEUlS6_S6_E_S6_EEDaPvRmT3_T4_T5_mT6_P12ihipStream_tbENKUlT_T0_E_clISt17integral_constantIbLb1EESX_IbLb0EEEEDaST_SU_EUlST_E_NS1_11comp_targetILNS1_3genE3ELNS1_11target_archE908ELNS1_3gpuE7ELNS1_3repE0EEENS1_30default_config_static_selectorELNS0_4arch9wavefront6targetE1EEEvT1_ ; -- Begin function _ZN7rocprim17ROCPRIM_400000_NS6detail17trampoline_kernelINS0_14default_configENS1_20scan_config_selectorIN3c104HalfEEEZZNS1_9scan_implILNS1_25lookback_scan_determinismE0ELb0ELb0ES3_PKS6_PS6_S6_ZZZN2at6native31launch_logcumsumexp_cuda_kernelERKNSD_10TensorBaseESH_lENKUlvE_clEvENKUlvE3_clEvEUlS6_S6_E_S6_EEDaPvRmT3_T4_T5_mT6_P12ihipStream_tbENKUlT_T0_E_clISt17integral_constantIbLb1EESX_IbLb0EEEEDaST_SU_EUlST_E_NS1_11comp_targetILNS1_3genE3ELNS1_11target_archE908ELNS1_3gpuE7ELNS1_3repE0EEENS1_30default_config_static_selectorELNS0_4arch9wavefront6targetE1EEEvT1_
	.p2align	8
	.type	_ZN7rocprim17ROCPRIM_400000_NS6detail17trampoline_kernelINS0_14default_configENS1_20scan_config_selectorIN3c104HalfEEEZZNS1_9scan_implILNS1_25lookback_scan_determinismE0ELb0ELb0ES3_PKS6_PS6_S6_ZZZN2at6native31launch_logcumsumexp_cuda_kernelERKNSD_10TensorBaseESH_lENKUlvE_clEvENKUlvE3_clEvEUlS6_S6_E_S6_EEDaPvRmT3_T4_T5_mT6_P12ihipStream_tbENKUlT_T0_E_clISt17integral_constantIbLb1EESX_IbLb0EEEEDaST_SU_EUlST_E_NS1_11comp_targetILNS1_3genE3ELNS1_11target_archE908ELNS1_3gpuE7ELNS1_3repE0EEENS1_30default_config_static_selectorELNS0_4arch9wavefront6targetE1EEEvT1_,@function
_ZN7rocprim17ROCPRIM_400000_NS6detail17trampoline_kernelINS0_14default_configENS1_20scan_config_selectorIN3c104HalfEEEZZNS1_9scan_implILNS1_25lookback_scan_determinismE0ELb0ELb0ES3_PKS6_PS6_S6_ZZZN2at6native31launch_logcumsumexp_cuda_kernelERKNSD_10TensorBaseESH_lENKUlvE_clEvENKUlvE3_clEvEUlS6_S6_E_S6_EEDaPvRmT3_T4_T5_mT6_P12ihipStream_tbENKUlT_T0_E_clISt17integral_constantIbLb1EESX_IbLb0EEEEDaST_SU_EUlST_E_NS1_11comp_targetILNS1_3genE3ELNS1_11target_archE908ELNS1_3gpuE7ELNS1_3repE0EEENS1_30default_config_static_selectorELNS0_4arch9wavefront6targetE1EEEvT1_: ; @_ZN7rocprim17ROCPRIM_400000_NS6detail17trampoline_kernelINS0_14default_configENS1_20scan_config_selectorIN3c104HalfEEEZZNS1_9scan_implILNS1_25lookback_scan_determinismE0ELb0ELb0ES3_PKS6_PS6_S6_ZZZN2at6native31launch_logcumsumexp_cuda_kernelERKNSD_10TensorBaseESH_lENKUlvE_clEvENKUlvE3_clEvEUlS6_S6_E_S6_EEDaPvRmT3_T4_T5_mT6_P12ihipStream_tbENKUlT_T0_E_clISt17integral_constantIbLb1EESX_IbLb0EEEEDaST_SU_EUlST_E_NS1_11comp_targetILNS1_3genE3ELNS1_11target_archE908ELNS1_3gpuE7ELNS1_3repE0EEENS1_30default_config_static_selectorELNS0_4arch9wavefront6targetE1EEEvT1_
; %bb.0:
	.section	.rodata,"a",@progbits
	.p2align	6, 0x0
	.amdhsa_kernel _ZN7rocprim17ROCPRIM_400000_NS6detail17trampoline_kernelINS0_14default_configENS1_20scan_config_selectorIN3c104HalfEEEZZNS1_9scan_implILNS1_25lookback_scan_determinismE0ELb0ELb0ES3_PKS6_PS6_S6_ZZZN2at6native31launch_logcumsumexp_cuda_kernelERKNSD_10TensorBaseESH_lENKUlvE_clEvENKUlvE3_clEvEUlS6_S6_E_S6_EEDaPvRmT3_T4_T5_mT6_P12ihipStream_tbENKUlT_T0_E_clISt17integral_constantIbLb1EESX_IbLb0EEEEDaST_SU_EUlST_E_NS1_11comp_targetILNS1_3genE3ELNS1_11target_archE908ELNS1_3gpuE7ELNS1_3repE0EEENS1_30default_config_static_selectorELNS0_4arch9wavefront6targetE1EEEvT1_
		.amdhsa_group_segment_fixed_size 0
		.amdhsa_private_segment_fixed_size 0
		.amdhsa_kernarg_size 96
		.amdhsa_user_sgpr_count 6
		.amdhsa_user_sgpr_private_segment_buffer 1
		.amdhsa_user_sgpr_dispatch_ptr 0
		.amdhsa_user_sgpr_queue_ptr 0
		.amdhsa_user_sgpr_kernarg_segment_ptr 1
		.amdhsa_user_sgpr_dispatch_id 0
		.amdhsa_user_sgpr_flat_scratch_init 0
		.amdhsa_user_sgpr_private_segment_size 0
		.amdhsa_uses_dynamic_stack 0
		.amdhsa_system_sgpr_private_segment_wavefront_offset 0
		.amdhsa_system_sgpr_workgroup_id_x 1
		.amdhsa_system_sgpr_workgroup_id_y 0
		.amdhsa_system_sgpr_workgroup_id_z 0
		.amdhsa_system_sgpr_workgroup_info 0
		.amdhsa_system_vgpr_workitem_id 0
		.amdhsa_next_free_vgpr 1
		.amdhsa_next_free_sgpr 0
		.amdhsa_reserve_vcc 0
		.amdhsa_reserve_flat_scratch 0
		.amdhsa_float_round_mode_32 0
		.amdhsa_float_round_mode_16_64 0
		.amdhsa_float_denorm_mode_32 3
		.amdhsa_float_denorm_mode_16_64 3
		.amdhsa_dx10_clamp 1
		.amdhsa_ieee_mode 1
		.amdhsa_fp16_overflow 0
		.amdhsa_exception_fp_ieee_invalid_op 0
		.amdhsa_exception_fp_denorm_src 0
		.amdhsa_exception_fp_ieee_div_zero 0
		.amdhsa_exception_fp_ieee_overflow 0
		.amdhsa_exception_fp_ieee_underflow 0
		.amdhsa_exception_fp_ieee_inexact 0
		.amdhsa_exception_int_div_zero 0
	.end_amdhsa_kernel
	.section	.text._ZN7rocprim17ROCPRIM_400000_NS6detail17trampoline_kernelINS0_14default_configENS1_20scan_config_selectorIN3c104HalfEEEZZNS1_9scan_implILNS1_25lookback_scan_determinismE0ELb0ELb0ES3_PKS6_PS6_S6_ZZZN2at6native31launch_logcumsumexp_cuda_kernelERKNSD_10TensorBaseESH_lENKUlvE_clEvENKUlvE3_clEvEUlS6_S6_E_S6_EEDaPvRmT3_T4_T5_mT6_P12ihipStream_tbENKUlT_T0_E_clISt17integral_constantIbLb1EESX_IbLb0EEEEDaST_SU_EUlST_E_NS1_11comp_targetILNS1_3genE3ELNS1_11target_archE908ELNS1_3gpuE7ELNS1_3repE0EEENS1_30default_config_static_selectorELNS0_4arch9wavefront6targetE1EEEvT1_,"axG",@progbits,_ZN7rocprim17ROCPRIM_400000_NS6detail17trampoline_kernelINS0_14default_configENS1_20scan_config_selectorIN3c104HalfEEEZZNS1_9scan_implILNS1_25lookback_scan_determinismE0ELb0ELb0ES3_PKS6_PS6_S6_ZZZN2at6native31launch_logcumsumexp_cuda_kernelERKNSD_10TensorBaseESH_lENKUlvE_clEvENKUlvE3_clEvEUlS6_S6_E_S6_EEDaPvRmT3_T4_T5_mT6_P12ihipStream_tbENKUlT_T0_E_clISt17integral_constantIbLb1EESX_IbLb0EEEEDaST_SU_EUlST_E_NS1_11comp_targetILNS1_3genE3ELNS1_11target_archE908ELNS1_3gpuE7ELNS1_3repE0EEENS1_30default_config_static_selectorELNS0_4arch9wavefront6targetE1EEEvT1_,comdat
.Lfunc_end400:
	.size	_ZN7rocprim17ROCPRIM_400000_NS6detail17trampoline_kernelINS0_14default_configENS1_20scan_config_selectorIN3c104HalfEEEZZNS1_9scan_implILNS1_25lookback_scan_determinismE0ELb0ELb0ES3_PKS6_PS6_S6_ZZZN2at6native31launch_logcumsumexp_cuda_kernelERKNSD_10TensorBaseESH_lENKUlvE_clEvENKUlvE3_clEvEUlS6_S6_E_S6_EEDaPvRmT3_T4_T5_mT6_P12ihipStream_tbENKUlT_T0_E_clISt17integral_constantIbLb1EESX_IbLb0EEEEDaST_SU_EUlST_E_NS1_11comp_targetILNS1_3genE3ELNS1_11target_archE908ELNS1_3gpuE7ELNS1_3repE0EEENS1_30default_config_static_selectorELNS0_4arch9wavefront6targetE1EEEvT1_, .Lfunc_end400-_ZN7rocprim17ROCPRIM_400000_NS6detail17trampoline_kernelINS0_14default_configENS1_20scan_config_selectorIN3c104HalfEEEZZNS1_9scan_implILNS1_25lookback_scan_determinismE0ELb0ELb0ES3_PKS6_PS6_S6_ZZZN2at6native31launch_logcumsumexp_cuda_kernelERKNSD_10TensorBaseESH_lENKUlvE_clEvENKUlvE3_clEvEUlS6_S6_E_S6_EEDaPvRmT3_T4_T5_mT6_P12ihipStream_tbENKUlT_T0_E_clISt17integral_constantIbLb1EESX_IbLb0EEEEDaST_SU_EUlST_E_NS1_11comp_targetILNS1_3genE3ELNS1_11target_archE908ELNS1_3gpuE7ELNS1_3repE0EEENS1_30default_config_static_selectorELNS0_4arch9wavefront6targetE1EEEvT1_
                                        ; -- End function
	.set _ZN7rocprim17ROCPRIM_400000_NS6detail17trampoline_kernelINS0_14default_configENS1_20scan_config_selectorIN3c104HalfEEEZZNS1_9scan_implILNS1_25lookback_scan_determinismE0ELb0ELb0ES3_PKS6_PS6_S6_ZZZN2at6native31launch_logcumsumexp_cuda_kernelERKNSD_10TensorBaseESH_lENKUlvE_clEvENKUlvE3_clEvEUlS6_S6_E_S6_EEDaPvRmT3_T4_T5_mT6_P12ihipStream_tbENKUlT_T0_E_clISt17integral_constantIbLb1EESX_IbLb0EEEEDaST_SU_EUlST_E_NS1_11comp_targetILNS1_3genE3ELNS1_11target_archE908ELNS1_3gpuE7ELNS1_3repE0EEENS1_30default_config_static_selectorELNS0_4arch9wavefront6targetE1EEEvT1_.num_vgpr, 0
	.set _ZN7rocprim17ROCPRIM_400000_NS6detail17trampoline_kernelINS0_14default_configENS1_20scan_config_selectorIN3c104HalfEEEZZNS1_9scan_implILNS1_25lookback_scan_determinismE0ELb0ELb0ES3_PKS6_PS6_S6_ZZZN2at6native31launch_logcumsumexp_cuda_kernelERKNSD_10TensorBaseESH_lENKUlvE_clEvENKUlvE3_clEvEUlS6_S6_E_S6_EEDaPvRmT3_T4_T5_mT6_P12ihipStream_tbENKUlT_T0_E_clISt17integral_constantIbLb1EESX_IbLb0EEEEDaST_SU_EUlST_E_NS1_11comp_targetILNS1_3genE3ELNS1_11target_archE908ELNS1_3gpuE7ELNS1_3repE0EEENS1_30default_config_static_selectorELNS0_4arch9wavefront6targetE1EEEvT1_.num_agpr, 0
	.set _ZN7rocprim17ROCPRIM_400000_NS6detail17trampoline_kernelINS0_14default_configENS1_20scan_config_selectorIN3c104HalfEEEZZNS1_9scan_implILNS1_25lookback_scan_determinismE0ELb0ELb0ES3_PKS6_PS6_S6_ZZZN2at6native31launch_logcumsumexp_cuda_kernelERKNSD_10TensorBaseESH_lENKUlvE_clEvENKUlvE3_clEvEUlS6_S6_E_S6_EEDaPvRmT3_T4_T5_mT6_P12ihipStream_tbENKUlT_T0_E_clISt17integral_constantIbLb1EESX_IbLb0EEEEDaST_SU_EUlST_E_NS1_11comp_targetILNS1_3genE3ELNS1_11target_archE908ELNS1_3gpuE7ELNS1_3repE0EEENS1_30default_config_static_selectorELNS0_4arch9wavefront6targetE1EEEvT1_.numbered_sgpr, 0
	.set _ZN7rocprim17ROCPRIM_400000_NS6detail17trampoline_kernelINS0_14default_configENS1_20scan_config_selectorIN3c104HalfEEEZZNS1_9scan_implILNS1_25lookback_scan_determinismE0ELb0ELb0ES3_PKS6_PS6_S6_ZZZN2at6native31launch_logcumsumexp_cuda_kernelERKNSD_10TensorBaseESH_lENKUlvE_clEvENKUlvE3_clEvEUlS6_S6_E_S6_EEDaPvRmT3_T4_T5_mT6_P12ihipStream_tbENKUlT_T0_E_clISt17integral_constantIbLb1EESX_IbLb0EEEEDaST_SU_EUlST_E_NS1_11comp_targetILNS1_3genE3ELNS1_11target_archE908ELNS1_3gpuE7ELNS1_3repE0EEENS1_30default_config_static_selectorELNS0_4arch9wavefront6targetE1EEEvT1_.num_named_barrier, 0
	.set _ZN7rocprim17ROCPRIM_400000_NS6detail17trampoline_kernelINS0_14default_configENS1_20scan_config_selectorIN3c104HalfEEEZZNS1_9scan_implILNS1_25lookback_scan_determinismE0ELb0ELb0ES3_PKS6_PS6_S6_ZZZN2at6native31launch_logcumsumexp_cuda_kernelERKNSD_10TensorBaseESH_lENKUlvE_clEvENKUlvE3_clEvEUlS6_S6_E_S6_EEDaPvRmT3_T4_T5_mT6_P12ihipStream_tbENKUlT_T0_E_clISt17integral_constantIbLb1EESX_IbLb0EEEEDaST_SU_EUlST_E_NS1_11comp_targetILNS1_3genE3ELNS1_11target_archE908ELNS1_3gpuE7ELNS1_3repE0EEENS1_30default_config_static_selectorELNS0_4arch9wavefront6targetE1EEEvT1_.private_seg_size, 0
	.set _ZN7rocprim17ROCPRIM_400000_NS6detail17trampoline_kernelINS0_14default_configENS1_20scan_config_selectorIN3c104HalfEEEZZNS1_9scan_implILNS1_25lookback_scan_determinismE0ELb0ELb0ES3_PKS6_PS6_S6_ZZZN2at6native31launch_logcumsumexp_cuda_kernelERKNSD_10TensorBaseESH_lENKUlvE_clEvENKUlvE3_clEvEUlS6_S6_E_S6_EEDaPvRmT3_T4_T5_mT6_P12ihipStream_tbENKUlT_T0_E_clISt17integral_constantIbLb1EESX_IbLb0EEEEDaST_SU_EUlST_E_NS1_11comp_targetILNS1_3genE3ELNS1_11target_archE908ELNS1_3gpuE7ELNS1_3repE0EEENS1_30default_config_static_selectorELNS0_4arch9wavefront6targetE1EEEvT1_.uses_vcc, 0
	.set _ZN7rocprim17ROCPRIM_400000_NS6detail17trampoline_kernelINS0_14default_configENS1_20scan_config_selectorIN3c104HalfEEEZZNS1_9scan_implILNS1_25lookback_scan_determinismE0ELb0ELb0ES3_PKS6_PS6_S6_ZZZN2at6native31launch_logcumsumexp_cuda_kernelERKNSD_10TensorBaseESH_lENKUlvE_clEvENKUlvE3_clEvEUlS6_S6_E_S6_EEDaPvRmT3_T4_T5_mT6_P12ihipStream_tbENKUlT_T0_E_clISt17integral_constantIbLb1EESX_IbLb0EEEEDaST_SU_EUlST_E_NS1_11comp_targetILNS1_3genE3ELNS1_11target_archE908ELNS1_3gpuE7ELNS1_3repE0EEENS1_30default_config_static_selectorELNS0_4arch9wavefront6targetE1EEEvT1_.uses_flat_scratch, 0
	.set _ZN7rocprim17ROCPRIM_400000_NS6detail17trampoline_kernelINS0_14default_configENS1_20scan_config_selectorIN3c104HalfEEEZZNS1_9scan_implILNS1_25lookback_scan_determinismE0ELb0ELb0ES3_PKS6_PS6_S6_ZZZN2at6native31launch_logcumsumexp_cuda_kernelERKNSD_10TensorBaseESH_lENKUlvE_clEvENKUlvE3_clEvEUlS6_S6_E_S6_EEDaPvRmT3_T4_T5_mT6_P12ihipStream_tbENKUlT_T0_E_clISt17integral_constantIbLb1EESX_IbLb0EEEEDaST_SU_EUlST_E_NS1_11comp_targetILNS1_3genE3ELNS1_11target_archE908ELNS1_3gpuE7ELNS1_3repE0EEENS1_30default_config_static_selectorELNS0_4arch9wavefront6targetE1EEEvT1_.has_dyn_sized_stack, 0
	.set _ZN7rocprim17ROCPRIM_400000_NS6detail17trampoline_kernelINS0_14default_configENS1_20scan_config_selectorIN3c104HalfEEEZZNS1_9scan_implILNS1_25lookback_scan_determinismE0ELb0ELb0ES3_PKS6_PS6_S6_ZZZN2at6native31launch_logcumsumexp_cuda_kernelERKNSD_10TensorBaseESH_lENKUlvE_clEvENKUlvE3_clEvEUlS6_S6_E_S6_EEDaPvRmT3_T4_T5_mT6_P12ihipStream_tbENKUlT_T0_E_clISt17integral_constantIbLb1EESX_IbLb0EEEEDaST_SU_EUlST_E_NS1_11comp_targetILNS1_3genE3ELNS1_11target_archE908ELNS1_3gpuE7ELNS1_3repE0EEENS1_30default_config_static_selectorELNS0_4arch9wavefront6targetE1EEEvT1_.has_recursion, 0
	.set _ZN7rocprim17ROCPRIM_400000_NS6detail17trampoline_kernelINS0_14default_configENS1_20scan_config_selectorIN3c104HalfEEEZZNS1_9scan_implILNS1_25lookback_scan_determinismE0ELb0ELb0ES3_PKS6_PS6_S6_ZZZN2at6native31launch_logcumsumexp_cuda_kernelERKNSD_10TensorBaseESH_lENKUlvE_clEvENKUlvE3_clEvEUlS6_S6_E_S6_EEDaPvRmT3_T4_T5_mT6_P12ihipStream_tbENKUlT_T0_E_clISt17integral_constantIbLb1EESX_IbLb0EEEEDaST_SU_EUlST_E_NS1_11comp_targetILNS1_3genE3ELNS1_11target_archE908ELNS1_3gpuE7ELNS1_3repE0EEENS1_30default_config_static_selectorELNS0_4arch9wavefront6targetE1EEEvT1_.has_indirect_call, 0
	.section	.AMDGPU.csdata,"",@progbits
; Kernel info:
; codeLenInByte = 0
; TotalNumSgprs: 4
; NumVgprs: 0
; ScratchSize: 0
; MemoryBound: 0
; FloatMode: 240
; IeeeMode: 1
; LDSByteSize: 0 bytes/workgroup (compile time only)
; SGPRBlocks: 0
; VGPRBlocks: 0
; NumSGPRsForWavesPerEU: 4
; NumVGPRsForWavesPerEU: 1
; Occupancy: 10
; WaveLimiterHint : 0
; COMPUTE_PGM_RSRC2:SCRATCH_EN: 0
; COMPUTE_PGM_RSRC2:USER_SGPR: 6
; COMPUTE_PGM_RSRC2:TRAP_HANDLER: 0
; COMPUTE_PGM_RSRC2:TGID_X_EN: 1
; COMPUTE_PGM_RSRC2:TGID_Y_EN: 0
; COMPUTE_PGM_RSRC2:TGID_Z_EN: 0
; COMPUTE_PGM_RSRC2:TIDIG_COMP_CNT: 0
	.section	.text._ZN7rocprim17ROCPRIM_400000_NS6detail17trampoline_kernelINS0_14default_configENS1_20scan_config_selectorIN3c104HalfEEEZZNS1_9scan_implILNS1_25lookback_scan_determinismE0ELb0ELb0ES3_PKS6_PS6_S6_ZZZN2at6native31launch_logcumsumexp_cuda_kernelERKNSD_10TensorBaseESH_lENKUlvE_clEvENKUlvE3_clEvEUlS6_S6_E_S6_EEDaPvRmT3_T4_T5_mT6_P12ihipStream_tbENKUlT_T0_E_clISt17integral_constantIbLb1EESX_IbLb0EEEEDaST_SU_EUlST_E_NS1_11comp_targetILNS1_3genE2ELNS1_11target_archE906ELNS1_3gpuE6ELNS1_3repE0EEENS1_30default_config_static_selectorELNS0_4arch9wavefront6targetE1EEEvT1_,"axG",@progbits,_ZN7rocprim17ROCPRIM_400000_NS6detail17trampoline_kernelINS0_14default_configENS1_20scan_config_selectorIN3c104HalfEEEZZNS1_9scan_implILNS1_25lookback_scan_determinismE0ELb0ELb0ES3_PKS6_PS6_S6_ZZZN2at6native31launch_logcumsumexp_cuda_kernelERKNSD_10TensorBaseESH_lENKUlvE_clEvENKUlvE3_clEvEUlS6_S6_E_S6_EEDaPvRmT3_T4_T5_mT6_P12ihipStream_tbENKUlT_T0_E_clISt17integral_constantIbLb1EESX_IbLb0EEEEDaST_SU_EUlST_E_NS1_11comp_targetILNS1_3genE2ELNS1_11target_archE906ELNS1_3gpuE6ELNS1_3repE0EEENS1_30default_config_static_selectorELNS0_4arch9wavefront6targetE1EEEvT1_,comdat
	.globl	_ZN7rocprim17ROCPRIM_400000_NS6detail17trampoline_kernelINS0_14default_configENS1_20scan_config_selectorIN3c104HalfEEEZZNS1_9scan_implILNS1_25lookback_scan_determinismE0ELb0ELb0ES3_PKS6_PS6_S6_ZZZN2at6native31launch_logcumsumexp_cuda_kernelERKNSD_10TensorBaseESH_lENKUlvE_clEvENKUlvE3_clEvEUlS6_S6_E_S6_EEDaPvRmT3_T4_T5_mT6_P12ihipStream_tbENKUlT_T0_E_clISt17integral_constantIbLb1EESX_IbLb0EEEEDaST_SU_EUlST_E_NS1_11comp_targetILNS1_3genE2ELNS1_11target_archE906ELNS1_3gpuE6ELNS1_3repE0EEENS1_30default_config_static_selectorELNS0_4arch9wavefront6targetE1EEEvT1_ ; -- Begin function _ZN7rocprim17ROCPRIM_400000_NS6detail17trampoline_kernelINS0_14default_configENS1_20scan_config_selectorIN3c104HalfEEEZZNS1_9scan_implILNS1_25lookback_scan_determinismE0ELb0ELb0ES3_PKS6_PS6_S6_ZZZN2at6native31launch_logcumsumexp_cuda_kernelERKNSD_10TensorBaseESH_lENKUlvE_clEvENKUlvE3_clEvEUlS6_S6_E_S6_EEDaPvRmT3_T4_T5_mT6_P12ihipStream_tbENKUlT_T0_E_clISt17integral_constantIbLb1EESX_IbLb0EEEEDaST_SU_EUlST_E_NS1_11comp_targetILNS1_3genE2ELNS1_11target_archE906ELNS1_3gpuE6ELNS1_3repE0EEENS1_30default_config_static_selectorELNS0_4arch9wavefront6targetE1EEEvT1_
	.p2align	8
	.type	_ZN7rocprim17ROCPRIM_400000_NS6detail17trampoline_kernelINS0_14default_configENS1_20scan_config_selectorIN3c104HalfEEEZZNS1_9scan_implILNS1_25lookback_scan_determinismE0ELb0ELb0ES3_PKS6_PS6_S6_ZZZN2at6native31launch_logcumsumexp_cuda_kernelERKNSD_10TensorBaseESH_lENKUlvE_clEvENKUlvE3_clEvEUlS6_S6_E_S6_EEDaPvRmT3_T4_T5_mT6_P12ihipStream_tbENKUlT_T0_E_clISt17integral_constantIbLb1EESX_IbLb0EEEEDaST_SU_EUlST_E_NS1_11comp_targetILNS1_3genE2ELNS1_11target_archE906ELNS1_3gpuE6ELNS1_3repE0EEENS1_30default_config_static_selectorELNS0_4arch9wavefront6targetE1EEEvT1_,@function
_ZN7rocprim17ROCPRIM_400000_NS6detail17trampoline_kernelINS0_14default_configENS1_20scan_config_selectorIN3c104HalfEEEZZNS1_9scan_implILNS1_25lookback_scan_determinismE0ELb0ELb0ES3_PKS6_PS6_S6_ZZZN2at6native31launch_logcumsumexp_cuda_kernelERKNSD_10TensorBaseESH_lENKUlvE_clEvENKUlvE3_clEvEUlS6_S6_E_S6_EEDaPvRmT3_T4_T5_mT6_P12ihipStream_tbENKUlT_T0_E_clISt17integral_constantIbLb1EESX_IbLb0EEEEDaST_SU_EUlST_E_NS1_11comp_targetILNS1_3genE2ELNS1_11target_archE906ELNS1_3gpuE6ELNS1_3repE0EEENS1_30default_config_static_selectorELNS0_4arch9wavefront6targetE1EEEvT1_: ; @_ZN7rocprim17ROCPRIM_400000_NS6detail17trampoline_kernelINS0_14default_configENS1_20scan_config_selectorIN3c104HalfEEEZZNS1_9scan_implILNS1_25lookback_scan_determinismE0ELb0ELb0ES3_PKS6_PS6_S6_ZZZN2at6native31launch_logcumsumexp_cuda_kernelERKNSD_10TensorBaseESH_lENKUlvE_clEvENKUlvE3_clEvEUlS6_S6_E_S6_EEDaPvRmT3_T4_T5_mT6_P12ihipStream_tbENKUlT_T0_E_clISt17integral_constantIbLb1EESX_IbLb0EEEEDaST_SU_EUlST_E_NS1_11comp_targetILNS1_3genE2ELNS1_11target_archE906ELNS1_3gpuE6ELNS1_3repE0EEENS1_30default_config_static_selectorELNS0_4arch9wavefront6targetE1EEEvT1_
; %bb.0:
	s_endpgm
	.section	.rodata,"a",@progbits
	.p2align	6, 0x0
	.amdhsa_kernel _ZN7rocprim17ROCPRIM_400000_NS6detail17trampoline_kernelINS0_14default_configENS1_20scan_config_selectorIN3c104HalfEEEZZNS1_9scan_implILNS1_25lookback_scan_determinismE0ELb0ELb0ES3_PKS6_PS6_S6_ZZZN2at6native31launch_logcumsumexp_cuda_kernelERKNSD_10TensorBaseESH_lENKUlvE_clEvENKUlvE3_clEvEUlS6_S6_E_S6_EEDaPvRmT3_T4_T5_mT6_P12ihipStream_tbENKUlT_T0_E_clISt17integral_constantIbLb1EESX_IbLb0EEEEDaST_SU_EUlST_E_NS1_11comp_targetILNS1_3genE2ELNS1_11target_archE906ELNS1_3gpuE6ELNS1_3repE0EEENS1_30default_config_static_selectorELNS0_4arch9wavefront6targetE1EEEvT1_
		.amdhsa_group_segment_fixed_size 0
		.amdhsa_private_segment_fixed_size 0
		.amdhsa_kernarg_size 96
		.amdhsa_user_sgpr_count 6
		.amdhsa_user_sgpr_private_segment_buffer 1
		.amdhsa_user_sgpr_dispatch_ptr 0
		.amdhsa_user_sgpr_queue_ptr 0
		.amdhsa_user_sgpr_kernarg_segment_ptr 1
		.amdhsa_user_sgpr_dispatch_id 0
		.amdhsa_user_sgpr_flat_scratch_init 0
		.amdhsa_user_sgpr_private_segment_size 0
		.amdhsa_uses_dynamic_stack 0
		.amdhsa_system_sgpr_private_segment_wavefront_offset 0
		.amdhsa_system_sgpr_workgroup_id_x 1
		.amdhsa_system_sgpr_workgroup_id_y 0
		.amdhsa_system_sgpr_workgroup_id_z 0
		.amdhsa_system_sgpr_workgroup_info 0
		.amdhsa_system_vgpr_workitem_id 0
		.amdhsa_next_free_vgpr 1
		.amdhsa_next_free_sgpr 0
		.amdhsa_reserve_vcc 0
		.amdhsa_reserve_flat_scratch 0
		.amdhsa_float_round_mode_32 0
		.amdhsa_float_round_mode_16_64 0
		.amdhsa_float_denorm_mode_32 3
		.amdhsa_float_denorm_mode_16_64 3
		.amdhsa_dx10_clamp 1
		.amdhsa_ieee_mode 1
		.amdhsa_fp16_overflow 0
		.amdhsa_exception_fp_ieee_invalid_op 0
		.amdhsa_exception_fp_denorm_src 0
		.amdhsa_exception_fp_ieee_div_zero 0
		.amdhsa_exception_fp_ieee_overflow 0
		.amdhsa_exception_fp_ieee_underflow 0
		.amdhsa_exception_fp_ieee_inexact 0
		.amdhsa_exception_int_div_zero 0
	.end_amdhsa_kernel
	.section	.text._ZN7rocprim17ROCPRIM_400000_NS6detail17trampoline_kernelINS0_14default_configENS1_20scan_config_selectorIN3c104HalfEEEZZNS1_9scan_implILNS1_25lookback_scan_determinismE0ELb0ELb0ES3_PKS6_PS6_S6_ZZZN2at6native31launch_logcumsumexp_cuda_kernelERKNSD_10TensorBaseESH_lENKUlvE_clEvENKUlvE3_clEvEUlS6_S6_E_S6_EEDaPvRmT3_T4_T5_mT6_P12ihipStream_tbENKUlT_T0_E_clISt17integral_constantIbLb1EESX_IbLb0EEEEDaST_SU_EUlST_E_NS1_11comp_targetILNS1_3genE2ELNS1_11target_archE906ELNS1_3gpuE6ELNS1_3repE0EEENS1_30default_config_static_selectorELNS0_4arch9wavefront6targetE1EEEvT1_,"axG",@progbits,_ZN7rocprim17ROCPRIM_400000_NS6detail17trampoline_kernelINS0_14default_configENS1_20scan_config_selectorIN3c104HalfEEEZZNS1_9scan_implILNS1_25lookback_scan_determinismE0ELb0ELb0ES3_PKS6_PS6_S6_ZZZN2at6native31launch_logcumsumexp_cuda_kernelERKNSD_10TensorBaseESH_lENKUlvE_clEvENKUlvE3_clEvEUlS6_S6_E_S6_EEDaPvRmT3_T4_T5_mT6_P12ihipStream_tbENKUlT_T0_E_clISt17integral_constantIbLb1EESX_IbLb0EEEEDaST_SU_EUlST_E_NS1_11comp_targetILNS1_3genE2ELNS1_11target_archE906ELNS1_3gpuE6ELNS1_3repE0EEENS1_30default_config_static_selectorELNS0_4arch9wavefront6targetE1EEEvT1_,comdat
.Lfunc_end401:
	.size	_ZN7rocprim17ROCPRIM_400000_NS6detail17trampoline_kernelINS0_14default_configENS1_20scan_config_selectorIN3c104HalfEEEZZNS1_9scan_implILNS1_25lookback_scan_determinismE0ELb0ELb0ES3_PKS6_PS6_S6_ZZZN2at6native31launch_logcumsumexp_cuda_kernelERKNSD_10TensorBaseESH_lENKUlvE_clEvENKUlvE3_clEvEUlS6_S6_E_S6_EEDaPvRmT3_T4_T5_mT6_P12ihipStream_tbENKUlT_T0_E_clISt17integral_constantIbLb1EESX_IbLb0EEEEDaST_SU_EUlST_E_NS1_11comp_targetILNS1_3genE2ELNS1_11target_archE906ELNS1_3gpuE6ELNS1_3repE0EEENS1_30default_config_static_selectorELNS0_4arch9wavefront6targetE1EEEvT1_, .Lfunc_end401-_ZN7rocprim17ROCPRIM_400000_NS6detail17trampoline_kernelINS0_14default_configENS1_20scan_config_selectorIN3c104HalfEEEZZNS1_9scan_implILNS1_25lookback_scan_determinismE0ELb0ELb0ES3_PKS6_PS6_S6_ZZZN2at6native31launch_logcumsumexp_cuda_kernelERKNSD_10TensorBaseESH_lENKUlvE_clEvENKUlvE3_clEvEUlS6_S6_E_S6_EEDaPvRmT3_T4_T5_mT6_P12ihipStream_tbENKUlT_T0_E_clISt17integral_constantIbLb1EESX_IbLb0EEEEDaST_SU_EUlST_E_NS1_11comp_targetILNS1_3genE2ELNS1_11target_archE906ELNS1_3gpuE6ELNS1_3repE0EEENS1_30default_config_static_selectorELNS0_4arch9wavefront6targetE1EEEvT1_
                                        ; -- End function
	.set _ZN7rocprim17ROCPRIM_400000_NS6detail17trampoline_kernelINS0_14default_configENS1_20scan_config_selectorIN3c104HalfEEEZZNS1_9scan_implILNS1_25lookback_scan_determinismE0ELb0ELb0ES3_PKS6_PS6_S6_ZZZN2at6native31launch_logcumsumexp_cuda_kernelERKNSD_10TensorBaseESH_lENKUlvE_clEvENKUlvE3_clEvEUlS6_S6_E_S6_EEDaPvRmT3_T4_T5_mT6_P12ihipStream_tbENKUlT_T0_E_clISt17integral_constantIbLb1EESX_IbLb0EEEEDaST_SU_EUlST_E_NS1_11comp_targetILNS1_3genE2ELNS1_11target_archE906ELNS1_3gpuE6ELNS1_3repE0EEENS1_30default_config_static_selectorELNS0_4arch9wavefront6targetE1EEEvT1_.num_vgpr, 0
	.set _ZN7rocprim17ROCPRIM_400000_NS6detail17trampoline_kernelINS0_14default_configENS1_20scan_config_selectorIN3c104HalfEEEZZNS1_9scan_implILNS1_25lookback_scan_determinismE0ELb0ELb0ES3_PKS6_PS6_S6_ZZZN2at6native31launch_logcumsumexp_cuda_kernelERKNSD_10TensorBaseESH_lENKUlvE_clEvENKUlvE3_clEvEUlS6_S6_E_S6_EEDaPvRmT3_T4_T5_mT6_P12ihipStream_tbENKUlT_T0_E_clISt17integral_constantIbLb1EESX_IbLb0EEEEDaST_SU_EUlST_E_NS1_11comp_targetILNS1_3genE2ELNS1_11target_archE906ELNS1_3gpuE6ELNS1_3repE0EEENS1_30default_config_static_selectorELNS0_4arch9wavefront6targetE1EEEvT1_.num_agpr, 0
	.set _ZN7rocprim17ROCPRIM_400000_NS6detail17trampoline_kernelINS0_14default_configENS1_20scan_config_selectorIN3c104HalfEEEZZNS1_9scan_implILNS1_25lookback_scan_determinismE0ELb0ELb0ES3_PKS6_PS6_S6_ZZZN2at6native31launch_logcumsumexp_cuda_kernelERKNSD_10TensorBaseESH_lENKUlvE_clEvENKUlvE3_clEvEUlS6_S6_E_S6_EEDaPvRmT3_T4_T5_mT6_P12ihipStream_tbENKUlT_T0_E_clISt17integral_constantIbLb1EESX_IbLb0EEEEDaST_SU_EUlST_E_NS1_11comp_targetILNS1_3genE2ELNS1_11target_archE906ELNS1_3gpuE6ELNS1_3repE0EEENS1_30default_config_static_selectorELNS0_4arch9wavefront6targetE1EEEvT1_.numbered_sgpr, 0
	.set _ZN7rocprim17ROCPRIM_400000_NS6detail17trampoline_kernelINS0_14default_configENS1_20scan_config_selectorIN3c104HalfEEEZZNS1_9scan_implILNS1_25lookback_scan_determinismE0ELb0ELb0ES3_PKS6_PS6_S6_ZZZN2at6native31launch_logcumsumexp_cuda_kernelERKNSD_10TensorBaseESH_lENKUlvE_clEvENKUlvE3_clEvEUlS6_S6_E_S6_EEDaPvRmT3_T4_T5_mT6_P12ihipStream_tbENKUlT_T0_E_clISt17integral_constantIbLb1EESX_IbLb0EEEEDaST_SU_EUlST_E_NS1_11comp_targetILNS1_3genE2ELNS1_11target_archE906ELNS1_3gpuE6ELNS1_3repE0EEENS1_30default_config_static_selectorELNS0_4arch9wavefront6targetE1EEEvT1_.num_named_barrier, 0
	.set _ZN7rocprim17ROCPRIM_400000_NS6detail17trampoline_kernelINS0_14default_configENS1_20scan_config_selectorIN3c104HalfEEEZZNS1_9scan_implILNS1_25lookback_scan_determinismE0ELb0ELb0ES3_PKS6_PS6_S6_ZZZN2at6native31launch_logcumsumexp_cuda_kernelERKNSD_10TensorBaseESH_lENKUlvE_clEvENKUlvE3_clEvEUlS6_S6_E_S6_EEDaPvRmT3_T4_T5_mT6_P12ihipStream_tbENKUlT_T0_E_clISt17integral_constantIbLb1EESX_IbLb0EEEEDaST_SU_EUlST_E_NS1_11comp_targetILNS1_3genE2ELNS1_11target_archE906ELNS1_3gpuE6ELNS1_3repE0EEENS1_30default_config_static_selectorELNS0_4arch9wavefront6targetE1EEEvT1_.private_seg_size, 0
	.set _ZN7rocprim17ROCPRIM_400000_NS6detail17trampoline_kernelINS0_14default_configENS1_20scan_config_selectorIN3c104HalfEEEZZNS1_9scan_implILNS1_25lookback_scan_determinismE0ELb0ELb0ES3_PKS6_PS6_S6_ZZZN2at6native31launch_logcumsumexp_cuda_kernelERKNSD_10TensorBaseESH_lENKUlvE_clEvENKUlvE3_clEvEUlS6_S6_E_S6_EEDaPvRmT3_T4_T5_mT6_P12ihipStream_tbENKUlT_T0_E_clISt17integral_constantIbLb1EESX_IbLb0EEEEDaST_SU_EUlST_E_NS1_11comp_targetILNS1_3genE2ELNS1_11target_archE906ELNS1_3gpuE6ELNS1_3repE0EEENS1_30default_config_static_selectorELNS0_4arch9wavefront6targetE1EEEvT1_.uses_vcc, 0
	.set _ZN7rocprim17ROCPRIM_400000_NS6detail17trampoline_kernelINS0_14default_configENS1_20scan_config_selectorIN3c104HalfEEEZZNS1_9scan_implILNS1_25lookback_scan_determinismE0ELb0ELb0ES3_PKS6_PS6_S6_ZZZN2at6native31launch_logcumsumexp_cuda_kernelERKNSD_10TensorBaseESH_lENKUlvE_clEvENKUlvE3_clEvEUlS6_S6_E_S6_EEDaPvRmT3_T4_T5_mT6_P12ihipStream_tbENKUlT_T0_E_clISt17integral_constantIbLb1EESX_IbLb0EEEEDaST_SU_EUlST_E_NS1_11comp_targetILNS1_3genE2ELNS1_11target_archE906ELNS1_3gpuE6ELNS1_3repE0EEENS1_30default_config_static_selectorELNS0_4arch9wavefront6targetE1EEEvT1_.uses_flat_scratch, 0
	.set _ZN7rocprim17ROCPRIM_400000_NS6detail17trampoline_kernelINS0_14default_configENS1_20scan_config_selectorIN3c104HalfEEEZZNS1_9scan_implILNS1_25lookback_scan_determinismE0ELb0ELb0ES3_PKS6_PS6_S6_ZZZN2at6native31launch_logcumsumexp_cuda_kernelERKNSD_10TensorBaseESH_lENKUlvE_clEvENKUlvE3_clEvEUlS6_S6_E_S6_EEDaPvRmT3_T4_T5_mT6_P12ihipStream_tbENKUlT_T0_E_clISt17integral_constantIbLb1EESX_IbLb0EEEEDaST_SU_EUlST_E_NS1_11comp_targetILNS1_3genE2ELNS1_11target_archE906ELNS1_3gpuE6ELNS1_3repE0EEENS1_30default_config_static_selectorELNS0_4arch9wavefront6targetE1EEEvT1_.has_dyn_sized_stack, 0
	.set _ZN7rocprim17ROCPRIM_400000_NS6detail17trampoline_kernelINS0_14default_configENS1_20scan_config_selectorIN3c104HalfEEEZZNS1_9scan_implILNS1_25lookback_scan_determinismE0ELb0ELb0ES3_PKS6_PS6_S6_ZZZN2at6native31launch_logcumsumexp_cuda_kernelERKNSD_10TensorBaseESH_lENKUlvE_clEvENKUlvE3_clEvEUlS6_S6_E_S6_EEDaPvRmT3_T4_T5_mT6_P12ihipStream_tbENKUlT_T0_E_clISt17integral_constantIbLb1EESX_IbLb0EEEEDaST_SU_EUlST_E_NS1_11comp_targetILNS1_3genE2ELNS1_11target_archE906ELNS1_3gpuE6ELNS1_3repE0EEENS1_30default_config_static_selectorELNS0_4arch9wavefront6targetE1EEEvT1_.has_recursion, 0
	.set _ZN7rocprim17ROCPRIM_400000_NS6detail17trampoline_kernelINS0_14default_configENS1_20scan_config_selectorIN3c104HalfEEEZZNS1_9scan_implILNS1_25lookback_scan_determinismE0ELb0ELb0ES3_PKS6_PS6_S6_ZZZN2at6native31launch_logcumsumexp_cuda_kernelERKNSD_10TensorBaseESH_lENKUlvE_clEvENKUlvE3_clEvEUlS6_S6_E_S6_EEDaPvRmT3_T4_T5_mT6_P12ihipStream_tbENKUlT_T0_E_clISt17integral_constantIbLb1EESX_IbLb0EEEEDaST_SU_EUlST_E_NS1_11comp_targetILNS1_3genE2ELNS1_11target_archE906ELNS1_3gpuE6ELNS1_3repE0EEENS1_30default_config_static_selectorELNS0_4arch9wavefront6targetE1EEEvT1_.has_indirect_call, 0
	.section	.AMDGPU.csdata,"",@progbits
; Kernel info:
; codeLenInByte = 4
; TotalNumSgprs: 4
; NumVgprs: 0
; ScratchSize: 0
; MemoryBound: 0
; FloatMode: 240
; IeeeMode: 1
; LDSByteSize: 0 bytes/workgroup (compile time only)
; SGPRBlocks: 0
; VGPRBlocks: 0
; NumSGPRsForWavesPerEU: 4
; NumVGPRsForWavesPerEU: 1
; Occupancy: 10
; WaveLimiterHint : 0
; COMPUTE_PGM_RSRC2:SCRATCH_EN: 0
; COMPUTE_PGM_RSRC2:USER_SGPR: 6
; COMPUTE_PGM_RSRC2:TRAP_HANDLER: 0
; COMPUTE_PGM_RSRC2:TGID_X_EN: 1
; COMPUTE_PGM_RSRC2:TGID_Y_EN: 0
; COMPUTE_PGM_RSRC2:TGID_Z_EN: 0
; COMPUTE_PGM_RSRC2:TIDIG_COMP_CNT: 0
	.section	.text._ZN7rocprim17ROCPRIM_400000_NS6detail17trampoline_kernelINS0_14default_configENS1_20scan_config_selectorIN3c104HalfEEEZZNS1_9scan_implILNS1_25lookback_scan_determinismE0ELb0ELb0ES3_PKS6_PS6_S6_ZZZN2at6native31launch_logcumsumexp_cuda_kernelERKNSD_10TensorBaseESH_lENKUlvE_clEvENKUlvE3_clEvEUlS6_S6_E_S6_EEDaPvRmT3_T4_T5_mT6_P12ihipStream_tbENKUlT_T0_E_clISt17integral_constantIbLb1EESX_IbLb0EEEEDaST_SU_EUlST_E_NS1_11comp_targetILNS1_3genE10ELNS1_11target_archE1201ELNS1_3gpuE5ELNS1_3repE0EEENS1_30default_config_static_selectorELNS0_4arch9wavefront6targetE1EEEvT1_,"axG",@progbits,_ZN7rocprim17ROCPRIM_400000_NS6detail17trampoline_kernelINS0_14default_configENS1_20scan_config_selectorIN3c104HalfEEEZZNS1_9scan_implILNS1_25lookback_scan_determinismE0ELb0ELb0ES3_PKS6_PS6_S6_ZZZN2at6native31launch_logcumsumexp_cuda_kernelERKNSD_10TensorBaseESH_lENKUlvE_clEvENKUlvE3_clEvEUlS6_S6_E_S6_EEDaPvRmT3_T4_T5_mT6_P12ihipStream_tbENKUlT_T0_E_clISt17integral_constantIbLb1EESX_IbLb0EEEEDaST_SU_EUlST_E_NS1_11comp_targetILNS1_3genE10ELNS1_11target_archE1201ELNS1_3gpuE5ELNS1_3repE0EEENS1_30default_config_static_selectorELNS0_4arch9wavefront6targetE1EEEvT1_,comdat
	.globl	_ZN7rocprim17ROCPRIM_400000_NS6detail17trampoline_kernelINS0_14default_configENS1_20scan_config_selectorIN3c104HalfEEEZZNS1_9scan_implILNS1_25lookback_scan_determinismE0ELb0ELb0ES3_PKS6_PS6_S6_ZZZN2at6native31launch_logcumsumexp_cuda_kernelERKNSD_10TensorBaseESH_lENKUlvE_clEvENKUlvE3_clEvEUlS6_S6_E_S6_EEDaPvRmT3_T4_T5_mT6_P12ihipStream_tbENKUlT_T0_E_clISt17integral_constantIbLb1EESX_IbLb0EEEEDaST_SU_EUlST_E_NS1_11comp_targetILNS1_3genE10ELNS1_11target_archE1201ELNS1_3gpuE5ELNS1_3repE0EEENS1_30default_config_static_selectorELNS0_4arch9wavefront6targetE1EEEvT1_ ; -- Begin function _ZN7rocprim17ROCPRIM_400000_NS6detail17trampoline_kernelINS0_14default_configENS1_20scan_config_selectorIN3c104HalfEEEZZNS1_9scan_implILNS1_25lookback_scan_determinismE0ELb0ELb0ES3_PKS6_PS6_S6_ZZZN2at6native31launch_logcumsumexp_cuda_kernelERKNSD_10TensorBaseESH_lENKUlvE_clEvENKUlvE3_clEvEUlS6_S6_E_S6_EEDaPvRmT3_T4_T5_mT6_P12ihipStream_tbENKUlT_T0_E_clISt17integral_constantIbLb1EESX_IbLb0EEEEDaST_SU_EUlST_E_NS1_11comp_targetILNS1_3genE10ELNS1_11target_archE1201ELNS1_3gpuE5ELNS1_3repE0EEENS1_30default_config_static_selectorELNS0_4arch9wavefront6targetE1EEEvT1_
	.p2align	8
	.type	_ZN7rocprim17ROCPRIM_400000_NS6detail17trampoline_kernelINS0_14default_configENS1_20scan_config_selectorIN3c104HalfEEEZZNS1_9scan_implILNS1_25lookback_scan_determinismE0ELb0ELb0ES3_PKS6_PS6_S6_ZZZN2at6native31launch_logcumsumexp_cuda_kernelERKNSD_10TensorBaseESH_lENKUlvE_clEvENKUlvE3_clEvEUlS6_S6_E_S6_EEDaPvRmT3_T4_T5_mT6_P12ihipStream_tbENKUlT_T0_E_clISt17integral_constantIbLb1EESX_IbLb0EEEEDaST_SU_EUlST_E_NS1_11comp_targetILNS1_3genE10ELNS1_11target_archE1201ELNS1_3gpuE5ELNS1_3repE0EEENS1_30default_config_static_selectorELNS0_4arch9wavefront6targetE1EEEvT1_,@function
_ZN7rocprim17ROCPRIM_400000_NS6detail17trampoline_kernelINS0_14default_configENS1_20scan_config_selectorIN3c104HalfEEEZZNS1_9scan_implILNS1_25lookback_scan_determinismE0ELb0ELb0ES3_PKS6_PS6_S6_ZZZN2at6native31launch_logcumsumexp_cuda_kernelERKNSD_10TensorBaseESH_lENKUlvE_clEvENKUlvE3_clEvEUlS6_S6_E_S6_EEDaPvRmT3_T4_T5_mT6_P12ihipStream_tbENKUlT_T0_E_clISt17integral_constantIbLb1EESX_IbLb0EEEEDaST_SU_EUlST_E_NS1_11comp_targetILNS1_3genE10ELNS1_11target_archE1201ELNS1_3gpuE5ELNS1_3repE0EEENS1_30default_config_static_selectorELNS0_4arch9wavefront6targetE1EEEvT1_: ; @_ZN7rocprim17ROCPRIM_400000_NS6detail17trampoline_kernelINS0_14default_configENS1_20scan_config_selectorIN3c104HalfEEEZZNS1_9scan_implILNS1_25lookback_scan_determinismE0ELb0ELb0ES3_PKS6_PS6_S6_ZZZN2at6native31launch_logcumsumexp_cuda_kernelERKNSD_10TensorBaseESH_lENKUlvE_clEvENKUlvE3_clEvEUlS6_S6_E_S6_EEDaPvRmT3_T4_T5_mT6_P12ihipStream_tbENKUlT_T0_E_clISt17integral_constantIbLb1EESX_IbLb0EEEEDaST_SU_EUlST_E_NS1_11comp_targetILNS1_3genE10ELNS1_11target_archE1201ELNS1_3gpuE5ELNS1_3repE0EEENS1_30default_config_static_selectorELNS0_4arch9wavefront6targetE1EEEvT1_
; %bb.0:
	.section	.rodata,"a",@progbits
	.p2align	6, 0x0
	.amdhsa_kernel _ZN7rocprim17ROCPRIM_400000_NS6detail17trampoline_kernelINS0_14default_configENS1_20scan_config_selectorIN3c104HalfEEEZZNS1_9scan_implILNS1_25lookback_scan_determinismE0ELb0ELb0ES3_PKS6_PS6_S6_ZZZN2at6native31launch_logcumsumexp_cuda_kernelERKNSD_10TensorBaseESH_lENKUlvE_clEvENKUlvE3_clEvEUlS6_S6_E_S6_EEDaPvRmT3_T4_T5_mT6_P12ihipStream_tbENKUlT_T0_E_clISt17integral_constantIbLb1EESX_IbLb0EEEEDaST_SU_EUlST_E_NS1_11comp_targetILNS1_3genE10ELNS1_11target_archE1201ELNS1_3gpuE5ELNS1_3repE0EEENS1_30default_config_static_selectorELNS0_4arch9wavefront6targetE1EEEvT1_
		.amdhsa_group_segment_fixed_size 0
		.amdhsa_private_segment_fixed_size 0
		.amdhsa_kernarg_size 96
		.amdhsa_user_sgpr_count 6
		.amdhsa_user_sgpr_private_segment_buffer 1
		.amdhsa_user_sgpr_dispatch_ptr 0
		.amdhsa_user_sgpr_queue_ptr 0
		.amdhsa_user_sgpr_kernarg_segment_ptr 1
		.amdhsa_user_sgpr_dispatch_id 0
		.amdhsa_user_sgpr_flat_scratch_init 0
		.amdhsa_user_sgpr_private_segment_size 0
		.amdhsa_uses_dynamic_stack 0
		.amdhsa_system_sgpr_private_segment_wavefront_offset 0
		.amdhsa_system_sgpr_workgroup_id_x 1
		.amdhsa_system_sgpr_workgroup_id_y 0
		.amdhsa_system_sgpr_workgroup_id_z 0
		.amdhsa_system_sgpr_workgroup_info 0
		.amdhsa_system_vgpr_workitem_id 0
		.amdhsa_next_free_vgpr 1
		.amdhsa_next_free_sgpr 0
		.amdhsa_reserve_vcc 0
		.amdhsa_reserve_flat_scratch 0
		.amdhsa_float_round_mode_32 0
		.amdhsa_float_round_mode_16_64 0
		.amdhsa_float_denorm_mode_32 3
		.amdhsa_float_denorm_mode_16_64 3
		.amdhsa_dx10_clamp 1
		.amdhsa_ieee_mode 1
		.amdhsa_fp16_overflow 0
		.amdhsa_exception_fp_ieee_invalid_op 0
		.amdhsa_exception_fp_denorm_src 0
		.amdhsa_exception_fp_ieee_div_zero 0
		.amdhsa_exception_fp_ieee_overflow 0
		.amdhsa_exception_fp_ieee_underflow 0
		.amdhsa_exception_fp_ieee_inexact 0
		.amdhsa_exception_int_div_zero 0
	.end_amdhsa_kernel
	.section	.text._ZN7rocprim17ROCPRIM_400000_NS6detail17trampoline_kernelINS0_14default_configENS1_20scan_config_selectorIN3c104HalfEEEZZNS1_9scan_implILNS1_25lookback_scan_determinismE0ELb0ELb0ES3_PKS6_PS6_S6_ZZZN2at6native31launch_logcumsumexp_cuda_kernelERKNSD_10TensorBaseESH_lENKUlvE_clEvENKUlvE3_clEvEUlS6_S6_E_S6_EEDaPvRmT3_T4_T5_mT6_P12ihipStream_tbENKUlT_T0_E_clISt17integral_constantIbLb1EESX_IbLb0EEEEDaST_SU_EUlST_E_NS1_11comp_targetILNS1_3genE10ELNS1_11target_archE1201ELNS1_3gpuE5ELNS1_3repE0EEENS1_30default_config_static_selectorELNS0_4arch9wavefront6targetE1EEEvT1_,"axG",@progbits,_ZN7rocprim17ROCPRIM_400000_NS6detail17trampoline_kernelINS0_14default_configENS1_20scan_config_selectorIN3c104HalfEEEZZNS1_9scan_implILNS1_25lookback_scan_determinismE0ELb0ELb0ES3_PKS6_PS6_S6_ZZZN2at6native31launch_logcumsumexp_cuda_kernelERKNSD_10TensorBaseESH_lENKUlvE_clEvENKUlvE3_clEvEUlS6_S6_E_S6_EEDaPvRmT3_T4_T5_mT6_P12ihipStream_tbENKUlT_T0_E_clISt17integral_constantIbLb1EESX_IbLb0EEEEDaST_SU_EUlST_E_NS1_11comp_targetILNS1_3genE10ELNS1_11target_archE1201ELNS1_3gpuE5ELNS1_3repE0EEENS1_30default_config_static_selectorELNS0_4arch9wavefront6targetE1EEEvT1_,comdat
.Lfunc_end402:
	.size	_ZN7rocprim17ROCPRIM_400000_NS6detail17trampoline_kernelINS0_14default_configENS1_20scan_config_selectorIN3c104HalfEEEZZNS1_9scan_implILNS1_25lookback_scan_determinismE0ELb0ELb0ES3_PKS6_PS6_S6_ZZZN2at6native31launch_logcumsumexp_cuda_kernelERKNSD_10TensorBaseESH_lENKUlvE_clEvENKUlvE3_clEvEUlS6_S6_E_S6_EEDaPvRmT3_T4_T5_mT6_P12ihipStream_tbENKUlT_T0_E_clISt17integral_constantIbLb1EESX_IbLb0EEEEDaST_SU_EUlST_E_NS1_11comp_targetILNS1_3genE10ELNS1_11target_archE1201ELNS1_3gpuE5ELNS1_3repE0EEENS1_30default_config_static_selectorELNS0_4arch9wavefront6targetE1EEEvT1_, .Lfunc_end402-_ZN7rocprim17ROCPRIM_400000_NS6detail17trampoline_kernelINS0_14default_configENS1_20scan_config_selectorIN3c104HalfEEEZZNS1_9scan_implILNS1_25lookback_scan_determinismE0ELb0ELb0ES3_PKS6_PS6_S6_ZZZN2at6native31launch_logcumsumexp_cuda_kernelERKNSD_10TensorBaseESH_lENKUlvE_clEvENKUlvE3_clEvEUlS6_S6_E_S6_EEDaPvRmT3_T4_T5_mT6_P12ihipStream_tbENKUlT_T0_E_clISt17integral_constantIbLb1EESX_IbLb0EEEEDaST_SU_EUlST_E_NS1_11comp_targetILNS1_3genE10ELNS1_11target_archE1201ELNS1_3gpuE5ELNS1_3repE0EEENS1_30default_config_static_selectorELNS0_4arch9wavefront6targetE1EEEvT1_
                                        ; -- End function
	.set _ZN7rocprim17ROCPRIM_400000_NS6detail17trampoline_kernelINS0_14default_configENS1_20scan_config_selectorIN3c104HalfEEEZZNS1_9scan_implILNS1_25lookback_scan_determinismE0ELb0ELb0ES3_PKS6_PS6_S6_ZZZN2at6native31launch_logcumsumexp_cuda_kernelERKNSD_10TensorBaseESH_lENKUlvE_clEvENKUlvE3_clEvEUlS6_S6_E_S6_EEDaPvRmT3_T4_T5_mT6_P12ihipStream_tbENKUlT_T0_E_clISt17integral_constantIbLb1EESX_IbLb0EEEEDaST_SU_EUlST_E_NS1_11comp_targetILNS1_3genE10ELNS1_11target_archE1201ELNS1_3gpuE5ELNS1_3repE0EEENS1_30default_config_static_selectorELNS0_4arch9wavefront6targetE1EEEvT1_.num_vgpr, 0
	.set _ZN7rocprim17ROCPRIM_400000_NS6detail17trampoline_kernelINS0_14default_configENS1_20scan_config_selectorIN3c104HalfEEEZZNS1_9scan_implILNS1_25lookback_scan_determinismE0ELb0ELb0ES3_PKS6_PS6_S6_ZZZN2at6native31launch_logcumsumexp_cuda_kernelERKNSD_10TensorBaseESH_lENKUlvE_clEvENKUlvE3_clEvEUlS6_S6_E_S6_EEDaPvRmT3_T4_T5_mT6_P12ihipStream_tbENKUlT_T0_E_clISt17integral_constantIbLb1EESX_IbLb0EEEEDaST_SU_EUlST_E_NS1_11comp_targetILNS1_3genE10ELNS1_11target_archE1201ELNS1_3gpuE5ELNS1_3repE0EEENS1_30default_config_static_selectorELNS0_4arch9wavefront6targetE1EEEvT1_.num_agpr, 0
	.set _ZN7rocprim17ROCPRIM_400000_NS6detail17trampoline_kernelINS0_14default_configENS1_20scan_config_selectorIN3c104HalfEEEZZNS1_9scan_implILNS1_25lookback_scan_determinismE0ELb0ELb0ES3_PKS6_PS6_S6_ZZZN2at6native31launch_logcumsumexp_cuda_kernelERKNSD_10TensorBaseESH_lENKUlvE_clEvENKUlvE3_clEvEUlS6_S6_E_S6_EEDaPvRmT3_T4_T5_mT6_P12ihipStream_tbENKUlT_T0_E_clISt17integral_constantIbLb1EESX_IbLb0EEEEDaST_SU_EUlST_E_NS1_11comp_targetILNS1_3genE10ELNS1_11target_archE1201ELNS1_3gpuE5ELNS1_3repE0EEENS1_30default_config_static_selectorELNS0_4arch9wavefront6targetE1EEEvT1_.numbered_sgpr, 0
	.set _ZN7rocprim17ROCPRIM_400000_NS6detail17trampoline_kernelINS0_14default_configENS1_20scan_config_selectorIN3c104HalfEEEZZNS1_9scan_implILNS1_25lookback_scan_determinismE0ELb0ELb0ES3_PKS6_PS6_S6_ZZZN2at6native31launch_logcumsumexp_cuda_kernelERKNSD_10TensorBaseESH_lENKUlvE_clEvENKUlvE3_clEvEUlS6_S6_E_S6_EEDaPvRmT3_T4_T5_mT6_P12ihipStream_tbENKUlT_T0_E_clISt17integral_constantIbLb1EESX_IbLb0EEEEDaST_SU_EUlST_E_NS1_11comp_targetILNS1_3genE10ELNS1_11target_archE1201ELNS1_3gpuE5ELNS1_3repE0EEENS1_30default_config_static_selectorELNS0_4arch9wavefront6targetE1EEEvT1_.num_named_barrier, 0
	.set _ZN7rocprim17ROCPRIM_400000_NS6detail17trampoline_kernelINS0_14default_configENS1_20scan_config_selectorIN3c104HalfEEEZZNS1_9scan_implILNS1_25lookback_scan_determinismE0ELb0ELb0ES3_PKS6_PS6_S6_ZZZN2at6native31launch_logcumsumexp_cuda_kernelERKNSD_10TensorBaseESH_lENKUlvE_clEvENKUlvE3_clEvEUlS6_S6_E_S6_EEDaPvRmT3_T4_T5_mT6_P12ihipStream_tbENKUlT_T0_E_clISt17integral_constantIbLb1EESX_IbLb0EEEEDaST_SU_EUlST_E_NS1_11comp_targetILNS1_3genE10ELNS1_11target_archE1201ELNS1_3gpuE5ELNS1_3repE0EEENS1_30default_config_static_selectorELNS0_4arch9wavefront6targetE1EEEvT1_.private_seg_size, 0
	.set _ZN7rocprim17ROCPRIM_400000_NS6detail17trampoline_kernelINS0_14default_configENS1_20scan_config_selectorIN3c104HalfEEEZZNS1_9scan_implILNS1_25lookback_scan_determinismE0ELb0ELb0ES3_PKS6_PS6_S6_ZZZN2at6native31launch_logcumsumexp_cuda_kernelERKNSD_10TensorBaseESH_lENKUlvE_clEvENKUlvE3_clEvEUlS6_S6_E_S6_EEDaPvRmT3_T4_T5_mT6_P12ihipStream_tbENKUlT_T0_E_clISt17integral_constantIbLb1EESX_IbLb0EEEEDaST_SU_EUlST_E_NS1_11comp_targetILNS1_3genE10ELNS1_11target_archE1201ELNS1_3gpuE5ELNS1_3repE0EEENS1_30default_config_static_selectorELNS0_4arch9wavefront6targetE1EEEvT1_.uses_vcc, 0
	.set _ZN7rocprim17ROCPRIM_400000_NS6detail17trampoline_kernelINS0_14default_configENS1_20scan_config_selectorIN3c104HalfEEEZZNS1_9scan_implILNS1_25lookback_scan_determinismE0ELb0ELb0ES3_PKS6_PS6_S6_ZZZN2at6native31launch_logcumsumexp_cuda_kernelERKNSD_10TensorBaseESH_lENKUlvE_clEvENKUlvE3_clEvEUlS6_S6_E_S6_EEDaPvRmT3_T4_T5_mT6_P12ihipStream_tbENKUlT_T0_E_clISt17integral_constantIbLb1EESX_IbLb0EEEEDaST_SU_EUlST_E_NS1_11comp_targetILNS1_3genE10ELNS1_11target_archE1201ELNS1_3gpuE5ELNS1_3repE0EEENS1_30default_config_static_selectorELNS0_4arch9wavefront6targetE1EEEvT1_.uses_flat_scratch, 0
	.set _ZN7rocprim17ROCPRIM_400000_NS6detail17trampoline_kernelINS0_14default_configENS1_20scan_config_selectorIN3c104HalfEEEZZNS1_9scan_implILNS1_25lookback_scan_determinismE0ELb0ELb0ES3_PKS6_PS6_S6_ZZZN2at6native31launch_logcumsumexp_cuda_kernelERKNSD_10TensorBaseESH_lENKUlvE_clEvENKUlvE3_clEvEUlS6_S6_E_S6_EEDaPvRmT3_T4_T5_mT6_P12ihipStream_tbENKUlT_T0_E_clISt17integral_constantIbLb1EESX_IbLb0EEEEDaST_SU_EUlST_E_NS1_11comp_targetILNS1_3genE10ELNS1_11target_archE1201ELNS1_3gpuE5ELNS1_3repE0EEENS1_30default_config_static_selectorELNS0_4arch9wavefront6targetE1EEEvT1_.has_dyn_sized_stack, 0
	.set _ZN7rocprim17ROCPRIM_400000_NS6detail17trampoline_kernelINS0_14default_configENS1_20scan_config_selectorIN3c104HalfEEEZZNS1_9scan_implILNS1_25lookback_scan_determinismE0ELb0ELb0ES3_PKS6_PS6_S6_ZZZN2at6native31launch_logcumsumexp_cuda_kernelERKNSD_10TensorBaseESH_lENKUlvE_clEvENKUlvE3_clEvEUlS6_S6_E_S6_EEDaPvRmT3_T4_T5_mT6_P12ihipStream_tbENKUlT_T0_E_clISt17integral_constantIbLb1EESX_IbLb0EEEEDaST_SU_EUlST_E_NS1_11comp_targetILNS1_3genE10ELNS1_11target_archE1201ELNS1_3gpuE5ELNS1_3repE0EEENS1_30default_config_static_selectorELNS0_4arch9wavefront6targetE1EEEvT1_.has_recursion, 0
	.set _ZN7rocprim17ROCPRIM_400000_NS6detail17trampoline_kernelINS0_14default_configENS1_20scan_config_selectorIN3c104HalfEEEZZNS1_9scan_implILNS1_25lookback_scan_determinismE0ELb0ELb0ES3_PKS6_PS6_S6_ZZZN2at6native31launch_logcumsumexp_cuda_kernelERKNSD_10TensorBaseESH_lENKUlvE_clEvENKUlvE3_clEvEUlS6_S6_E_S6_EEDaPvRmT3_T4_T5_mT6_P12ihipStream_tbENKUlT_T0_E_clISt17integral_constantIbLb1EESX_IbLb0EEEEDaST_SU_EUlST_E_NS1_11comp_targetILNS1_3genE10ELNS1_11target_archE1201ELNS1_3gpuE5ELNS1_3repE0EEENS1_30default_config_static_selectorELNS0_4arch9wavefront6targetE1EEEvT1_.has_indirect_call, 0
	.section	.AMDGPU.csdata,"",@progbits
; Kernel info:
; codeLenInByte = 0
; TotalNumSgprs: 4
; NumVgprs: 0
; ScratchSize: 0
; MemoryBound: 0
; FloatMode: 240
; IeeeMode: 1
; LDSByteSize: 0 bytes/workgroup (compile time only)
; SGPRBlocks: 0
; VGPRBlocks: 0
; NumSGPRsForWavesPerEU: 4
; NumVGPRsForWavesPerEU: 1
; Occupancy: 10
; WaveLimiterHint : 0
; COMPUTE_PGM_RSRC2:SCRATCH_EN: 0
; COMPUTE_PGM_RSRC2:USER_SGPR: 6
; COMPUTE_PGM_RSRC2:TRAP_HANDLER: 0
; COMPUTE_PGM_RSRC2:TGID_X_EN: 1
; COMPUTE_PGM_RSRC2:TGID_Y_EN: 0
; COMPUTE_PGM_RSRC2:TGID_Z_EN: 0
; COMPUTE_PGM_RSRC2:TIDIG_COMP_CNT: 0
	.section	.text._ZN7rocprim17ROCPRIM_400000_NS6detail17trampoline_kernelINS0_14default_configENS1_20scan_config_selectorIN3c104HalfEEEZZNS1_9scan_implILNS1_25lookback_scan_determinismE0ELb0ELb0ES3_PKS6_PS6_S6_ZZZN2at6native31launch_logcumsumexp_cuda_kernelERKNSD_10TensorBaseESH_lENKUlvE_clEvENKUlvE3_clEvEUlS6_S6_E_S6_EEDaPvRmT3_T4_T5_mT6_P12ihipStream_tbENKUlT_T0_E_clISt17integral_constantIbLb1EESX_IbLb0EEEEDaST_SU_EUlST_E_NS1_11comp_targetILNS1_3genE10ELNS1_11target_archE1200ELNS1_3gpuE4ELNS1_3repE0EEENS1_30default_config_static_selectorELNS0_4arch9wavefront6targetE1EEEvT1_,"axG",@progbits,_ZN7rocprim17ROCPRIM_400000_NS6detail17trampoline_kernelINS0_14default_configENS1_20scan_config_selectorIN3c104HalfEEEZZNS1_9scan_implILNS1_25lookback_scan_determinismE0ELb0ELb0ES3_PKS6_PS6_S6_ZZZN2at6native31launch_logcumsumexp_cuda_kernelERKNSD_10TensorBaseESH_lENKUlvE_clEvENKUlvE3_clEvEUlS6_S6_E_S6_EEDaPvRmT3_T4_T5_mT6_P12ihipStream_tbENKUlT_T0_E_clISt17integral_constantIbLb1EESX_IbLb0EEEEDaST_SU_EUlST_E_NS1_11comp_targetILNS1_3genE10ELNS1_11target_archE1200ELNS1_3gpuE4ELNS1_3repE0EEENS1_30default_config_static_selectorELNS0_4arch9wavefront6targetE1EEEvT1_,comdat
	.globl	_ZN7rocprim17ROCPRIM_400000_NS6detail17trampoline_kernelINS0_14default_configENS1_20scan_config_selectorIN3c104HalfEEEZZNS1_9scan_implILNS1_25lookback_scan_determinismE0ELb0ELb0ES3_PKS6_PS6_S6_ZZZN2at6native31launch_logcumsumexp_cuda_kernelERKNSD_10TensorBaseESH_lENKUlvE_clEvENKUlvE3_clEvEUlS6_S6_E_S6_EEDaPvRmT3_T4_T5_mT6_P12ihipStream_tbENKUlT_T0_E_clISt17integral_constantIbLb1EESX_IbLb0EEEEDaST_SU_EUlST_E_NS1_11comp_targetILNS1_3genE10ELNS1_11target_archE1200ELNS1_3gpuE4ELNS1_3repE0EEENS1_30default_config_static_selectorELNS0_4arch9wavefront6targetE1EEEvT1_ ; -- Begin function _ZN7rocprim17ROCPRIM_400000_NS6detail17trampoline_kernelINS0_14default_configENS1_20scan_config_selectorIN3c104HalfEEEZZNS1_9scan_implILNS1_25lookback_scan_determinismE0ELb0ELb0ES3_PKS6_PS6_S6_ZZZN2at6native31launch_logcumsumexp_cuda_kernelERKNSD_10TensorBaseESH_lENKUlvE_clEvENKUlvE3_clEvEUlS6_S6_E_S6_EEDaPvRmT3_T4_T5_mT6_P12ihipStream_tbENKUlT_T0_E_clISt17integral_constantIbLb1EESX_IbLb0EEEEDaST_SU_EUlST_E_NS1_11comp_targetILNS1_3genE10ELNS1_11target_archE1200ELNS1_3gpuE4ELNS1_3repE0EEENS1_30default_config_static_selectorELNS0_4arch9wavefront6targetE1EEEvT1_
	.p2align	8
	.type	_ZN7rocprim17ROCPRIM_400000_NS6detail17trampoline_kernelINS0_14default_configENS1_20scan_config_selectorIN3c104HalfEEEZZNS1_9scan_implILNS1_25lookback_scan_determinismE0ELb0ELb0ES3_PKS6_PS6_S6_ZZZN2at6native31launch_logcumsumexp_cuda_kernelERKNSD_10TensorBaseESH_lENKUlvE_clEvENKUlvE3_clEvEUlS6_S6_E_S6_EEDaPvRmT3_T4_T5_mT6_P12ihipStream_tbENKUlT_T0_E_clISt17integral_constantIbLb1EESX_IbLb0EEEEDaST_SU_EUlST_E_NS1_11comp_targetILNS1_3genE10ELNS1_11target_archE1200ELNS1_3gpuE4ELNS1_3repE0EEENS1_30default_config_static_selectorELNS0_4arch9wavefront6targetE1EEEvT1_,@function
_ZN7rocprim17ROCPRIM_400000_NS6detail17trampoline_kernelINS0_14default_configENS1_20scan_config_selectorIN3c104HalfEEEZZNS1_9scan_implILNS1_25lookback_scan_determinismE0ELb0ELb0ES3_PKS6_PS6_S6_ZZZN2at6native31launch_logcumsumexp_cuda_kernelERKNSD_10TensorBaseESH_lENKUlvE_clEvENKUlvE3_clEvEUlS6_S6_E_S6_EEDaPvRmT3_T4_T5_mT6_P12ihipStream_tbENKUlT_T0_E_clISt17integral_constantIbLb1EESX_IbLb0EEEEDaST_SU_EUlST_E_NS1_11comp_targetILNS1_3genE10ELNS1_11target_archE1200ELNS1_3gpuE4ELNS1_3repE0EEENS1_30default_config_static_selectorELNS0_4arch9wavefront6targetE1EEEvT1_: ; @_ZN7rocprim17ROCPRIM_400000_NS6detail17trampoline_kernelINS0_14default_configENS1_20scan_config_selectorIN3c104HalfEEEZZNS1_9scan_implILNS1_25lookback_scan_determinismE0ELb0ELb0ES3_PKS6_PS6_S6_ZZZN2at6native31launch_logcumsumexp_cuda_kernelERKNSD_10TensorBaseESH_lENKUlvE_clEvENKUlvE3_clEvEUlS6_S6_E_S6_EEDaPvRmT3_T4_T5_mT6_P12ihipStream_tbENKUlT_T0_E_clISt17integral_constantIbLb1EESX_IbLb0EEEEDaST_SU_EUlST_E_NS1_11comp_targetILNS1_3genE10ELNS1_11target_archE1200ELNS1_3gpuE4ELNS1_3repE0EEENS1_30default_config_static_selectorELNS0_4arch9wavefront6targetE1EEEvT1_
; %bb.0:
	.section	.rodata,"a",@progbits
	.p2align	6, 0x0
	.amdhsa_kernel _ZN7rocprim17ROCPRIM_400000_NS6detail17trampoline_kernelINS0_14default_configENS1_20scan_config_selectorIN3c104HalfEEEZZNS1_9scan_implILNS1_25lookback_scan_determinismE0ELb0ELb0ES3_PKS6_PS6_S6_ZZZN2at6native31launch_logcumsumexp_cuda_kernelERKNSD_10TensorBaseESH_lENKUlvE_clEvENKUlvE3_clEvEUlS6_S6_E_S6_EEDaPvRmT3_T4_T5_mT6_P12ihipStream_tbENKUlT_T0_E_clISt17integral_constantIbLb1EESX_IbLb0EEEEDaST_SU_EUlST_E_NS1_11comp_targetILNS1_3genE10ELNS1_11target_archE1200ELNS1_3gpuE4ELNS1_3repE0EEENS1_30default_config_static_selectorELNS0_4arch9wavefront6targetE1EEEvT1_
		.amdhsa_group_segment_fixed_size 0
		.amdhsa_private_segment_fixed_size 0
		.amdhsa_kernarg_size 96
		.amdhsa_user_sgpr_count 6
		.amdhsa_user_sgpr_private_segment_buffer 1
		.amdhsa_user_sgpr_dispatch_ptr 0
		.amdhsa_user_sgpr_queue_ptr 0
		.amdhsa_user_sgpr_kernarg_segment_ptr 1
		.amdhsa_user_sgpr_dispatch_id 0
		.amdhsa_user_sgpr_flat_scratch_init 0
		.amdhsa_user_sgpr_private_segment_size 0
		.amdhsa_uses_dynamic_stack 0
		.amdhsa_system_sgpr_private_segment_wavefront_offset 0
		.amdhsa_system_sgpr_workgroup_id_x 1
		.amdhsa_system_sgpr_workgroup_id_y 0
		.amdhsa_system_sgpr_workgroup_id_z 0
		.amdhsa_system_sgpr_workgroup_info 0
		.amdhsa_system_vgpr_workitem_id 0
		.amdhsa_next_free_vgpr 1
		.amdhsa_next_free_sgpr 0
		.amdhsa_reserve_vcc 0
		.amdhsa_reserve_flat_scratch 0
		.amdhsa_float_round_mode_32 0
		.amdhsa_float_round_mode_16_64 0
		.amdhsa_float_denorm_mode_32 3
		.amdhsa_float_denorm_mode_16_64 3
		.amdhsa_dx10_clamp 1
		.amdhsa_ieee_mode 1
		.amdhsa_fp16_overflow 0
		.amdhsa_exception_fp_ieee_invalid_op 0
		.amdhsa_exception_fp_denorm_src 0
		.amdhsa_exception_fp_ieee_div_zero 0
		.amdhsa_exception_fp_ieee_overflow 0
		.amdhsa_exception_fp_ieee_underflow 0
		.amdhsa_exception_fp_ieee_inexact 0
		.amdhsa_exception_int_div_zero 0
	.end_amdhsa_kernel
	.section	.text._ZN7rocprim17ROCPRIM_400000_NS6detail17trampoline_kernelINS0_14default_configENS1_20scan_config_selectorIN3c104HalfEEEZZNS1_9scan_implILNS1_25lookback_scan_determinismE0ELb0ELb0ES3_PKS6_PS6_S6_ZZZN2at6native31launch_logcumsumexp_cuda_kernelERKNSD_10TensorBaseESH_lENKUlvE_clEvENKUlvE3_clEvEUlS6_S6_E_S6_EEDaPvRmT3_T4_T5_mT6_P12ihipStream_tbENKUlT_T0_E_clISt17integral_constantIbLb1EESX_IbLb0EEEEDaST_SU_EUlST_E_NS1_11comp_targetILNS1_3genE10ELNS1_11target_archE1200ELNS1_3gpuE4ELNS1_3repE0EEENS1_30default_config_static_selectorELNS0_4arch9wavefront6targetE1EEEvT1_,"axG",@progbits,_ZN7rocprim17ROCPRIM_400000_NS6detail17trampoline_kernelINS0_14default_configENS1_20scan_config_selectorIN3c104HalfEEEZZNS1_9scan_implILNS1_25lookback_scan_determinismE0ELb0ELb0ES3_PKS6_PS6_S6_ZZZN2at6native31launch_logcumsumexp_cuda_kernelERKNSD_10TensorBaseESH_lENKUlvE_clEvENKUlvE3_clEvEUlS6_S6_E_S6_EEDaPvRmT3_T4_T5_mT6_P12ihipStream_tbENKUlT_T0_E_clISt17integral_constantIbLb1EESX_IbLb0EEEEDaST_SU_EUlST_E_NS1_11comp_targetILNS1_3genE10ELNS1_11target_archE1200ELNS1_3gpuE4ELNS1_3repE0EEENS1_30default_config_static_selectorELNS0_4arch9wavefront6targetE1EEEvT1_,comdat
.Lfunc_end403:
	.size	_ZN7rocprim17ROCPRIM_400000_NS6detail17trampoline_kernelINS0_14default_configENS1_20scan_config_selectorIN3c104HalfEEEZZNS1_9scan_implILNS1_25lookback_scan_determinismE0ELb0ELb0ES3_PKS6_PS6_S6_ZZZN2at6native31launch_logcumsumexp_cuda_kernelERKNSD_10TensorBaseESH_lENKUlvE_clEvENKUlvE3_clEvEUlS6_S6_E_S6_EEDaPvRmT3_T4_T5_mT6_P12ihipStream_tbENKUlT_T0_E_clISt17integral_constantIbLb1EESX_IbLb0EEEEDaST_SU_EUlST_E_NS1_11comp_targetILNS1_3genE10ELNS1_11target_archE1200ELNS1_3gpuE4ELNS1_3repE0EEENS1_30default_config_static_selectorELNS0_4arch9wavefront6targetE1EEEvT1_, .Lfunc_end403-_ZN7rocprim17ROCPRIM_400000_NS6detail17trampoline_kernelINS0_14default_configENS1_20scan_config_selectorIN3c104HalfEEEZZNS1_9scan_implILNS1_25lookback_scan_determinismE0ELb0ELb0ES3_PKS6_PS6_S6_ZZZN2at6native31launch_logcumsumexp_cuda_kernelERKNSD_10TensorBaseESH_lENKUlvE_clEvENKUlvE3_clEvEUlS6_S6_E_S6_EEDaPvRmT3_T4_T5_mT6_P12ihipStream_tbENKUlT_T0_E_clISt17integral_constantIbLb1EESX_IbLb0EEEEDaST_SU_EUlST_E_NS1_11comp_targetILNS1_3genE10ELNS1_11target_archE1200ELNS1_3gpuE4ELNS1_3repE0EEENS1_30default_config_static_selectorELNS0_4arch9wavefront6targetE1EEEvT1_
                                        ; -- End function
	.set _ZN7rocprim17ROCPRIM_400000_NS6detail17trampoline_kernelINS0_14default_configENS1_20scan_config_selectorIN3c104HalfEEEZZNS1_9scan_implILNS1_25lookback_scan_determinismE0ELb0ELb0ES3_PKS6_PS6_S6_ZZZN2at6native31launch_logcumsumexp_cuda_kernelERKNSD_10TensorBaseESH_lENKUlvE_clEvENKUlvE3_clEvEUlS6_S6_E_S6_EEDaPvRmT3_T4_T5_mT6_P12ihipStream_tbENKUlT_T0_E_clISt17integral_constantIbLb1EESX_IbLb0EEEEDaST_SU_EUlST_E_NS1_11comp_targetILNS1_3genE10ELNS1_11target_archE1200ELNS1_3gpuE4ELNS1_3repE0EEENS1_30default_config_static_selectorELNS0_4arch9wavefront6targetE1EEEvT1_.num_vgpr, 0
	.set _ZN7rocprim17ROCPRIM_400000_NS6detail17trampoline_kernelINS0_14default_configENS1_20scan_config_selectorIN3c104HalfEEEZZNS1_9scan_implILNS1_25lookback_scan_determinismE0ELb0ELb0ES3_PKS6_PS6_S6_ZZZN2at6native31launch_logcumsumexp_cuda_kernelERKNSD_10TensorBaseESH_lENKUlvE_clEvENKUlvE3_clEvEUlS6_S6_E_S6_EEDaPvRmT3_T4_T5_mT6_P12ihipStream_tbENKUlT_T0_E_clISt17integral_constantIbLb1EESX_IbLb0EEEEDaST_SU_EUlST_E_NS1_11comp_targetILNS1_3genE10ELNS1_11target_archE1200ELNS1_3gpuE4ELNS1_3repE0EEENS1_30default_config_static_selectorELNS0_4arch9wavefront6targetE1EEEvT1_.num_agpr, 0
	.set _ZN7rocprim17ROCPRIM_400000_NS6detail17trampoline_kernelINS0_14default_configENS1_20scan_config_selectorIN3c104HalfEEEZZNS1_9scan_implILNS1_25lookback_scan_determinismE0ELb0ELb0ES3_PKS6_PS6_S6_ZZZN2at6native31launch_logcumsumexp_cuda_kernelERKNSD_10TensorBaseESH_lENKUlvE_clEvENKUlvE3_clEvEUlS6_S6_E_S6_EEDaPvRmT3_T4_T5_mT6_P12ihipStream_tbENKUlT_T0_E_clISt17integral_constantIbLb1EESX_IbLb0EEEEDaST_SU_EUlST_E_NS1_11comp_targetILNS1_3genE10ELNS1_11target_archE1200ELNS1_3gpuE4ELNS1_3repE0EEENS1_30default_config_static_selectorELNS0_4arch9wavefront6targetE1EEEvT1_.numbered_sgpr, 0
	.set _ZN7rocprim17ROCPRIM_400000_NS6detail17trampoline_kernelINS0_14default_configENS1_20scan_config_selectorIN3c104HalfEEEZZNS1_9scan_implILNS1_25lookback_scan_determinismE0ELb0ELb0ES3_PKS6_PS6_S6_ZZZN2at6native31launch_logcumsumexp_cuda_kernelERKNSD_10TensorBaseESH_lENKUlvE_clEvENKUlvE3_clEvEUlS6_S6_E_S6_EEDaPvRmT3_T4_T5_mT6_P12ihipStream_tbENKUlT_T0_E_clISt17integral_constantIbLb1EESX_IbLb0EEEEDaST_SU_EUlST_E_NS1_11comp_targetILNS1_3genE10ELNS1_11target_archE1200ELNS1_3gpuE4ELNS1_3repE0EEENS1_30default_config_static_selectorELNS0_4arch9wavefront6targetE1EEEvT1_.num_named_barrier, 0
	.set _ZN7rocprim17ROCPRIM_400000_NS6detail17trampoline_kernelINS0_14default_configENS1_20scan_config_selectorIN3c104HalfEEEZZNS1_9scan_implILNS1_25lookback_scan_determinismE0ELb0ELb0ES3_PKS6_PS6_S6_ZZZN2at6native31launch_logcumsumexp_cuda_kernelERKNSD_10TensorBaseESH_lENKUlvE_clEvENKUlvE3_clEvEUlS6_S6_E_S6_EEDaPvRmT3_T4_T5_mT6_P12ihipStream_tbENKUlT_T0_E_clISt17integral_constantIbLb1EESX_IbLb0EEEEDaST_SU_EUlST_E_NS1_11comp_targetILNS1_3genE10ELNS1_11target_archE1200ELNS1_3gpuE4ELNS1_3repE0EEENS1_30default_config_static_selectorELNS0_4arch9wavefront6targetE1EEEvT1_.private_seg_size, 0
	.set _ZN7rocprim17ROCPRIM_400000_NS6detail17trampoline_kernelINS0_14default_configENS1_20scan_config_selectorIN3c104HalfEEEZZNS1_9scan_implILNS1_25lookback_scan_determinismE0ELb0ELb0ES3_PKS6_PS6_S6_ZZZN2at6native31launch_logcumsumexp_cuda_kernelERKNSD_10TensorBaseESH_lENKUlvE_clEvENKUlvE3_clEvEUlS6_S6_E_S6_EEDaPvRmT3_T4_T5_mT6_P12ihipStream_tbENKUlT_T0_E_clISt17integral_constantIbLb1EESX_IbLb0EEEEDaST_SU_EUlST_E_NS1_11comp_targetILNS1_3genE10ELNS1_11target_archE1200ELNS1_3gpuE4ELNS1_3repE0EEENS1_30default_config_static_selectorELNS0_4arch9wavefront6targetE1EEEvT1_.uses_vcc, 0
	.set _ZN7rocprim17ROCPRIM_400000_NS6detail17trampoline_kernelINS0_14default_configENS1_20scan_config_selectorIN3c104HalfEEEZZNS1_9scan_implILNS1_25lookback_scan_determinismE0ELb0ELb0ES3_PKS6_PS6_S6_ZZZN2at6native31launch_logcumsumexp_cuda_kernelERKNSD_10TensorBaseESH_lENKUlvE_clEvENKUlvE3_clEvEUlS6_S6_E_S6_EEDaPvRmT3_T4_T5_mT6_P12ihipStream_tbENKUlT_T0_E_clISt17integral_constantIbLb1EESX_IbLb0EEEEDaST_SU_EUlST_E_NS1_11comp_targetILNS1_3genE10ELNS1_11target_archE1200ELNS1_3gpuE4ELNS1_3repE0EEENS1_30default_config_static_selectorELNS0_4arch9wavefront6targetE1EEEvT1_.uses_flat_scratch, 0
	.set _ZN7rocprim17ROCPRIM_400000_NS6detail17trampoline_kernelINS0_14default_configENS1_20scan_config_selectorIN3c104HalfEEEZZNS1_9scan_implILNS1_25lookback_scan_determinismE0ELb0ELb0ES3_PKS6_PS6_S6_ZZZN2at6native31launch_logcumsumexp_cuda_kernelERKNSD_10TensorBaseESH_lENKUlvE_clEvENKUlvE3_clEvEUlS6_S6_E_S6_EEDaPvRmT3_T4_T5_mT6_P12ihipStream_tbENKUlT_T0_E_clISt17integral_constantIbLb1EESX_IbLb0EEEEDaST_SU_EUlST_E_NS1_11comp_targetILNS1_3genE10ELNS1_11target_archE1200ELNS1_3gpuE4ELNS1_3repE0EEENS1_30default_config_static_selectorELNS0_4arch9wavefront6targetE1EEEvT1_.has_dyn_sized_stack, 0
	.set _ZN7rocprim17ROCPRIM_400000_NS6detail17trampoline_kernelINS0_14default_configENS1_20scan_config_selectorIN3c104HalfEEEZZNS1_9scan_implILNS1_25lookback_scan_determinismE0ELb0ELb0ES3_PKS6_PS6_S6_ZZZN2at6native31launch_logcumsumexp_cuda_kernelERKNSD_10TensorBaseESH_lENKUlvE_clEvENKUlvE3_clEvEUlS6_S6_E_S6_EEDaPvRmT3_T4_T5_mT6_P12ihipStream_tbENKUlT_T0_E_clISt17integral_constantIbLb1EESX_IbLb0EEEEDaST_SU_EUlST_E_NS1_11comp_targetILNS1_3genE10ELNS1_11target_archE1200ELNS1_3gpuE4ELNS1_3repE0EEENS1_30default_config_static_selectorELNS0_4arch9wavefront6targetE1EEEvT1_.has_recursion, 0
	.set _ZN7rocprim17ROCPRIM_400000_NS6detail17trampoline_kernelINS0_14default_configENS1_20scan_config_selectorIN3c104HalfEEEZZNS1_9scan_implILNS1_25lookback_scan_determinismE0ELb0ELb0ES3_PKS6_PS6_S6_ZZZN2at6native31launch_logcumsumexp_cuda_kernelERKNSD_10TensorBaseESH_lENKUlvE_clEvENKUlvE3_clEvEUlS6_S6_E_S6_EEDaPvRmT3_T4_T5_mT6_P12ihipStream_tbENKUlT_T0_E_clISt17integral_constantIbLb1EESX_IbLb0EEEEDaST_SU_EUlST_E_NS1_11comp_targetILNS1_3genE10ELNS1_11target_archE1200ELNS1_3gpuE4ELNS1_3repE0EEENS1_30default_config_static_selectorELNS0_4arch9wavefront6targetE1EEEvT1_.has_indirect_call, 0
	.section	.AMDGPU.csdata,"",@progbits
; Kernel info:
; codeLenInByte = 0
; TotalNumSgprs: 4
; NumVgprs: 0
; ScratchSize: 0
; MemoryBound: 0
; FloatMode: 240
; IeeeMode: 1
; LDSByteSize: 0 bytes/workgroup (compile time only)
; SGPRBlocks: 0
; VGPRBlocks: 0
; NumSGPRsForWavesPerEU: 4
; NumVGPRsForWavesPerEU: 1
; Occupancy: 10
; WaveLimiterHint : 0
; COMPUTE_PGM_RSRC2:SCRATCH_EN: 0
; COMPUTE_PGM_RSRC2:USER_SGPR: 6
; COMPUTE_PGM_RSRC2:TRAP_HANDLER: 0
; COMPUTE_PGM_RSRC2:TGID_X_EN: 1
; COMPUTE_PGM_RSRC2:TGID_Y_EN: 0
; COMPUTE_PGM_RSRC2:TGID_Z_EN: 0
; COMPUTE_PGM_RSRC2:TIDIG_COMP_CNT: 0
	.section	.text._ZN7rocprim17ROCPRIM_400000_NS6detail17trampoline_kernelINS0_14default_configENS1_20scan_config_selectorIN3c104HalfEEEZZNS1_9scan_implILNS1_25lookback_scan_determinismE0ELb0ELb0ES3_PKS6_PS6_S6_ZZZN2at6native31launch_logcumsumexp_cuda_kernelERKNSD_10TensorBaseESH_lENKUlvE_clEvENKUlvE3_clEvEUlS6_S6_E_S6_EEDaPvRmT3_T4_T5_mT6_P12ihipStream_tbENKUlT_T0_E_clISt17integral_constantIbLb1EESX_IbLb0EEEEDaST_SU_EUlST_E_NS1_11comp_targetILNS1_3genE9ELNS1_11target_archE1100ELNS1_3gpuE3ELNS1_3repE0EEENS1_30default_config_static_selectorELNS0_4arch9wavefront6targetE1EEEvT1_,"axG",@progbits,_ZN7rocprim17ROCPRIM_400000_NS6detail17trampoline_kernelINS0_14default_configENS1_20scan_config_selectorIN3c104HalfEEEZZNS1_9scan_implILNS1_25lookback_scan_determinismE0ELb0ELb0ES3_PKS6_PS6_S6_ZZZN2at6native31launch_logcumsumexp_cuda_kernelERKNSD_10TensorBaseESH_lENKUlvE_clEvENKUlvE3_clEvEUlS6_S6_E_S6_EEDaPvRmT3_T4_T5_mT6_P12ihipStream_tbENKUlT_T0_E_clISt17integral_constantIbLb1EESX_IbLb0EEEEDaST_SU_EUlST_E_NS1_11comp_targetILNS1_3genE9ELNS1_11target_archE1100ELNS1_3gpuE3ELNS1_3repE0EEENS1_30default_config_static_selectorELNS0_4arch9wavefront6targetE1EEEvT1_,comdat
	.globl	_ZN7rocprim17ROCPRIM_400000_NS6detail17trampoline_kernelINS0_14default_configENS1_20scan_config_selectorIN3c104HalfEEEZZNS1_9scan_implILNS1_25lookback_scan_determinismE0ELb0ELb0ES3_PKS6_PS6_S6_ZZZN2at6native31launch_logcumsumexp_cuda_kernelERKNSD_10TensorBaseESH_lENKUlvE_clEvENKUlvE3_clEvEUlS6_S6_E_S6_EEDaPvRmT3_T4_T5_mT6_P12ihipStream_tbENKUlT_T0_E_clISt17integral_constantIbLb1EESX_IbLb0EEEEDaST_SU_EUlST_E_NS1_11comp_targetILNS1_3genE9ELNS1_11target_archE1100ELNS1_3gpuE3ELNS1_3repE0EEENS1_30default_config_static_selectorELNS0_4arch9wavefront6targetE1EEEvT1_ ; -- Begin function _ZN7rocprim17ROCPRIM_400000_NS6detail17trampoline_kernelINS0_14default_configENS1_20scan_config_selectorIN3c104HalfEEEZZNS1_9scan_implILNS1_25lookback_scan_determinismE0ELb0ELb0ES3_PKS6_PS6_S6_ZZZN2at6native31launch_logcumsumexp_cuda_kernelERKNSD_10TensorBaseESH_lENKUlvE_clEvENKUlvE3_clEvEUlS6_S6_E_S6_EEDaPvRmT3_T4_T5_mT6_P12ihipStream_tbENKUlT_T0_E_clISt17integral_constantIbLb1EESX_IbLb0EEEEDaST_SU_EUlST_E_NS1_11comp_targetILNS1_3genE9ELNS1_11target_archE1100ELNS1_3gpuE3ELNS1_3repE0EEENS1_30default_config_static_selectorELNS0_4arch9wavefront6targetE1EEEvT1_
	.p2align	8
	.type	_ZN7rocprim17ROCPRIM_400000_NS6detail17trampoline_kernelINS0_14default_configENS1_20scan_config_selectorIN3c104HalfEEEZZNS1_9scan_implILNS1_25lookback_scan_determinismE0ELb0ELb0ES3_PKS6_PS6_S6_ZZZN2at6native31launch_logcumsumexp_cuda_kernelERKNSD_10TensorBaseESH_lENKUlvE_clEvENKUlvE3_clEvEUlS6_S6_E_S6_EEDaPvRmT3_T4_T5_mT6_P12ihipStream_tbENKUlT_T0_E_clISt17integral_constantIbLb1EESX_IbLb0EEEEDaST_SU_EUlST_E_NS1_11comp_targetILNS1_3genE9ELNS1_11target_archE1100ELNS1_3gpuE3ELNS1_3repE0EEENS1_30default_config_static_selectorELNS0_4arch9wavefront6targetE1EEEvT1_,@function
_ZN7rocprim17ROCPRIM_400000_NS6detail17trampoline_kernelINS0_14default_configENS1_20scan_config_selectorIN3c104HalfEEEZZNS1_9scan_implILNS1_25lookback_scan_determinismE0ELb0ELb0ES3_PKS6_PS6_S6_ZZZN2at6native31launch_logcumsumexp_cuda_kernelERKNSD_10TensorBaseESH_lENKUlvE_clEvENKUlvE3_clEvEUlS6_S6_E_S6_EEDaPvRmT3_T4_T5_mT6_P12ihipStream_tbENKUlT_T0_E_clISt17integral_constantIbLb1EESX_IbLb0EEEEDaST_SU_EUlST_E_NS1_11comp_targetILNS1_3genE9ELNS1_11target_archE1100ELNS1_3gpuE3ELNS1_3repE0EEENS1_30default_config_static_selectorELNS0_4arch9wavefront6targetE1EEEvT1_: ; @_ZN7rocprim17ROCPRIM_400000_NS6detail17trampoline_kernelINS0_14default_configENS1_20scan_config_selectorIN3c104HalfEEEZZNS1_9scan_implILNS1_25lookback_scan_determinismE0ELb0ELb0ES3_PKS6_PS6_S6_ZZZN2at6native31launch_logcumsumexp_cuda_kernelERKNSD_10TensorBaseESH_lENKUlvE_clEvENKUlvE3_clEvEUlS6_S6_E_S6_EEDaPvRmT3_T4_T5_mT6_P12ihipStream_tbENKUlT_T0_E_clISt17integral_constantIbLb1EESX_IbLb0EEEEDaST_SU_EUlST_E_NS1_11comp_targetILNS1_3genE9ELNS1_11target_archE1100ELNS1_3gpuE3ELNS1_3repE0EEENS1_30default_config_static_selectorELNS0_4arch9wavefront6targetE1EEEvT1_
; %bb.0:
	.section	.rodata,"a",@progbits
	.p2align	6, 0x0
	.amdhsa_kernel _ZN7rocprim17ROCPRIM_400000_NS6detail17trampoline_kernelINS0_14default_configENS1_20scan_config_selectorIN3c104HalfEEEZZNS1_9scan_implILNS1_25lookback_scan_determinismE0ELb0ELb0ES3_PKS6_PS6_S6_ZZZN2at6native31launch_logcumsumexp_cuda_kernelERKNSD_10TensorBaseESH_lENKUlvE_clEvENKUlvE3_clEvEUlS6_S6_E_S6_EEDaPvRmT3_T4_T5_mT6_P12ihipStream_tbENKUlT_T0_E_clISt17integral_constantIbLb1EESX_IbLb0EEEEDaST_SU_EUlST_E_NS1_11comp_targetILNS1_3genE9ELNS1_11target_archE1100ELNS1_3gpuE3ELNS1_3repE0EEENS1_30default_config_static_selectorELNS0_4arch9wavefront6targetE1EEEvT1_
		.amdhsa_group_segment_fixed_size 0
		.amdhsa_private_segment_fixed_size 0
		.amdhsa_kernarg_size 96
		.amdhsa_user_sgpr_count 6
		.amdhsa_user_sgpr_private_segment_buffer 1
		.amdhsa_user_sgpr_dispatch_ptr 0
		.amdhsa_user_sgpr_queue_ptr 0
		.amdhsa_user_sgpr_kernarg_segment_ptr 1
		.amdhsa_user_sgpr_dispatch_id 0
		.amdhsa_user_sgpr_flat_scratch_init 0
		.amdhsa_user_sgpr_private_segment_size 0
		.amdhsa_uses_dynamic_stack 0
		.amdhsa_system_sgpr_private_segment_wavefront_offset 0
		.amdhsa_system_sgpr_workgroup_id_x 1
		.amdhsa_system_sgpr_workgroup_id_y 0
		.amdhsa_system_sgpr_workgroup_id_z 0
		.amdhsa_system_sgpr_workgroup_info 0
		.amdhsa_system_vgpr_workitem_id 0
		.amdhsa_next_free_vgpr 1
		.amdhsa_next_free_sgpr 0
		.amdhsa_reserve_vcc 0
		.amdhsa_reserve_flat_scratch 0
		.amdhsa_float_round_mode_32 0
		.amdhsa_float_round_mode_16_64 0
		.amdhsa_float_denorm_mode_32 3
		.amdhsa_float_denorm_mode_16_64 3
		.amdhsa_dx10_clamp 1
		.amdhsa_ieee_mode 1
		.amdhsa_fp16_overflow 0
		.amdhsa_exception_fp_ieee_invalid_op 0
		.amdhsa_exception_fp_denorm_src 0
		.amdhsa_exception_fp_ieee_div_zero 0
		.amdhsa_exception_fp_ieee_overflow 0
		.amdhsa_exception_fp_ieee_underflow 0
		.amdhsa_exception_fp_ieee_inexact 0
		.amdhsa_exception_int_div_zero 0
	.end_amdhsa_kernel
	.section	.text._ZN7rocprim17ROCPRIM_400000_NS6detail17trampoline_kernelINS0_14default_configENS1_20scan_config_selectorIN3c104HalfEEEZZNS1_9scan_implILNS1_25lookback_scan_determinismE0ELb0ELb0ES3_PKS6_PS6_S6_ZZZN2at6native31launch_logcumsumexp_cuda_kernelERKNSD_10TensorBaseESH_lENKUlvE_clEvENKUlvE3_clEvEUlS6_S6_E_S6_EEDaPvRmT3_T4_T5_mT6_P12ihipStream_tbENKUlT_T0_E_clISt17integral_constantIbLb1EESX_IbLb0EEEEDaST_SU_EUlST_E_NS1_11comp_targetILNS1_3genE9ELNS1_11target_archE1100ELNS1_3gpuE3ELNS1_3repE0EEENS1_30default_config_static_selectorELNS0_4arch9wavefront6targetE1EEEvT1_,"axG",@progbits,_ZN7rocprim17ROCPRIM_400000_NS6detail17trampoline_kernelINS0_14default_configENS1_20scan_config_selectorIN3c104HalfEEEZZNS1_9scan_implILNS1_25lookback_scan_determinismE0ELb0ELb0ES3_PKS6_PS6_S6_ZZZN2at6native31launch_logcumsumexp_cuda_kernelERKNSD_10TensorBaseESH_lENKUlvE_clEvENKUlvE3_clEvEUlS6_S6_E_S6_EEDaPvRmT3_T4_T5_mT6_P12ihipStream_tbENKUlT_T0_E_clISt17integral_constantIbLb1EESX_IbLb0EEEEDaST_SU_EUlST_E_NS1_11comp_targetILNS1_3genE9ELNS1_11target_archE1100ELNS1_3gpuE3ELNS1_3repE0EEENS1_30default_config_static_selectorELNS0_4arch9wavefront6targetE1EEEvT1_,comdat
.Lfunc_end404:
	.size	_ZN7rocprim17ROCPRIM_400000_NS6detail17trampoline_kernelINS0_14default_configENS1_20scan_config_selectorIN3c104HalfEEEZZNS1_9scan_implILNS1_25lookback_scan_determinismE0ELb0ELb0ES3_PKS6_PS6_S6_ZZZN2at6native31launch_logcumsumexp_cuda_kernelERKNSD_10TensorBaseESH_lENKUlvE_clEvENKUlvE3_clEvEUlS6_S6_E_S6_EEDaPvRmT3_T4_T5_mT6_P12ihipStream_tbENKUlT_T0_E_clISt17integral_constantIbLb1EESX_IbLb0EEEEDaST_SU_EUlST_E_NS1_11comp_targetILNS1_3genE9ELNS1_11target_archE1100ELNS1_3gpuE3ELNS1_3repE0EEENS1_30default_config_static_selectorELNS0_4arch9wavefront6targetE1EEEvT1_, .Lfunc_end404-_ZN7rocprim17ROCPRIM_400000_NS6detail17trampoline_kernelINS0_14default_configENS1_20scan_config_selectorIN3c104HalfEEEZZNS1_9scan_implILNS1_25lookback_scan_determinismE0ELb0ELb0ES3_PKS6_PS6_S6_ZZZN2at6native31launch_logcumsumexp_cuda_kernelERKNSD_10TensorBaseESH_lENKUlvE_clEvENKUlvE3_clEvEUlS6_S6_E_S6_EEDaPvRmT3_T4_T5_mT6_P12ihipStream_tbENKUlT_T0_E_clISt17integral_constantIbLb1EESX_IbLb0EEEEDaST_SU_EUlST_E_NS1_11comp_targetILNS1_3genE9ELNS1_11target_archE1100ELNS1_3gpuE3ELNS1_3repE0EEENS1_30default_config_static_selectorELNS0_4arch9wavefront6targetE1EEEvT1_
                                        ; -- End function
	.set _ZN7rocprim17ROCPRIM_400000_NS6detail17trampoline_kernelINS0_14default_configENS1_20scan_config_selectorIN3c104HalfEEEZZNS1_9scan_implILNS1_25lookback_scan_determinismE0ELb0ELb0ES3_PKS6_PS6_S6_ZZZN2at6native31launch_logcumsumexp_cuda_kernelERKNSD_10TensorBaseESH_lENKUlvE_clEvENKUlvE3_clEvEUlS6_S6_E_S6_EEDaPvRmT3_T4_T5_mT6_P12ihipStream_tbENKUlT_T0_E_clISt17integral_constantIbLb1EESX_IbLb0EEEEDaST_SU_EUlST_E_NS1_11comp_targetILNS1_3genE9ELNS1_11target_archE1100ELNS1_3gpuE3ELNS1_3repE0EEENS1_30default_config_static_selectorELNS0_4arch9wavefront6targetE1EEEvT1_.num_vgpr, 0
	.set _ZN7rocprim17ROCPRIM_400000_NS6detail17trampoline_kernelINS0_14default_configENS1_20scan_config_selectorIN3c104HalfEEEZZNS1_9scan_implILNS1_25lookback_scan_determinismE0ELb0ELb0ES3_PKS6_PS6_S6_ZZZN2at6native31launch_logcumsumexp_cuda_kernelERKNSD_10TensorBaseESH_lENKUlvE_clEvENKUlvE3_clEvEUlS6_S6_E_S6_EEDaPvRmT3_T4_T5_mT6_P12ihipStream_tbENKUlT_T0_E_clISt17integral_constantIbLb1EESX_IbLb0EEEEDaST_SU_EUlST_E_NS1_11comp_targetILNS1_3genE9ELNS1_11target_archE1100ELNS1_3gpuE3ELNS1_3repE0EEENS1_30default_config_static_selectorELNS0_4arch9wavefront6targetE1EEEvT1_.num_agpr, 0
	.set _ZN7rocprim17ROCPRIM_400000_NS6detail17trampoline_kernelINS0_14default_configENS1_20scan_config_selectorIN3c104HalfEEEZZNS1_9scan_implILNS1_25lookback_scan_determinismE0ELb0ELb0ES3_PKS6_PS6_S6_ZZZN2at6native31launch_logcumsumexp_cuda_kernelERKNSD_10TensorBaseESH_lENKUlvE_clEvENKUlvE3_clEvEUlS6_S6_E_S6_EEDaPvRmT3_T4_T5_mT6_P12ihipStream_tbENKUlT_T0_E_clISt17integral_constantIbLb1EESX_IbLb0EEEEDaST_SU_EUlST_E_NS1_11comp_targetILNS1_3genE9ELNS1_11target_archE1100ELNS1_3gpuE3ELNS1_3repE0EEENS1_30default_config_static_selectorELNS0_4arch9wavefront6targetE1EEEvT1_.numbered_sgpr, 0
	.set _ZN7rocprim17ROCPRIM_400000_NS6detail17trampoline_kernelINS0_14default_configENS1_20scan_config_selectorIN3c104HalfEEEZZNS1_9scan_implILNS1_25lookback_scan_determinismE0ELb0ELb0ES3_PKS6_PS6_S6_ZZZN2at6native31launch_logcumsumexp_cuda_kernelERKNSD_10TensorBaseESH_lENKUlvE_clEvENKUlvE3_clEvEUlS6_S6_E_S6_EEDaPvRmT3_T4_T5_mT6_P12ihipStream_tbENKUlT_T0_E_clISt17integral_constantIbLb1EESX_IbLb0EEEEDaST_SU_EUlST_E_NS1_11comp_targetILNS1_3genE9ELNS1_11target_archE1100ELNS1_3gpuE3ELNS1_3repE0EEENS1_30default_config_static_selectorELNS0_4arch9wavefront6targetE1EEEvT1_.num_named_barrier, 0
	.set _ZN7rocprim17ROCPRIM_400000_NS6detail17trampoline_kernelINS0_14default_configENS1_20scan_config_selectorIN3c104HalfEEEZZNS1_9scan_implILNS1_25lookback_scan_determinismE0ELb0ELb0ES3_PKS6_PS6_S6_ZZZN2at6native31launch_logcumsumexp_cuda_kernelERKNSD_10TensorBaseESH_lENKUlvE_clEvENKUlvE3_clEvEUlS6_S6_E_S6_EEDaPvRmT3_T4_T5_mT6_P12ihipStream_tbENKUlT_T0_E_clISt17integral_constantIbLb1EESX_IbLb0EEEEDaST_SU_EUlST_E_NS1_11comp_targetILNS1_3genE9ELNS1_11target_archE1100ELNS1_3gpuE3ELNS1_3repE0EEENS1_30default_config_static_selectorELNS0_4arch9wavefront6targetE1EEEvT1_.private_seg_size, 0
	.set _ZN7rocprim17ROCPRIM_400000_NS6detail17trampoline_kernelINS0_14default_configENS1_20scan_config_selectorIN3c104HalfEEEZZNS1_9scan_implILNS1_25lookback_scan_determinismE0ELb0ELb0ES3_PKS6_PS6_S6_ZZZN2at6native31launch_logcumsumexp_cuda_kernelERKNSD_10TensorBaseESH_lENKUlvE_clEvENKUlvE3_clEvEUlS6_S6_E_S6_EEDaPvRmT3_T4_T5_mT6_P12ihipStream_tbENKUlT_T0_E_clISt17integral_constantIbLb1EESX_IbLb0EEEEDaST_SU_EUlST_E_NS1_11comp_targetILNS1_3genE9ELNS1_11target_archE1100ELNS1_3gpuE3ELNS1_3repE0EEENS1_30default_config_static_selectorELNS0_4arch9wavefront6targetE1EEEvT1_.uses_vcc, 0
	.set _ZN7rocprim17ROCPRIM_400000_NS6detail17trampoline_kernelINS0_14default_configENS1_20scan_config_selectorIN3c104HalfEEEZZNS1_9scan_implILNS1_25lookback_scan_determinismE0ELb0ELb0ES3_PKS6_PS6_S6_ZZZN2at6native31launch_logcumsumexp_cuda_kernelERKNSD_10TensorBaseESH_lENKUlvE_clEvENKUlvE3_clEvEUlS6_S6_E_S6_EEDaPvRmT3_T4_T5_mT6_P12ihipStream_tbENKUlT_T0_E_clISt17integral_constantIbLb1EESX_IbLb0EEEEDaST_SU_EUlST_E_NS1_11comp_targetILNS1_3genE9ELNS1_11target_archE1100ELNS1_3gpuE3ELNS1_3repE0EEENS1_30default_config_static_selectorELNS0_4arch9wavefront6targetE1EEEvT1_.uses_flat_scratch, 0
	.set _ZN7rocprim17ROCPRIM_400000_NS6detail17trampoline_kernelINS0_14default_configENS1_20scan_config_selectorIN3c104HalfEEEZZNS1_9scan_implILNS1_25lookback_scan_determinismE0ELb0ELb0ES3_PKS6_PS6_S6_ZZZN2at6native31launch_logcumsumexp_cuda_kernelERKNSD_10TensorBaseESH_lENKUlvE_clEvENKUlvE3_clEvEUlS6_S6_E_S6_EEDaPvRmT3_T4_T5_mT6_P12ihipStream_tbENKUlT_T0_E_clISt17integral_constantIbLb1EESX_IbLb0EEEEDaST_SU_EUlST_E_NS1_11comp_targetILNS1_3genE9ELNS1_11target_archE1100ELNS1_3gpuE3ELNS1_3repE0EEENS1_30default_config_static_selectorELNS0_4arch9wavefront6targetE1EEEvT1_.has_dyn_sized_stack, 0
	.set _ZN7rocprim17ROCPRIM_400000_NS6detail17trampoline_kernelINS0_14default_configENS1_20scan_config_selectorIN3c104HalfEEEZZNS1_9scan_implILNS1_25lookback_scan_determinismE0ELb0ELb0ES3_PKS6_PS6_S6_ZZZN2at6native31launch_logcumsumexp_cuda_kernelERKNSD_10TensorBaseESH_lENKUlvE_clEvENKUlvE3_clEvEUlS6_S6_E_S6_EEDaPvRmT3_T4_T5_mT6_P12ihipStream_tbENKUlT_T0_E_clISt17integral_constantIbLb1EESX_IbLb0EEEEDaST_SU_EUlST_E_NS1_11comp_targetILNS1_3genE9ELNS1_11target_archE1100ELNS1_3gpuE3ELNS1_3repE0EEENS1_30default_config_static_selectorELNS0_4arch9wavefront6targetE1EEEvT1_.has_recursion, 0
	.set _ZN7rocprim17ROCPRIM_400000_NS6detail17trampoline_kernelINS0_14default_configENS1_20scan_config_selectorIN3c104HalfEEEZZNS1_9scan_implILNS1_25lookback_scan_determinismE0ELb0ELb0ES3_PKS6_PS6_S6_ZZZN2at6native31launch_logcumsumexp_cuda_kernelERKNSD_10TensorBaseESH_lENKUlvE_clEvENKUlvE3_clEvEUlS6_S6_E_S6_EEDaPvRmT3_T4_T5_mT6_P12ihipStream_tbENKUlT_T0_E_clISt17integral_constantIbLb1EESX_IbLb0EEEEDaST_SU_EUlST_E_NS1_11comp_targetILNS1_3genE9ELNS1_11target_archE1100ELNS1_3gpuE3ELNS1_3repE0EEENS1_30default_config_static_selectorELNS0_4arch9wavefront6targetE1EEEvT1_.has_indirect_call, 0
	.section	.AMDGPU.csdata,"",@progbits
; Kernel info:
; codeLenInByte = 0
; TotalNumSgprs: 4
; NumVgprs: 0
; ScratchSize: 0
; MemoryBound: 0
; FloatMode: 240
; IeeeMode: 1
; LDSByteSize: 0 bytes/workgroup (compile time only)
; SGPRBlocks: 0
; VGPRBlocks: 0
; NumSGPRsForWavesPerEU: 4
; NumVGPRsForWavesPerEU: 1
; Occupancy: 10
; WaveLimiterHint : 0
; COMPUTE_PGM_RSRC2:SCRATCH_EN: 0
; COMPUTE_PGM_RSRC2:USER_SGPR: 6
; COMPUTE_PGM_RSRC2:TRAP_HANDLER: 0
; COMPUTE_PGM_RSRC2:TGID_X_EN: 1
; COMPUTE_PGM_RSRC2:TGID_Y_EN: 0
; COMPUTE_PGM_RSRC2:TGID_Z_EN: 0
; COMPUTE_PGM_RSRC2:TIDIG_COMP_CNT: 0
	.section	.text._ZN7rocprim17ROCPRIM_400000_NS6detail17trampoline_kernelINS0_14default_configENS1_20scan_config_selectorIN3c104HalfEEEZZNS1_9scan_implILNS1_25lookback_scan_determinismE0ELb0ELb0ES3_PKS6_PS6_S6_ZZZN2at6native31launch_logcumsumexp_cuda_kernelERKNSD_10TensorBaseESH_lENKUlvE_clEvENKUlvE3_clEvEUlS6_S6_E_S6_EEDaPvRmT3_T4_T5_mT6_P12ihipStream_tbENKUlT_T0_E_clISt17integral_constantIbLb1EESX_IbLb0EEEEDaST_SU_EUlST_E_NS1_11comp_targetILNS1_3genE8ELNS1_11target_archE1030ELNS1_3gpuE2ELNS1_3repE0EEENS1_30default_config_static_selectorELNS0_4arch9wavefront6targetE1EEEvT1_,"axG",@progbits,_ZN7rocprim17ROCPRIM_400000_NS6detail17trampoline_kernelINS0_14default_configENS1_20scan_config_selectorIN3c104HalfEEEZZNS1_9scan_implILNS1_25lookback_scan_determinismE0ELb0ELb0ES3_PKS6_PS6_S6_ZZZN2at6native31launch_logcumsumexp_cuda_kernelERKNSD_10TensorBaseESH_lENKUlvE_clEvENKUlvE3_clEvEUlS6_S6_E_S6_EEDaPvRmT3_T4_T5_mT6_P12ihipStream_tbENKUlT_T0_E_clISt17integral_constantIbLb1EESX_IbLb0EEEEDaST_SU_EUlST_E_NS1_11comp_targetILNS1_3genE8ELNS1_11target_archE1030ELNS1_3gpuE2ELNS1_3repE0EEENS1_30default_config_static_selectorELNS0_4arch9wavefront6targetE1EEEvT1_,comdat
	.globl	_ZN7rocprim17ROCPRIM_400000_NS6detail17trampoline_kernelINS0_14default_configENS1_20scan_config_selectorIN3c104HalfEEEZZNS1_9scan_implILNS1_25lookback_scan_determinismE0ELb0ELb0ES3_PKS6_PS6_S6_ZZZN2at6native31launch_logcumsumexp_cuda_kernelERKNSD_10TensorBaseESH_lENKUlvE_clEvENKUlvE3_clEvEUlS6_S6_E_S6_EEDaPvRmT3_T4_T5_mT6_P12ihipStream_tbENKUlT_T0_E_clISt17integral_constantIbLb1EESX_IbLb0EEEEDaST_SU_EUlST_E_NS1_11comp_targetILNS1_3genE8ELNS1_11target_archE1030ELNS1_3gpuE2ELNS1_3repE0EEENS1_30default_config_static_selectorELNS0_4arch9wavefront6targetE1EEEvT1_ ; -- Begin function _ZN7rocprim17ROCPRIM_400000_NS6detail17trampoline_kernelINS0_14default_configENS1_20scan_config_selectorIN3c104HalfEEEZZNS1_9scan_implILNS1_25lookback_scan_determinismE0ELb0ELb0ES3_PKS6_PS6_S6_ZZZN2at6native31launch_logcumsumexp_cuda_kernelERKNSD_10TensorBaseESH_lENKUlvE_clEvENKUlvE3_clEvEUlS6_S6_E_S6_EEDaPvRmT3_T4_T5_mT6_P12ihipStream_tbENKUlT_T0_E_clISt17integral_constantIbLb1EESX_IbLb0EEEEDaST_SU_EUlST_E_NS1_11comp_targetILNS1_3genE8ELNS1_11target_archE1030ELNS1_3gpuE2ELNS1_3repE0EEENS1_30default_config_static_selectorELNS0_4arch9wavefront6targetE1EEEvT1_
	.p2align	8
	.type	_ZN7rocprim17ROCPRIM_400000_NS6detail17trampoline_kernelINS0_14default_configENS1_20scan_config_selectorIN3c104HalfEEEZZNS1_9scan_implILNS1_25lookback_scan_determinismE0ELb0ELb0ES3_PKS6_PS6_S6_ZZZN2at6native31launch_logcumsumexp_cuda_kernelERKNSD_10TensorBaseESH_lENKUlvE_clEvENKUlvE3_clEvEUlS6_S6_E_S6_EEDaPvRmT3_T4_T5_mT6_P12ihipStream_tbENKUlT_T0_E_clISt17integral_constantIbLb1EESX_IbLb0EEEEDaST_SU_EUlST_E_NS1_11comp_targetILNS1_3genE8ELNS1_11target_archE1030ELNS1_3gpuE2ELNS1_3repE0EEENS1_30default_config_static_selectorELNS0_4arch9wavefront6targetE1EEEvT1_,@function
_ZN7rocprim17ROCPRIM_400000_NS6detail17trampoline_kernelINS0_14default_configENS1_20scan_config_selectorIN3c104HalfEEEZZNS1_9scan_implILNS1_25lookback_scan_determinismE0ELb0ELb0ES3_PKS6_PS6_S6_ZZZN2at6native31launch_logcumsumexp_cuda_kernelERKNSD_10TensorBaseESH_lENKUlvE_clEvENKUlvE3_clEvEUlS6_S6_E_S6_EEDaPvRmT3_T4_T5_mT6_P12ihipStream_tbENKUlT_T0_E_clISt17integral_constantIbLb1EESX_IbLb0EEEEDaST_SU_EUlST_E_NS1_11comp_targetILNS1_3genE8ELNS1_11target_archE1030ELNS1_3gpuE2ELNS1_3repE0EEENS1_30default_config_static_selectorELNS0_4arch9wavefront6targetE1EEEvT1_: ; @_ZN7rocprim17ROCPRIM_400000_NS6detail17trampoline_kernelINS0_14default_configENS1_20scan_config_selectorIN3c104HalfEEEZZNS1_9scan_implILNS1_25lookback_scan_determinismE0ELb0ELb0ES3_PKS6_PS6_S6_ZZZN2at6native31launch_logcumsumexp_cuda_kernelERKNSD_10TensorBaseESH_lENKUlvE_clEvENKUlvE3_clEvEUlS6_S6_E_S6_EEDaPvRmT3_T4_T5_mT6_P12ihipStream_tbENKUlT_T0_E_clISt17integral_constantIbLb1EESX_IbLb0EEEEDaST_SU_EUlST_E_NS1_11comp_targetILNS1_3genE8ELNS1_11target_archE1030ELNS1_3gpuE2ELNS1_3repE0EEENS1_30default_config_static_selectorELNS0_4arch9wavefront6targetE1EEEvT1_
; %bb.0:
	.section	.rodata,"a",@progbits
	.p2align	6, 0x0
	.amdhsa_kernel _ZN7rocprim17ROCPRIM_400000_NS6detail17trampoline_kernelINS0_14default_configENS1_20scan_config_selectorIN3c104HalfEEEZZNS1_9scan_implILNS1_25lookback_scan_determinismE0ELb0ELb0ES3_PKS6_PS6_S6_ZZZN2at6native31launch_logcumsumexp_cuda_kernelERKNSD_10TensorBaseESH_lENKUlvE_clEvENKUlvE3_clEvEUlS6_S6_E_S6_EEDaPvRmT3_T4_T5_mT6_P12ihipStream_tbENKUlT_T0_E_clISt17integral_constantIbLb1EESX_IbLb0EEEEDaST_SU_EUlST_E_NS1_11comp_targetILNS1_3genE8ELNS1_11target_archE1030ELNS1_3gpuE2ELNS1_3repE0EEENS1_30default_config_static_selectorELNS0_4arch9wavefront6targetE1EEEvT1_
		.amdhsa_group_segment_fixed_size 0
		.amdhsa_private_segment_fixed_size 0
		.amdhsa_kernarg_size 96
		.amdhsa_user_sgpr_count 6
		.amdhsa_user_sgpr_private_segment_buffer 1
		.amdhsa_user_sgpr_dispatch_ptr 0
		.amdhsa_user_sgpr_queue_ptr 0
		.amdhsa_user_sgpr_kernarg_segment_ptr 1
		.amdhsa_user_sgpr_dispatch_id 0
		.amdhsa_user_sgpr_flat_scratch_init 0
		.amdhsa_user_sgpr_private_segment_size 0
		.amdhsa_uses_dynamic_stack 0
		.amdhsa_system_sgpr_private_segment_wavefront_offset 0
		.amdhsa_system_sgpr_workgroup_id_x 1
		.amdhsa_system_sgpr_workgroup_id_y 0
		.amdhsa_system_sgpr_workgroup_id_z 0
		.amdhsa_system_sgpr_workgroup_info 0
		.amdhsa_system_vgpr_workitem_id 0
		.amdhsa_next_free_vgpr 1
		.amdhsa_next_free_sgpr 0
		.amdhsa_reserve_vcc 0
		.amdhsa_reserve_flat_scratch 0
		.amdhsa_float_round_mode_32 0
		.amdhsa_float_round_mode_16_64 0
		.amdhsa_float_denorm_mode_32 3
		.amdhsa_float_denorm_mode_16_64 3
		.amdhsa_dx10_clamp 1
		.amdhsa_ieee_mode 1
		.amdhsa_fp16_overflow 0
		.amdhsa_exception_fp_ieee_invalid_op 0
		.amdhsa_exception_fp_denorm_src 0
		.amdhsa_exception_fp_ieee_div_zero 0
		.amdhsa_exception_fp_ieee_overflow 0
		.amdhsa_exception_fp_ieee_underflow 0
		.amdhsa_exception_fp_ieee_inexact 0
		.amdhsa_exception_int_div_zero 0
	.end_amdhsa_kernel
	.section	.text._ZN7rocprim17ROCPRIM_400000_NS6detail17trampoline_kernelINS0_14default_configENS1_20scan_config_selectorIN3c104HalfEEEZZNS1_9scan_implILNS1_25lookback_scan_determinismE0ELb0ELb0ES3_PKS6_PS6_S6_ZZZN2at6native31launch_logcumsumexp_cuda_kernelERKNSD_10TensorBaseESH_lENKUlvE_clEvENKUlvE3_clEvEUlS6_S6_E_S6_EEDaPvRmT3_T4_T5_mT6_P12ihipStream_tbENKUlT_T0_E_clISt17integral_constantIbLb1EESX_IbLb0EEEEDaST_SU_EUlST_E_NS1_11comp_targetILNS1_3genE8ELNS1_11target_archE1030ELNS1_3gpuE2ELNS1_3repE0EEENS1_30default_config_static_selectorELNS0_4arch9wavefront6targetE1EEEvT1_,"axG",@progbits,_ZN7rocprim17ROCPRIM_400000_NS6detail17trampoline_kernelINS0_14default_configENS1_20scan_config_selectorIN3c104HalfEEEZZNS1_9scan_implILNS1_25lookback_scan_determinismE0ELb0ELb0ES3_PKS6_PS6_S6_ZZZN2at6native31launch_logcumsumexp_cuda_kernelERKNSD_10TensorBaseESH_lENKUlvE_clEvENKUlvE3_clEvEUlS6_S6_E_S6_EEDaPvRmT3_T4_T5_mT6_P12ihipStream_tbENKUlT_T0_E_clISt17integral_constantIbLb1EESX_IbLb0EEEEDaST_SU_EUlST_E_NS1_11comp_targetILNS1_3genE8ELNS1_11target_archE1030ELNS1_3gpuE2ELNS1_3repE0EEENS1_30default_config_static_selectorELNS0_4arch9wavefront6targetE1EEEvT1_,comdat
.Lfunc_end405:
	.size	_ZN7rocprim17ROCPRIM_400000_NS6detail17trampoline_kernelINS0_14default_configENS1_20scan_config_selectorIN3c104HalfEEEZZNS1_9scan_implILNS1_25lookback_scan_determinismE0ELb0ELb0ES3_PKS6_PS6_S6_ZZZN2at6native31launch_logcumsumexp_cuda_kernelERKNSD_10TensorBaseESH_lENKUlvE_clEvENKUlvE3_clEvEUlS6_S6_E_S6_EEDaPvRmT3_T4_T5_mT6_P12ihipStream_tbENKUlT_T0_E_clISt17integral_constantIbLb1EESX_IbLb0EEEEDaST_SU_EUlST_E_NS1_11comp_targetILNS1_3genE8ELNS1_11target_archE1030ELNS1_3gpuE2ELNS1_3repE0EEENS1_30default_config_static_selectorELNS0_4arch9wavefront6targetE1EEEvT1_, .Lfunc_end405-_ZN7rocprim17ROCPRIM_400000_NS6detail17trampoline_kernelINS0_14default_configENS1_20scan_config_selectorIN3c104HalfEEEZZNS1_9scan_implILNS1_25lookback_scan_determinismE0ELb0ELb0ES3_PKS6_PS6_S6_ZZZN2at6native31launch_logcumsumexp_cuda_kernelERKNSD_10TensorBaseESH_lENKUlvE_clEvENKUlvE3_clEvEUlS6_S6_E_S6_EEDaPvRmT3_T4_T5_mT6_P12ihipStream_tbENKUlT_T0_E_clISt17integral_constantIbLb1EESX_IbLb0EEEEDaST_SU_EUlST_E_NS1_11comp_targetILNS1_3genE8ELNS1_11target_archE1030ELNS1_3gpuE2ELNS1_3repE0EEENS1_30default_config_static_selectorELNS0_4arch9wavefront6targetE1EEEvT1_
                                        ; -- End function
	.set _ZN7rocprim17ROCPRIM_400000_NS6detail17trampoline_kernelINS0_14default_configENS1_20scan_config_selectorIN3c104HalfEEEZZNS1_9scan_implILNS1_25lookback_scan_determinismE0ELb0ELb0ES3_PKS6_PS6_S6_ZZZN2at6native31launch_logcumsumexp_cuda_kernelERKNSD_10TensorBaseESH_lENKUlvE_clEvENKUlvE3_clEvEUlS6_S6_E_S6_EEDaPvRmT3_T4_T5_mT6_P12ihipStream_tbENKUlT_T0_E_clISt17integral_constantIbLb1EESX_IbLb0EEEEDaST_SU_EUlST_E_NS1_11comp_targetILNS1_3genE8ELNS1_11target_archE1030ELNS1_3gpuE2ELNS1_3repE0EEENS1_30default_config_static_selectorELNS0_4arch9wavefront6targetE1EEEvT1_.num_vgpr, 0
	.set _ZN7rocprim17ROCPRIM_400000_NS6detail17trampoline_kernelINS0_14default_configENS1_20scan_config_selectorIN3c104HalfEEEZZNS1_9scan_implILNS1_25lookback_scan_determinismE0ELb0ELb0ES3_PKS6_PS6_S6_ZZZN2at6native31launch_logcumsumexp_cuda_kernelERKNSD_10TensorBaseESH_lENKUlvE_clEvENKUlvE3_clEvEUlS6_S6_E_S6_EEDaPvRmT3_T4_T5_mT6_P12ihipStream_tbENKUlT_T0_E_clISt17integral_constantIbLb1EESX_IbLb0EEEEDaST_SU_EUlST_E_NS1_11comp_targetILNS1_3genE8ELNS1_11target_archE1030ELNS1_3gpuE2ELNS1_3repE0EEENS1_30default_config_static_selectorELNS0_4arch9wavefront6targetE1EEEvT1_.num_agpr, 0
	.set _ZN7rocprim17ROCPRIM_400000_NS6detail17trampoline_kernelINS0_14default_configENS1_20scan_config_selectorIN3c104HalfEEEZZNS1_9scan_implILNS1_25lookback_scan_determinismE0ELb0ELb0ES3_PKS6_PS6_S6_ZZZN2at6native31launch_logcumsumexp_cuda_kernelERKNSD_10TensorBaseESH_lENKUlvE_clEvENKUlvE3_clEvEUlS6_S6_E_S6_EEDaPvRmT3_T4_T5_mT6_P12ihipStream_tbENKUlT_T0_E_clISt17integral_constantIbLb1EESX_IbLb0EEEEDaST_SU_EUlST_E_NS1_11comp_targetILNS1_3genE8ELNS1_11target_archE1030ELNS1_3gpuE2ELNS1_3repE0EEENS1_30default_config_static_selectorELNS0_4arch9wavefront6targetE1EEEvT1_.numbered_sgpr, 0
	.set _ZN7rocprim17ROCPRIM_400000_NS6detail17trampoline_kernelINS0_14default_configENS1_20scan_config_selectorIN3c104HalfEEEZZNS1_9scan_implILNS1_25lookback_scan_determinismE0ELb0ELb0ES3_PKS6_PS6_S6_ZZZN2at6native31launch_logcumsumexp_cuda_kernelERKNSD_10TensorBaseESH_lENKUlvE_clEvENKUlvE3_clEvEUlS6_S6_E_S6_EEDaPvRmT3_T4_T5_mT6_P12ihipStream_tbENKUlT_T0_E_clISt17integral_constantIbLb1EESX_IbLb0EEEEDaST_SU_EUlST_E_NS1_11comp_targetILNS1_3genE8ELNS1_11target_archE1030ELNS1_3gpuE2ELNS1_3repE0EEENS1_30default_config_static_selectorELNS0_4arch9wavefront6targetE1EEEvT1_.num_named_barrier, 0
	.set _ZN7rocprim17ROCPRIM_400000_NS6detail17trampoline_kernelINS0_14default_configENS1_20scan_config_selectorIN3c104HalfEEEZZNS1_9scan_implILNS1_25lookback_scan_determinismE0ELb0ELb0ES3_PKS6_PS6_S6_ZZZN2at6native31launch_logcumsumexp_cuda_kernelERKNSD_10TensorBaseESH_lENKUlvE_clEvENKUlvE3_clEvEUlS6_S6_E_S6_EEDaPvRmT3_T4_T5_mT6_P12ihipStream_tbENKUlT_T0_E_clISt17integral_constantIbLb1EESX_IbLb0EEEEDaST_SU_EUlST_E_NS1_11comp_targetILNS1_3genE8ELNS1_11target_archE1030ELNS1_3gpuE2ELNS1_3repE0EEENS1_30default_config_static_selectorELNS0_4arch9wavefront6targetE1EEEvT1_.private_seg_size, 0
	.set _ZN7rocprim17ROCPRIM_400000_NS6detail17trampoline_kernelINS0_14default_configENS1_20scan_config_selectorIN3c104HalfEEEZZNS1_9scan_implILNS1_25lookback_scan_determinismE0ELb0ELb0ES3_PKS6_PS6_S6_ZZZN2at6native31launch_logcumsumexp_cuda_kernelERKNSD_10TensorBaseESH_lENKUlvE_clEvENKUlvE3_clEvEUlS6_S6_E_S6_EEDaPvRmT3_T4_T5_mT6_P12ihipStream_tbENKUlT_T0_E_clISt17integral_constantIbLb1EESX_IbLb0EEEEDaST_SU_EUlST_E_NS1_11comp_targetILNS1_3genE8ELNS1_11target_archE1030ELNS1_3gpuE2ELNS1_3repE0EEENS1_30default_config_static_selectorELNS0_4arch9wavefront6targetE1EEEvT1_.uses_vcc, 0
	.set _ZN7rocprim17ROCPRIM_400000_NS6detail17trampoline_kernelINS0_14default_configENS1_20scan_config_selectorIN3c104HalfEEEZZNS1_9scan_implILNS1_25lookback_scan_determinismE0ELb0ELb0ES3_PKS6_PS6_S6_ZZZN2at6native31launch_logcumsumexp_cuda_kernelERKNSD_10TensorBaseESH_lENKUlvE_clEvENKUlvE3_clEvEUlS6_S6_E_S6_EEDaPvRmT3_T4_T5_mT6_P12ihipStream_tbENKUlT_T0_E_clISt17integral_constantIbLb1EESX_IbLb0EEEEDaST_SU_EUlST_E_NS1_11comp_targetILNS1_3genE8ELNS1_11target_archE1030ELNS1_3gpuE2ELNS1_3repE0EEENS1_30default_config_static_selectorELNS0_4arch9wavefront6targetE1EEEvT1_.uses_flat_scratch, 0
	.set _ZN7rocprim17ROCPRIM_400000_NS6detail17trampoline_kernelINS0_14default_configENS1_20scan_config_selectorIN3c104HalfEEEZZNS1_9scan_implILNS1_25lookback_scan_determinismE0ELb0ELb0ES3_PKS6_PS6_S6_ZZZN2at6native31launch_logcumsumexp_cuda_kernelERKNSD_10TensorBaseESH_lENKUlvE_clEvENKUlvE3_clEvEUlS6_S6_E_S6_EEDaPvRmT3_T4_T5_mT6_P12ihipStream_tbENKUlT_T0_E_clISt17integral_constantIbLb1EESX_IbLb0EEEEDaST_SU_EUlST_E_NS1_11comp_targetILNS1_3genE8ELNS1_11target_archE1030ELNS1_3gpuE2ELNS1_3repE0EEENS1_30default_config_static_selectorELNS0_4arch9wavefront6targetE1EEEvT1_.has_dyn_sized_stack, 0
	.set _ZN7rocprim17ROCPRIM_400000_NS6detail17trampoline_kernelINS0_14default_configENS1_20scan_config_selectorIN3c104HalfEEEZZNS1_9scan_implILNS1_25lookback_scan_determinismE0ELb0ELb0ES3_PKS6_PS6_S6_ZZZN2at6native31launch_logcumsumexp_cuda_kernelERKNSD_10TensorBaseESH_lENKUlvE_clEvENKUlvE3_clEvEUlS6_S6_E_S6_EEDaPvRmT3_T4_T5_mT6_P12ihipStream_tbENKUlT_T0_E_clISt17integral_constantIbLb1EESX_IbLb0EEEEDaST_SU_EUlST_E_NS1_11comp_targetILNS1_3genE8ELNS1_11target_archE1030ELNS1_3gpuE2ELNS1_3repE0EEENS1_30default_config_static_selectorELNS0_4arch9wavefront6targetE1EEEvT1_.has_recursion, 0
	.set _ZN7rocprim17ROCPRIM_400000_NS6detail17trampoline_kernelINS0_14default_configENS1_20scan_config_selectorIN3c104HalfEEEZZNS1_9scan_implILNS1_25lookback_scan_determinismE0ELb0ELb0ES3_PKS6_PS6_S6_ZZZN2at6native31launch_logcumsumexp_cuda_kernelERKNSD_10TensorBaseESH_lENKUlvE_clEvENKUlvE3_clEvEUlS6_S6_E_S6_EEDaPvRmT3_T4_T5_mT6_P12ihipStream_tbENKUlT_T0_E_clISt17integral_constantIbLb1EESX_IbLb0EEEEDaST_SU_EUlST_E_NS1_11comp_targetILNS1_3genE8ELNS1_11target_archE1030ELNS1_3gpuE2ELNS1_3repE0EEENS1_30default_config_static_selectorELNS0_4arch9wavefront6targetE1EEEvT1_.has_indirect_call, 0
	.section	.AMDGPU.csdata,"",@progbits
; Kernel info:
; codeLenInByte = 0
; TotalNumSgprs: 4
; NumVgprs: 0
; ScratchSize: 0
; MemoryBound: 0
; FloatMode: 240
; IeeeMode: 1
; LDSByteSize: 0 bytes/workgroup (compile time only)
; SGPRBlocks: 0
; VGPRBlocks: 0
; NumSGPRsForWavesPerEU: 4
; NumVGPRsForWavesPerEU: 1
; Occupancy: 10
; WaveLimiterHint : 0
; COMPUTE_PGM_RSRC2:SCRATCH_EN: 0
; COMPUTE_PGM_RSRC2:USER_SGPR: 6
; COMPUTE_PGM_RSRC2:TRAP_HANDLER: 0
; COMPUTE_PGM_RSRC2:TGID_X_EN: 1
; COMPUTE_PGM_RSRC2:TGID_Y_EN: 0
; COMPUTE_PGM_RSRC2:TGID_Z_EN: 0
; COMPUTE_PGM_RSRC2:TIDIG_COMP_CNT: 0
	.section	.text._ZN7rocprim17ROCPRIM_400000_NS6detail17trampoline_kernelINS0_14default_configENS1_20scan_config_selectorIN3c104HalfEEEZZNS1_9scan_implILNS1_25lookback_scan_determinismE0ELb0ELb0ES3_PKS6_PS6_S6_ZZZN2at6native31launch_logcumsumexp_cuda_kernelERKNSD_10TensorBaseESH_lENKUlvE_clEvENKUlvE3_clEvEUlS6_S6_E_S6_EEDaPvRmT3_T4_T5_mT6_P12ihipStream_tbENKUlT_T0_E_clISt17integral_constantIbLb1EESX_IbLb0EEEEDaST_SU_EUlST_E0_NS1_11comp_targetILNS1_3genE0ELNS1_11target_archE4294967295ELNS1_3gpuE0ELNS1_3repE0EEENS1_30default_config_static_selectorELNS0_4arch9wavefront6targetE1EEEvT1_,"axG",@progbits,_ZN7rocprim17ROCPRIM_400000_NS6detail17trampoline_kernelINS0_14default_configENS1_20scan_config_selectorIN3c104HalfEEEZZNS1_9scan_implILNS1_25lookback_scan_determinismE0ELb0ELb0ES3_PKS6_PS6_S6_ZZZN2at6native31launch_logcumsumexp_cuda_kernelERKNSD_10TensorBaseESH_lENKUlvE_clEvENKUlvE3_clEvEUlS6_S6_E_S6_EEDaPvRmT3_T4_T5_mT6_P12ihipStream_tbENKUlT_T0_E_clISt17integral_constantIbLb1EESX_IbLb0EEEEDaST_SU_EUlST_E0_NS1_11comp_targetILNS1_3genE0ELNS1_11target_archE4294967295ELNS1_3gpuE0ELNS1_3repE0EEENS1_30default_config_static_selectorELNS0_4arch9wavefront6targetE1EEEvT1_,comdat
	.globl	_ZN7rocprim17ROCPRIM_400000_NS6detail17trampoline_kernelINS0_14default_configENS1_20scan_config_selectorIN3c104HalfEEEZZNS1_9scan_implILNS1_25lookback_scan_determinismE0ELb0ELb0ES3_PKS6_PS6_S6_ZZZN2at6native31launch_logcumsumexp_cuda_kernelERKNSD_10TensorBaseESH_lENKUlvE_clEvENKUlvE3_clEvEUlS6_S6_E_S6_EEDaPvRmT3_T4_T5_mT6_P12ihipStream_tbENKUlT_T0_E_clISt17integral_constantIbLb1EESX_IbLb0EEEEDaST_SU_EUlST_E0_NS1_11comp_targetILNS1_3genE0ELNS1_11target_archE4294967295ELNS1_3gpuE0ELNS1_3repE0EEENS1_30default_config_static_selectorELNS0_4arch9wavefront6targetE1EEEvT1_ ; -- Begin function _ZN7rocprim17ROCPRIM_400000_NS6detail17trampoline_kernelINS0_14default_configENS1_20scan_config_selectorIN3c104HalfEEEZZNS1_9scan_implILNS1_25lookback_scan_determinismE0ELb0ELb0ES3_PKS6_PS6_S6_ZZZN2at6native31launch_logcumsumexp_cuda_kernelERKNSD_10TensorBaseESH_lENKUlvE_clEvENKUlvE3_clEvEUlS6_S6_E_S6_EEDaPvRmT3_T4_T5_mT6_P12ihipStream_tbENKUlT_T0_E_clISt17integral_constantIbLb1EESX_IbLb0EEEEDaST_SU_EUlST_E0_NS1_11comp_targetILNS1_3genE0ELNS1_11target_archE4294967295ELNS1_3gpuE0ELNS1_3repE0EEENS1_30default_config_static_selectorELNS0_4arch9wavefront6targetE1EEEvT1_
	.p2align	8
	.type	_ZN7rocprim17ROCPRIM_400000_NS6detail17trampoline_kernelINS0_14default_configENS1_20scan_config_selectorIN3c104HalfEEEZZNS1_9scan_implILNS1_25lookback_scan_determinismE0ELb0ELb0ES3_PKS6_PS6_S6_ZZZN2at6native31launch_logcumsumexp_cuda_kernelERKNSD_10TensorBaseESH_lENKUlvE_clEvENKUlvE3_clEvEUlS6_S6_E_S6_EEDaPvRmT3_T4_T5_mT6_P12ihipStream_tbENKUlT_T0_E_clISt17integral_constantIbLb1EESX_IbLb0EEEEDaST_SU_EUlST_E0_NS1_11comp_targetILNS1_3genE0ELNS1_11target_archE4294967295ELNS1_3gpuE0ELNS1_3repE0EEENS1_30default_config_static_selectorELNS0_4arch9wavefront6targetE1EEEvT1_,@function
_ZN7rocprim17ROCPRIM_400000_NS6detail17trampoline_kernelINS0_14default_configENS1_20scan_config_selectorIN3c104HalfEEEZZNS1_9scan_implILNS1_25lookback_scan_determinismE0ELb0ELb0ES3_PKS6_PS6_S6_ZZZN2at6native31launch_logcumsumexp_cuda_kernelERKNSD_10TensorBaseESH_lENKUlvE_clEvENKUlvE3_clEvEUlS6_S6_E_S6_EEDaPvRmT3_T4_T5_mT6_P12ihipStream_tbENKUlT_T0_E_clISt17integral_constantIbLb1EESX_IbLb0EEEEDaST_SU_EUlST_E0_NS1_11comp_targetILNS1_3genE0ELNS1_11target_archE4294967295ELNS1_3gpuE0ELNS1_3repE0EEENS1_30default_config_static_selectorELNS0_4arch9wavefront6targetE1EEEvT1_: ; @_ZN7rocprim17ROCPRIM_400000_NS6detail17trampoline_kernelINS0_14default_configENS1_20scan_config_selectorIN3c104HalfEEEZZNS1_9scan_implILNS1_25lookback_scan_determinismE0ELb0ELb0ES3_PKS6_PS6_S6_ZZZN2at6native31launch_logcumsumexp_cuda_kernelERKNSD_10TensorBaseESH_lENKUlvE_clEvENKUlvE3_clEvEUlS6_S6_E_S6_EEDaPvRmT3_T4_T5_mT6_P12ihipStream_tbENKUlT_T0_E_clISt17integral_constantIbLb1EESX_IbLb0EEEEDaST_SU_EUlST_E0_NS1_11comp_targetILNS1_3genE0ELNS1_11target_archE4294967295ELNS1_3gpuE0ELNS1_3repE0EEENS1_30default_config_static_selectorELNS0_4arch9wavefront6targetE1EEEvT1_
; %bb.0:
	.section	.rodata,"a",@progbits
	.p2align	6, 0x0
	.amdhsa_kernel _ZN7rocprim17ROCPRIM_400000_NS6detail17trampoline_kernelINS0_14default_configENS1_20scan_config_selectorIN3c104HalfEEEZZNS1_9scan_implILNS1_25lookback_scan_determinismE0ELb0ELb0ES3_PKS6_PS6_S6_ZZZN2at6native31launch_logcumsumexp_cuda_kernelERKNSD_10TensorBaseESH_lENKUlvE_clEvENKUlvE3_clEvEUlS6_S6_E_S6_EEDaPvRmT3_T4_T5_mT6_P12ihipStream_tbENKUlT_T0_E_clISt17integral_constantIbLb1EESX_IbLb0EEEEDaST_SU_EUlST_E0_NS1_11comp_targetILNS1_3genE0ELNS1_11target_archE4294967295ELNS1_3gpuE0ELNS1_3repE0EEENS1_30default_config_static_selectorELNS0_4arch9wavefront6targetE1EEEvT1_
		.amdhsa_group_segment_fixed_size 0
		.amdhsa_private_segment_fixed_size 0
		.amdhsa_kernarg_size 32
		.amdhsa_user_sgpr_count 6
		.amdhsa_user_sgpr_private_segment_buffer 1
		.amdhsa_user_sgpr_dispatch_ptr 0
		.amdhsa_user_sgpr_queue_ptr 0
		.amdhsa_user_sgpr_kernarg_segment_ptr 1
		.amdhsa_user_sgpr_dispatch_id 0
		.amdhsa_user_sgpr_flat_scratch_init 0
		.amdhsa_user_sgpr_private_segment_size 0
		.amdhsa_uses_dynamic_stack 0
		.amdhsa_system_sgpr_private_segment_wavefront_offset 0
		.amdhsa_system_sgpr_workgroup_id_x 1
		.amdhsa_system_sgpr_workgroup_id_y 0
		.amdhsa_system_sgpr_workgroup_id_z 0
		.amdhsa_system_sgpr_workgroup_info 0
		.amdhsa_system_vgpr_workitem_id 0
		.amdhsa_next_free_vgpr 1
		.amdhsa_next_free_sgpr 0
		.amdhsa_reserve_vcc 0
		.amdhsa_reserve_flat_scratch 0
		.amdhsa_float_round_mode_32 0
		.amdhsa_float_round_mode_16_64 0
		.amdhsa_float_denorm_mode_32 3
		.amdhsa_float_denorm_mode_16_64 3
		.amdhsa_dx10_clamp 1
		.amdhsa_ieee_mode 1
		.amdhsa_fp16_overflow 0
		.amdhsa_exception_fp_ieee_invalid_op 0
		.amdhsa_exception_fp_denorm_src 0
		.amdhsa_exception_fp_ieee_div_zero 0
		.amdhsa_exception_fp_ieee_overflow 0
		.amdhsa_exception_fp_ieee_underflow 0
		.amdhsa_exception_fp_ieee_inexact 0
		.amdhsa_exception_int_div_zero 0
	.end_amdhsa_kernel
	.section	.text._ZN7rocprim17ROCPRIM_400000_NS6detail17trampoline_kernelINS0_14default_configENS1_20scan_config_selectorIN3c104HalfEEEZZNS1_9scan_implILNS1_25lookback_scan_determinismE0ELb0ELb0ES3_PKS6_PS6_S6_ZZZN2at6native31launch_logcumsumexp_cuda_kernelERKNSD_10TensorBaseESH_lENKUlvE_clEvENKUlvE3_clEvEUlS6_S6_E_S6_EEDaPvRmT3_T4_T5_mT6_P12ihipStream_tbENKUlT_T0_E_clISt17integral_constantIbLb1EESX_IbLb0EEEEDaST_SU_EUlST_E0_NS1_11comp_targetILNS1_3genE0ELNS1_11target_archE4294967295ELNS1_3gpuE0ELNS1_3repE0EEENS1_30default_config_static_selectorELNS0_4arch9wavefront6targetE1EEEvT1_,"axG",@progbits,_ZN7rocprim17ROCPRIM_400000_NS6detail17trampoline_kernelINS0_14default_configENS1_20scan_config_selectorIN3c104HalfEEEZZNS1_9scan_implILNS1_25lookback_scan_determinismE0ELb0ELb0ES3_PKS6_PS6_S6_ZZZN2at6native31launch_logcumsumexp_cuda_kernelERKNSD_10TensorBaseESH_lENKUlvE_clEvENKUlvE3_clEvEUlS6_S6_E_S6_EEDaPvRmT3_T4_T5_mT6_P12ihipStream_tbENKUlT_T0_E_clISt17integral_constantIbLb1EESX_IbLb0EEEEDaST_SU_EUlST_E0_NS1_11comp_targetILNS1_3genE0ELNS1_11target_archE4294967295ELNS1_3gpuE0ELNS1_3repE0EEENS1_30default_config_static_selectorELNS0_4arch9wavefront6targetE1EEEvT1_,comdat
.Lfunc_end406:
	.size	_ZN7rocprim17ROCPRIM_400000_NS6detail17trampoline_kernelINS0_14default_configENS1_20scan_config_selectorIN3c104HalfEEEZZNS1_9scan_implILNS1_25lookback_scan_determinismE0ELb0ELb0ES3_PKS6_PS6_S6_ZZZN2at6native31launch_logcumsumexp_cuda_kernelERKNSD_10TensorBaseESH_lENKUlvE_clEvENKUlvE3_clEvEUlS6_S6_E_S6_EEDaPvRmT3_T4_T5_mT6_P12ihipStream_tbENKUlT_T0_E_clISt17integral_constantIbLb1EESX_IbLb0EEEEDaST_SU_EUlST_E0_NS1_11comp_targetILNS1_3genE0ELNS1_11target_archE4294967295ELNS1_3gpuE0ELNS1_3repE0EEENS1_30default_config_static_selectorELNS0_4arch9wavefront6targetE1EEEvT1_, .Lfunc_end406-_ZN7rocprim17ROCPRIM_400000_NS6detail17trampoline_kernelINS0_14default_configENS1_20scan_config_selectorIN3c104HalfEEEZZNS1_9scan_implILNS1_25lookback_scan_determinismE0ELb0ELb0ES3_PKS6_PS6_S6_ZZZN2at6native31launch_logcumsumexp_cuda_kernelERKNSD_10TensorBaseESH_lENKUlvE_clEvENKUlvE3_clEvEUlS6_S6_E_S6_EEDaPvRmT3_T4_T5_mT6_P12ihipStream_tbENKUlT_T0_E_clISt17integral_constantIbLb1EESX_IbLb0EEEEDaST_SU_EUlST_E0_NS1_11comp_targetILNS1_3genE0ELNS1_11target_archE4294967295ELNS1_3gpuE0ELNS1_3repE0EEENS1_30default_config_static_selectorELNS0_4arch9wavefront6targetE1EEEvT1_
                                        ; -- End function
	.set _ZN7rocprim17ROCPRIM_400000_NS6detail17trampoline_kernelINS0_14default_configENS1_20scan_config_selectorIN3c104HalfEEEZZNS1_9scan_implILNS1_25lookback_scan_determinismE0ELb0ELb0ES3_PKS6_PS6_S6_ZZZN2at6native31launch_logcumsumexp_cuda_kernelERKNSD_10TensorBaseESH_lENKUlvE_clEvENKUlvE3_clEvEUlS6_S6_E_S6_EEDaPvRmT3_T4_T5_mT6_P12ihipStream_tbENKUlT_T0_E_clISt17integral_constantIbLb1EESX_IbLb0EEEEDaST_SU_EUlST_E0_NS1_11comp_targetILNS1_3genE0ELNS1_11target_archE4294967295ELNS1_3gpuE0ELNS1_3repE0EEENS1_30default_config_static_selectorELNS0_4arch9wavefront6targetE1EEEvT1_.num_vgpr, 0
	.set _ZN7rocprim17ROCPRIM_400000_NS6detail17trampoline_kernelINS0_14default_configENS1_20scan_config_selectorIN3c104HalfEEEZZNS1_9scan_implILNS1_25lookback_scan_determinismE0ELb0ELb0ES3_PKS6_PS6_S6_ZZZN2at6native31launch_logcumsumexp_cuda_kernelERKNSD_10TensorBaseESH_lENKUlvE_clEvENKUlvE3_clEvEUlS6_S6_E_S6_EEDaPvRmT3_T4_T5_mT6_P12ihipStream_tbENKUlT_T0_E_clISt17integral_constantIbLb1EESX_IbLb0EEEEDaST_SU_EUlST_E0_NS1_11comp_targetILNS1_3genE0ELNS1_11target_archE4294967295ELNS1_3gpuE0ELNS1_3repE0EEENS1_30default_config_static_selectorELNS0_4arch9wavefront6targetE1EEEvT1_.num_agpr, 0
	.set _ZN7rocprim17ROCPRIM_400000_NS6detail17trampoline_kernelINS0_14default_configENS1_20scan_config_selectorIN3c104HalfEEEZZNS1_9scan_implILNS1_25lookback_scan_determinismE0ELb0ELb0ES3_PKS6_PS6_S6_ZZZN2at6native31launch_logcumsumexp_cuda_kernelERKNSD_10TensorBaseESH_lENKUlvE_clEvENKUlvE3_clEvEUlS6_S6_E_S6_EEDaPvRmT3_T4_T5_mT6_P12ihipStream_tbENKUlT_T0_E_clISt17integral_constantIbLb1EESX_IbLb0EEEEDaST_SU_EUlST_E0_NS1_11comp_targetILNS1_3genE0ELNS1_11target_archE4294967295ELNS1_3gpuE0ELNS1_3repE0EEENS1_30default_config_static_selectorELNS0_4arch9wavefront6targetE1EEEvT1_.numbered_sgpr, 0
	.set _ZN7rocprim17ROCPRIM_400000_NS6detail17trampoline_kernelINS0_14default_configENS1_20scan_config_selectorIN3c104HalfEEEZZNS1_9scan_implILNS1_25lookback_scan_determinismE0ELb0ELb0ES3_PKS6_PS6_S6_ZZZN2at6native31launch_logcumsumexp_cuda_kernelERKNSD_10TensorBaseESH_lENKUlvE_clEvENKUlvE3_clEvEUlS6_S6_E_S6_EEDaPvRmT3_T4_T5_mT6_P12ihipStream_tbENKUlT_T0_E_clISt17integral_constantIbLb1EESX_IbLb0EEEEDaST_SU_EUlST_E0_NS1_11comp_targetILNS1_3genE0ELNS1_11target_archE4294967295ELNS1_3gpuE0ELNS1_3repE0EEENS1_30default_config_static_selectorELNS0_4arch9wavefront6targetE1EEEvT1_.num_named_barrier, 0
	.set _ZN7rocprim17ROCPRIM_400000_NS6detail17trampoline_kernelINS0_14default_configENS1_20scan_config_selectorIN3c104HalfEEEZZNS1_9scan_implILNS1_25lookback_scan_determinismE0ELb0ELb0ES3_PKS6_PS6_S6_ZZZN2at6native31launch_logcumsumexp_cuda_kernelERKNSD_10TensorBaseESH_lENKUlvE_clEvENKUlvE3_clEvEUlS6_S6_E_S6_EEDaPvRmT3_T4_T5_mT6_P12ihipStream_tbENKUlT_T0_E_clISt17integral_constantIbLb1EESX_IbLb0EEEEDaST_SU_EUlST_E0_NS1_11comp_targetILNS1_3genE0ELNS1_11target_archE4294967295ELNS1_3gpuE0ELNS1_3repE0EEENS1_30default_config_static_selectorELNS0_4arch9wavefront6targetE1EEEvT1_.private_seg_size, 0
	.set _ZN7rocprim17ROCPRIM_400000_NS6detail17trampoline_kernelINS0_14default_configENS1_20scan_config_selectorIN3c104HalfEEEZZNS1_9scan_implILNS1_25lookback_scan_determinismE0ELb0ELb0ES3_PKS6_PS6_S6_ZZZN2at6native31launch_logcumsumexp_cuda_kernelERKNSD_10TensorBaseESH_lENKUlvE_clEvENKUlvE3_clEvEUlS6_S6_E_S6_EEDaPvRmT3_T4_T5_mT6_P12ihipStream_tbENKUlT_T0_E_clISt17integral_constantIbLb1EESX_IbLb0EEEEDaST_SU_EUlST_E0_NS1_11comp_targetILNS1_3genE0ELNS1_11target_archE4294967295ELNS1_3gpuE0ELNS1_3repE0EEENS1_30default_config_static_selectorELNS0_4arch9wavefront6targetE1EEEvT1_.uses_vcc, 0
	.set _ZN7rocprim17ROCPRIM_400000_NS6detail17trampoline_kernelINS0_14default_configENS1_20scan_config_selectorIN3c104HalfEEEZZNS1_9scan_implILNS1_25lookback_scan_determinismE0ELb0ELb0ES3_PKS6_PS6_S6_ZZZN2at6native31launch_logcumsumexp_cuda_kernelERKNSD_10TensorBaseESH_lENKUlvE_clEvENKUlvE3_clEvEUlS6_S6_E_S6_EEDaPvRmT3_T4_T5_mT6_P12ihipStream_tbENKUlT_T0_E_clISt17integral_constantIbLb1EESX_IbLb0EEEEDaST_SU_EUlST_E0_NS1_11comp_targetILNS1_3genE0ELNS1_11target_archE4294967295ELNS1_3gpuE0ELNS1_3repE0EEENS1_30default_config_static_selectorELNS0_4arch9wavefront6targetE1EEEvT1_.uses_flat_scratch, 0
	.set _ZN7rocprim17ROCPRIM_400000_NS6detail17trampoline_kernelINS0_14default_configENS1_20scan_config_selectorIN3c104HalfEEEZZNS1_9scan_implILNS1_25lookback_scan_determinismE0ELb0ELb0ES3_PKS6_PS6_S6_ZZZN2at6native31launch_logcumsumexp_cuda_kernelERKNSD_10TensorBaseESH_lENKUlvE_clEvENKUlvE3_clEvEUlS6_S6_E_S6_EEDaPvRmT3_T4_T5_mT6_P12ihipStream_tbENKUlT_T0_E_clISt17integral_constantIbLb1EESX_IbLb0EEEEDaST_SU_EUlST_E0_NS1_11comp_targetILNS1_3genE0ELNS1_11target_archE4294967295ELNS1_3gpuE0ELNS1_3repE0EEENS1_30default_config_static_selectorELNS0_4arch9wavefront6targetE1EEEvT1_.has_dyn_sized_stack, 0
	.set _ZN7rocprim17ROCPRIM_400000_NS6detail17trampoline_kernelINS0_14default_configENS1_20scan_config_selectorIN3c104HalfEEEZZNS1_9scan_implILNS1_25lookback_scan_determinismE0ELb0ELb0ES3_PKS6_PS6_S6_ZZZN2at6native31launch_logcumsumexp_cuda_kernelERKNSD_10TensorBaseESH_lENKUlvE_clEvENKUlvE3_clEvEUlS6_S6_E_S6_EEDaPvRmT3_T4_T5_mT6_P12ihipStream_tbENKUlT_T0_E_clISt17integral_constantIbLb1EESX_IbLb0EEEEDaST_SU_EUlST_E0_NS1_11comp_targetILNS1_3genE0ELNS1_11target_archE4294967295ELNS1_3gpuE0ELNS1_3repE0EEENS1_30default_config_static_selectorELNS0_4arch9wavefront6targetE1EEEvT1_.has_recursion, 0
	.set _ZN7rocprim17ROCPRIM_400000_NS6detail17trampoline_kernelINS0_14default_configENS1_20scan_config_selectorIN3c104HalfEEEZZNS1_9scan_implILNS1_25lookback_scan_determinismE0ELb0ELb0ES3_PKS6_PS6_S6_ZZZN2at6native31launch_logcumsumexp_cuda_kernelERKNSD_10TensorBaseESH_lENKUlvE_clEvENKUlvE3_clEvEUlS6_S6_E_S6_EEDaPvRmT3_T4_T5_mT6_P12ihipStream_tbENKUlT_T0_E_clISt17integral_constantIbLb1EESX_IbLb0EEEEDaST_SU_EUlST_E0_NS1_11comp_targetILNS1_3genE0ELNS1_11target_archE4294967295ELNS1_3gpuE0ELNS1_3repE0EEENS1_30default_config_static_selectorELNS0_4arch9wavefront6targetE1EEEvT1_.has_indirect_call, 0
	.section	.AMDGPU.csdata,"",@progbits
; Kernel info:
; codeLenInByte = 0
; TotalNumSgprs: 4
; NumVgprs: 0
; ScratchSize: 0
; MemoryBound: 0
; FloatMode: 240
; IeeeMode: 1
; LDSByteSize: 0 bytes/workgroup (compile time only)
; SGPRBlocks: 0
; VGPRBlocks: 0
; NumSGPRsForWavesPerEU: 4
; NumVGPRsForWavesPerEU: 1
; Occupancy: 10
; WaveLimiterHint : 0
; COMPUTE_PGM_RSRC2:SCRATCH_EN: 0
; COMPUTE_PGM_RSRC2:USER_SGPR: 6
; COMPUTE_PGM_RSRC2:TRAP_HANDLER: 0
; COMPUTE_PGM_RSRC2:TGID_X_EN: 1
; COMPUTE_PGM_RSRC2:TGID_Y_EN: 0
; COMPUTE_PGM_RSRC2:TGID_Z_EN: 0
; COMPUTE_PGM_RSRC2:TIDIG_COMP_CNT: 0
	.section	.text._ZN7rocprim17ROCPRIM_400000_NS6detail17trampoline_kernelINS0_14default_configENS1_20scan_config_selectorIN3c104HalfEEEZZNS1_9scan_implILNS1_25lookback_scan_determinismE0ELb0ELb0ES3_PKS6_PS6_S6_ZZZN2at6native31launch_logcumsumexp_cuda_kernelERKNSD_10TensorBaseESH_lENKUlvE_clEvENKUlvE3_clEvEUlS6_S6_E_S6_EEDaPvRmT3_T4_T5_mT6_P12ihipStream_tbENKUlT_T0_E_clISt17integral_constantIbLb1EESX_IbLb0EEEEDaST_SU_EUlST_E0_NS1_11comp_targetILNS1_3genE5ELNS1_11target_archE942ELNS1_3gpuE9ELNS1_3repE0EEENS1_30default_config_static_selectorELNS0_4arch9wavefront6targetE1EEEvT1_,"axG",@progbits,_ZN7rocprim17ROCPRIM_400000_NS6detail17trampoline_kernelINS0_14default_configENS1_20scan_config_selectorIN3c104HalfEEEZZNS1_9scan_implILNS1_25lookback_scan_determinismE0ELb0ELb0ES3_PKS6_PS6_S6_ZZZN2at6native31launch_logcumsumexp_cuda_kernelERKNSD_10TensorBaseESH_lENKUlvE_clEvENKUlvE3_clEvEUlS6_S6_E_S6_EEDaPvRmT3_T4_T5_mT6_P12ihipStream_tbENKUlT_T0_E_clISt17integral_constantIbLb1EESX_IbLb0EEEEDaST_SU_EUlST_E0_NS1_11comp_targetILNS1_3genE5ELNS1_11target_archE942ELNS1_3gpuE9ELNS1_3repE0EEENS1_30default_config_static_selectorELNS0_4arch9wavefront6targetE1EEEvT1_,comdat
	.globl	_ZN7rocprim17ROCPRIM_400000_NS6detail17trampoline_kernelINS0_14default_configENS1_20scan_config_selectorIN3c104HalfEEEZZNS1_9scan_implILNS1_25lookback_scan_determinismE0ELb0ELb0ES3_PKS6_PS6_S6_ZZZN2at6native31launch_logcumsumexp_cuda_kernelERKNSD_10TensorBaseESH_lENKUlvE_clEvENKUlvE3_clEvEUlS6_S6_E_S6_EEDaPvRmT3_T4_T5_mT6_P12ihipStream_tbENKUlT_T0_E_clISt17integral_constantIbLb1EESX_IbLb0EEEEDaST_SU_EUlST_E0_NS1_11comp_targetILNS1_3genE5ELNS1_11target_archE942ELNS1_3gpuE9ELNS1_3repE0EEENS1_30default_config_static_selectorELNS0_4arch9wavefront6targetE1EEEvT1_ ; -- Begin function _ZN7rocprim17ROCPRIM_400000_NS6detail17trampoline_kernelINS0_14default_configENS1_20scan_config_selectorIN3c104HalfEEEZZNS1_9scan_implILNS1_25lookback_scan_determinismE0ELb0ELb0ES3_PKS6_PS6_S6_ZZZN2at6native31launch_logcumsumexp_cuda_kernelERKNSD_10TensorBaseESH_lENKUlvE_clEvENKUlvE3_clEvEUlS6_S6_E_S6_EEDaPvRmT3_T4_T5_mT6_P12ihipStream_tbENKUlT_T0_E_clISt17integral_constantIbLb1EESX_IbLb0EEEEDaST_SU_EUlST_E0_NS1_11comp_targetILNS1_3genE5ELNS1_11target_archE942ELNS1_3gpuE9ELNS1_3repE0EEENS1_30default_config_static_selectorELNS0_4arch9wavefront6targetE1EEEvT1_
	.p2align	8
	.type	_ZN7rocprim17ROCPRIM_400000_NS6detail17trampoline_kernelINS0_14default_configENS1_20scan_config_selectorIN3c104HalfEEEZZNS1_9scan_implILNS1_25lookback_scan_determinismE0ELb0ELb0ES3_PKS6_PS6_S6_ZZZN2at6native31launch_logcumsumexp_cuda_kernelERKNSD_10TensorBaseESH_lENKUlvE_clEvENKUlvE3_clEvEUlS6_S6_E_S6_EEDaPvRmT3_T4_T5_mT6_P12ihipStream_tbENKUlT_T0_E_clISt17integral_constantIbLb1EESX_IbLb0EEEEDaST_SU_EUlST_E0_NS1_11comp_targetILNS1_3genE5ELNS1_11target_archE942ELNS1_3gpuE9ELNS1_3repE0EEENS1_30default_config_static_selectorELNS0_4arch9wavefront6targetE1EEEvT1_,@function
_ZN7rocprim17ROCPRIM_400000_NS6detail17trampoline_kernelINS0_14default_configENS1_20scan_config_selectorIN3c104HalfEEEZZNS1_9scan_implILNS1_25lookback_scan_determinismE0ELb0ELb0ES3_PKS6_PS6_S6_ZZZN2at6native31launch_logcumsumexp_cuda_kernelERKNSD_10TensorBaseESH_lENKUlvE_clEvENKUlvE3_clEvEUlS6_S6_E_S6_EEDaPvRmT3_T4_T5_mT6_P12ihipStream_tbENKUlT_T0_E_clISt17integral_constantIbLb1EESX_IbLb0EEEEDaST_SU_EUlST_E0_NS1_11comp_targetILNS1_3genE5ELNS1_11target_archE942ELNS1_3gpuE9ELNS1_3repE0EEENS1_30default_config_static_selectorELNS0_4arch9wavefront6targetE1EEEvT1_: ; @_ZN7rocprim17ROCPRIM_400000_NS6detail17trampoline_kernelINS0_14default_configENS1_20scan_config_selectorIN3c104HalfEEEZZNS1_9scan_implILNS1_25lookback_scan_determinismE0ELb0ELb0ES3_PKS6_PS6_S6_ZZZN2at6native31launch_logcumsumexp_cuda_kernelERKNSD_10TensorBaseESH_lENKUlvE_clEvENKUlvE3_clEvEUlS6_S6_E_S6_EEDaPvRmT3_T4_T5_mT6_P12ihipStream_tbENKUlT_T0_E_clISt17integral_constantIbLb1EESX_IbLb0EEEEDaST_SU_EUlST_E0_NS1_11comp_targetILNS1_3genE5ELNS1_11target_archE942ELNS1_3gpuE9ELNS1_3repE0EEENS1_30default_config_static_selectorELNS0_4arch9wavefront6targetE1EEEvT1_
; %bb.0:
	.section	.rodata,"a",@progbits
	.p2align	6, 0x0
	.amdhsa_kernel _ZN7rocprim17ROCPRIM_400000_NS6detail17trampoline_kernelINS0_14default_configENS1_20scan_config_selectorIN3c104HalfEEEZZNS1_9scan_implILNS1_25lookback_scan_determinismE0ELb0ELb0ES3_PKS6_PS6_S6_ZZZN2at6native31launch_logcumsumexp_cuda_kernelERKNSD_10TensorBaseESH_lENKUlvE_clEvENKUlvE3_clEvEUlS6_S6_E_S6_EEDaPvRmT3_T4_T5_mT6_P12ihipStream_tbENKUlT_T0_E_clISt17integral_constantIbLb1EESX_IbLb0EEEEDaST_SU_EUlST_E0_NS1_11comp_targetILNS1_3genE5ELNS1_11target_archE942ELNS1_3gpuE9ELNS1_3repE0EEENS1_30default_config_static_selectorELNS0_4arch9wavefront6targetE1EEEvT1_
		.amdhsa_group_segment_fixed_size 0
		.amdhsa_private_segment_fixed_size 0
		.amdhsa_kernarg_size 32
		.amdhsa_user_sgpr_count 6
		.amdhsa_user_sgpr_private_segment_buffer 1
		.amdhsa_user_sgpr_dispatch_ptr 0
		.amdhsa_user_sgpr_queue_ptr 0
		.amdhsa_user_sgpr_kernarg_segment_ptr 1
		.amdhsa_user_sgpr_dispatch_id 0
		.amdhsa_user_sgpr_flat_scratch_init 0
		.amdhsa_user_sgpr_private_segment_size 0
		.amdhsa_uses_dynamic_stack 0
		.amdhsa_system_sgpr_private_segment_wavefront_offset 0
		.amdhsa_system_sgpr_workgroup_id_x 1
		.amdhsa_system_sgpr_workgroup_id_y 0
		.amdhsa_system_sgpr_workgroup_id_z 0
		.amdhsa_system_sgpr_workgroup_info 0
		.amdhsa_system_vgpr_workitem_id 0
		.amdhsa_next_free_vgpr 1
		.amdhsa_next_free_sgpr 0
		.amdhsa_reserve_vcc 0
		.amdhsa_reserve_flat_scratch 0
		.amdhsa_float_round_mode_32 0
		.amdhsa_float_round_mode_16_64 0
		.amdhsa_float_denorm_mode_32 3
		.amdhsa_float_denorm_mode_16_64 3
		.amdhsa_dx10_clamp 1
		.amdhsa_ieee_mode 1
		.amdhsa_fp16_overflow 0
		.amdhsa_exception_fp_ieee_invalid_op 0
		.amdhsa_exception_fp_denorm_src 0
		.amdhsa_exception_fp_ieee_div_zero 0
		.amdhsa_exception_fp_ieee_overflow 0
		.amdhsa_exception_fp_ieee_underflow 0
		.amdhsa_exception_fp_ieee_inexact 0
		.amdhsa_exception_int_div_zero 0
	.end_amdhsa_kernel
	.section	.text._ZN7rocprim17ROCPRIM_400000_NS6detail17trampoline_kernelINS0_14default_configENS1_20scan_config_selectorIN3c104HalfEEEZZNS1_9scan_implILNS1_25lookback_scan_determinismE0ELb0ELb0ES3_PKS6_PS6_S6_ZZZN2at6native31launch_logcumsumexp_cuda_kernelERKNSD_10TensorBaseESH_lENKUlvE_clEvENKUlvE3_clEvEUlS6_S6_E_S6_EEDaPvRmT3_T4_T5_mT6_P12ihipStream_tbENKUlT_T0_E_clISt17integral_constantIbLb1EESX_IbLb0EEEEDaST_SU_EUlST_E0_NS1_11comp_targetILNS1_3genE5ELNS1_11target_archE942ELNS1_3gpuE9ELNS1_3repE0EEENS1_30default_config_static_selectorELNS0_4arch9wavefront6targetE1EEEvT1_,"axG",@progbits,_ZN7rocprim17ROCPRIM_400000_NS6detail17trampoline_kernelINS0_14default_configENS1_20scan_config_selectorIN3c104HalfEEEZZNS1_9scan_implILNS1_25lookback_scan_determinismE0ELb0ELb0ES3_PKS6_PS6_S6_ZZZN2at6native31launch_logcumsumexp_cuda_kernelERKNSD_10TensorBaseESH_lENKUlvE_clEvENKUlvE3_clEvEUlS6_S6_E_S6_EEDaPvRmT3_T4_T5_mT6_P12ihipStream_tbENKUlT_T0_E_clISt17integral_constantIbLb1EESX_IbLb0EEEEDaST_SU_EUlST_E0_NS1_11comp_targetILNS1_3genE5ELNS1_11target_archE942ELNS1_3gpuE9ELNS1_3repE0EEENS1_30default_config_static_selectorELNS0_4arch9wavefront6targetE1EEEvT1_,comdat
.Lfunc_end407:
	.size	_ZN7rocprim17ROCPRIM_400000_NS6detail17trampoline_kernelINS0_14default_configENS1_20scan_config_selectorIN3c104HalfEEEZZNS1_9scan_implILNS1_25lookback_scan_determinismE0ELb0ELb0ES3_PKS6_PS6_S6_ZZZN2at6native31launch_logcumsumexp_cuda_kernelERKNSD_10TensorBaseESH_lENKUlvE_clEvENKUlvE3_clEvEUlS6_S6_E_S6_EEDaPvRmT3_T4_T5_mT6_P12ihipStream_tbENKUlT_T0_E_clISt17integral_constantIbLb1EESX_IbLb0EEEEDaST_SU_EUlST_E0_NS1_11comp_targetILNS1_3genE5ELNS1_11target_archE942ELNS1_3gpuE9ELNS1_3repE0EEENS1_30default_config_static_selectorELNS0_4arch9wavefront6targetE1EEEvT1_, .Lfunc_end407-_ZN7rocprim17ROCPRIM_400000_NS6detail17trampoline_kernelINS0_14default_configENS1_20scan_config_selectorIN3c104HalfEEEZZNS1_9scan_implILNS1_25lookback_scan_determinismE0ELb0ELb0ES3_PKS6_PS6_S6_ZZZN2at6native31launch_logcumsumexp_cuda_kernelERKNSD_10TensorBaseESH_lENKUlvE_clEvENKUlvE3_clEvEUlS6_S6_E_S6_EEDaPvRmT3_T4_T5_mT6_P12ihipStream_tbENKUlT_T0_E_clISt17integral_constantIbLb1EESX_IbLb0EEEEDaST_SU_EUlST_E0_NS1_11comp_targetILNS1_3genE5ELNS1_11target_archE942ELNS1_3gpuE9ELNS1_3repE0EEENS1_30default_config_static_selectorELNS0_4arch9wavefront6targetE1EEEvT1_
                                        ; -- End function
	.set _ZN7rocprim17ROCPRIM_400000_NS6detail17trampoline_kernelINS0_14default_configENS1_20scan_config_selectorIN3c104HalfEEEZZNS1_9scan_implILNS1_25lookback_scan_determinismE0ELb0ELb0ES3_PKS6_PS6_S6_ZZZN2at6native31launch_logcumsumexp_cuda_kernelERKNSD_10TensorBaseESH_lENKUlvE_clEvENKUlvE3_clEvEUlS6_S6_E_S6_EEDaPvRmT3_T4_T5_mT6_P12ihipStream_tbENKUlT_T0_E_clISt17integral_constantIbLb1EESX_IbLb0EEEEDaST_SU_EUlST_E0_NS1_11comp_targetILNS1_3genE5ELNS1_11target_archE942ELNS1_3gpuE9ELNS1_3repE0EEENS1_30default_config_static_selectorELNS0_4arch9wavefront6targetE1EEEvT1_.num_vgpr, 0
	.set _ZN7rocprim17ROCPRIM_400000_NS6detail17trampoline_kernelINS0_14default_configENS1_20scan_config_selectorIN3c104HalfEEEZZNS1_9scan_implILNS1_25lookback_scan_determinismE0ELb0ELb0ES3_PKS6_PS6_S6_ZZZN2at6native31launch_logcumsumexp_cuda_kernelERKNSD_10TensorBaseESH_lENKUlvE_clEvENKUlvE3_clEvEUlS6_S6_E_S6_EEDaPvRmT3_T4_T5_mT6_P12ihipStream_tbENKUlT_T0_E_clISt17integral_constantIbLb1EESX_IbLb0EEEEDaST_SU_EUlST_E0_NS1_11comp_targetILNS1_3genE5ELNS1_11target_archE942ELNS1_3gpuE9ELNS1_3repE0EEENS1_30default_config_static_selectorELNS0_4arch9wavefront6targetE1EEEvT1_.num_agpr, 0
	.set _ZN7rocprim17ROCPRIM_400000_NS6detail17trampoline_kernelINS0_14default_configENS1_20scan_config_selectorIN3c104HalfEEEZZNS1_9scan_implILNS1_25lookback_scan_determinismE0ELb0ELb0ES3_PKS6_PS6_S6_ZZZN2at6native31launch_logcumsumexp_cuda_kernelERKNSD_10TensorBaseESH_lENKUlvE_clEvENKUlvE3_clEvEUlS6_S6_E_S6_EEDaPvRmT3_T4_T5_mT6_P12ihipStream_tbENKUlT_T0_E_clISt17integral_constantIbLb1EESX_IbLb0EEEEDaST_SU_EUlST_E0_NS1_11comp_targetILNS1_3genE5ELNS1_11target_archE942ELNS1_3gpuE9ELNS1_3repE0EEENS1_30default_config_static_selectorELNS0_4arch9wavefront6targetE1EEEvT1_.numbered_sgpr, 0
	.set _ZN7rocprim17ROCPRIM_400000_NS6detail17trampoline_kernelINS0_14default_configENS1_20scan_config_selectorIN3c104HalfEEEZZNS1_9scan_implILNS1_25lookback_scan_determinismE0ELb0ELb0ES3_PKS6_PS6_S6_ZZZN2at6native31launch_logcumsumexp_cuda_kernelERKNSD_10TensorBaseESH_lENKUlvE_clEvENKUlvE3_clEvEUlS6_S6_E_S6_EEDaPvRmT3_T4_T5_mT6_P12ihipStream_tbENKUlT_T0_E_clISt17integral_constantIbLb1EESX_IbLb0EEEEDaST_SU_EUlST_E0_NS1_11comp_targetILNS1_3genE5ELNS1_11target_archE942ELNS1_3gpuE9ELNS1_3repE0EEENS1_30default_config_static_selectorELNS0_4arch9wavefront6targetE1EEEvT1_.num_named_barrier, 0
	.set _ZN7rocprim17ROCPRIM_400000_NS6detail17trampoline_kernelINS0_14default_configENS1_20scan_config_selectorIN3c104HalfEEEZZNS1_9scan_implILNS1_25lookback_scan_determinismE0ELb0ELb0ES3_PKS6_PS6_S6_ZZZN2at6native31launch_logcumsumexp_cuda_kernelERKNSD_10TensorBaseESH_lENKUlvE_clEvENKUlvE3_clEvEUlS6_S6_E_S6_EEDaPvRmT3_T4_T5_mT6_P12ihipStream_tbENKUlT_T0_E_clISt17integral_constantIbLb1EESX_IbLb0EEEEDaST_SU_EUlST_E0_NS1_11comp_targetILNS1_3genE5ELNS1_11target_archE942ELNS1_3gpuE9ELNS1_3repE0EEENS1_30default_config_static_selectorELNS0_4arch9wavefront6targetE1EEEvT1_.private_seg_size, 0
	.set _ZN7rocprim17ROCPRIM_400000_NS6detail17trampoline_kernelINS0_14default_configENS1_20scan_config_selectorIN3c104HalfEEEZZNS1_9scan_implILNS1_25lookback_scan_determinismE0ELb0ELb0ES3_PKS6_PS6_S6_ZZZN2at6native31launch_logcumsumexp_cuda_kernelERKNSD_10TensorBaseESH_lENKUlvE_clEvENKUlvE3_clEvEUlS6_S6_E_S6_EEDaPvRmT3_T4_T5_mT6_P12ihipStream_tbENKUlT_T0_E_clISt17integral_constantIbLb1EESX_IbLb0EEEEDaST_SU_EUlST_E0_NS1_11comp_targetILNS1_3genE5ELNS1_11target_archE942ELNS1_3gpuE9ELNS1_3repE0EEENS1_30default_config_static_selectorELNS0_4arch9wavefront6targetE1EEEvT1_.uses_vcc, 0
	.set _ZN7rocprim17ROCPRIM_400000_NS6detail17trampoline_kernelINS0_14default_configENS1_20scan_config_selectorIN3c104HalfEEEZZNS1_9scan_implILNS1_25lookback_scan_determinismE0ELb0ELb0ES3_PKS6_PS6_S6_ZZZN2at6native31launch_logcumsumexp_cuda_kernelERKNSD_10TensorBaseESH_lENKUlvE_clEvENKUlvE3_clEvEUlS6_S6_E_S6_EEDaPvRmT3_T4_T5_mT6_P12ihipStream_tbENKUlT_T0_E_clISt17integral_constantIbLb1EESX_IbLb0EEEEDaST_SU_EUlST_E0_NS1_11comp_targetILNS1_3genE5ELNS1_11target_archE942ELNS1_3gpuE9ELNS1_3repE0EEENS1_30default_config_static_selectorELNS0_4arch9wavefront6targetE1EEEvT1_.uses_flat_scratch, 0
	.set _ZN7rocprim17ROCPRIM_400000_NS6detail17trampoline_kernelINS0_14default_configENS1_20scan_config_selectorIN3c104HalfEEEZZNS1_9scan_implILNS1_25lookback_scan_determinismE0ELb0ELb0ES3_PKS6_PS6_S6_ZZZN2at6native31launch_logcumsumexp_cuda_kernelERKNSD_10TensorBaseESH_lENKUlvE_clEvENKUlvE3_clEvEUlS6_S6_E_S6_EEDaPvRmT3_T4_T5_mT6_P12ihipStream_tbENKUlT_T0_E_clISt17integral_constantIbLb1EESX_IbLb0EEEEDaST_SU_EUlST_E0_NS1_11comp_targetILNS1_3genE5ELNS1_11target_archE942ELNS1_3gpuE9ELNS1_3repE0EEENS1_30default_config_static_selectorELNS0_4arch9wavefront6targetE1EEEvT1_.has_dyn_sized_stack, 0
	.set _ZN7rocprim17ROCPRIM_400000_NS6detail17trampoline_kernelINS0_14default_configENS1_20scan_config_selectorIN3c104HalfEEEZZNS1_9scan_implILNS1_25lookback_scan_determinismE0ELb0ELb0ES3_PKS6_PS6_S6_ZZZN2at6native31launch_logcumsumexp_cuda_kernelERKNSD_10TensorBaseESH_lENKUlvE_clEvENKUlvE3_clEvEUlS6_S6_E_S6_EEDaPvRmT3_T4_T5_mT6_P12ihipStream_tbENKUlT_T0_E_clISt17integral_constantIbLb1EESX_IbLb0EEEEDaST_SU_EUlST_E0_NS1_11comp_targetILNS1_3genE5ELNS1_11target_archE942ELNS1_3gpuE9ELNS1_3repE0EEENS1_30default_config_static_selectorELNS0_4arch9wavefront6targetE1EEEvT1_.has_recursion, 0
	.set _ZN7rocprim17ROCPRIM_400000_NS6detail17trampoline_kernelINS0_14default_configENS1_20scan_config_selectorIN3c104HalfEEEZZNS1_9scan_implILNS1_25lookback_scan_determinismE0ELb0ELb0ES3_PKS6_PS6_S6_ZZZN2at6native31launch_logcumsumexp_cuda_kernelERKNSD_10TensorBaseESH_lENKUlvE_clEvENKUlvE3_clEvEUlS6_S6_E_S6_EEDaPvRmT3_T4_T5_mT6_P12ihipStream_tbENKUlT_T0_E_clISt17integral_constantIbLb1EESX_IbLb0EEEEDaST_SU_EUlST_E0_NS1_11comp_targetILNS1_3genE5ELNS1_11target_archE942ELNS1_3gpuE9ELNS1_3repE0EEENS1_30default_config_static_selectorELNS0_4arch9wavefront6targetE1EEEvT1_.has_indirect_call, 0
	.section	.AMDGPU.csdata,"",@progbits
; Kernel info:
; codeLenInByte = 0
; TotalNumSgprs: 4
; NumVgprs: 0
; ScratchSize: 0
; MemoryBound: 0
; FloatMode: 240
; IeeeMode: 1
; LDSByteSize: 0 bytes/workgroup (compile time only)
; SGPRBlocks: 0
; VGPRBlocks: 0
; NumSGPRsForWavesPerEU: 4
; NumVGPRsForWavesPerEU: 1
; Occupancy: 10
; WaveLimiterHint : 0
; COMPUTE_PGM_RSRC2:SCRATCH_EN: 0
; COMPUTE_PGM_RSRC2:USER_SGPR: 6
; COMPUTE_PGM_RSRC2:TRAP_HANDLER: 0
; COMPUTE_PGM_RSRC2:TGID_X_EN: 1
; COMPUTE_PGM_RSRC2:TGID_Y_EN: 0
; COMPUTE_PGM_RSRC2:TGID_Z_EN: 0
; COMPUTE_PGM_RSRC2:TIDIG_COMP_CNT: 0
	.section	.text._ZN7rocprim17ROCPRIM_400000_NS6detail17trampoline_kernelINS0_14default_configENS1_20scan_config_selectorIN3c104HalfEEEZZNS1_9scan_implILNS1_25lookback_scan_determinismE0ELb0ELb0ES3_PKS6_PS6_S6_ZZZN2at6native31launch_logcumsumexp_cuda_kernelERKNSD_10TensorBaseESH_lENKUlvE_clEvENKUlvE3_clEvEUlS6_S6_E_S6_EEDaPvRmT3_T4_T5_mT6_P12ihipStream_tbENKUlT_T0_E_clISt17integral_constantIbLb1EESX_IbLb0EEEEDaST_SU_EUlST_E0_NS1_11comp_targetILNS1_3genE4ELNS1_11target_archE910ELNS1_3gpuE8ELNS1_3repE0EEENS1_30default_config_static_selectorELNS0_4arch9wavefront6targetE1EEEvT1_,"axG",@progbits,_ZN7rocprim17ROCPRIM_400000_NS6detail17trampoline_kernelINS0_14default_configENS1_20scan_config_selectorIN3c104HalfEEEZZNS1_9scan_implILNS1_25lookback_scan_determinismE0ELb0ELb0ES3_PKS6_PS6_S6_ZZZN2at6native31launch_logcumsumexp_cuda_kernelERKNSD_10TensorBaseESH_lENKUlvE_clEvENKUlvE3_clEvEUlS6_S6_E_S6_EEDaPvRmT3_T4_T5_mT6_P12ihipStream_tbENKUlT_T0_E_clISt17integral_constantIbLb1EESX_IbLb0EEEEDaST_SU_EUlST_E0_NS1_11comp_targetILNS1_3genE4ELNS1_11target_archE910ELNS1_3gpuE8ELNS1_3repE0EEENS1_30default_config_static_selectorELNS0_4arch9wavefront6targetE1EEEvT1_,comdat
	.globl	_ZN7rocprim17ROCPRIM_400000_NS6detail17trampoline_kernelINS0_14default_configENS1_20scan_config_selectorIN3c104HalfEEEZZNS1_9scan_implILNS1_25lookback_scan_determinismE0ELb0ELb0ES3_PKS6_PS6_S6_ZZZN2at6native31launch_logcumsumexp_cuda_kernelERKNSD_10TensorBaseESH_lENKUlvE_clEvENKUlvE3_clEvEUlS6_S6_E_S6_EEDaPvRmT3_T4_T5_mT6_P12ihipStream_tbENKUlT_T0_E_clISt17integral_constantIbLb1EESX_IbLb0EEEEDaST_SU_EUlST_E0_NS1_11comp_targetILNS1_3genE4ELNS1_11target_archE910ELNS1_3gpuE8ELNS1_3repE0EEENS1_30default_config_static_selectorELNS0_4arch9wavefront6targetE1EEEvT1_ ; -- Begin function _ZN7rocprim17ROCPRIM_400000_NS6detail17trampoline_kernelINS0_14default_configENS1_20scan_config_selectorIN3c104HalfEEEZZNS1_9scan_implILNS1_25lookback_scan_determinismE0ELb0ELb0ES3_PKS6_PS6_S6_ZZZN2at6native31launch_logcumsumexp_cuda_kernelERKNSD_10TensorBaseESH_lENKUlvE_clEvENKUlvE3_clEvEUlS6_S6_E_S6_EEDaPvRmT3_T4_T5_mT6_P12ihipStream_tbENKUlT_T0_E_clISt17integral_constantIbLb1EESX_IbLb0EEEEDaST_SU_EUlST_E0_NS1_11comp_targetILNS1_3genE4ELNS1_11target_archE910ELNS1_3gpuE8ELNS1_3repE0EEENS1_30default_config_static_selectorELNS0_4arch9wavefront6targetE1EEEvT1_
	.p2align	8
	.type	_ZN7rocprim17ROCPRIM_400000_NS6detail17trampoline_kernelINS0_14default_configENS1_20scan_config_selectorIN3c104HalfEEEZZNS1_9scan_implILNS1_25lookback_scan_determinismE0ELb0ELb0ES3_PKS6_PS6_S6_ZZZN2at6native31launch_logcumsumexp_cuda_kernelERKNSD_10TensorBaseESH_lENKUlvE_clEvENKUlvE3_clEvEUlS6_S6_E_S6_EEDaPvRmT3_T4_T5_mT6_P12ihipStream_tbENKUlT_T0_E_clISt17integral_constantIbLb1EESX_IbLb0EEEEDaST_SU_EUlST_E0_NS1_11comp_targetILNS1_3genE4ELNS1_11target_archE910ELNS1_3gpuE8ELNS1_3repE0EEENS1_30default_config_static_selectorELNS0_4arch9wavefront6targetE1EEEvT1_,@function
_ZN7rocprim17ROCPRIM_400000_NS6detail17trampoline_kernelINS0_14default_configENS1_20scan_config_selectorIN3c104HalfEEEZZNS1_9scan_implILNS1_25lookback_scan_determinismE0ELb0ELb0ES3_PKS6_PS6_S6_ZZZN2at6native31launch_logcumsumexp_cuda_kernelERKNSD_10TensorBaseESH_lENKUlvE_clEvENKUlvE3_clEvEUlS6_S6_E_S6_EEDaPvRmT3_T4_T5_mT6_P12ihipStream_tbENKUlT_T0_E_clISt17integral_constantIbLb1EESX_IbLb0EEEEDaST_SU_EUlST_E0_NS1_11comp_targetILNS1_3genE4ELNS1_11target_archE910ELNS1_3gpuE8ELNS1_3repE0EEENS1_30default_config_static_selectorELNS0_4arch9wavefront6targetE1EEEvT1_: ; @_ZN7rocprim17ROCPRIM_400000_NS6detail17trampoline_kernelINS0_14default_configENS1_20scan_config_selectorIN3c104HalfEEEZZNS1_9scan_implILNS1_25lookback_scan_determinismE0ELb0ELb0ES3_PKS6_PS6_S6_ZZZN2at6native31launch_logcumsumexp_cuda_kernelERKNSD_10TensorBaseESH_lENKUlvE_clEvENKUlvE3_clEvEUlS6_S6_E_S6_EEDaPvRmT3_T4_T5_mT6_P12ihipStream_tbENKUlT_T0_E_clISt17integral_constantIbLb1EESX_IbLb0EEEEDaST_SU_EUlST_E0_NS1_11comp_targetILNS1_3genE4ELNS1_11target_archE910ELNS1_3gpuE8ELNS1_3repE0EEENS1_30default_config_static_selectorELNS0_4arch9wavefront6targetE1EEEvT1_
; %bb.0:
	.section	.rodata,"a",@progbits
	.p2align	6, 0x0
	.amdhsa_kernel _ZN7rocprim17ROCPRIM_400000_NS6detail17trampoline_kernelINS0_14default_configENS1_20scan_config_selectorIN3c104HalfEEEZZNS1_9scan_implILNS1_25lookback_scan_determinismE0ELb0ELb0ES3_PKS6_PS6_S6_ZZZN2at6native31launch_logcumsumexp_cuda_kernelERKNSD_10TensorBaseESH_lENKUlvE_clEvENKUlvE3_clEvEUlS6_S6_E_S6_EEDaPvRmT3_T4_T5_mT6_P12ihipStream_tbENKUlT_T0_E_clISt17integral_constantIbLb1EESX_IbLb0EEEEDaST_SU_EUlST_E0_NS1_11comp_targetILNS1_3genE4ELNS1_11target_archE910ELNS1_3gpuE8ELNS1_3repE0EEENS1_30default_config_static_selectorELNS0_4arch9wavefront6targetE1EEEvT1_
		.amdhsa_group_segment_fixed_size 0
		.amdhsa_private_segment_fixed_size 0
		.amdhsa_kernarg_size 32
		.amdhsa_user_sgpr_count 6
		.amdhsa_user_sgpr_private_segment_buffer 1
		.amdhsa_user_sgpr_dispatch_ptr 0
		.amdhsa_user_sgpr_queue_ptr 0
		.amdhsa_user_sgpr_kernarg_segment_ptr 1
		.amdhsa_user_sgpr_dispatch_id 0
		.amdhsa_user_sgpr_flat_scratch_init 0
		.amdhsa_user_sgpr_private_segment_size 0
		.amdhsa_uses_dynamic_stack 0
		.amdhsa_system_sgpr_private_segment_wavefront_offset 0
		.amdhsa_system_sgpr_workgroup_id_x 1
		.amdhsa_system_sgpr_workgroup_id_y 0
		.amdhsa_system_sgpr_workgroup_id_z 0
		.amdhsa_system_sgpr_workgroup_info 0
		.amdhsa_system_vgpr_workitem_id 0
		.amdhsa_next_free_vgpr 1
		.amdhsa_next_free_sgpr 0
		.amdhsa_reserve_vcc 0
		.amdhsa_reserve_flat_scratch 0
		.amdhsa_float_round_mode_32 0
		.amdhsa_float_round_mode_16_64 0
		.amdhsa_float_denorm_mode_32 3
		.amdhsa_float_denorm_mode_16_64 3
		.amdhsa_dx10_clamp 1
		.amdhsa_ieee_mode 1
		.amdhsa_fp16_overflow 0
		.amdhsa_exception_fp_ieee_invalid_op 0
		.amdhsa_exception_fp_denorm_src 0
		.amdhsa_exception_fp_ieee_div_zero 0
		.amdhsa_exception_fp_ieee_overflow 0
		.amdhsa_exception_fp_ieee_underflow 0
		.amdhsa_exception_fp_ieee_inexact 0
		.amdhsa_exception_int_div_zero 0
	.end_amdhsa_kernel
	.section	.text._ZN7rocprim17ROCPRIM_400000_NS6detail17trampoline_kernelINS0_14default_configENS1_20scan_config_selectorIN3c104HalfEEEZZNS1_9scan_implILNS1_25lookback_scan_determinismE0ELb0ELb0ES3_PKS6_PS6_S6_ZZZN2at6native31launch_logcumsumexp_cuda_kernelERKNSD_10TensorBaseESH_lENKUlvE_clEvENKUlvE3_clEvEUlS6_S6_E_S6_EEDaPvRmT3_T4_T5_mT6_P12ihipStream_tbENKUlT_T0_E_clISt17integral_constantIbLb1EESX_IbLb0EEEEDaST_SU_EUlST_E0_NS1_11comp_targetILNS1_3genE4ELNS1_11target_archE910ELNS1_3gpuE8ELNS1_3repE0EEENS1_30default_config_static_selectorELNS0_4arch9wavefront6targetE1EEEvT1_,"axG",@progbits,_ZN7rocprim17ROCPRIM_400000_NS6detail17trampoline_kernelINS0_14default_configENS1_20scan_config_selectorIN3c104HalfEEEZZNS1_9scan_implILNS1_25lookback_scan_determinismE0ELb0ELb0ES3_PKS6_PS6_S6_ZZZN2at6native31launch_logcumsumexp_cuda_kernelERKNSD_10TensorBaseESH_lENKUlvE_clEvENKUlvE3_clEvEUlS6_S6_E_S6_EEDaPvRmT3_T4_T5_mT6_P12ihipStream_tbENKUlT_T0_E_clISt17integral_constantIbLb1EESX_IbLb0EEEEDaST_SU_EUlST_E0_NS1_11comp_targetILNS1_3genE4ELNS1_11target_archE910ELNS1_3gpuE8ELNS1_3repE0EEENS1_30default_config_static_selectorELNS0_4arch9wavefront6targetE1EEEvT1_,comdat
.Lfunc_end408:
	.size	_ZN7rocprim17ROCPRIM_400000_NS6detail17trampoline_kernelINS0_14default_configENS1_20scan_config_selectorIN3c104HalfEEEZZNS1_9scan_implILNS1_25lookback_scan_determinismE0ELb0ELb0ES3_PKS6_PS6_S6_ZZZN2at6native31launch_logcumsumexp_cuda_kernelERKNSD_10TensorBaseESH_lENKUlvE_clEvENKUlvE3_clEvEUlS6_S6_E_S6_EEDaPvRmT3_T4_T5_mT6_P12ihipStream_tbENKUlT_T0_E_clISt17integral_constantIbLb1EESX_IbLb0EEEEDaST_SU_EUlST_E0_NS1_11comp_targetILNS1_3genE4ELNS1_11target_archE910ELNS1_3gpuE8ELNS1_3repE0EEENS1_30default_config_static_selectorELNS0_4arch9wavefront6targetE1EEEvT1_, .Lfunc_end408-_ZN7rocprim17ROCPRIM_400000_NS6detail17trampoline_kernelINS0_14default_configENS1_20scan_config_selectorIN3c104HalfEEEZZNS1_9scan_implILNS1_25lookback_scan_determinismE0ELb0ELb0ES3_PKS6_PS6_S6_ZZZN2at6native31launch_logcumsumexp_cuda_kernelERKNSD_10TensorBaseESH_lENKUlvE_clEvENKUlvE3_clEvEUlS6_S6_E_S6_EEDaPvRmT3_T4_T5_mT6_P12ihipStream_tbENKUlT_T0_E_clISt17integral_constantIbLb1EESX_IbLb0EEEEDaST_SU_EUlST_E0_NS1_11comp_targetILNS1_3genE4ELNS1_11target_archE910ELNS1_3gpuE8ELNS1_3repE0EEENS1_30default_config_static_selectorELNS0_4arch9wavefront6targetE1EEEvT1_
                                        ; -- End function
	.set _ZN7rocprim17ROCPRIM_400000_NS6detail17trampoline_kernelINS0_14default_configENS1_20scan_config_selectorIN3c104HalfEEEZZNS1_9scan_implILNS1_25lookback_scan_determinismE0ELb0ELb0ES3_PKS6_PS6_S6_ZZZN2at6native31launch_logcumsumexp_cuda_kernelERKNSD_10TensorBaseESH_lENKUlvE_clEvENKUlvE3_clEvEUlS6_S6_E_S6_EEDaPvRmT3_T4_T5_mT6_P12ihipStream_tbENKUlT_T0_E_clISt17integral_constantIbLb1EESX_IbLb0EEEEDaST_SU_EUlST_E0_NS1_11comp_targetILNS1_3genE4ELNS1_11target_archE910ELNS1_3gpuE8ELNS1_3repE0EEENS1_30default_config_static_selectorELNS0_4arch9wavefront6targetE1EEEvT1_.num_vgpr, 0
	.set _ZN7rocprim17ROCPRIM_400000_NS6detail17trampoline_kernelINS0_14default_configENS1_20scan_config_selectorIN3c104HalfEEEZZNS1_9scan_implILNS1_25lookback_scan_determinismE0ELb0ELb0ES3_PKS6_PS6_S6_ZZZN2at6native31launch_logcumsumexp_cuda_kernelERKNSD_10TensorBaseESH_lENKUlvE_clEvENKUlvE3_clEvEUlS6_S6_E_S6_EEDaPvRmT3_T4_T5_mT6_P12ihipStream_tbENKUlT_T0_E_clISt17integral_constantIbLb1EESX_IbLb0EEEEDaST_SU_EUlST_E0_NS1_11comp_targetILNS1_3genE4ELNS1_11target_archE910ELNS1_3gpuE8ELNS1_3repE0EEENS1_30default_config_static_selectorELNS0_4arch9wavefront6targetE1EEEvT1_.num_agpr, 0
	.set _ZN7rocprim17ROCPRIM_400000_NS6detail17trampoline_kernelINS0_14default_configENS1_20scan_config_selectorIN3c104HalfEEEZZNS1_9scan_implILNS1_25lookback_scan_determinismE0ELb0ELb0ES3_PKS6_PS6_S6_ZZZN2at6native31launch_logcumsumexp_cuda_kernelERKNSD_10TensorBaseESH_lENKUlvE_clEvENKUlvE3_clEvEUlS6_S6_E_S6_EEDaPvRmT3_T4_T5_mT6_P12ihipStream_tbENKUlT_T0_E_clISt17integral_constantIbLb1EESX_IbLb0EEEEDaST_SU_EUlST_E0_NS1_11comp_targetILNS1_3genE4ELNS1_11target_archE910ELNS1_3gpuE8ELNS1_3repE0EEENS1_30default_config_static_selectorELNS0_4arch9wavefront6targetE1EEEvT1_.numbered_sgpr, 0
	.set _ZN7rocprim17ROCPRIM_400000_NS6detail17trampoline_kernelINS0_14default_configENS1_20scan_config_selectorIN3c104HalfEEEZZNS1_9scan_implILNS1_25lookback_scan_determinismE0ELb0ELb0ES3_PKS6_PS6_S6_ZZZN2at6native31launch_logcumsumexp_cuda_kernelERKNSD_10TensorBaseESH_lENKUlvE_clEvENKUlvE3_clEvEUlS6_S6_E_S6_EEDaPvRmT3_T4_T5_mT6_P12ihipStream_tbENKUlT_T0_E_clISt17integral_constantIbLb1EESX_IbLb0EEEEDaST_SU_EUlST_E0_NS1_11comp_targetILNS1_3genE4ELNS1_11target_archE910ELNS1_3gpuE8ELNS1_3repE0EEENS1_30default_config_static_selectorELNS0_4arch9wavefront6targetE1EEEvT1_.num_named_barrier, 0
	.set _ZN7rocprim17ROCPRIM_400000_NS6detail17trampoline_kernelINS0_14default_configENS1_20scan_config_selectorIN3c104HalfEEEZZNS1_9scan_implILNS1_25lookback_scan_determinismE0ELb0ELb0ES3_PKS6_PS6_S6_ZZZN2at6native31launch_logcumsumexp_cuda_kernelERKNSD_10TensorBaseESH_lENKUlvE_clEvENKUlvE3_clEvEUlS6_S6_E_S6_EEDaPvRmT3_T4_T5_mT6_P12ihipStream_tbENKUlT_T0_E_clISt17integral_constantIbLb1EESX_IbLb0EEEEDaST_SU_EUlST_E0_NS1_11comp_targetILNS1_3genE4ELNS1_11target_archE910ELNS1_3gpuE8ELNS1_3repE0EEENS1_30default_config_static_selectorELNS0_4arch9wavefront6targetE1EEEvT1_.private_seg_size, 0
	.set _ZN7rocprim17ROCPRIM_400000_NS6detail17trampoline_kernelINS0_14default_configENS1_20scan_config_selectorIN3c104HalfEEEZZNS1_9scan_implILNS1_25lookback_scan_determinismE0ELb0ELb0ES3_PKS6_PS6_S6_ZZZN2at6native31launch_logcumsumexp_cuda_kernelERKNSD_10TensorBaseESH_lENKUlvE_clEvENKUlvE3_clEvEUlS6_S6_E_S6_EEDaPvRmT3_T4_T5_mT6_P12ihipStream_tbENKUlT_T0_E_clISt17integral_constantIbLb1EESX_IbLb0EEEEDaST_SU_EUlST_E0_NS1_11comp_targetILNS1_3genE4ELNS1_11target_archE910ELNS1_3gpuE8ELNS1_3repE0EEENS1_30default_config_static_selectorELNS0_4arch9wavefront6targetE1EEEvT1_.uses_vcc, 0
	.set _ZN7rocprim17ROCPRIM_400000_NS6detail17trampoline_kernelINS0_14default_configENS1_20scan_config_selectorIN3c104HalfEEEZZNS1_9scan_implILNS1_25lookback_scan_determinismE0ELb0ELb0ES3_PKS6_PS6_S6_ZZZN2at6native31launch_logcumsumexp_cuda_kernelERKNSD_10TensorBaseESH_lENKUlvE_clEvENKUlvE3_clEvEUlS6_S6_E_S6_EEDaPvRmT3_T4_T5_mT6_P12ihipStream_tbENKUlT_T0_E_clISt17integral_constantIbLb1EESX_IbLb0EEEEDaST_SU_EUlST_E0_NS1_11comp_targetILNS1_3genE4ELNS1_11target_archE910ELNS1_3gpuE8ELNS1_3repE0EEENS1_30default_config_static_selectorELNS0_4arch9wavefront6targetE1EEEvT1_.uses_flat_scratch, 0
	.set _ZN7rocprim17ROCPRIM_400000_NS6detail17trampoline_kernelINS0_14default_configENS1_20scan_config_selectorIN3c104HalfEEEZZNS1_9scan_implILNS1_25lookback_scan_determinismE0ELb0ELb0ES3_PKS6_PS6_S6_ZZZN2at6native31launch_logcumsumexp_cuda_kernelERKNSD_10TensorBaseESH_lENKUlvE_clEvENKUlvE3_clEvEUlS6_S6_E_S6_EEDaPvRmT3_T4_T5_mT6_P12ihipStream_tbENKUlT_T0_E_clISt17integral_constantIbLb1EESX_IbLb0EEEEDaST_SU_EUlST_E0_NS1_11comp_targetILNS1_3genE4ELNS1_11target_archE910ELNS1_3gpuE8ELNS1_3repE0EEENS1_30default_config_static_selectorELNS0_4arch9wavefront6targetE1EEEvT1_.has_dyn_sized_stack, 0
	.set _ZN7rocprim17ROCPRIM_400000_NS6detail17trampoline_kernelINS0_14default_configENS1_20scan_config_selectorIN3c104HalfEEEZZNS1_9scan_implILNS1_25lookback_scan_determinismE0ELb0ELb0ES3_PKS6_PS6_S6_ZZZN2at6native31launch_logcumsumexp_cuda_kernelERKNSD_10TensorBaseESH_lENKUlvE_clEvENKUlvE3_clEvEUlS6_S6_E_S6_EEDaPvRmT3_T4_T5_mT6_P12ihipStream_tbENKUlT_T0_E_clISt17integral_constantIbLb1EESX_IbLb0EEEEDaST_SU_EUlST_E0_NS1_11comp_targetILNS1_3genE4ELNS1_11target_archE910ELNS1_3gpuE8ELNS1_3repE0EEENS1_30default_config_static_selectorELNS0_4arch9wavefront6targetE1EEEvT1_.has_recursion, 0
	.set _ZN7rocprim17ROCPRIM_400000_NS6detail17trampoline_kernelINS0_14default_configENS1_20scan_config_selectorIN3c104HalfEEEZZNS1_9scan_implILNS1_25lookback_scan_determinismE0ELb0ELb0ES3_PKS6_PS6_S6_ZZZN2at6native31launch_logcumsumexp_cuda_kernelERKNSD_10TensorBaseESH_lENKUlvE_clEvENKUlvE3_clEvEUlS6_S6_E_S6_EEDaPvRmT3_T4_T5_mT6_P12ihipStream_tbENKUlT_T0_E_clISt17integral_constantIbLb1EESX_IbLb0EEEEDaST_SU_EUlST_E0_NS1_11comp_targetILNS1_3genE4ELNS1_11target_archE910ELNS1_3gpuE8ELNS1_3repE0EEENS1_30default_config_static_selectorELNS0_4arch9wavefront6targetE1EEEvT1_.has_indirect_call, 0
	.section	.AMDGPU.csdata,"",@progbits
; Kernel info:
; codeLenInByte = 0
; TotalNumSgprs: 4
; NumVgprs: 0
; ScratchSize: 0
; MemoryBound: 0
; FloatMode: 240
; IeeeMode: 1
; LDSByteSize: 0 bytes/workgroup (compile time only)
; SGPRBlocks: 0
; VGPRBlocks: 0
; NumSGPRsForWavesPerEU: 4
; NumVGPRsForWavesPerEU: 1
; Occupancy: 10
; WaveLimiterHint : 0
; COMPUTE_PGM_RSRC2:SCRATCH_EN: 0
; COMPUTE_PGM_RSRC2:USER_SGPR: 6
; COMPUTE_PGM_RSRC2:TRAP_HANDLER: 0
; COMPUTE_PGM_RSRC2:TGID_X_EN: 1
; COMPUTE_PGM_RSRC2:TGID_Y_EN: 0
; COMPUTE_PGM_RSRC2:TGID_Z_EN: 0
; COMPUTE_PGM_RSRC2:TIDIG_COMP_CNT: 0
	.section	.text._ZN7rocprim17ROCPRIM_400000_NS6detail17trampoline_kernelINS0_14default_configENS1_20scan_config_selectorIN3c104HalfEEEZZNS1_9scan_implILNS1_25lookback_scan_determinismE0ELb0ELb0ES3_PKS6_PS6_S6_ZZZN2at6native31launch_logcumsumexp_cuda_kernelERKNSD_10TensorBaseESH_lENKUlvE_clEvENKUlvE3_clEvEUlS6_S6_E_S6_EEDaPvRmT3_T4_T5_mT6_P12ihipStream_tbENKUlT_T0_E_clISt17integral_constantIbLb1EESX_IbLb0EEEEDaST_SU_EUlST_E0_NS1_11comp_targetILNS1_3genE3ELNS1_11target_archE908ELNS1_3gpuE7ELNS1_3repE0EEENS1_30default_config_static_selectorELNS0_4arch9wavefront6targetE1EEEvT1_,"axG",@progbits,_ZN7rocprim17ROCPRIM_400000_NS6detail17trampoline_kernelINS0_14default_configENS1_20scan_config_selectorIN3c104HalfEEEZZNS1_9scan_implILNS1_25lookback_scan_determinismE0ELb0ELb0ES3_PKS6_PS6_S6_ZZZN2at6native31launch_logcumsumexp_cuda_kernelERKNSD_10TensorBaseESH_lENKUlvE_clEvENKUlvE3_clEvEUlS6_S6_E_S6_EEDaPvRmT3_T4_T5_mT6_P12ihipStream_tbENKUlT_T0_E_clISt17integral_constantIbLb1EESX_IbLb0EEEEDaST_SU_EUlST_E0_NS1_11comp_targetILNS1_3genE3ELNS1_11target_archE908ELNS1_3gpuE7ELNS1_3repE0EEENS1_30default_config_static_selectorELNS0_4arch9wavefront6targetE1EEEvT1_,comdat
	.globl	_ZN7rocprim17ROCPRIM_400000_NS6detail17trampoline_kernelINS0_14default_configENS1_20scan_config_selectorIN3c104HalfEEEZZNS1_9scan_implILNS1_25lookback_scan_determinismE0ELb0ELb0ES3_PKS6_PS6_S6_ZZZN2at6native31launch_logcumsumexp_cuda_kernelERKNSD_10TensorBaseESH_lENKUlvE_clEvENKUlvE3_clEvEUlS6_S6_E_S6_EEDaPvRmT3_T4_T5_mT6_P12ihipStream_tbENKUlT_T0_E_clISt17integral_constantIbLb1EESX_IbLb0EEEEDaST_SU_EUlST_E0_NS1_11comp_targetILNS1_3genE3ELNS1_11target_archE908ELNS1_3gpuE7ELNS1_3repE0EEENS1_30default_config_static_selectorELNS0_4arch9wavefront6targetE1EEEvT1_ ; -- Begin function _ZN7rocprim17ROCPRIM_400000_NS6detail17trampoline_kernelINS0_14default_configENS1_20scan_config_selectorIN3c104HalfEEEZZNS1_9scan_implILNS1_25lookback_scan_determinismE0ELb0ELb0ES3_PKS6_PS6_S6_ZZZN2at6native31launch_logcumsumexp_cuda_kernelERKNSD_10TensorBaseESH_lENKUlvE_clEvENKUlvE3_clEvEUlS6_S6_E_S6_EEDaPvRmT3_T4_T5_mT6_P12ihipStream_tbENKUlT_T0_E_clISt17integral_constantIbLb1EESX_IbLb0EEEEDaST_SU_EUlST_E0_NS1_11comp_targetILNS1_3genE3ELNS1_11target_archE908ELNS1_3gpuE7ELNS1_3repE0EEENS1_30default_config_static_selectorELNS0_4arch9wavefront6targetE1EEEvT1_
	.p2align	8
	.type	_ZN7rocprim17ROCPRIM_400000_NS6detail17trampoline_kernelINS0_14default_configENS1_20scan_config_selectorIN3c104HalfEEEZZNS1_9scan_implILNS1_25lookback_scan_determinismE0ELb0ELb0ES3_PKS6_PS6_S6_ZZZN2at6native31launch_logcumsumexp_cuda_kernelERKNSD_10TensorBaseESH_lENKUlvE_clEvENKUlvE3_clEvEUlS6_S6_E_S6_EEDaPvRmT3_T4_T5_mT6_P12ihipStream_tbENKUlT_T0_E_clISt17integral_constantIbLb1EESX_IbLb0EEEEDaST_SU_EUlST_E0_NS1_11comp_targetILNS1_3genE3ELNS1_11target_archE908ELNS1_3gpuE7ELNS1_3repE0EEENS1_30default_config_static_selectorELNS0_4arch9wavefront6targetE1EEEvT1_,@function
_ZN7rocprim17ROCPRIM_400000_NS6detail17trampoline_kernelINS0_14default_configENS1_20scan_config_selectorIN3c104HalfEEEZZNS1_9scan_implILNS1_25lookback_scan_determinismE0ELb0ELb0ES3_PKS6_PS6_S6_ZZZN2at6native31launch_logcumsumexp_cuda_kernelERKNSD_10TensorBaseESH_lENKUlvE_clEvENKUlvE3_clEvEUlS6_S6_E_S6_EEDaPvRmT3_T4_T5_mT6_P12ihipStream_tbENKUlT_T0_E_clISt17integral_constantIbLb1EESX_IbLb0EEEEDaST_SU_EUlST_E0_NS1_11comp_targetILNS1_3genE3ELNS1_11target_archE908ELNS1_3gpuE7ELNS1_3repE0EEENS1_30default_config_static_selectorELNS0_4arch9wavefront6targetE1EEEvT1_: ; @_ZN7rocprim17ROCPRIM_400000_NS6detail17trampoline_kernelINS0_14default_configENS1_20scan_config_selectorIN3c104HalfEEEZZNS1_9scan_implILNS1_25lookback_scan_determinismE0ELb0ELb0ES3_PKS6_PS6_S6_ZZZN2at6native31launch_logcumsumexp_cuda_kernelERKNSD_10TensorBaseESH_lENKUlvE_clEvENKUlvE3_clEvEUlS6_S6_E_S6_EEDaPvRmT3_T4_T5_mT6_P12ihipStream_tbENKUlT_T0_E_clISt17integral_constantIbLb1EESX_IbLb0EEEEDaST_SU_EUlST_E0_NS1_11comp_targetILNS1_3genE3ELNS1_11target_archE908ELNS1_3gpuE7ELNS1_3repE0EEENS1_30default_config_static_selectorELNS0_4arch9wavefront6targetE1EEEvT1_
; %bb.0:
	.section	.rodata,"a",@progbits
	.p2align	6, 0x0
	.amdhsa_kernel _ZN7rocprim17ROCPRIM_400000_NS6detail17trampoline_kernelINS0_14default_configENS1_20scan_config_selectorIN3c104HalfEEEZZNS1_9scan_implILNS1_25lookback_scan_determinismE0ELb0ELb0ES3_PKS6_PS6_S6_ZZZN2at6native31launch_logcumsumexp_cuda_kernelERKNSD_10TensorBaseESH_lENKUlvE_clEvENKUlvE3_clEvEUlS6_S6_E_S6_EEDaPvRmT3_T4_T5_mT6_P12ihipStream_tbENKUlT_T0_E_clISt17integral_constantIbLb1EESX_IbLb0EEEEDaST_SU_EUlST_E0_NS1_11comp_targetILNS1_3genE3ELNS1_11target_archE908ELNS1_3gpuE7ELNS1_3repE0EEENS1_30default_config_static_selectorELNS0_4arch9wavefront6targetE1EEEvT1_
		.amdhsa_group_segment_fixed_size 0
		.amdhsa_private_segment_fixed_size 0
		.amdhsa_kernarg_size 32
		.amdhsa_user_sgpr_count 6
		.amdhsa_user_sgpr_private_segment_buffer 1
		.amdhsa_user_sgpr_dispatch_ptr 0
		.amdhsa_user_sgpr_queue_ptr 0
		.amdhsa_user_sgpr_kernarg_segment_ptr 1
		.amdhsa_user_sgpr_dispatch_id 0
		.amdhsa_user_sgpr_flat_scratch_init 0
		.amdhsa_user_sgpr_private_segment_size 0
		.amdhsa_uses_dynamic_stack 0
		.amdhsa_system_sgpr_private_segment_wavefront_offset 0
		.amdhsa_system_sgpr_workgroup_id_x 1
		.amdhsa_system_sgpr_workgroup_id_y 0
		.amdhsa_system_sgpr_workgroup_id_z 0
		.amdhsa_system_sgpr_workgroup_info 0
		.amdhsa_system_vgpr_workitem_id 0
		.amdhsa_next_free_vgpr 1
		.amdhsa_next_free_sgpr 0
		.amdhsa_reserve_vcc 0
		.amdhsa_reserve_flat_scratch 0
		.amdhsa_float_round_mode_32 0
		.amdhsa_float_round_mode_16_64 0
		.amdhsa_float_denorm_mode_32 3
		.amdhsa_float_denorm_mode_16_64 3
		.amdhsa_dx10_clamp 1
		.amdhsa_ieee_mode 1
		.amdhsa_fp16_overflow 0
		.amdhsa_exception_fp_ieee_invalid_op 0
		.amdhsa_exception_fp_denorm_src 0
		.amdhsa_exception_fp_ieee_div_zero 0
		.amdhsa_exception_fp_ieee_overflow 0
		.amdhsa_exception_fp_ieee_underflow 0
		.amdhsa_exception_fp_ieee_inexact 0
		.amdhsa_exception_int_div_zero 0
	.end_amdhsa_kernel
	.section	.text._ZN7rocprim17ROCPRIM_400000_NS6detail17trampoline_kernelINS0_14default_configENS1_20scan_config_selectorIN3c104HalfEEEZZNS1_9scan_implILNS1_25lookback_scan_determinismE0ELb0ELb0ES3_PKS6_PS6_S6_ZZZN2at6native31launch_logcumsumexp_cuda_kernelERKNSD_10TensorBaseESH_lENKUlvE_clEvENKUlvE3_clEvEUlS6_S6_E_S6_EEDaPvRmT3_T4_T5_mT6_P12ihipStream_tbENKUlT_T0_E_clISt17integral_constantIbLb1EESX_IbLb0EEEEDaST_SU_EUlST_E0_NS1_11comp_targetILNS1_3genE3ELNS1_11target_archE908ELNS1_3gpuE7ELNS1_3repE0EEENS1_30default_config_static_selectorELNS0_4arch9wavefront6targetE1EEEvT1_,"axG",@progbits,_ZN7rocprim17ROCPRIM_400000_NS6detail17trampoline_kernelINS0_14default_configENS1_20scan_config_selectorIN3c104HalfEEEZZNS1_9scan_implILNS1_25lookback_scan_determinismE0ELb0ELb0ES3_PKS6_PS6_S6_ZZZN2at6native31launch_logcumsumexp_cuda_kernelERKNSD_10TensorBaseESH_lENKUlvE_clEvENKUlvE3_clEvEUlS6_S6_E_S6_EEDaPvRmT3_T4_T5_mT6_P12ihipStream_tbENKUlT_T0_E_clISt17integral_constantIbLb1EESX_IbLb0EEEEDaST_SU_EUlST_E0_NS1_11comp_targetILNS1_3genE3ELNS1_11target_archE908ELNS1_3gpuE7ELNS1_3repE0EEENS1_30default_config_static_selectorELNS0_4arch9wavefront6targetE1EEEvT1_,comdat
.Lfunc_end409:
	.size	_ZN7rocprim17ROCPRIM_400000_NS6detail17trampoline_kernelINS0_14default_configENS1_20scan_config_selectorIN3c104HalfEEEZZNS1_9scan_implILNS1_25lookback_scan_determinismE0ELb0ELb0ES3_PKS6_PS6_S6_ZZZN2at6native31launch_logcumsumexp_cuda_kernelERKNSD_10TensorBaseESH_lENKUlvE_clEvENKUlvE3_clEvEUlS6_S6_E_S6_EEDaPvRmT3_T4_T5_mT6_P12ihipStream_tbENKUlT_T0_E_clISt17integral_constantIbLb1EESX_IbLb0EEEEDaST_SU_EUlST_E0_NS1_11comp_targetILNS1_3genE3ELNS1_11target_archE908ELNS1_3gpuE7ELNS1_3repE0EEENS1_30default_config_static_selectorELNS0_4arch9wavefront6targetE1EEEvT1_, .Lfunc_end409-_ZN7rocprim17ROCPRIM_400000_NS6detail17trampoline_kernelINS0_14default_configENS1_20scan_config_selectorIN3c104HalfEEEZZNS1_9scan_implILNS1_25lookback_scan_determinismE0ELb0ELb0ES3_PKS6_PS6_S6_ZZZN2at6native31launch_logcumsumexp_cuda_kernelERKNSD_10TensorBaseESH_lENKUlvE_clEvENKUlvE3_clEvEUlS6_S6_E_S6_EEDaPvRmT3_T4_T5_mT6_P12ihipStream_tbENKUlT_T0_E_clISt17integral_constantIbLb1EESX_IbLb0EEEEDaST_SU_EUlST_E0_NS1_11comp_targetILNS1_3genE3ELNS1_11target_archE908ELNS1_3gpuE7ELNS1_3repE0EEENS1_30default_config_static_selectorELNS0_4arch9wavefront6targetE1EEEvT1_
                                        ; -- End function
	.set _ZN7rocprim17ROCPRIM_400000_NS6detail17trampoline_kernelINS0_14default_configENS1_20scan_config_selectorIN3c104HalfEEEZZNS1_9scan_implILNS1_25lookback_scan_determinismE0ELb0ELb0ES3_PKS6_PS6_S6_ZZZN2at6native31launch_logcumsumexp_cuda_kernelERKNSD_10TensorBaseESH_lENKUlvE_clEvENKUlvE3_clEvEUlS6_S6_E_S6_EEDaPvRmT3_T4_T5_mT6_P12ihipStream_tbENKUlT_T0_E_clISt17integral_constantIbLb1EESX_IbLb0EEEEDaST_SU_EUlST_E0_NS1_11comp_targetILNS1_3genE3ELNS1_11target_archE908ELNS1_3gpuE7ELNS1_3repE0EEENS1_30default_config_static_selectorELNS0_4arch9wavefront6targetE1EEEvT1_.num_vgpr, 0
	.set _ZN7rocprim17ROCPRIM_400000_NS6detail17trampoline_kernelINS0_14default_configENS1_20scan_config_selectorIN3c104HalfEEEZZNS1_9scan_implILNS1_25lookback_scan_determinismE0ELb0ELb0ES3_PKS6_PS6_S6_ZZZN2at6native31launch_logcumsumexp_cuda_kernelERKNSD_10TensorBaseESH_lENKUlvE_clEvENKUlvE3_clEvEUlS6_S6_E_S6_EEDaPvRmT3_T4_T5_mT6_P12ihipStream_tbENKUlT_T0_E_clISt17integral_constantIbLb1EESX_IbLb0EEEEDaST_SU_EUlST_E0_NS1_11comp_targetILNS1_3genE3ELNS1_11target_archE908ELNS1_3gpuE7ELNS1_3repE0EEENS1_30default_config_static_selectorELNS0_4arch9wavefront6targetE1EEEvT1_.num_agpr, 0
	.set _ZN7rocprim17ROCPRIM_400000_NS6detail17trampoline_kernelINS0_14default_configENS1_20scan_config_selectorIN3c104HalfEEEZZNS1_9scan_implILNS1_25lookback_scan_determinismE0ELb0ELb0ES3_PKS6_PS6_S6_ZZZN2at6native31launch_logcumsumexp_cuda_kernelERKNSD_10TensorBaseESH_lENKUlvE_clEvENKUlvE3_clEvEUlS6_S6_E_S6_EEDaPvRmT3_T4_T5_mT6_P12ihipStream_tbENKUlT_T0_E_clISt17integral_constantIbLb1EESX_IbLb0EEEEDaST_SU_EUlST_E0_NS1_11comp_targetILNS1_3genE3ELNS1_11target_archE908ELNS1_3gpuE7ELNS1_3repE0EEENS1_30default_config_static_selectorELNS0_4arch9wavefront6targetE1EEEvT1_.numbered_sgpr, 0
	.set _ZN7rocprim17ROCPRIM_400000_NS6detail17trampoline_kernelINS0_14default_configENS1_20scan_config_selectorIN3c104HalfEEEZZNS1_9scan_implILNS1_25lookback_scan_determinismE0ELb0ELb0ES3_PKS6_PS6_S6_ZZZN2at6native31launch_logcumsumexp_cuda_kernelERKNSD_10TensorBaseESH_lENKUlvE_clEvENKUlvE3_clEvEUlS6_S6_E_S6_EEDaPvRmT3_T4_T5_mT6_P12ihipStream_tbENKUlT_T0_E_clISt17integral_constantIbLb1EESX_IbLb0EEEEDaST_SU_EUlST_E0_NS1_11comp_targetILNS1_3genE3ELNS1_11target_archE908ELNS1_3gpuE7ELNS1_3repE0EEENS1_30default_config_static_selectorELNS0_4arch9wavefront6targetE1EEEvT1_.num_named_barrier, 0
	.set _ZN7rocprim17ROCPRIM_400000_NS6detail17trampoline_kernelINS0_14default_configENS1_20scan_config_selectorIN3c104HalfEEEZZNS1_9scan_implILNS1_25lookback_scan_determinismE0ELb0ELb0ES3_PKS6_PS6_S6_ZZZN2at6native31launch_logcumsumexp_cuda_kernelERKNSD_10TensorBaseESH_lENKUlvE_clEvENKUlvE3_clEvEUlS6_S6_E_S6_EEDaPvRmT3_T4_T5_mT6_P12ihipStream_tbENKUlT_T0_E_clISt17integral_constantIbLb1EESX_IbLb0EEEEDaST_SU_EUlST_E0_NS1_11comp_targetILNS1_3genE3ELNS1_11target_archE908ELNS1_3gpuE7ELNS1_3repE0EEENS1_30default_config_static_selectorELNS0_4arch9wavefront6targetE1EEEvT1_.private_seg_size, 0
	.set _ZN7rocprim17ROCPRIM_400000_NS6detail17trampoline_kernelINS0_14default_configENS1_20scan_config_selectorIN3c104HalfEEEZZNS1_9scan_implILNS1_25lookback_scan_determinismE0ELb0ELb0ES3_PKS6_PS6_S6_ZZZN2at6native31launch_logcumsumexp_cuda_kernelERKNSD_10TensorBaseESH_lENKUlvE_clEvENKUlvE3_clEvEUlS6_S6_E_S6_EEDaPvRmT3_T4_T5_mT6_P12ihipStream_tbENKUlT_T0_E_clISt17integral_constantIbLb1EESX_IbLb0EEEEDaST_SU_EUlST_E0_NS1_11comp_targetILNS1_3genE3ELNS1_11target_archE908ELNS1_3gpuE7ELNS1_3repE0EEENS1_30default_config_static_selectorELNS0_4arch9wavefront6targetE1EEEvT1_.uses_vcc, 0
	.set _ZN7rocprim17ROCPRIM_400000_NS6detail17trampoline_kernelINS0_14default_configENS1_20scan_config_selectorIN3c104HalfEEEZZNS1_9scan_implILNS1_25lookback_scan_determinismE0ELb0ELb0ES3_PKS6_PS6_S6_ZZZN2at6native31launch_logcumsumexp_cuda_kernelERKNSD_10TensorBaseESH_lENKUlvE_clEvENKUlvE3_clEvEUlS6_S6_E_S6_EEDaPvRmT3_T4_T5_mT6_P12ihipStream_tbENKUlT_T0_E_clISt17integral_constantIbLb1EESX_IbLb0EEEEDaST_SU_EUlST_E0_NS1_11comp_targetILNS1_3genE3ELNS1_11target_archE908ELNS1_3gpuE7ELNS1_3repE0EEENS1_30default_config_static_selectorELNS0_4arch9wavefront6targetE1EEEvT1_.uses_flat_scratch, 0
	.set _ZN7rocprim17ROCPRIM_400000_NS6detail17trampoline_kernelINS0_14default_configENS1_20scan_config_selectorIN3c104HalfEEEZZNS1_9scan_implILNS1_25lookback_scan_determinismE0ELb0ELb0ES3_PKS6_PS6_S6_ZZZN2at6native31launch_logcumsumexp_cuda_kernelERKNSD_10TensorBaseESH_lENKUlvE_clEvENKUlvE3_clEvEUlS6_S6_E_S6_EEDaPvRmT3_T4_T5_mT6_P12ihipStream_tbENKUlT_T0_E_clISt17integral_constantIbLb1EESX_IbLb0EEEEDaST_SU_EUlST_E0_NS1_11comp_targetILNS1_3genE3ELNS1_11target_archE908ELNS1_3gpuE7ELNS1_3repE0EEENS1_30default_config_static_selectorELNS0_4arch9wavefront6targetE1EEEvT1_.has_dyn_sized_stack, 0
	.set _ZN7rocprim17ROCPRIM_400000_NS6detail17trampoline_kernelINS0_14default_configENS1_20scan_config_selectorIN3c104HalfEEEZZNS1_9scan_implILNS1_25lookback_scan_determinismE0ELb0ELb0ES3_PKS6_PS6_S6_ZZZN2at6native31launch_logcumsumexp_cuda_kernelERKNSD_10TensorBaseESH_lENKUlvE_clEvENKUlvE3_clEvEUlS6_S6_E_S6_EEDaPvRmT3_T4_T5_mT6_P12ihipStream_tbENKUlT_T0_E_clISt17integral_constantIbLb1EESX_IbLb0EEEEDaST_SU_EUlST_E0_NS1_11comp_targetILNS1_3genE3ELNS1_11target_archE908ELNS1_3gpuE7ELNS1_3repE0EEENS1_30default_config_static_selectorELNS0_4arch9wavefront6targetE1EEEvT1_.has_recursion, 0
	.set _ZN7rocprim17ROCPRIM_400000_NS6detail17trampoline_kernelINS0_14default_configENS1_20scan_config_selectorIN3c104HalfEEEZZNS1_9scan_implILNS1_25lookback_scan_determinismE0ELb0ELb0ES3_PKS6_PS6_S6_ZZZN2at6native31launch_logcumsumexp_cuda_kernelERKNSD_10TensorBaseESH_lENKUlvE_clEvENKUlvE3_clEvEUlS6_S6_E_S6_EEDaPvRmT3_T4_T5_mT6_P12ihipStream_tbENKUlT_T0_E_clISt17integral_constantIbLb1EESX_IbLb0EEEEDaST_SU_EUlST_E0_NS1_11comp_targetILNS1_3genE3ELNS1_11target_archE908ELNS1_3gpuE7ELNS1_3repE0EEENS1_30default_config_static_selectorELNS0_4arch9wavefront6targetE1EEEvT1_.has_indirect_call, 0
	.section	.AMDGPU.csdata,"",@progbits
; Kernel info:
; codeLenInByte = 0
; TotalNumSgprs: 4
; NumVgprs: 0
; ScratchSize: 0
; MemoryBound: 0
; FloatMode: 240
; IeeeMode: 1
; LDSByteSize: 0 bytes/workgroup (compile time only)
; SGPRBlocks: 0
; VGPRBlocks: 0
; NumSGPRsForWavesPerEU: 4
; NumVGPRsForWavesPerEU: 1
; Occupancy: 10
; WaveLimiterHint : 0
; COMPUTE_PGM_RSRC2:SCRATCH_EN: 0
; COMPUTE_PGM_RSRC2:USER_SGPR: 6
; COMPUTE_PGM_RSRC2:TRAP_HANDLER: 0
; COMPUTE_PGM_RSRC2:TGID_X_EN: 1
; COMPUTE_PGM_RSRC2:TGID_Y_EN: 0
; COMPUTE_PGM_RSRC2:TGID_Z_EN: 0
; COMPUTE_PGM_RSRC2:TIDIG_COMP_CNT: 0
	.section	.text._ZN7rocprim17ROCPRIM_400000_NS6detail17trampoline_kernelINS0_14default_configENS1_20scan_config_selectorIN3c104HalfEEEZZNS1_9scan_implILNS1_25lookback_scan_determinismE0ELb0ELb0ES3_PKS6_PS6_S6_ZZZN2at6native31launch_logcumsumexp_cuda_kernelERKNSD_10TensorBaseESH_lENKUlvE_clEvENKUlvE3_clEvEUlS6_S6_E_S6_EEDaPvRmT3_T4_T5_mT6_P12ihipStream_tbENKUlT_T0_E_clISt17integral_constantIbLb1EESX_IbLb0EEEEDaST_SU_EUlST_E0_NS1_11comp_targetILNS1_3genE2ELNS1_11target_archE906ELNS1_3gpuE6ELNS1_3repE0EEENS1_30default_config_static_selectorELNS0_4arch9wavefront6targetE1EEEvT1_,"axG",@progbits,_ZN7rocprim17ROCPRIM_400000_NS6detail17trampoline_kernelINS0_14default_configENS1_20scan_config_selectorIN3c104HalfEEEZZNS1_9scan_implILNS1_25lookback_scan_determinismE0ELb0ELb0ES3_PKS6_PS6_S6_ZZZN2at6native31launch_logcumsumexp_cuda_kernelERKNSD_10TensorBaseESH_lENKUlvE_clEvENKUlvE3_clEvEUlS6_S6_E_S6_EEDaPvRmT3_T4_T5_mT6_P12ihipStream_tbENKUlT_T0_E_clISt17integral_constantIbLb1EESX_IbLb0EEEEDaST_SU_EUlST_E0_NS1_11comp_targetILNS1_3genE2ELNS1_11target_archE906ELNS1_3gpuE6ELNS1_3repE0EEENS1_30default_config_static_selectorELNS0_4arch9wavefront6targetE1EEEvT1_,comdat
	.globl	_ZN7rocprim17ROCPRIM_400000_NS6detail17trampoline_kernelINS0_14default_configENS1_20scan_config_selectorIN3c104HalfEEEZZNS1_9scan_implILNS1_25lookback_scan_determinismE0ELb0ELb0ES3_PKS6_PS6_S6_ZZZN2at6native31launch_logcumsumexp_cuda_kernelERKNSD_10TensorBaseESH_lENKUlvE_clEvENKUlvE3_clEvEUlS6_S6_E_S6_EEDaPvRmT3_T4_T5_mT6_P12ihipStream_tbENKUlT_T0_E_clISt17integral_constantIbLb1EESX_IbLb0EEEEDaST_SU_EUlST_E0_NS1_11comp_targetILNS1_3genE2ELNS1_11target_archE906ELNS1_3gpuE6ELNS1_3repE0EEENS1_30default_config_static_selectorELNS0_4arch9wavefront6targetE1EEEvT1_ ; -- Begin function _ZN7rocprim17ROCPRIM_400000_NS6detail17trampoline_kernelINS0_14default_configENS1_20scan_config_selectorIN3c104HalfEEEZZNS1_9scan_implILNS1_25lookback_scan_determinismE0ELb0ELb0ES3_PKS6_PS6_S6_ZZZN2at6native31launch_logcumsumexp_cuda_kernelERKNSD_10TensorBaseESH_lENKUlvE_clEvENKUlvE3_clEvEUlS6_S6_E_S6_EEDaPvRmT3_T4_T5_mT6_P12ihipStream_tbENKUlT_T0_E_clISt17integral_constantIbLb1EESX_IbLb0EEEEDaST_SU_EUlST_E0_NS1_11comp_targetILNS1_3genE2ELNS1_11target_archE906ELNS1_3gpuE6ELNS1_3repE0EEENS1_30default_config_static_selectorELNS0_4arch9wavefront6targetE1EEEvT1_
	.p2align	8
	.type	_ZN7rocprim17ROCPRIM_400000_NS6detail17trampoline_kernelINS0_14default_configENS1_20scan_config_selectorIN3c104HalfEEEZZNS1_9scan_implILNS1_25lookback_scan_determinismE0ELb0ELb0ES3_PKS6_PS6_S6_ZZZN2at6native31launch_logcumsumexp_cuda_kernelERKNSD_10TensorBaseESH_lENKUlvE_clEvENKUlvE3_clEvEUlS6_S6_E_S6_EEDaPvRmT3_T4_T5_mT6_P12ihipStream_tbENKUlT_T0_E_clISt17integral_constantIbLb1EESX_IbLb0EEEEDaST_SU_EUlST_E0_NS1_11comp_targetILNS1_3genE2ELNS1_11target_archE906ELNS1_3gpuE6ELNS1_3repE0EEENS1_30default_config_static_selectorELNS0_4arch9wavefront6targetE1EEEvT1_,@function
_ZN7rocprim17ROCPRIM_400000_NS6detail17trampoline_kernelINS0_14default_configENS1_20scan_config_selectorIN3c104HalfEEEZZNS1_9scan_implILNS1_25lookback_scan_determinismE0ELb0ELb0ES3_PKS6_PS6_S6_ZZZN2at6native31launch_logcumsumexp_cuda_kernelERKNSD_10TensorBaseESH_lENKUlvE_clEvENKUlvE3_clEvEUlS6_S6_E_S6_EEDaPvRmT3_T4_T5_mT6_P12ihipStream_tbENKUlT_T0_E_clISt17integral_constantIbLb1EESX_IbLb0EEEEDaST_SU_EUlST_E0_NS1_11comp_targetILNS1_3genE2ELNS1_11target_archE906ELNS1_3gpuE6ELNS1_3repE0EEENS1_30default_config_static_selectorELNS0_4arch9wavefront6targetE1EEEvT1_: ; @_ZN7rocprim17ROCPRIM_400000_NS6detail17trampoline_kernelINS0_14default_configENS1_20scan_config_selectorIN3c104HalfEEEZZNS1_9scan_implILNS1_25lookback_scan_determinismE0ELb0ELb0ES3_PKS6_PS6_S6_ZZZN2at6native31launch_logcumsumexp_cuda_kernelERKNSD_10TensorBaseESH_lENKUlvE_clEvENKUlvE3_clEvEUlS6_S6_E_S6_EEDaPvRmT3_T4_T5_mT6_P12ihipStream_tbENKUlT_T0_E_clISt17integral_constantIbLb1EESX_IbLb0EEEEDaST_SU_EUlST_E0_NS1_11comp_targetILNS1_3genE2ELNS1_11target_archE906ELNS1_3gpuE6ELNS1_3repE0EEENS1_30default_config_static_selectorELNS0_4arch9wavefront6targetE1EEEvT1_
; %bb.0:
	s_load_dwordx4 s[48:51], s[4:5], 0x0
	v_mov_b32_e32 v1, 0
	v_lshlrev_b32_e32 v13, 1, v0
	s_waitcnt lgkmcnt(0)
	global_load_ushort v1, v1, s[48:49]
	v_cmp_gt_u32_e64 s[2:3], s50, v0
	s_waitcnt vmcnt(0)
	v_mov_b32_e32 v2, v1
	s_mov_b64 s[0:1], exec
                                        ; implicit-def: $vgpr48 : SGPR spill to VGPR lane
	v_writelane_b32 v48, s2, 0
	v_writelane_b32 v48, s3, 1
	s_and_b64 s[2:3], s[0:1], s[2:3]
	s_mov_b64 exec, s[2:3]
	s_cbranch_execz .LBB410_2
; %bb.1:
	global_load_ushort v2, v13, s[48:49]
.LBB410_2:
	s_or_b64 exec, exec, s[0:1]
	v_or_b32_e32 v3, 0x100, v0
	v_cmp_gt_u32_e64 s[2:3], s50, v3
	v_mov_b32_e32 v3, v1
	s_mov_b64 s[0:1], exec
	v_writelane_b32 v48, s2, 2
	v_writelane_b32 v48, s3, 3
	s_and_b64 s[2:3], s[0:1], s[2:3]
	s_mov_b64 exec, s[2:3]
	s_cbranch_execz .LBB410_4
; %bb.3:
	global_load_ushort v3, v13, s[48:49] offset:512
.LBB410_4:
	s_or_b64 exec, exec, s[0:1]
	v_or_b32_e32 v4, 0x200, v0
	v_cmp_gt_u32_e64 s[2:3], s50, v4
	v_mov_b32_e32 v4, v1
	s_mov_b64 s[0:1], exec
	v_writelane_b32 v48, s2, 4
	v_writelane_b32 v48, s3, 5
	s_and_b64 s[2:3], s[0:1], s[2:3]
	s_mov_b64 exec, s[2:3]
	s_cbranch_execz .LBB410_6
; %bb.5:
	global_load_ushort v4, v13, s[48:49] offset:1024
.LBB410_6:
	;; [unrolled: 13-line block ×6, first 2 shown]
	s_or_b64 exec, exec, s[0:1]
	v_or_b32_e32 v9, 0x700, v0
	v_cmp_gt_u32_e64 s[12:13], s50, v9
	v_mov_b32_e32 v9, v1
	s_and_saveexec_b64 s[0:1], s[12:13]
	s_cbranch_execz .LBB410_16
; %bb.15:
	global_load_ushort v9, v13, s[48:49] offset:3584
.LBB410_16:
	s_or_b64 exec, exec, s[0:1]
	v_or_b32_e32 v11, 0x800, v0
	v_cmp_gt_u32_e64 s[14:15], s50, v11
	v_mov_b32_e32 v10, v1
	s_and_saveexec_b64 s[0:1], s[14:15]
	s_cbranch_execz .LBB410_18
; %bb.17:
	v_lshlrev_b32_e32 v10, 1, v11
	global_load_ushort v10, v10, s[48:49]
.LBB410_18:
	s_or_b64 exec, exec, s[0:1]
	v_or_b32_e32 v12, 0x900, v0
	v_cmp_gt_u32_e64 s[16:17], s50, v12
	v_mov_b32_e32 v11, v1
	s_and_saveexec_b64 s[0:1], s[16:17]
	s_cbranch_execz .LBB410_20
; %bb.19:
	v_lshlrev_b32_e32 v11, 1, v12
	global_load_ushort v11, v11, s[48:49]
.LBB410_20:
	;; [unrolled: 10-line block ×15, first 2 shown]
	s_or_b64 exec, exec, s[0:1]
	v_or_b32_e32 v26, 0x1700, v0
	v_cmp_gt_u32_e64 s[46:47], s50, v26
	s_and_saveexec_b64 s[0:1], s[46:47]
	s_cbranch_execz .LBB410_48
; %bb.47:
	v_lshlrev_b32_e32 v1, 1, v26
	global_load_ushort v1, v1, s[48:49]
.LBB410_48:
	s_or_b64 exec, exec, s[0:1]
	s_waitcnt vmcnt(0)
	ds_write_b16 v13, v2
	ds_write_b16 v13, v3 offset:512
	ds_write_b16 v13, v4 offset:1024
	;; [unrolled: 1-line block ×23, first 2 shown]
	v_mad_u32_u24 v5, v0, 46, v13
	s_waitcnt lgkmcnt(0)
	s_barrier
	ds_read_b128 v[1:4], v5
	ds_read_b128 v[9:12], v5 offset:16
	ds_read_b128 v[5:8], v5 offset:32
	s_movk_i32 s2, 0x1f8
	s_waitcnt lgkmcnt(0)
	v_cvt_f32_f16_e32 v14, v1
	v_cvt_f32_f16_sdwa v15, v1 dst_sel:DWORD dst_unused:UNUSED_PAD src0_sel:WORD_1
	v_cmp_u_f16_e64 s[94:95], v1, v1
	v_cmp_u_f16_sdwa s[48:49], v1, v1 src0_sel:WORD_1 src1_sel:WORD_1
	v_mov_b32_e32 v32, v14
	v_min_f32_e32 v28, v14, v15
	v_cndmask_b32_e64 v16, v28, v14, s[94:95]
	v_max_f32_e32 v29, v14, v15
	v_cndmask_b32_e64 v17, v16, v15, s[48:49]
	v_cndmask_b32_e64 v16, v29, v14, s[94:95]
	;; [unrolled: 1-line block ×3, first 2 shown]
	v_cmp_neq_f32_e64 s[50:51], v17, v16
	v_cmp_class_f32_e64 s[0:1], v17, s2
	s_or_b64 s[6:7], s[50:51], s[0:1]
	v_mov_b32_e32 v31, v1
	v_mov_b32_e32 v30, v1
	s_barrier
	s_and_saveexec_b64 s[0:1], s[6:7]
	s_cbranch_execz .LBB410_50
; %bb.49:
	v_sub_f32_e32 v17, v17, v16
	s_mov_b32 s3, 0x3fb8aa3b
	v_mul_f32_e32 v18, 0x3fb8aa3b, v17
	v_fma_f32 v19, v17, s3, -v18
	v_rndne_f32_e32 v20, v18
	v_fmac_f32_e32 v19, 0x32a5705f, v17
	v_sub_f32_e32 v18, v18, v20
	v_add_f32_e32 v18, v18, v19
	v_exp_f32_e32 v18, v18
	v_cvt_i32_f32_e32 v19, v20
	s_mov_b32 s3, 0xc2ce8ed0
	v_cmp_ngt_f32_e64 s[50:51], s3, v17
	s_mov_b32 s3, 0x42b17218
	v_ldexp_f32 v18, v18, v19
	v_cndmask_b32_e64 v18, 0, v18, s[50:51]
	v_mov_b32_e32 v19, 0x7f800000
	v_cmp_nlt_f32_e64 s[50:51], s3, v17
	v_cndmask_b32_e64 v20, v19, v18, s[50:51]
	v_add_f32_e32 v21, 1.0, v20
	v_cvt_f64_f32_e32 v[17:18], v21
	v_add_f32_e32 v22, -1.0, v21
	v_sub_f32_e32 v23, v22, v21
	v_sub_f32_e32 v22, v20, v22
	v_frexp_exp_i32_f64_e32 v17, v[17:18]
	v_add_f32_e32 v18, 1.0, v23
	v_add_f32_e32 v18, v22, v18
	v_frexp_mant_f32_e32 v22, v21
	s_mov_b32 s6, 0x3f2aaaab
	v_cmp_gt_f32_e64 s[50:51], s6, v22
	s_mov_b32 s6, 0x3f317218
	s_mov_b32 s3, 0x7f800000
	v_subbrev_co_u32_e64 v17, s[50:51], 0, v17, s[50:51]
	v_sub_u32_e32 v22, 0, v17
	v_ldexp_f32 v21, v21, v22
	v_ldexp_f32 v18, v18, v22
	v_add_f32_e32 v22, -1.0, v21
	v_add_f32_e32 v25, 1.0, v21
	v_add_f32_e32 v23, 1.0, v22
	v_add_f32_e32 v26, -1.0, v25
	v_sub_f32_e32 v23, v21, v23
	v_sub_f32_e32 v21, v21, v26
	v_add_f32_e32 v23, v18, v23
	v_add_f32_e32 v18, v18, v21
	;; [unrolled: 1-line block ×3, first 2 shown]
	v_rcp_f32_e32 v26, v21
	v_add_f32_e32 v24, v22, v23
	v_sub_f32_e32 v22, v22, v24
	v_add_f32_e32 v22, v23, v22
	v_sub_f32_e32 v23, v25, v21
	v_add_f32_e32 v18, v18, v23
	v_mul_f32_e32 v23, v24, v26
	v_mul_f32_e32 v25, v21, v23
	v_fma_f32 v27, v23, v21, -v25
	v_fmac_f32_e32 v27, v23, v18
	v_add_f32_e32 v30, v25, v27
	v_sub_f32_e32 v31, v24, v30
	v_sub_f32_e32 v24, v24, v31
	;; [unrolled: 1-line block ×4, first 2 shown]
	v_add_f32_e32 v22, v22, v24
	v_sub_f32_e32 v24, v25, v27
	v_add_f32_e32 v22, v24, v22
	v_add_f32_e32 v24, v31, v22
	v_mul_f32_e32 v25, v26, v24
	v_mul_f32_e32 v27, v21, v25
	v_fma_f32 v21, v25, v21, -v27
	v_fmac_f32_e32 v21, v25, v18
	v_sub_f32_e32 v18, v31, v24
	v_add_f32_e32 v18, v22, v18
	v_add_f32_e32 v22, v27, v21
	v_sub_f32_e32 v30, v24, v22
	v_sub_f32_e32 v24, v24, v30
	;; [unrolled: 1-line block ×4, first 2 shown]
	v_add_f32_e32 v18, v18, v22
	v_sub_f32_e32 v21, v27, v21
	v_add_f32_e32 v18, v21, v18
	v_add_f32_e32 v21, v23, v25
	;; [unrolled: 1-line block ×3, first 2 shown]
	v_sub_f32_e32 v22, v21, v23
	v_mul_f32_e32 v18, v26, v18
	v_sub_f32_e32 v22, v25, v22
	v_add_f32_e32 v18, v22, v18
	v_cvt_f32_i32_e32 v17, v17
	v_add_f32_e32 v22, v21, v18
	v_mul_f32_e32 v23, v22, v22
	v_mov_b32_e32 v24, 0x3ecc95a3
	v_fmac_f32_e32 v24, 0x3e9b6dac, v23
	v_mov_b32_e32 v25, 0x3f2aaada
	v_fmac_f32_e32 v25, v23, v24
	v_mul_f32_e32 v24, 0x3f317218, v17
	v_fma_f32 v26, v17, s6, -v24
	v_fmac_f32_e32 v26, 0xb102e308, v17
	v_sub_f32_e32 v17, v22, v21
	v_sub_f32_e32 v17, v18, v17
	v_add_f32_e32 v18, v24, v26
	v_sub_f32_e32 v21, v18, v24
	v_ldexp_f32 v24, v22, 1
	v_mul_f32_e32 v22, v22, v23
	v_mul_f32_e32 v22, v22, v25
	v_add_f32_e32 v23, v24, v22
	v_sub_f32_e32 v24, v23, v24
	v_ldexp_f32 v17, v17, 1
	v_sub_f32_e32 v22, v22, v24
	v_add_f32_e32 v17, v17, v22
	v_add_f32_e32 v22, v23, v17
	v_sub_f32_e32 v23, v22, v23
	v_sub_f32_e32 v17, v17, v23
	v_add_f32_e32 v23, v18, v22
	v_sub_f32_e32 v24, v23, v18
	v_sub_f32_e32 v25, v23, v24
	;; [unrolled: 1-line block ×5, first 2 shown]
	v_add_f32_e32 v18, v22, v18
	v_add_f32_e32 v22, v21, v17
	v_sub_f32_e32 v24, v22, v21
	v_sub_f32_e32 v25, v22, v24
	;; [unrolled: 1-line block ×4, first 2 shown]
	v_add_f32_e32 v18, v22, v18
	v_add_f32_e32 v17, v17, v21
	;; [unrolled: 1-line block ×3, first 2 shown]
	v_sub_f32_e32 v22, v21, v23
	v_sub_f32_e32 v18, v18, v22
	v_add_f32_e32 v17, v17, v18
	v_add_f32_e32 v17, v21, v17
	v_cmp_neq_f32_e64 s[50:51], s3, v20
	s_mov_b32 s3, 0x33800000
	v_cndmask_b32_e64 v17, v19, v17, s[50:51]
	v_cmp_lt_f32_e64 s[50:51], |v20|, s3
	v_cndmask_b32_e64 v17, v17, v20, s[50:51]
	v_add_f32_e32 v16, v16, v17
	v_cvt_f16_f32_e32 v31, v16
	v_cvt_f32_f16_e32 v32, v31
	v_mov_b32_e32 v30, v31
.LBB410_50:
	s_or_b64 exec, exec, s[0:1]
	v_cvt_f32_f16_e32 v16, v2
	v_max_f32_e32 v17, v32, v32
	v_cmp_u_f16_e64 s[52:53], v31, v31
	v_cmp_u_f16_e64 s[50:51], v2, v2
	v_min_f32_e32 v18, v17, v16
	v_max_f32_e32 v17, v17, v16
	v_cndmask_b32_e64 v18, v18, v32, s[52:53]
	v_cndmask_b32_e64 v17, v17, v32, s[52:53]
	;; [unrolled: 1-line block ×4, first 2 shown]
	v_cmp_neq_f32_e64 s[52:53], v18, v17
	v_cmp_class_f32_e64 s[0:1], v18, s2
	s_or_b64 s[2:3], s[52:53], s[0:1]
	s_and_saveexec_b64 s[0:1], s[2:3]
	s_cbranch_execz .LBB410_52
; %bb.51:
	v_sub_f32_e32 v18, v18, v17
	s_mov_b32 s2, 0x3fb8aa3b
	v_mul_f32_e32 v19, 0x3fb8aa3b, v18
	v_fma_f32 v20, v18, s2, -v19
	v_rndne_f32_e32 v21, v19
	v_fmac_f32_e32 v20, 0x32a5705f, v18
	v_sub_f32_e32 v19, v19, v21
	v_add_f32_e32 v19, v19, v20
	v_exp_f32_e32 v19, v19
	v_cvt_i32_f32_e32 v20, v21
	s_mov_b32 s2, 0xc2ce8ed0
	v_cmp_ngt_f32_e64 s[52:53], s2, v18
	s_mov_b32 s2, 0x42b17218
	v_ldexp_f32 v19, v19, v20
	v_cndmask_b32_e64 v19, 0, v19, s[52:53]
	v_mov_b32_e32 v20, 0x7f800000
	v_cmp_nlt_f32_e64 s[52:53], s2, v18
	v_cndmask_b32_e64 v21, v20, v19, s[52:53]
	v_add_f32_e32 v22, 1.0, v21
	v_cvt_f64_f32_e32 v[18:19], v22
	v_add_f32_e32 v23, -1.0, v22
	v_sub_f32_e32 v24, v23, v22
	v_sub_f32_e32 v23, v21, v23
	v_frexp_exp_i32_f64_e32 v18, v[18:19]
	v_add_f32_e32 v19, 1.0, v24
	v_add_f32_e32 v19, v23, v19
	v_frexp_mant_f32_e32 v23, v22
	s_mov_b32 s3, 0x3f2aaaab
	v_cmp_gt_f32_e64 s[52:53], s3, v23
	s_mov_b32 s3, 0x3f317218
	s_mov_b32 s2, 0x7f800000
	v_subbrev_co_u32_e64 v18, s[52:53], 0, v18, s[52:53]
	v_sub_u32_e32 v23, 0, v18
	v_ldexp_f32 v22, v22, v23
	v_ldexp_f32 v19, v19, v23
	v_add_f32_e32 v23, -1.0, v22
	v_add_f32_e32 v26, 1.0, v22
	v_add_f32_e32 v24, 1.0, v23
	v_add_f32_e32 v27, -1.0, v26
	v_sub_f32_e32 v24, v22, v24
	v_sub_f32_e32 v22, v22, v27
	v_add_f32_e32 v24, v19, v24
	v_add_f32_e32 v19, v19, v22
	;; [unrolled: 1-line block ×3, first 2 shown]
	v_rcp_f32_e32 v27, v22
	v_add_f32_e32 v25, v23, v24
	v_sub_f32_e32 v23, v23, v25
	v_add_f32_e32 v23, v24, v23
	v_sub_f32_e32 v24, v26, v22
	v_add_f32_e32 v19, v19, v24
	v_mul_f32_e32 v24, v25, v27
	v_mul_f32_e32 v26, v22, v24
	v_fma_f32 v30, v24, v22, -v26
	v_fmac_f32_e32 v30, v24, v19
	v_add_f32_e32 v31, v26, v30
	v_sub_f32_e32 v32, v25, v31
	v_sub_f32_e32 v25, v25, v32
	;; [unrolled: 1-line block ×4, first 2 shown]
	v_add_f32_e32 v23, v23, v25
	v_sub_f32_e32 v25, v26, v30
	v_add_f32_e32 v23, v25, v23
	v_add_f32_e32 v25, v32, v23
	v_mul_f32_e32 v26, v27, v25
	v_mul_f32_e32 v30, v22, v26
	v_fma_f32 v22, v26, v22, -v30
	v_fmac_f32_e32 v22, v26, v19
	v_sub_f32_e32 v19, v32, v25
	v_add_f32_e32 v19, v23, v19
	v_add_f32_e32 v23, v30, v22
	v_sub_f32_e32 v31, v25, v23
	v_sub_f32_e32 v25, v25, v31
	;; [unrolled: 1-line block ×4, first 2 shown]
	v_add_f32_e32 v19, v19, v23
	v_sub_f32_e32 v22, v30, v22
	v_add_f32_e32 v19, v22, v19
	v_add_f32_e32 v22, v24, v26
	;; [unrolled: 1-line block ×3, first 2 shown]
	v_sub_f32_e32 v23, v22, v24
	v_mul_f32_e32 v19, v27, v19
	v_sub_f32_e32 v23, v26, v23
	v_add_f32_e32 v19, v23, v19
	v_cvt_f32_i32_e32 v18, v18
	v_add_f32_e32 v23, v22, v19
	v_mul_f32_e32 v24, v23, v23
	v_mov_b32_e32 v25, 0x3ecc95a3
	v_fmac_f32_e32 v25, 0x3e9b6dac, v24
	v_mov_b32_e32 v26, 0x3f2aaada
	v_fmac_f32_e32 v26, v24, v25
	v_mul_f32_e32 v25, 0x3f317218, v18
	v_fma_f32 v27, v18, s3, -v25
	v_fmac_f32_e32 v27, 0xb102e308, v18
	v_sub_f32_e32 v18, v23, v22
	v_sub_f32_e32 v18, v19, v18
	v_add_f32_e32 v19, v25, v27
	v_sub_f32_e32 v22, v19, v25
	v_ldexp_f32 v25, v23, 1
	v_mul_f32_e32 v23, v23, v24
	v_mul_f32_e32 v23, v23, v26
	v_add_f32_e32 v24, v25, v23
	v_sub_f32_e32 v25, v24, v25
	v_ldexp_f32 v18, v18, 1
	v_sub_f32_e32 v23, v23, v25
	v_add_f32_e32 v18, v18, v23
	v_add_f32_e32 v23, v24, v18
	v_sub_f32_e32 v24, v23, v24
	v_sub_f32_e32 v18, v18, v24
	v_add_f32_e32 v24, v19, v23
	v_sub_f32_e32 v25, v24, v19
	v_sub_f32_e32 v26, v24, v25
	;; [unrolled: 1-line block ×5, first 2 shown]
	v_add_f32_e32 v19, v23, v19
	v_add_f32_e32 v23, v22, v18
	v_sub_f32_e32 v25, v23, v22
	v_sub_f32_e32 v26, v23, v25
	v_sub_f32_e32 v22, v22, v26
	v_sub_f32_e32 v18, v18, v25
	v_add_f32_e32 v19, v23, v19
	v_add_f32_e32 v18, v18, v22
	;; [unrolled: 1-line block ×3, first 2 shown]
	v_sub_f32_e32 v23, v22, v24
	v_sub_f32_e32 v19, v19, v23
	v_add_f32_e32 v18, v18, v19
	v_add_f32_e32 v18, v22, v18
	v_cmp_neq_f32_e64 s[52:53], s2, v21
	s_mov_b32 s2, 0x33800000
	v_cndmask_b32_e64 v18, v20, v18, s[52:53]
	v_cmp_lt_f32_e64 s[52:53], |v21|, s2
	v_cndmask_b32_e64 v18, v18, v21, s[52:53]
	v_add_f32_e32 v17, v17, v18
	v_cvt_f16_f32_e32 v31, v17
	v_cvt_f32_f16_e32 v32, v31
	v_mov_b32_e32 v30, v31
.LBB410_52:
	s_or_b64 exec, exec, s[0:1]
	v_cvt_f32_f16_sdwa v17, v2 dst_sel:DWORD dst_unused:UNUSED_PAD src0_sel:WORD_1
	v_max_f32_e32 v19, v32, v32
	v_cmp_u_f16_e64 s[54:55], v31, v31
	v_cmp_u_f16_sdwa s[52:53], v2, v2 src0_sel:WORD_1 src1_sel:WORD_1
	v_min_f32_e32 v18, v19, v17
	v_max_f32_e32 v2, v19, v17
	v_cndmask_b32_e64 v18, v18, v32, s[54:55]
	v_cndmask_b32_e64 v2, v2, v32, s[54:55]
	;; [unrolled: 1-line block ×4, first 2 shown]
	s_movk_i32 s2, 0x1f8
	v_cmp_neq_f32_e64 s[54:55], v18, v2
	v_cmp_class_f32_e64 s[0:1], v18, s2
	s_or_b64 s[6:7], s[54:55], s[0:1]
	s_and_saveexec_b64 s[0:1], s[6:7]
	s_cbranch_execz .LBB410_54
; %bb.53:
	v_sub_f32_e32 v18, v18, v2
	s_mov_b32 s3, 0x3fb8aa3b
	v_mul_f32_e32 v19, 0x3fb8aa3b, v18
	v_fma_f32 v20, v18, s3, -v19
	v_rndne_f32_e32 v21, v19
	v_fmac_f32_e32 v20, 0x32a5705f, v18
	v_sub_f32_e32 v19, v19, v21
	v_add_f32_e32 v19, v19, v20
	v_exp_f32_e32 v19, v19
	v_cvt_i32_f32_e32 v20, v21
	s_mov_b32 s3, 0xc2ce8ed0
	v_cmp_ngt_f32_e64 s[54:55], s3, v18
	s_mov_b32 s3, 0x42b17218
	v_ldexp_f32 v19, v19, v20
	v_cndmask_b32_e64 v19, 0, v19, s[54:55]
	v_mov_b32_e32 v20, 0x7f800000
	v_cmp_nlt_f32_e64 s[54:55], s3, v18
	v_cndmask_b32_e64 v21, v20, v19, s[54:55]
	v_add_f32_e32 v22, 1.0, v21
	v_cvt_f64_f32_e32 v[18:19], v22
	v_add_f32_e32 v23, -1.0, v22
	v_sub_f32_e32 v24, v23, v22
	v_sub_f32_e32 v23, v21, v23
	v_frexp_exp_i32_f64_e32 v18, v[18:19]
	v_add_f32_e32 v19, 1.0, v24
	v_add_f32_e32 v19, v23, v19
	v_frexp_mant_f32_e32 v23, v22
	s_mov_b32 s6, 0x3f2aaaab
	v_cmp_gt_f32_e64 s[54:55], s6, v23
	s_mov_b32 s6, 0x3f317218
	s_mov_b32 s3, 0x7f800000
	v_subbrev_co_u32_e64 v18, s[54:55], 0, v18, s[54:55]
	v_sub_u32_e32 v23, 0, v18
	v_ldexp_f32 v22, v22, v23
	v_ldexp_f32 v19, v19, v23
	v_add_f32_e32 v23, -1.0, v22
	v_add_f32_e32 v26, 1.0, v22
	v_add_f32_e32 v24, 1.0, v23
	v_add_f32_e32 v27, -1.0, v26
	v_sub_f32_e32 v24, v22, v24
	v_sub_f32_e32 v22, v22, v27
	v_add_f32_e32 v24, v19, v24
	v_add_f32_e32 v19, v19, v22
	;; [unrolled: 1-line block ×3, first 2 shown]
	v_rcp_f32_e32 v27, v22
	v_add_f32_e32 v25, v23, v24
	v_sub_f32_e32 v23, v23, v25
	v_add_f32_e32 v23, v24, v23
	v_sub_f32_e32 v24, v26, v22
	v_add_f32_e32 v19, v19, v24
	v_mul_f32_e32 v24, v25, v27
	v_mul_f32_e32 v26, v22, v24
	v_fma_f32 v30, v24, v22, -v26
	v_fmac_f32_e32 v30, v24, v19
	v_add_f32_e32 v31, v26, v30
	v_sub_f32_e32 v32, v25, v31
	v_sub_f32_e32 v25, v25, v32
	;; [unrolled: 1-line block ×4, first 2 shown]
	v_add_f32_e32 v23, v23, v25
	v_sub_f32_e32 v25, v26, v30
	v_add_f32_e32 v23, v25, v23
	v_add_f32_e32 v25, v32, v23
	v_mul_f32_e32 v26, v27, v25
	v_mul_f32_e32 v30, v22, v26
	v_fma_f32 v22, v26, v22, -v30
	v_fmac_f32_e32 v22, v26, v19
	v_sub_f32_e32 v19, v32, v25
	v_add_f32_e32 v19, v23, v19
	v_add_f32_e32 v23, v30, v22
	v_sub_f32_e32 v31, v25, v23
	v_sub_f32_e32 v25, v25, v31
	;; [unrolled: 1-line block ×4, first 2 shown]
	v_add_f32_e32 v19, v19, v23
	v_sub_f32_e32 v22, v30, v22
	v_add_f32_e32 v19, v22, v19
	v_add_f32_e32 v22, v24, v26
	;; [unrolled: 1-line block ×3, first 2 shown]
	v_sub_f32_e32 v23, v22, v24
	v_mul_f32_e32 v19, v27, v19
	v_sub_f32_e32 v23, v26, v23
	v_add_f32_e32 v19, v23, v19
	v_cvt_f32_i32_e32 v18, v18
	v_add_f32_e32 v23, v22, v19
	v_mul_f32_e32 v24, v23, v23
	v_mov_b32_e32 v25, 0x3ecc95a3
	v_fmac_f32_e32 v25, 0x3e9b6dac, v24
	v_mov_b32_e32 v26, 0x3f2aaada
	v_fmac_f32_e32 v26, v24, v25
	v_mul_f32_e32 v25, 0x3f317218, v18
	v_fma_f32 v27, v18, s6, -v25
	v_fmac_f32_e32 v27, 0xb102e308, v18
	v_sub_f32_e32 v18, v23, v22
	v_sub_f32_e32 v18, v19, v18
	v_add_f32_e32 v19, v25, v27
	v_sub_f32_e32 v22, v19, v25
	v_ldexp_f32 v25, v23, 1
	v_mul_f32_e32 v23, v23, v24
	v_mul_f32_e32 v23, v23, v26
	v_add_f32_e32 v24, v25, v23
	v_sub_f32_e32 v25, v24, v25
	v_ldexp_f32 v18, v18, 1
	v_sub_f32_e32 v23, v23, v25
	v_add_f32_e32 v18, v18, v23
	v_add_f32_e32 v23, v24, v18
	v_sub_f32_e32 v24, v23, v24
	v_sub_f32_e32 v18, v18, v24
	v_add_f32_e32 v24, v19, v23
	v_sub_f32_e32 v25, v24, v19
	v_sub_f32_e32 v26, v24, v25
	;; [unrolled: 1-line block ×5, first 2 shown]
	v_add_f32_e32 v19, v23, v19
	v_add_f32_e32 v23, v22, v18
	v_sub_f32_e32 v25, v23, v22
	v_sub_f32_e32 v26, v23, v25
	;; [unrolled: 1-line block ×4, first 2 shown]
	v_add_f32_e32 v19, v23, v19
	v_add_f32_e32 v18, v18, v22
	;; [unrolled: 1-line block ×3, first 2 shown]
	v_sub_f32_e32 v23, v22, v24
	v_sub_f32_e32 v19, v19, v23
	v_add_f32_e32 v18, v18, v19
	v_add_f32_e32 v18, v22, v18
	v_cmp_neq_f32_e64 s[54:55], s3, v21
	s_mov_b32 s3, 0x33800000
	v_cndmask_b32_e64 v18, v20, v18, s[54:55]
	v_cmp_lt_f32_e64 s[54:55], |v21|, s3
	v_cndmask_b32_e64 v18, v18, v21, s[54:55]
	v_add_f32_e32 v2, v2, v18
	v_cvt_f16_f32_e32 v31, v2
	v_cvt_f32_f16_e32 v32, v31
	v_mov_b32_e32 v30, v31
.LBB410_54:
	s_or_b64 exec, exec, s[0:1]
	v_cvt_f32_f16_e32 v2, v3
	v_max_f32_e32 v18, v32, v32
	v_cmp_u_f16_e64 s[56:57], v31, v31
	v_cmp_u_f16_e64 s[54:55], v3, v3
	v_min_f32_e32 v19, v18, v2
	v_max_f32_e32 v18, v18, v2
	v_cndmask_b32_e64 v19, v19, v32, s[56:57]
	v_cndmask_b32_e64 v18, v18, v32, s[56:57]
	;; [unrolled: 1-line block ×4, first 2 shown]
	v_cmp_neq_f32_e64 s[56:57], v19, v18
	v_cmp_class_f32_e64 s[0:1], v19, s2
	s_or_b64 s[2:3], s[56:57], s[0:1]
	s_and_saveexec_b64 s[0:1], s[2:3]
	s_cbranch_execz .LBB410_56
; %bb.55:
	v_sub_f32_e32 v19, v19, v18
	s_mov_b32 s2, 0x3fb8aa3b
	v_mul_f32_e32 v20, 0x3fb8aa3b, v19
	v_fma_f32 v21, v19, s2, -v20
	v_rndne_f32_e32 v22, v20
	v_fmac_f32_e32 v21, 0x32a5705f, v19
	v_sub_f32_e32 v20, v20, v22
	v_add_f32_e32 v20, v20, v21
	v_exp_f32_e32 v20, v20
	v_cvt_i32_f32_e32 v21, v22
	s_mov_b32 s2, 0xc2ce8ed0
	v_cmp_ngt_f32_e64 s[56:57], s2, v19
	s_mov_b32 s2, 0x42b17218
	v_ldexp_f32 v20, v20, v21
	v_cndmask_b32_e64 v20, 0, v20, s[56:57]
	v_mov_b32_e32 v21, 0x7f800000
	v_cmp_nlt_f32_e64 s[56:57], s2, v19
	v_cndmask_b32_e64 v22, v21, v20, s[56:57]
	v_add_f32_e32 v23, 1.0, v22
	v_cvt_f64_f32_e32 v[19:20], v23
	v_add_f32_e32 v24, -1.0, v23
	v_sub_f32_e32 v25, v24, v23
	v_sub_f32_e32 v24, v22, v24
	v_frexp_exp_i32_f64_e32 v19, v[19:20]
	v_add_f32_e32 v20, 1.0, v25
	v_add_f32_e32 v20, v24, v20
	v_frexp_mant_f32_e32 v24, v23
	s_mov_b32 s3, 0x3f2aaaab
	v_cmp_gt_f32_e64 s[56:57], s3, v24
	s_mov_b32 s3, 0x3f317218
	s_mov_b32 s2, 0x7f800000
	v_subbrev_co_u32_e64 v19, s[56:57], 0, v19, s[56:57]
	v_sub_u32_e32 v24, 0, v19
	v_ldexp_f32 v23, v23, v24
	v_ldexp_f32 v20, v20, v24
	v_add_f32_e32 v24, -1.0, v23
	v_add_f32_e32 v27, 1.0, v23
	v_add_f32_e32 v25, 1.0, v24
	v_add_f32_e32 v30, -1.0, v27
	v_sub_f32_e32 v25, v23, v25
	v_sub_f32_e32 v23, v23, v30
	v_add_f32_e32 v25, v20, v25
	v_add_f32_e32 v20, v20, v23
	;; [unrolled: 1-line block ×3, first 2 shown]
	v_rcp_f32_e32 v30, v23
	v_add_f32_e32 v26, v24, v25
	v_sub_f32_e32 v24, v24, v26
	v_add_f32_e32 v24, v25, v24
	v_sub_f32_e32 v25, v27, v23
	v_add_f32_e32 v20, v20, v25
	v_mul_f32_e32 v25, v26, v30
	v_mul_f32_e32 v27, v23, v25
	v_fma_f32 v31, v25, v23, -v27
	v_fmac_f32_e32 v31, v25, v20
	v_add_f32_e32 v32, v27, v31
	v_sub_f32_e32 v33, v26, v32
	v_sub_f32_e32 v26, v26, v33
	;; [unrolled: 1-line block ×4, first 2 shown]
	v_add_f32_e32 v24, v24, v26
	v_sub_f32_e32 v26, v27, v31
	v_add_f32_e32 v24, v26, v24
	v_add_f32_e32 v26, v33, v24
	v_mul_f32_e32 v27, v30, v26
	v_mul_f32_e32 v31, v23, v27
	v_fma_f32 v23, v27, v23, -v31
	v_fmac_f32_e32 v23, v27, v20
	v_sub_f32_e32 v20, v33, v26
	v_add_f32_e32 v20, v24, v20
	v_add_f32_e32 v24, v31, v23
	v_sub_f32_e32 v32, v26, v24
	v_sub_f32_e32 v26, v26, v32
	;; [unrolled: 1-line block ×4, first 2 shown]
	v_add_f32_e32 v20, v20, v24
	v_sub_f32_e32 v23, v31, v23
	v_add_f32_e32 v20, v23, v20
	v_add_f32_e32 v23, v25, v27
	;; [unrolled: 1-line block ×3, first 2 shown]
	v_sub_f32_e32 v24, v23, v25
	v_mul_f32_e32 v20, v30, v20
	v_sub_f32_e32 v24, v27, v24
	v_add_f32_e32 v20, v24, v20
	v_cvt_f32_i32_e32 v19, v19
	v_add_f32_e32 v24, v23, v20
	v_mul_f32_e32 v25, v24, v24
	v_mov_b32_e32 v26, 0x3ecc95a3
	v_fmac_f32_e32 v26, 0x3e9b6dac, v25
	v_mov_b32_e32 v27, 0x3f2aaada
	v_fmac_f32_e32 v27, v25, v26
	v_mul_f32_e32 v26, 0x3f317218, v19
	v_fma_f32 v30, v19, s3, -v26
	v_fmac_f32_e32 v30, 0xb102e308, v19
	v_sub_f32_e32 v19, v24, v23
	v_sub_f32_e32 v19, v20, v19
	v_add_f32_e32 v20, v26, v30
	v_sub_f32_e32 v23, v20, v26
	v_ldexp_f32 v26, v24, 1
	v_mul_f32_e32 v24, v24, v25
	v_mul_f32_e32 v24, v24, v27
	v_add_f32_e32 v25, v26, v24
	v_sub_f32_e32 v26, v25, v26
	v_ldexp_f32 v19, v19, 1
	v_sub_f32_e32 v24, v24, v26
	v_add_f32_e32 v19, v19, v24
	v_add_f32_e32 v24, v25, v19
	v_sub_f32_e32 v25, v24, v25
	v_sub_f32_e32 v19, v19, v25
	v_add_f32_e32 v25, v20, v24
	v_sub_f32_e32 v26, v25, v20
	v_sub_f32_e32 v27, v25, v26
	;; [unrolled: 1-line block ×5, first 2 shown]
	v_add_f32_e32 v20, v24, v20
	v_add_f32_e32 v24, v23, v19
	v_sub_f32_e32 v26, v24, v23
	v_sub_f32_e32 v27, v24, v26
	;; [unrolled: 1-line block ×4, first 2 shown]
	v_add_f32_e32 v20, v24, v20
	v_add_f32_e32 v19, v19, v23
	;; [unrolled: 1-line block ×3, first 2 shown]
	v_sub_f32_e32 v24, v23, v25
	v_sub_f32_e32 v20, v20, v24
	v_add_f32_e32 v19, v19, v20
	v_add_f32_e32 v19, v23, v19
	v_cmp_neq_f32_e64 s[56:57], s2, v22
	s_mov_b32 s2, 0x33800000
	v_cndmask_b32_e64 v19, v21, v19, s[56:57]
	v_cmp_lt_f32_e64 s[56:57], |v22|, s2
	v_cndmask_b32_e64 v19, v19, v22, s[56:57]
	v_add_f32_e32 v18, v18, v19
	v_cvt_f16_f32_e32 v31, v18
	v_cvt_f32_f16_e32 v32, v31
	v_mov_b32_e32 v30, v31
.LBB410_56:
	s_or_b64 exec, exec, s[0:1]
	v_cvt_f32_f16_sdwa v18, v3 dst_sel:DWORD dst_unused:UNUSED_PAD src0_sel:WORD_1
	v_max_f32_e32 v20, v32, v32
	v_cmp_u_f16_e64 s[58:59], v31, v31
	v_cmp_u_f16_sdwa s[56:57], v3, v3 src0_sel:WORD_1 src1_sel:WORD_1
	v_min_f32_e32 v19, v20, v18
	v_max_f32_e32 v3, v20, v18
	v_cndmask_b32_e64 v19, v19, v32, s[58:59]
	v_cndmask_b32_e64 v3, v3, v32, s[58:59]
	;; [unrolled: 1-line block ×4, first 2 shown]
	s_movk_i32 s2, 0x1f8
	v_cmp_neq_f32_e64 s[58:59], v19, v3
	v_cmp_class_f32_e64 s[0:1], v19, s2
	s_or_b64 s[6:7], s[58:59], s[0:1]
	s_and_saveexec_b64 s[0:1], s[6:7]
	s_cbranch_execz .LBB410_58
; %bb.57:
	v_sub_f32_e32 v19, v19, v3
	s_mov_b32 s3, 0x3fb8aa3b
	v_mul_f32_e32 v20, 0x3fb8aa3b, v19
	v_fma_f32 v21, v19, s3, -v20
	v_rndne_f32_e32 v22, v20
	v_fmac_f32_e32 v21, 0x32a5705f, v19
	v_sub_f32_e32 v20, v20, v22
	v_add_f32_e32 v20, v20, v21
	v_exp_f32_e32 v20, v20
	v_cvt_i32_f32_e32 v21, v22
	s_mov_b32 s3, 0xc2ce8ed0
	v_cmp_ngt_f32_e64 s[58:59], s3, v19
	s_mov_b32 s3, 0x42b17218
	v_ldexp_f32 v20, v20, v21
	v_cndmask_b32_e64 v20, 0, v20, s[58:59]
	v_mov_b32_e32 v21, 0x7f800000
	v_cmp_nlt_f32_e64 s[58:59], s3, v19
	v_cndmask_b32_e64 v22, v21, v20, s[58:59]
	v_add_f32_e32 v23, 1.0, v22
	v_cvt_f64_f32_e32 v[19:20], v23
	v_add_f32_e32 v24, -1.0, v23
	v_sub_f32_e32 v25, v24, v23
	v_sub_f32_e32 v24, v22, v24
	v_frexp_exp_i32_f64_e32 v19, v[19:20]
	v_add_f32_e32 v20, 1.0, v25
	v_add_f32_e32 v20, v24, v20
	v_frexp_mant_f32_e32 v24, v23
	s_mov_b32 s6, 0x3f2aaaab
	v_cmp_gt_f32_e64 s[58:59], s6, v24
	s_mov_b32 s6, 0x3f317218
	s_mov_b32 s3, 0x7f800000
	v_subbrev_co_u32_e64 v19, s[58:59], 0, v19, s[58:59]
	v_sub_u32_e32 v24, 0, v19
	v_ldexp_f32 v23, v23, v24
	v_ldexp_f32 v20, v20, v24
	v_add_f32_e32 v24, -1.0, v23
	v_add_f32_e32 v27, 1.0, v23
	v_add_f32_e32 v25, 1.0, v24
	v_add_f32_e32 v30, -1.0, v27
	v_sub_f32_e32 v25, v23, v25
	v_sub_f32_e32 v23, v23, v30
	v_add_f32_e32 v25, v20, v25
	v_add_f32_e32 v20, v20, v23
	;; [unrolled: 1-line block ×3, first 2 shown]
	v_rcp_f32_e32 v30, v23
	v_add_f32_e32 v26, v24, v25
	v_sub_f32_e32 v24, v24, v26
	v_add_f32_e32 v24, v25, v24
	v_sub_f32_e32 v25, v27, v23
	v_add_f32_e32 v20, v20, v25
	v_mul_f32_e32 v25, v26, v30
	v_mul_f32_e32 v27, v23, v25
	v_fma_f32 v31, v25, v23, -v27
	v_fmac_f32_e32 v31, v25, v20
	v_add_f32_e32 v32, v27, v31
	v_sub_f32_e32 v33, v26, v32
	v_sub_f32_e32 v26, v26, v33
	;; [unrolled: 1-line block ×4, first 2 shown]
	v_add_f32_e32 v24, v24, v26
	v_sub_f32_e32 v26, v27, v31
	v_add_f32_e32 v24, v26, v24
	v_add_f32_e32 v26, v33, v24
	v_mul_f32_e32 v27, v30, v26
	v_mul_f32_e32 v31, v23, v27
	v_fma_f32 v23, v27, v23, -v31
	v_fmac_f32_e32 v23, v27, v20
	v_sub_f32_e32 v20, v33, v26
	v_add_f32_e32 v20, v24, v20
	v_add_f32_e32 v24, v31, v23
	v_sub_f32_e32 v32, v26, v24
	v_sub_f32_e32 v26, v26, v32
	;; [unrolled: 1-line block ×4, first 2 shown]
	v_add_f32_e32 v20, v20, v24
	v_sub_f32_e32 v23, v31, v23
	v_add_f32_e32 v20, v23, v20
	v_add_f32_e32 v23, v25, v27
	;; [unrolled: 1-line block ×3, first 2 shown]
	v_sub_f32_e32 v24, v23, v25
	v_mul_f32_e32 v20, v30, v20
	v_sub_f32_e32 v24, v27, v24
	v_add_f32_e32 v20, v24, v20
	v_cvt_f32_i32_e32 v19, v19
	v_add_f32_e32 v24, v23, v20
	v_mul_f32_e32 v25, v24, v24
	v_mov_b32_e32 v26, 0x3ecc95a3
	v_fmac_f32_e32 v26, 0x3e9b6dac, v25
	v_mov_b32_e32 v27, 0x3f2aaada
	v_fmac_f32_e32 v27, v25, v26
	v_mul_f32_e32 v26, 0x3f317218, v19
	v_fma_f32 v30, v19, s6, -v26
	v_fmac_f32_e32 v30, 0xb102e308, v19
	v_sub_f32_e32 v19, v24, v23
	v_sub_f32_e32 v19, v20, v19
	v_add_f32_e32 v20, v26, v30
	v_sub_f32_e32 v23, v20, v26
	v_ldexp_f32 v26, v24, 1
	v_mul_f32_e32 v24, v24, v25
	v_mul_f32_e32 v24, v24, v27
	v_add_f32_e32 v25, v26, v24
	v_sub_f32_e32 v26, v25, v26
	v_ldexp_f32 v19, v19, 1
	v_sub_f32_e32 v24, v24, v26
	v_add_f32_e32 v19, v19, v24
	v_add_f32_e32 v24, v25, v19
	v_sub_f32_e32 v25, v24, v25
	v_sub_f32_e32 v19, v19, v25
	v_add_f32_e32 v25, v20, v24
	v_sub_f32_e32 v26, v25, v20
	v_sub_f32_e32 v27, v25, v26
	;; [unrolled: 1-line block ×5, first 2 shown]
	v_add_f32_e32 v20, v24, v20
	v_add_f32_e32 v24, v23, v19
	v_sub_f32_e32 v26, v24, v23
	v_sub_f32_e32 v27, v24, v26
	;; [unrolled: 1-line block ×4, first 2 shown]
	v_add_f32_e32 v20, v24, v20
	v_add_f32_e32 v19, v19, v23
	;; [unrolled: 1-line block ×3, first 2 shown]
	v_sub_f32_e32 v24, v23, v25
	v_sub_f32_e32 v20, v20, v24
	v_add_f32_e32 v19, v19, v20
	v_add_f32_e32 v19, v23, v19
	v_cmp_neq_f32_e64 s[58:59], s3, v22
	s_mov_b32 s3, 0x33800000
	v_cndmask_b32_e64 v19, v21, v19, s[58:59]
	v_cmp_lt_f32_e64 s[58:59], |v22|, s3
	v_cndmask_b32_e64 v19, v19, v22, s[58:59]
	v_add_f32_e32 v3, v3, v19
	v_cvt_f16_f32_e32 v31, v3
	v_cvt_f32_f16_e32 v32, v31
	v_mov_b32_e32 v30, v31
.LBB410_58:
	s_or_b64 exec, exec, s[0:1]
	v_cvt_f32_f16_e32 v3, v4
	v_max_f32_e32 v19, v32, v32
	v_cmp_u_f16_e64 s[60:61], v31, v31
	v_cmp_u_f16_e64 s[58:59], v4, v4
	v_min_f32_e32 v20, v19, v3
	v_max_f32_e32 v19, v19, v3
	v_cndmask_b32_e64 v20, v20, v32, s[60:61]
	v_cndmask_b32_e64 v19, v19, v32, s[60:61]
	;; [unrolled: 1-line block ×4, first 2 shown]
	v_cmp_neq_f32_e64 s[60:61], v20, v19
	v_cmp_class_f32_e64 s[0:1], v20, s2
	s_or_b64 s[2:3], s[60:61], s[0:1]
	s_and_saveexec_b64 s[0:1], s[2:3]
	s_cbranch_execz .LBB410_60
; %bb.59:
	v_sub_f32_e32 v20, v20, v19
	s_mov_b32 s2, 0x3fb8aa3b
	v_mul_f32_e32 v21, 0x3fb8aa3b, v20
	v_fma_f32 v22, v20, s2, -v21
	v_rndne_f32_e32 v23, v21
	v_fmac_f32_e32 v22, 0x32a5705f, v20
	v_sub_f32_e32 v21, v21, v23
	v_add_f32_e32 v21, v21, v22
	v_exp_f32_e32 v21, v21
	v_cvt_i32_f32_e32 v22, v23
	s_mov_b32 s2, 0xc2ce8ed0
	v_cmp_ngt_f32_e64 s[60:61], s2, v20
	s_mov_b32 s2, 0x42b17218
	v_ldexp_f32 v21, v21, v22
	v_cndmask_b32_e64 v21, 0, v21, s[60:61]
	v_mov_b32_e32 v22, 0x7f800000
	v_cmp_nlt_f32_e64 s[60:61], s2, v20
	v_cndmask_b32_e64 v23, v22, v21, s[60:61]
	v_add_f32_e32 v24, 1.0, v23
	v_cvt_f64_f32_e32 v[20:21], v24
	v_add_f32_e32 v25, -1.0, v24
	v_sub_f32_e32 v26, v25, v24
	v_sub_f32_e32 v25, v23, v25
	v_frexp_exp_i32_f64_e32 v20, v[20:21]
	v_add_f32_e32 v21, 1.0, v26
	v_add_f32_e32 v21, v25, v21
	v_frexp_mant_f32_e32 v25, v24
	s_mov_b32 s3, 0x3f2aaaab
	v_cmp_gt_f32_e64 s[60:61], s3, v25
	s_mov_b32 s3, 0x3f317218
	s_mov_b32 s2, 0x7f800000
	v_subbrev_co_u32_e64 v20, s[60:61], 0, v20, s[60:61]
	v_sub_u32_e32 v25, 0, v20
	v_ldexp_f32 v24, v24, v25
	v_ldexp_f32 v21, v21, v25
	v_add_f32_e32 v25, -1.0, v24
	v_add_f32_e32 v30, 1.0, v24
	v_add_f32_e32 v26, 1.0, v25
	v_add_f32_e32 v31, -1.0, v30
	v_sub_f32_e32 v26, v24, v26
	v_sub_f32_e32 v24, v24, v31
	v_add_f32_e32 v26, v21, v26
	v_add_f32_e32 v21, v21, v24
	;; [unrolled: 1-line block ×3, first 2 shown]
	v_rcp_f32_e32 v31, v24
	v_add_f32_e32 v27, v25, v26
	v_sub_f32_e32 v25, v25, v27
	v_add_f32_e32 v25, v26, v25
	v_sub_f32_e32 v26, v30, v24
	v_add_f32_e32 v21, v21, v26
	v_mul_f32_e32 v26, v27, v31
	v_mul_f32_e32 v30, v24, v26
	v_fma_f32 v32, v26, v24, -v30
	v_fmac_f32_e32 v32, v26, v21
	v_add_f32_e32 v33, v30, v32
	v_sub_f32_e32 v34, v27, v33
	v_sub_f32_e32 v27, v27, v34
	;; [unrolled: 1-line block ×4, first 2 shown]
	v_add_f32_e32 v25, v25, v27
	v_sub_f32_e32 v27, v30, v32
	v_add_f32_e32 v25, v27, v25
	v_add_f32_e32 v27, v34, v25
	v_mul_f32_e32 v30, v31, v27
	v_mul_f32_e32 v32, v24, v30
	v_fma_f32 v24, v30, v24, -v32
	v_fmac_f32_e32 v24, v30, v21
	v_sub_f32_e32 v21, v34, v27
	v_add_f32_e32 v21, v25, v21
	v_add_f32_e32 v25, v32, v24
	v_sub_f32_e32 v33, v27, v25
	v_sub_f32_e32 v27, v27, v33
	;; [unrolled: 1-line block ×4, first 2 shown]
	v_add_f32_e32 v21, v21, v25
	v_sub_f32_e32 v24, v32, v24
	v_add_f32_e32 v21, v24, v21
	v_add_f32_e32 v24, v26, v30
	;; [unrolled: 1-line block ×3, first 2 shown]
	v_sub_f32_e32 v25, v24, v26
	v_mul_f32_e32 v21, v31, v21
	v_sub_f32_e32 v25, v30, v25
	v_add_f32_e32 v21, v25, v21
	v_cvt_f32_i32_e32 v20, v20
	v_add_f32_e32 v25, v24, v21
	v_mul_f32_e32 v26, v25, v25
	v_mov_b32_e32 v27, 0x3ecc95a3
	v_fmac_f32_e32 v27, 0x3e9b6dac, v26
	v_mov_b32_e32 v30, 0x3f2aaada
	v_fmac_f32_e32 v30, v26, v27
	v_mul_f32_e32 v27, 0x3f317218, v20
	v_fma_f32 v31, v20, s3, -v27
	v_fmac_f32_e32 v31, 0xb102e308, v20
	v_sub_f32_e32 v20, v25, v24
	v_sub_f32_e32 v20, v21, v20
	v_add_f32_e32 v21, v27, v31
	v_sub_f32_e32 v24, v21, v27
	v_ldexp_f32 v27, v25, 1
	v_mul_f32_e32 v25, v25, v26
	v_mul_f32_e32 v25, v25, v30
	v_add_f32_e32 v26, v27, v25
	v_sub_f32_e32 v27, v26, v27
	v_ldexp_f32 v20, v20, 1
	v_sub_f32_e32 v25, v25, v27
	v_add_f32_e32 v20, v20, v25
	v_add_f32_e32 v25, v26, v20
	v_sub_f32_e32 v26, v25, v26
	v_sub_f32_e32 v20, v20, v26
	v_add_f32_e32 v26, v21, v25
	v_sub_f32_e32 v27, v26, v21
	v_sub_f32_e32 v30, v26, v27
	;; [unrolled: 1-line block ×5, first 2 shown]
	v_add_f32_e32 v21, v25, v21
	v_add_f32_e32 v25, v24, v20
	v_sub_f32_e32 v27, v25, v24
	v_sub_f32_e32 v30, v25, v27
	;; [unrolled: 1-line block ×4, first 2 shown]
	v_add_f32_e32 v21, v25, v21
	v_add_f32_e32 v20, v20, v24
	;; [unrolled: 1-line block ×3, first 2 shown]
	v_sub_f32_e32 v25, v24, v26
	v_sub_f32_e32 v21, v21, v25
	v_add_f32_e32 v20, v20, v21
	v_add_f32_e32 v20, v24, v20
	v_cmp_neq_f32_e64 s[60:61], s2, v23
	s_mov_b32 s2, 0x33800000
	v_cndmask_b32_e64 v20, v22, v20, s[60:61]
	v_cmp_lt_f32_e64 s[60:61], |v23|, s2
	v_cndmask_b32_e64 v20, v20, v23, s[60:61]
	v_add_f32_e32 v19, v19, v20
	v_cvt_f16_f32_e32 v31, v19
	v_cvt_f32_f16_e32 v32, v31
	v_mov_b32_e32 v30, v31
.LBB410_60:
	s_or_b64 exec, exec, s[0:1]
	v_cvt_f32_f16_sdwa v19, v4 dst_sel:DWORD dst_unused:UNUSED_PAD src0_sel:WORD_1
	v_max_f32_e32 v21, v32, v32
	v_cmp_u_f16_e64 s[62:63], v31, v31
	v_cmp_u_f16_sdwa s[60:61], v4, v4 src0_sel:WORD_1 src1_sel:WORD_1
	v_min_f32_e32 v20, v21, v19
	v_max_f32_e32 v4, v21, v19
	v_cndmask_b32_e64 v20, v20, v32, s[62:63]
	v_cndmask_b32_e64 v4, v4, v32, s[62:63]
	;; [unrolled: 1-line block ×4, first 2 shown]
	s_movk_i32 s2, 0x1f8
	v_cmp_neq_f32_e64 s[62:63], v20, v4
	v_cmp_class_f32_e64 s[0:1], v20, s2
	s_or_b64 s[6:7], s[62:63], s[0:1]
	s_and_saveexec_b64 s[0:1], s[6:7]
	s_cbranch_execz .LBB410_62
; %bb.61:
	v_sub_f32_e32 v20, v20, v4
	s_mov_b32 s3, 0x3fb8aa3b
	v_mul_f32_e32 v21, 0x3fb8aa3b, v20
	v_fma_f32 v22, v20, s3, -v21
	v_rndne_f32_e32 v23, v21
	v_fmac_f32_e32 v22, 0x32a5705f, v20
	v_sub_f32_e32 v21, v21, v23
	v_add_f32_e32 v21, v21, v22
	v_exp_f32_e32 v21, v21
	v_cvt_i32_f32_e32 v22, v23
	s_mov_b32 s3, 0xc2ce8ed0
	v_cmp_ngt_f32_e64 s[62:63], s3, v20
	s_mov_b32 s3, 0x42b17218
	v_ldexp_f32 v21, v21, v22
	v_cndmask_b32_e64 v21, 0, v21, s[62:63]
	v_mov_b32_e32 v22, 0x7f800000
	v_cmp_nlt_f32_e64 s[62:63], s3, v20
	v_cndmask_b32_e64 v23, v22, v21, s[62:63]
	v_add_f32_e32 v24, 1.0, v23
	v_cvt_f64_f32_e32 v[20:21], v24
	v_add_f32_e32 v25, -1.0, v24
	v_sub_f32_e32 v26, v25, v24
	v_sub_f32_e32 v25, v23, v25
	v_frexp_exp_i32_f64_e32 v20, v[20:21]
	v_add_f32_e32 v21, 1.0, v26
	v_add_f32_e32 v21, v25, v21
	v_frexp_mant_f32_e32 v25, v24
	s_mov_b32 s6, 0x3f2aaaab
	v_cmp_gt_f32_e64 s[62:63], s6, v25
	s_mov_b32 s6, 0x3f317218
	s_mov_b32 s3, 0x7f800000
	v_subbrev_co_u32_e64 v20, s[62:63], 0, v20, s[62:63]
	v_sub_u32_e32 v25, 0, v20
	v_ldexp_f32 v24, v24, v25
	v_ldexp_f32 v21, v21, v25
	v_add_f32_e32 v25, -1.0, v24
	v_add_f32_e32 v30, 1.0, v24
	v_add_f32_e32 v26, 1.0, v25
	v_add_f32_e32 v31, -1.0, v30
	v_sub_f32_e32 v26, v24, v26
	v_sub_f32_e32 v24, v24, v31
	v_add_f32_e32 v26, v21, v26
	v_add_f32_e32 v21, v21, v24
	;; [unrolled: 1-line block ×3, first 2 shown]
	v_rcp_f32_e32 v31, v24
	v_add_f32_e32 v27, v25, v26
	v_sub_f32_e32 v25, v25, v27
	v_add_f32_e32 v25, v26, v25
	v_sub_f32_e32 v26, v30, v24
	v_add_f32_e32 v21, v21, v26
	v_mul_f32_e32 v26, v27, v31
	v_mul_f32_e32 v30, v24, v26
	v_fma_f32 v32, v26, v24, -v30
	v_fmac_f32_e32 v32, v26, v21
	v_add_f32_e32 v33, v30, v32
	v_sub_f32_e32 v34, v27, v33
	v_sub_f32_e32 v27, v27, v34
	;; [unrolled: 1-line block ×4, first 2 shown]
	v_add_f32_e32 v25, v25, v27
	v_sub_f32_e32 v27, v30, v32
	v_add_f32_e32 v25, v27, v25
	v_add_f32_e32 v27, v34, v25
	v_mul_f32_e32 v30, v31, v27
	v_mul_f32_e32 v32, v24, v30
	v_fma_f32 v24, v30, v24, -v32
	v_fmac_f32_e32 v24, v30, v21
	v_sub_f32_e32 v21, v34, v27
	v_add_f32_e32 v21, v25, v21
	v_add_f32_e32 v25, v32, v24
	v_sub_f32_e32 v33, v27, v25
	v_sub_f32_e32 v27, v27, v33
	;; [unrolled: 1-line block ×4, first 2 shown]
	v_add_f32_e32 v21, v21, v25
	v_sub_f32_e32 v24, v32, v24
	v_add_f32_e32 v21, v24, v21
	v_add_f32_e32 v24, v26, v30
	;; [unrolled: 1-line block ×3, first 2 shown]
	v_sub_f32_e32 v25, v24, v26
	v_mul_f32_e32 v21, v31, v21
	v_sub_f32_e32 v25, v30, v25
	v_add_f32_e32 v21, v25, v21
	v_cvt_f32_i32_e32 v20, v20
	v_add_f32_e32 v25, v24, v21
	v_mul_f32_e32 v26, v25, v25
	v_mov_b32_e32 v27, 0x3ecc95a3
	v_fmac_f32_e32 v27, 0x3e9b6dac, v26
	v_mov_b32_e32 v30, 0x3f2aaada
	v_fmac_f32_e32 v30, v26, v27
	v_mul_f32_e32 v27, 0x3f317218, v20
	v_fma_f32 v31, v20, s6, -v27
	v_fmac_f32_e32 v31, 0xb102e308, v20
	v_sub_f32_e32 v20, v25, v24
	v_sub_f32_e32 v20, v21, v20
	v_add_f32_e32 v21, v27, v31
	v_sub_f32_e32 v24, v21, v27
	v_ldexp_f32 v27, v25, 1
	v_mul_f32_e32 v25, v25, v26
	v_mul_f32_e32 v25, v25, v30
	v_add_f32_e32 v26, v27, v25
	v_sub_f32_e32 v27, v26, v27
	v_ldexp_f32 v20, v20, 1
	v_sub_f32_e32 v25, v25, v27
	v_add_f32_e32 v20, v20, v25
	v_add_f32_e32 v25, v26, v20
	v_sub_f32_e32 v26, v25, v26
	v_sub_f32_e32 v20, v20, v26
	v_add_f32_e32 v26, v21, v25
	v_sub_f32_e32 v27, v26, v21
	v_sub_f32_e32 v30, v26, v27
	;; [unrolled: 1-line block ×5, first 2 shown]
	v_add_f32_e32 v21, v25, v21
	v_add_f32_e32 v25, v24, v20
	v_sub_f32_e32 v27, v25, v24
	v_sub_f32_e32 v30, v25, v27
	;; [unrolled: 1-line block ×4, first 2 shown]
	v_add_f32_e32 v21, v25, v21
	v_add_f32_e32 v20, v20, v24
	;; [unrolled: 1-line block ×3, first 2 shown]
	v_sub_f32_e32 v25, v24, v26
	v_sub_f32_e32 v21, v21, v25
	v_add_f32_e32 v20, v20, v21
	v_add_f32_e32 v20, v24, v20
	v_cmp_neq_f32_e64 s[62:63], s3, v23
	s_mov_b32 s3, 0x33800000
	v_cndmask_b32_e64 v20, v22, v20, s[62:63]
	v_cmp_lt_f32_e64 s[62:63], |v23|, s3
	v_cndmask_b32_e64 v20, v20, v23, s[62:63]
	v_add_f32_e32 v4, v4, v20
	v_cvt_f16_f32_e32 v31, v4
	v_cvt_f32_f16_e32 v32, v31
	v_mov_b32_e32 v30, v31
.LBB410_62:
	s_or_b64 exec, exec, s[0:1]
	v_cvt_f32_f16_e32 v4, v9
	v_max_f32_e32 v20, v32, v32
	v_cmp_u_f16_e64 s[64:65], v31, v31
	v_cmp_u_f16_e64 s[62:63], v9, v9
	v_min_f32_e32 v21, v20, v4
	v_max_f32_e32 v20, v20, v4
	v_cndmask_b32_e64 v21, v21, v32, s[64:65]
	v_cndmask_b32_e64 v20, v20, v32, s[64:65]
	;; [unrolled: 1-line block ×4, first 2 shown]
	v_cmp_neq_f32_e64 s[64:65], v21, v20
	v_cmp_class_f32_e64 s[0:1], v21, s2
	s_or_b64 s[2:3], s[64:65], s[0:1]
	s_and_saveexec_b64 s[0:1], s[2:3]
	s_cbranch_execz .LBB410_64
; %bb.63:
	v_sub_f32_e32 v21, v21, v20
	s_mov_b32 s2, 0x3fb8aa3b
	v_mul_f32_e32 v22, 0x3fb8aa3b, v21
	v_fma_f32 v23, v21, s2, -v22
	v_rndne_f32_e32 v24, v22
	v_fmac_f32_e32 v23, 0x32a5705f, v21
	v_sub_f32_e32 v22, v22, v24
	v_add_f32_e32 v22, v22, v23
	v_exp_f32_e32 v22, v22
	v_cvt_i32_f32_e32 v23, v24
	s_mov_b32 s2, 0xc2ce8ed0
	v_cmp_ngt_f32_e64 s[64:65], s2, v21
	s_mov_b32 s2, 0x42b17218
	v_ldexp_f32 v22, v22, v23
	v_cndmask_b32_e64 v22, 0, v22, s[64:65]
	v_mov_b32_e32 v23, 0x7f800000
	v_cmp_nlt_f32_e64 s[64:65], s2, v21
	v_cndmask_b32_e64 v24, v23, v22, s[64:65]
	v_add_f32_e32 v25, 1.0, v24
	v_cvt_f64_f32_e32 v[21:22], v25
	v_add_f32_e32 v26, -1.0, v25
	v_sub_f32_e32 v27, v26, v25
	v_sub_f32_e32 v26, v24, v26
	v_frexp_exp_i32_f64_e32 v21, v[21:22]
	v_add_f32_e32 v22, 1.0, v27
	v_add_f32_e32 v22, v26, v22
	v_frexp_mant_f32_e32 v26, v25
	s_mov_b32 s3, 0x3f2aaaab
	v_cmp_gt_f32_e64 s[64:65], s3, v26
	s_mov_b32 s3, 0x3f317218
	s_mov_b32 s2, 0x7f800000
	v_subbrev_co_u32_e64 v21, s[64:65], 0, v21, s[64:65]
	v_sub_u32_e32 v26, 0, v21
	v_ldexp_f32 v25, v25, v26
	v_ldexp_f32 v22, v22, v26
	v_add_f32_e32 v26, -1.0, v25
	v_add_f32_e32 v31, 1.0, v25
	v_add_f32_e32 v27, 1.0, v26
	v_add_f32_e32 v32, -1.0, v31
	v_sub_f32_e32 v27, v25, v27
	v_sub_f32_e32 v25, v25, v32
	v_add_f32_e32 v27, v22, v27
	v_add_f32_e32 v22, v22, v25
	;; [unrolled: 1-line block ×3, first 2 shown]
	v_rcp_f32_e32 v32, v25
	v_add_f32_e32 v30, v26, v27
	v_sub_f32_e32 v26, v26, v30
	v_add_f32_e32 v26, v27, v26
	v_sub_f32_e32 v27, v31, v25
	v_add_f32_e32 v22, v22, v27
	v_mul_f32_e32 v27, v30, v32
	v_mul_f32_e32 v31, v25, v27
	v_fma_f32 v33, v27, v25, -v31
	v_fmac_f32_e32 v33, v27, v22
	v_add_f32_e32 v34, v31, v33
	v_sub_f32_e32 v35, v30, v34
	v_sub_f32_e32 v30, v30, v35
	;; [unrolled: 1-line block ×4, first 2 shown]
	v_add_f32_e32 v26, v26, v30
	v_sub_f32_e32 v30, v31, v33
	v_add_f32_e32 v26, v30, v26
	v_add_f32_e32 v30, v35, v26
	v_mul_f32_e32 v31, v32, v30
	v_mul_f32_e32 v33, v25, v31
	v_fma_f32 v25, v31, v25, -v33
	v_fmac_f32_e32 v25, v31, v22
	v_sub_f32_e32 v22, v35, v30
	v_add_f32_e32 v22, v26, v22
	v_add_f32_e32 v26, v33, v25
	v_sub_f32_e32 v34, v30, v26
	v_sub_f32_e32 v30, v30, v34
	;; [unrolled: 1-line block ×4, first 2 shown]
	v_add_f32_e32 v22, v22, v26
	v_sub_f32_e32 v25, v33, v25
	v_add_f32_e32 v22, v25, v22
	v_add_f32_e32 v25, v27, v31
	;; [unrolled: 1-line block ×3, first 2 shown]
	v_sub_f32_e32 v26, v25, v27
	v_mul_f32_e32 v22, v32, v22
	v_sub_f32_e32 v26, v31, v26
	v_add_f32_e32 v22, v26, v22
	v_cvt_f32_i32_e32 v21, v21
	v_add_f32_e32 v26, v25, v22
	v_mul_f32_e32 v27, v26, v26
	v_mov_b32_e32 v30, 0x3ecc95a3
	v_fmac_f32_e32 v30, 0x3e9b6dac, v27
	v_mov_b32_e32 v31, 0x3f2aaada
	v_fmac_f32_e32 v31, v27, v30
	v_mul_f32_e32 v30, 0x3f317218, v21
	v_fma_f32 v32, v21, s3, -v30
	v_fmac_f32_e32 v32, 0xb102e308, v21
	v_sub_f32_e32 v21, v26, v25
	v_sub_f32_e32 v21, v22, v21
	v_add_f32_e32 v22, v30, v32
	v_sub_f32_e32 v25, v22, v30
	v_ldexp_f32 v30, v26, 1
	v_mul_f32_e32 v26, v26, v27
	v_mul_f32_e32 v26, v26, v31
	v_add_f32_e32 v27, v30, v26
	v_sub_f32_e32 v30, v27, v30
	v_ldexp_f32 v21, v21, 1
	v_sub_f32_e32 v26, v26, v30
	v_add_f32_e32 v21, v21, v26
	v_add_f32_e32 v26, v27, v21
	v_sub_f32_e32 v27, v26, v27
	v_sub_f32_e32 v21, v21, v27
	v_add_f32_e32 v27, v22, v26
	v_sub_f32_e32 v30, v27, v22
	v_sub_f32_e32 v31, v27, v30
	;; [unrolled: 1-line block ×5, first 2 shown]
	v_add_f32_e32 v22, v26, v22
	v_add_f32_e32 v26, v25, v21
	v_sub_f32_e32 v30, v26, v25
	v_sub_f32_e32 v31, v26, v30
	;; [unrolled: 1-line block ×4, first 2 shown]
	v_add_f32_e32 v22, v26, v22
	v_add_f32_e32 v21, v21, v25
	v_add_f32_e32 v25, v27, v22
	v_sub_f32_e32 v26, v25, v27
	v_sub_f32_e32 v22, v22, v26
	v_add_f32_e32 v21, v21, v22
	v_add_f32_e32 v21, v25, v21
	v_cmp_neq_f32_e64 s[64:65], s2, v24
	s_mov_b32 s2, 0x33800000
	v_cndmask_b32_e64 v21, v23, v21, s[64:65]
	v_cmp_lt_f32_e64 s[64:65], |v24|, s2
	v_cndmask_b32_e64 v21, v21, v24, s[64:65]
	v_add_f32_e32 v20, v20, v21
	v_cvt_f16_f32_e32 v31, v20
	v_cvt_f32_f16_e32 v32, v31
	v_mov_b32_e32 v30, v31
.LBB410_64:
	s_or_b64 exec, exec, s[0:1]
	v_cvt_f32_f16_sdwa v20, v9 dst_sel:DWORD dst_unused:UNUSED_PAD src0_sel:WORD_1
	v_max_f32_e32 v22, v32, v32
	v_cmp_u_f16_e64 s[66:67], v31, v31
	v_cmp_u_f16_sdwa s[64:65], v9, v9 src0_sel:WORD_1 src1_sel:WORD_1
	v_min_f32_e32 v21, v22, v20
	v_max_f32_e32 v9, v22, v20
	v_cndmask_b32_e64 v21, v21, v32, s[66:67]
	v_cndmask_b32_e64 v9, v9, v32, s[66:67]
	;; [unrolled: 1-line block ×4, first 2 shown]
	s_movk_i32 s2, 0x1f8
	v_cmp_neq_f32_e64 s[66:67], v21, v9
	v_cmp_class_f32_e64 s[0:1], v21, s2
	s_or_b64 s[6:7], s[66:67], s[0:1]
	s_and_saveexec_b64 s[0:1], s[6:7]
	s_cbranch_execz .LBB410_66
; %bb.65:
	v_sub_f32_e32 v21, v21, v9
	s_mov_b32 s3, 0x3fb8aa3b
	v_mul_f32_e32 v22, 0x3fb8aa3b, v21
	v_fma_f32 v23, v21, s3, -v22
	v_rndne_f32_e32 v24, v22
	v_fmac_f32_e32 v23, 0x32a5705f, v21
	v_sub_f32_e32 v22, v22, v24
	v_add_f32_e32 v22, v22, v23
	v_exp_f32_e32 v22, v22
	v_cvt_i32_f32_e32 v23, v24
	s_mov_b32 s3, 0xc2ce8ed0
	v_cmp_ngt_f32_e64 s[66:67], s3, v21
	s_mov_b32 s3, 0x42b17218
	v_ldexp_f32 v22, v22, v23
	v_cndmask_b32_e64 v22, 0, v22, s[66:67]
	v_mov_b32_e32 v23, 0x7f800000
	v_cmp_nlt_f32_e64 s[66:67], s3, v21
	v_cndmask_b32_e64 v24, v23, v22, s[66:67]
	v_add_f32_e32 v25, 1.0, v24
	v_cvt_f64_f32_e32 v[21:22], v25
	v_add_f32_e32 v26, -1.0, v25
	v_sub_f32_e32 v27, v26, v25
	v_sub_f32_e32 v26, v24, v26
	v_frexp_exp_i32_f64_e32 v21, v[21:22]
	v_add_f32_e32 v22, 1.0, v27
	v_add_f32_e32 v22, v26, v22
	v_frexp_mant_f32_e32 v26, v25
	s_mov_b32 s6, 0x3f2aaaab
	v_cmp_gt_f32_e64 s[66:67], s6, v26
	s_mov_b32 s6, 0x3f317218
	s_mov_b32 s3, 0x7f800000
	v_subbrev_co_u32_e64 v21, s[66:67], 0, v21, s[66:67]
	v_sub_u32_e32 v26, 0, v21
	v_ldexp_f32 v25, v25, v26
	v_ldexp_f32 v22, v22, v26
	v_add_f32_e32 v26, -1.0, v25
	v_add_f32_e32 v31, 1.0, v25
	v_add_f32_e32 v27, 1.0, v26
	v_add_f32_e32 v32, -1.0, v31
	v_sub_f32_e32 v27, v25, v27
	v_sub_f32_e32 v25, v25, v32
	v_add_f32_e32 v27, v22, v27
	v_add_f32_e32 v22, v22, v25
	;; [unrolled: 1-line block ×3, first 2 shown]
	v_rcp_f32_e32 v32, v25
	v_add_f32_e32 v30, v26, v27
	v_sub_f32_e32 v26, v26, v30
	v_add_f32_e32 v26, v27, v26
	v_sub_f32_e32 v27, v31, v25
	v_add_f32_e32 v22, v22, v27
	v_mul_f32_e32 v27, v30, v32
	v_mul_f32_e32 v31, v25, v27
	v_fma_f32 v33, v27, v25, -v31
	v_fmac_f32_e32 v33, v27, v22
	v_add_f32_e32 v34, v31, v33
	v_sub_f32_e32 v35, v30, v34
	v_sub_f32_e32 v30, v30, v35
	;; [unrolled: 1-line block ×4, first 2 shown]
	v_add_f32_e32 v26, v26, v30
	v_sub_f32_e32 v30, v31, v33
	v_add_f32_e32 v26, v30, v26
	v_add_f32_e32 v30, v35, v26
	v_mul_f32_e32 v31, v32, v30
	v_mul_f32_e32 v33, v25, v31
	v_fma_f32 v25, v31, v25, -v33
	v_fmac_f32_e32 v25, v31, v22
	v_sub_f32_e32 v22, v35, v30
	v_add_f32_e32 v22, v26, v22
	v_add_f32_e32 v26, v33, v25
	v_sub_f32_e32 v34, v30, v26
	v_sub_f32_e32 v30, v30, v34
	;; [unrolled: 1-line block ×4, first 2 shown]
	v_add_f32_e32 v22, v22, v26
	v_sub_f32_e32 v25, v33, v25
	v_add_f32_e32 v22, v25, v22
	v_add_f32_e32 v25, v27, v31
	;; [unrolled: 1-line block ×3, first 2 shown]
	v_sub_f32_e32 v26, v25, v27
	v_mul_f32_e32 v22, v32, v22
	v_sub_f32_e32 v26, v31, v26
	v_add_f32_e32 v22, v26, v22
	v_cvt_f32_i32_e32 v21, v21
	v_add_f32_e32 v26, v25, v22
	v_mul_f32_e32 v27, v26, v26
	v_mov_b32_e32 v30, 0x3ecc95a3
	v_fmac_f32_e32 v30, 0x3e9b6dac, v27
	v_mov_b32_e32 v31, 0x3f2aaada
	v_fmac_f32_e32 v31, v27, v30
	v_mul_f32_e32 v30, 0x3f317218, v21
	v_fma_f32 v32, v21, s6, -v30
	v_fmac_f32_e32 v32, 0xb102e308, v21
	v_sub_f32_e32 v21, v26, v25
	v_sub_f32_e32 v21, v22, v21
	v_add_f32_e32 v22, v30, v32
	v_sub_f32_e32 v25, v22, v30
	v_ldexp_f32 v30, v26, 1
	v_mul_f32_e32 v26, v26, v27
	v_mul_f32_e32 v26, v26, v31
	v_add_f32_e32 v27, v30, v26
	v_sub_f32_e32 v30, v27, v30
	v_ldexp_f32 v21, v21, 1
	v_sub_f32_e32 v26, v26, v30
	v_add_f32_e32 v21, v21, v26
	v_add_f32_e32 v26, v27, v21
	v_sub_f32_e32 v27, v26, v27
	v_sub_f32_e32 v21, v21, v27
	v_add_f32_e32 v27, v22, v26
	v_sub_f32_e32 v30, v27, v22
	v_sub_f32_e32 v31, v27, v30
	;; [unrolled: 1-line block ×5, first 2 shown]
	v_add_f32_e32 v22, v26, v22
	v_add_f32_e32 v26, v25, v21
	v_sub_f32_e32 v30, v26, v25
	v_sub_f32_e32 v31, v26, v30
	;; [unrolled: 1-line block ×4, first 2 shown]
	v_add_f32_e32 v22, v26, v22
	v_add_f32_e32 v21, v21, v25
	;; [unrolled: 1-line block ×3, first 2 shown]
	v_sub_f32_e32 v26, v25, v27
	v_sub_f32_e32 v22, v22, v26
	v_add_f32_e32 v21, v21, v22
	v_add_f32_e32 v21, v25, v21
	v_cmp_neq_f32_e64 s[66:67], s3, v24
	s_mov_b32 s3, 0x33800000
	v_cndmask_b32_e64 v21, v23, v21, s[66:67]
	v_cmp_lt_f32_e64 s[66:67], |v24|, s3
	v_cndmask_b32_e64 v21, v21, v24, s[66:67]
	v_add_f32_e32 v9, v9, v21
	v_cvt_f16_f32_e32 v31, v9
	v_cvt_f32_f16_e32 v32, v31
	v_mov_b32_e32 v30, v31
.LBB410_66:
	s_or_b64 exec, exec, s[0:1]
	v_cvt_f32_f16_e32 v9, v10
	v_max_f32_e32 v21, v32, v32
	v_cmp_u_f16_e64 s[68:69], v31, v31
	v_cmp_u_f16_e64 s[66:67], v10, v10
	v_min_f32_e32 v22, v21, v9
	v_max_f32_e32 v21, v21, v9
	v_cndmask_b32_e64 v22, v22, v32, s[68:69]
	v_cndmask_b32_e64 v21, v21, v32, s[68:69]
	;; [unrolled: 1-line block ×4, first 2 shown]
	v_cmp_neq_f32_e64 s[68:69], v22, v21
	v_cmp_class_f32_e64 s[0:1], v22, s2
	s_or_b64 s[2:3], s[68:69], s[0:1]
	s_and_saveexec_b64 s[0:1], s[2:3]
	s_cbranch_execz .LBB410_68
; %bb.67:
	v_sub_f32_e32 v22, v22, v21
	s_mov_b32 s2, 0x3fb8aa3b
	v_mul_f32_e32 v23, 0x3fb8aa3b, v22
	v_fma_f32 v24, v22, s2, -v23
	v_rndne_f32_e32 v25, v23
	v_fmac_f32_e32 v24, 0x32a5705f, v22
	v_sub_f32_e32 v23, v23, v25
	v_add_f32_e32 v23, v23, v24
	v_exp_f32_e32 v23, v23
	v_cvt_i32_f32_e32 v24, v25
	s_mov_b32 s2, 0xc2ce8ed0
	v_cmp_ngt_f32_e64 s[68:69], s2, v22
	s_mov_b32 s2, 0x42b17218
	v_ldexp_f32 v23, v23, v24
	v_cndmask_b32_e64 v23, 0, v23, s[68:69]
	v_mov_b32_e32 v24, 0x7f800000
	v_cmp_nlt_f32_e64 s[68:69], s2, v22
	v_cndmask_b32_e64 v25, v24, v23, s[68:69]
	v_add_f32_e32 v26, 1.0, v25
	v_cvt_f64_f32_e32 v[22:23], v26
	v_add_f32_e32 v27, -1.0, v26
	v_sub_f32_e32 v30, v27, v26
	v_sub_f32_e32 v27, v25, v27
	v_frexp_exp_i32_f64_e32 v22, v[22:23]
	v_add_f32_e32 v23, 1.0, v30
	v_add_f32_e32 v23, v27, v23
	v_frexp_mant_f32_e32 v27, v26
	s_mov_b32 s3, 0x3f2aaaab
	v_cmp_gt_f32_e64 s[68:69], s3, v27
	s_mov_b32 s3, 0x3f317218
	s_mov_b32 s2, 0x7f800000
	v_subbrev_co_u32_e64 v22, s[68:69], 0, v22, s[68:69]
	v_sub_u32_e32 v27, 0, v22
	v_ldexp_f32 v26, v26, v27
	v_ldexp_f32 v23, v23, v27
	v_add_f32_e32 v27, -1.0, v26
	v_add_f32_e32 v32, 1.0, v26
	v_add_f32_e32 v30, 1.0, v27
	v_add_f32_e32 v33, -1.0, v32
	v_sub_f32_e32 v30, v26, v30
	v_sub_f32_e32 v26, v26, v33
	v_add_f32_e32 v30, v23, v30
	v_add_f32_e32 v23, v23, v26
	;; [unrolled: 1-line block ×3, first 2 shown]
	v_rcp_f32_e32 v33, v26
	v_add_f32_e32 v31, v27, v30
	v_sub_f32_e32 v27, v27, v31
	v_add_f32_e32 v27, v30, v27
	v_sub_f32_e32 v30, v32, v26
	v_add_f32_e32 v23, v23, v30
	v_mul_f32_e32 v30, v31, v33
	v_mul_f32_e32 v32, v26, v30
	v_fma_f32 v34, v30, v26, -v32
	v_fmac_f32_e32 v34, v30, v23
	v_add_f32_e32 v35, v32, v34
	v_sub_f32_e32 v36, v31, v35
	v_sub_f32_e32 v31, v31, v36
	;; [unrolled: 1-line block ×4, first 2 shown]
	v_add_f32_e32 v27, v27, v31
	v_sub_f32_e32 v31, v32, v34
	v_add_f32_e32 v27, v31, v27
	v_add_f32_e32 v31, v36, v27
	v_mul_f32_e32 v32, v33, v31
	v_mul_f32_e32 v34, v26, v32
	v_fma_f32 v26, v32, v26, -v34
	v_fmac_f32_e32 v26, v32, v23
	v_sub_f32_e32 v23, v36, v31
	v_add_f32_e32 v23, v27, v23
	v_add_f32_e32 v27, v34, v26
	v_sub_f32_e32 v35, v31, v27
	v_sub_f32_e32 v31, v31, v35
	;; [unrolled: 1-line block ×4, first 2 shown]
	v_add_f32_e32 v23, v23, v27
	v_sub_f32_e32 v26, v34, v26
	v_add_f32_e32 v23, v26, v23
	v_add_f32_e32 v26, v30, v32
	;; [unrolled: 1-line block ×3, first 2 shown]
	v_sub_f32_e32 v27, v26, v30
	v_mul_f32_e32 v23, v33, v23
	v_sub_f32_e32 v27, v32, v27
	v_add_f32_e32 v23, v27, v23
	v_cvt_f32_i32_e32 v22, v22
	v_add_f32_e32 v27, v26, v23
	v_mul_f32_e32 v30, v27, v27
	v_mov_b32_e32 v31, 0x3ecc95a3
	v_fmac_f32_e32 v31, 0x3e9b6dac, v30
	v_mov_b32_e32 v32, 0x3f2aaada
	v_fmac_f32_e32 v32, v30, v31
	v_mul_f32_e32 v31, 0x3f317218, v22
	v_fma_f32 v33, v22, s3, -v31
	v_fmac_f32_e32 v33, 0xb102e308, v22
	v_sub_f32_e32 v22, v27, v26
	v_sub_f32_e32 v22, v23, v22
	v_add_f32_e32 v23, v31, v33
	v_sub_f32_e32 v26, v23, v31
	v_ldexp_f32 v31, v27, 1
	v_mul_f32_e32 v27, v27, v30
	v_mul_f32_e32 v27, v27, v32
	v_add_f32_e32 v30, v31, v27
	v_sub_f32_e32 v31, v30, v31
	v_ldexp_f32 v22, v22, 1
	v_sub_f32_e32 v27, v27, v31
	v_add_f32_e32 v22, v22, v27
	v_add_f32_e32 v27, v30, v22
	v_sub_f32_e32 v30, v27, v30
	v_sub_f32_e32 v22, v22, v30
	v_add_f32_e32 v30, v23, v27
	v_sub_f32_e32 v31, v30, v23
	v_sub_f32_e32 v32, v30, v31
	;; [unrolled: 1-line block ×5, first 2 shown]
	v_add_f32_e32 v23, v27, v23
	v_add_f32_e32 v27, v26, v22
	v_sub_f32_e32 v31, v27, v26
	v_sub_f32_e32 v32, v27, v31
	;; [unrolled: 1-line block ×4, first 2 shown]
	v_add_f32_e32 v23, v27, v23
	v_add_f32_e32 v22, v22, v26
	;; [unrolled: 1-line block ×3, first 2 shown]
	v_sub_f32_e32 v27, v26, v30
	v_sub_f32_e32 v23, v23, v27
	v_add_f32_e32 v22, v22, v23
	v_add_f32_e32 v22, v26, v22
	v_cmp_neq_f32_e64 s[68:69], s2, v25
	s_mov_b32 s2, 0x33800000
	v_cndmask_b32_e64 v22, v24, v22, s[68:69]
	v_cmp_lt_f32_e64 s[68:69], |v25|, s2
	v_cndmask_b32_e64 v22, v22, v25, s[68:69]
	v_add_f32_e32 v21, v21, v22
	v_cvt_f16_f32_e32 v31, v21
	v_cvt_f32_f16_e32 v32, v31
	v_mov_b32_e32 v30, v31
.LBB410_68:
	s_or_b64 exec, exec, s[0:1]
	v_cvt_f32_f16_sdwa v21, v10 dst_sel:DWORD dst_unused:UNUSED_PAD src0_sel:WORD_1
	v_max_f32_e32 v23, v32, v32
	v_cmp_u_f16_e64 s[70:71], v31, v31
	v_cmp_u_f16_sdwa s[68:69], v10, v10 src0_sel:WORD_1 src1_sel:WORD_1
	v_min_f32_e32 v22, v23, v21
	v_max_f32_e32 v10, v23, v21
	v_cndmask_b32_e64 v22, v22, v32, s[70:71]
	v_cndmask_b32_e64 v10, v10, v32, s[70:71]
	;; [unrolled: 1-line block ×4, first 2 shown]
	s_movk_i32 s2, 0x1f8
	v_cmp_neq_f32_e64 s[70:71], v22, v10
	v_cmp_class_f32_e64 s[0:1], v22, s2
	s_or_b64 s[6:7], s[70:71], s[0:1]
	s_and_saveexec_b64 s[0:1], s[6:7]
	s_cbranch_execz .LBB410_70
; %bb.69:
	v_sub_f32_e32 v22, v22, v10
	s_mov_b32 s3, 0x3fb8aa3b
	v_mul_f32_e32 v23, 0x3fb8aa3b, v22
	v_fma_f32 v24, v22, s3, -v23
	v_rndne_f32_e32 v25, v23
	v_fmac_f32_e32 v24, 0x32a5705f, v22
	v_sub_f32_e32 v23, v23, v25
	v_add_f32_e32 v23, v23, v24
	v_exp_f32_e32 v23, v23
	v_cvt_i32_f32_e32 v24, v25
	s_mov_b32 s3, 0xc2ce8ed0
	v_cmp_ngt_f32_e64 s[70:71], s3, v22
	s_mov_b32 s3, 0x42b17218
	v_ldexp_f32 v23, v23, v24
	v_cndmask_b32_e64 v23, 0, v23, s[70:71]
	v_mov_b32_e32 v24, 0x7f800000
	v_cmp_nlt_f32_e64 s[70:71], s3, v22
	v_cndmask_b32_e64 v25, v24, v23, s[70:71]
	v_add_f32_e32 v26, 1.0, v25
	v_cvt_f64_f32_e32 v[22:23], v26
	v_add_f32_e32 v27, -1.0, v26
	v_sub_f32_e32 v30, v27, v26
	v_sub_f32_e32 v27, v25, v27
	v_frexp_exp_i32_f64_e32 v22, v[22:23]
	v_add_f32_e32 v23, 1.0, v30
	v_add_f32_e32 v23, v27, v23
	v_frexp_mant_f32_e32 v27, v26
	s_mov_b32 s6, 0x3f2aaaab
	v_cmp_gt_f32_e64 s[70:71], s6, v27
	s_mov_b32 s6, 0x3f317218
	s_mov_b32 s3, 0x7f800000
	v_subbrev_co_u32_e64 v22, s[70:71], 0, v22, s[70:71]
	v_sub_u32_e32 v27, 0, v22
	v_ldexp_f32 v26, v26, v27
	v_ldexp_f32 v23, v23, v27
	v_add_f32_e32 v27, -1.0, v26
	v_add_f32_e32 v32, 1.0, v26
	v_add_f32_e32 v30, 1.0, v27
	v_add_f32_e32 v33, -1.0, v32
	v_sub_f32_e32 v30, v26, v30
	v_sub_f32_e32 v26, v26, v33
	v_add_f32_e32 v30, v23, v30
	v_add_f32_e32 v23, v23, v26
	;; [unrolled: 1-line block ×3, first 2 shown]
	v_rcp_f32_e32 v33, v26
	v_add_f32_e32 v31, v27, v30
	v_sub_f32_e32 v27, v27, v31
	v_add_f32_e32 v27, v30, v27
	v_sub_f32_e32 v30, v32, v26
	v_add_f32_e32 v23, v23, v30
	v_mul_f32_e32 v30, v31, v33
	v_mul_f32_e32 v32, v26, v30
	v_fma_f32 v34, v30, v26, -v32
	v_fmac_f32_e32 v34, v30, v23
	v_add_f32_e32 v35, v32, v34
	v_sub_f32_e32 v36, v31, v35
	v_sub_f32_e32 v31, v31, v36
	;; [unrolled: 1-line block ×4, first 2 shown]
	v_add_f32_e32 v27, v27, v31
	v_sub_f32_e32 v31, v32, v34
	v_add_f32_e32 v27, v31, v27
	v_add_f32_e32 v31, v36, v27
	v_mul_f32_e32 v32, v33, v31
	v_mul_f32_e32 v34, v26, v32
	v_fma_f32 v26, v32, v26, -v34
	v_fmac_f32_e32 v26, v32, v23
	v_sub_f32_e32 v23, v36, v31
	v_add_f32_e32 v23, v27, v23
	v_add_f32_e32 v27, v34, v26
	v_sub_f32_e32 v35, v31, v27
	v_sub_f32_e32 v31, v31, v35
	;; [unrolled: 1-line block ×4, first 2 shown]
	v_add_f32_e32 v23, v23, v27
	v_sub_f32_e32 v26, v34, v26
	v_add_f32_e32 v23, v26, v23
	v_add_f32_e32 v26, v30, v32
	;; [unrolled: 1-line block ×3, first 2 shown]
	v_sub_f32_e32 v27, v26, v30
	v_mul_f32_e32 v23, v33, v23
	v_sub_f32_e32 v27, v32, v27
	v_add_f32_e32 v23, v27, v23
	v_cvt_f32_i32_e32 v22, v22
	v_add_f32_e32 v27, v26, v23
	v_mul_f32_e32 v30, v27, v27
	v_mov_b32_e32 v31, 0x3ecc95a3
	v_fmac_f32_e32 v31, 0x3e9b6dac, v30
	v_mov_b32_e32 v32, 0x3f2aaada
	v_fmac_f32_e32 v32, v30, v31
	v_mul_f32_e32 v31, 0x3f317218, v22
	v_fma_f32 v33, v22, s6, -v31
	v_fmac_f32_e32 v33, 0xb102e308, v22
	v_sub_f32_e32 v22, v27, v26
	v_sub_f32_e32 v22, v23, v22
	v_add_f32_e32 v23, v31, v33
	v_sub_f32_e32 v26, v23, v31
	v_ldexp_f32 v31, v27, 1
	v_mul_f32_e32 v27, v27, v30
	v_mul_f32_e32 v27, v27, v32
	v_add_f32_e32 v30, v31, v27
	v_sub_f32_e32 v31, v30, v31
	v_ldexp_f32 v22, v22, 1
	v_sub_f32_e32 v27, v27, v31
	v_add_f32_e32 v22, v22, v27
	v_add_f32_e32 v27, v30, v22
	v_sub_f32_e32 v30, v27, v30
	v_sub_f32_e32 v22, v22, v30
	v_add_f32_e32 v30, v23, v27
	v_sub_f32_e32 v31, v30, v23
	v_sub_f32_e32 v32, v30, v31
	v_sub_f32_e32 v26, v33, v26
	v_sub_f32_e32 v23, v23, v32
	v_sub_f32_e32 v27, v27, v31
	v_add_f32_e32 v23, v27, v23
	v_add_f32_e32 v27, v26, v22
	v_sub_f32_e32 v31, v27, v26
	v_sub_f32_e32 v32, v27, v31
	;; [unrolled: 1-line block ×4, first 2 shown]
	v_add_f32_e32 v23, v27, v23
	v_add_f32_e32 v22, v22, v26
	;; [unrolled: 1-line block ×3, first 2 shown]
	v_sub_f32_e32 v27, v26, v30
	v_sub_f32_e32 v23, v23, v27
	v_add_f32_e32 v22, v22, v23
	v_add_f32_e32 v22, v26, v22
	v_cmp_neq_f32_e64 s[70:71], s3, v25
	s_mov_b32 s3, 0x33800000
	v_cndmask_b32_e64 v22, v24, v22, s[70:71]
	v_cmp_lt_f32_e64 s[70:71], |v25|, s3
	v_cndmask_b32_e64 v22, v22, v25, s[70:71]
	v_add_f32_e32 v10, v10, v22
	v_cvt_f16_f32_e32 v31, v10
	v_cvt_f32_f16_e32 v32, v31
	v_mov_b32_e32 v30, v31
.LBB410_70:
	s_or_b64 exec, exec, s[0:1]
	v_cvt_f32_f16_e32 v10, v11
	v_max_f32_e32 v22, v32, v32
	v_cmp_u_f16_e64 s[72:73], v31, v31
	v_cmp_u_f16_e64 s[70:71], v11, v11
	v_min_f32_e32 v23, v22, v10
	v_max_f32_e32 v22, v22, v10
	v_cndmask_b32_e64 v23, v23, v32, s[72:73]
	v_cndmask_b32_e64 v22, v22, v32, s[72:73]
	;; [unrolled: 1-line block ×4, first 2 shown]
	v_cmp_neq_f32_e64 s[72:73], v23, v22
	v_cmp_class_f32_e64 s[0:1], v23, s2
	s_or_b64 s[2:3], s[72:73], s[0:1]
	s_and_saveexec_b64 s[0:1], s[2:3]
	s_cbranch_execz .LBB410_72
; %bb.71:
	v_sub_f32_e32 v23, v23, v22
	s_mov_b32 s2, 0x3fb8aa3b
	v_mul_f32_e32 v24, 0x3fb8aa3b, v23
	v_fma_f32 v25, v23, s2, -v24
	v_rndne_f32_e32 v26, v24
	v_fmac_f32_e32 v25, 0x32a5705f, v23
	v_sub_f32_e32 v24, v24, v26
	v_add_f32_e32 v24, v24, v25
	v_exp_f32_e32 v24, v24
	v_cvt_i32_f32_e32 v25, v26
	s_mov_b32 s2, 0xc2ce8ed0
	v_cmp_ngt_f32_e64 s[72:73], s2, v23
	s_mov_b32 s2, 0x42b17218
	v_ldexp_f32 v24, v24, v25
	v_cndmask_b32_e64 v24, 0, v24, s[72:73]
	v_mov_b32_e32 v25, 0x7f800000
	v_cmp_nlt_f32_e64 s[72:73], s2, v23
	v_cndmask_b32_e64 v26, v25, v24, s[72:73]
	v_add_f32_e32 v27, 1.0, v26
	v_cvt_f64_f32_e32 v[23:24], v27
	v_add_f32_e32 v30, -1.0, v27
	v_sub_f32_e32 v31, v30, v27
	v_sub_f32_e32 v30, v26, v30
	v_frexp_exp_i32_f64_e32 v23, v[23:24]
	v_add_f32_e32 v24, 1.0, v31
	v_add_f32_e32 v24, v30, v24
	v_frexp_mant_f32_e32 v30, v27
	s_mov_b32 s3, 0x3f2aaaab
	v_cmp_gt_f32_e64 s[72:73], s3, v30
	s_mov_b32 s3, 0x3f317218
	s_mov_b32 s2, 0x7f800000
	v_subbrev_co_u32_e64 v23, s[72:73], 0, v23, s[72:73]
	v_sub_u32_e32 v30, 0, v23
	v_ldexp_f32 v27, v27, v30
	v_ldexp_f32 v24, v24, v30
	v_add_f32_e32 v30, -1.0, v27
	v_add_f32_e32 v33, 1.0, v27
	v_add_f32_e32 v31, 1.0, v30
	v_add_f32_e32 v34, -1.0, v33
	v_sub_f32_e32 v31, v27, v31
	v_sub_f32_e32 v27, v27, v34
	v_add_f32_e32 v31, v24, v31
	v_add_f32_e32 v24, v24, v27
	;; [unrolled: 1-line block ×3, first 2 shown]
	v_rcp_f32_e32 v34, v27
	v_add_f32_e32 v32, v30, v31
	v_sub_f32_e32 v30, v30, v32
	v_add_f32_e32 v30, v31, v30
	v_sub_f32_e32 v31, v33, v27
	v_add_f32_e32 v24, v24, v31
	v_mul_f32_e32 v31, v32, v34
	v_mul_f32_e32 v33, v27, v31
	v_fma_f32 v35, v31, v27, -v33
	v_fmac_f32_e32 v35, v31, v24
	v_add_f32_e32 v36, v33, v35
	v_sub_f32_e32 v37, v32, v36
	v_sub_f32_e32 v32, v32, v37
	;; [unrolled: 1-line block ×4, first 2 shown]
	v_add_f32_e32 v30, v30, v32
	v_sub_f32_e32 v32, v33, v35
	v_add_f32_e32 v30, v32, v30
	v_add_f32_e32 v32, v37, v30
	v_mul_f32_e32 v33, v34, v32
	v_mul_f32_e32 v35, v27, v33
	v_fma_f32 v27, v33, v27, -v35
	v_fmac_f32_e32 v27, v33, v24
	v_sub_f32_e32 v24, v37, v32
	v_add_f32_e32 v24, v30, v24
	v_add_f32_e32 v30, v35, v27
	v_sub_f32_e32 v36, v32, v30
	v_sub_f32_e32 v32, v32, v36
	;; [unrolled: 1-line block ×4, first 2 shown]
	v_add_f32_e32 v24, v24, v30
	v_sub_f32_e32 v27, v35, v27
	v_add_f32_e32 v24, v27, v24
	v_add_f32_e32 v27, v31, v33
	;; [unrolled: 1-line block ×3, first 2 shown]
	v_sub_f32_e32 v30, v27, v31
	v_mul_f32_e32 v24, v34, v24
	v_sub_f32_e32 v30, v33, v30
	v_add_f32_e32 v24, v30, v24
	v_cvt_f32_i32_e32 v23, v23
	v_add_f32_e32 v30, v27, v24
	v_mul_f32_e32 v31, v30, v30
	v_mov_b32_e32 v32, 0x3ecc95a3
	v_fmac_f32_e32 v32, 0x3e9b6dac, v31
	v_mov_b32_e32 v33, 0x3f2aaada
	v_fmac_f32_e32 v33, v31, v32
	v_mul_f32_e32 v32, 0x3f317218, v23
	v_fma_f32 v34, v23, s3, -v32
	v_fmac_f32_e32 v34, 0xb102e308, v23
	v_sub_f32_e32 v23, v30, v27
	v_sub_f32_e32 v23, v24, v23
	v_add_f32_e32 v24, v32, v34
	v_sub_f32_e32 v27, v24, v32
	v_ldexp_f32 v32, v30, 1
	v_mul_f32_e32 v30, v30, v31
	v_mul_f32_e32 v30, v30, v33
	v_add_f32_e32 v31, v32, v30
	v_sub_f32_e32 v32, v31, v32
	v_ldexp_f32 v23, v23, 1
	v_sub_f32_e32 v30, v30, v32
	v_add_f32_e32 v23, v23, v30
	v_add_f32_e32 v30, v31, v23
	v_sub_f32_e32 v31, v30, v31
	v_sub_f32_e32 v23, v23, v31
	v_add_f32_e32 v31, v24, v30
	v_sub_f32_e32 v32, v31, v24
	v_sub_f32_e32 v33, v31, v32
	;; [unrolled: 1-line block ×5, first 2 shown]
	v_add_f32_e32 v24, v30, v24
	v_add_f32_e32 v30, v27, v23
	v_sub_f32_e32 v32, v30, v27
	v_sub_f32_e32 v33, v30, v32
	;; [unrolled: 1-line block ×4, first 2 shown]
	v_add_f32_e32 v24, v30, v24
	v_add_f32_e32 v23, v23, v27
	;; [unrolled: 1-line block ×3, first 2 shown]
	v_sub_f32_e32 v30, v27, v31
	v_sub_f32_e32 v24, v24, v30
	v_add_f32_e32 v23, v23, v24
	v_add_f32_e32 v23, v27, v23
	v_cmp_neq_f32_e64 s[72:73], s2, v26
	s_mov_b32 s2, 0x33800000
	v_cndmask_b32_e64 v23, v25, v23, s[72:73]
	v_cmp_lt_f32_e64 s[72:73], |v26|, s2
	v_cndmask_b32_e64 v23, v23, v26, s[72:73]
	v_add_f32_e32 v22, v22, v23
	v_cvt_f16_f32_e32 v31, v22
	v_cvt_f32_f16_e32 v32, v31
	v_mov_b32_e32 v30, v31
.LBB410_72:
	s_or_b64 exec, exec, s[0:1]
	v_cvt_f32_f16_sdwa v22, v11 dst_sel:DWORD dst_unused:UNUSED_PAD src0_sel:WORD_1
	v_max_f32_e32 v24, v32, v32
	v_cmp_u_f16_e64 s[74:75], v31, v31
	v_cmp_u_f16_sdwa s[72:73], v11, v11 src0_sel:WORD_1 src1_sel:WORD_1
	v_min_f32_e32 v23, v24, v22
	v_max_f32_e32 v11, v24, v22
	v_cndmask_b32_e64 v23, v23, v32, s[74:75]
	v_cndmask_b32_e64 v11, v11, v32, s[74:75]
	;; [unrolled: 1-line block ×4, first 2 shown]
	s_movk_i32 s2, 0x1f8
	v_cmp_neq_f32_e64 s[74:75], v23, v11
	v_cmp_class_f32_e64 s[0:1], v23, s2
	s_or_b64 s[6:7], s[74:75], s[0:1]
	s_and_saveexec_b64 s[0:1], s[6:7]
	s_cbranch_execz .LBB410_74
; %bb.73:
	v_sub_f32_e32 v23, v23, v11
	s_mov_b32 s3, 0x3fb8aa3b
	v_mul_f32_e32 v24, 0x3fb8aa3b, v23
	v_fma_f32 v25, v23, s3, -v24
	v_rndne_f32_e32 v26, v24
	v_fmac_f32_e32 v25, 0x32a5705f, v23
	v_sub_f32_e32 v24, v24, v26
	v_add_f32_e32 v24, v24, v25
	v_exp_f32_e32 v24, v24
	v_cvt_i32_f32_e32 v25, v26
	s_mov_b32 s3, 0xc2ce8ed0
	v_cmp_ngt_f32_e64 s[74:75], s3, v23
	s_mov_b32 s3, 0x42b17218
	v_ldexp_f32 v24, v24, v25
	v_cndmask_b32_e64 v24, 0, v24, s[74:75]
	v_mov_b32_e32 v25, 0x7f800000
	v_cmp_nlt_f32_e64 s[74:75], s3, v23
	v_cndmask_b32_e64 v26, v25, v24, s[74:75]
	v_add_f32_e32 v27, 1.0, v26
	v_cvt_f64_f32_e32 v[23:24], v27
	v_add_f32_e32 v30, -1.0, v27
	v_sub_f32_e32 v31, v30, v27
	v_sub_f32_e32 v30, v26, v30
	v_frexp_exp_i32_f64_e32 v23, v[23:24]
	v_add_f32_e32 v24, 1.0, v31
	v_add_f32_e32 v24, v30, v24
	v_frexp_mant_f32_e32 v30, v27
	s_mov_b32 s6, 0x3f2aaaab
	v_cmp_gt_f32_e64 s[74:75], s6, v30
	s_mov_b32 s6, 0x3f317218
	s_mov_b32 s3, 0x7f800000
	v_subbrev_co_u32_e64 v23, s[74:75], 0, v23, s[74:75]
	v_sub_u32_e32 v30, 0, v23
	v_ldexp_f32 v27, v27, v30
	v_ldexp_f32 v24, v24, v30
	v_add_f32_e32 v30, -1.0, v27
	v_add_f32_e32 v33, 1.0, v27
	v_add_f32_e32 v31, 1.0, v30
	v_add_f32_e32 v34, -1.0, v33
	v_sub_f32_e32 v31, v27, v31
	v_sub_f32_e32 v27, v27, v34
	v_add_f32_e32 v31, v24, v31
	v_add_f32_e32 v24, v24, v27
	;; [unrolled: 1-line block ×3, first 2 shown]
	v_rcp_f32_e32 v34, v27
	v_add_f32_e32 v32, v30, v31
	v_sub_f32_e32 v30, v30, v32
	v_add_f32_e32 v30, v31, v30
	v_sub_f32_e32 v31, v33, v27
	v_add_f32_e32 v24, v24, v31
	v_mul_f32_e32 v31, v32, v34
	v_mul_f32_e32 v33, v27, v31
	v_fma_f32 v35, v31, v27, -v33
	v_fmac_f32_e32 v35, v31, v24
	v_add_f32_e32 v36, v33, v35
	v_sub_f32_e32 v37, v32, v36
	v_sub_f32_e32 v32, v32, v37
	;; [unrolled: 1-line block ×4, first 2 shown]
	v_add_f32_e32 v30, v30, v32
	v_sub_f32_e32 v32, v33, v35
	v_add_f32_e32 v30, v32, v30
	v_add_f32_e32 v32, v37, v30
	v_mul_f32_e32 v33, v34, v32
	v_mul_f32_e32 v35, v27, v33
	v_fma_f32 v27, v33, v27, -v35
	v_fmac_f32_e32 v27, v33, v24
	v_sub_f32_e32 v24, v37, v32
	v_add_f32_e32 v24, v30, v24
	v_add_f32_e32 v30, v35, v27
	v_sub_f32_e32 v36, v32, v30
	v_sub_f32_e32 v32, v32, v36
	;; [unrolled: 1-line block ×4, first 2 shown]
	v_add_f32_e32 v24, v24, v30
	v_sub_f32_e32 v27, v35, v27
	v_add_f32_e32 v24, v27, v24
	v_add_f32_e32 v27, v31, v33
	;; [unrolled: 1-line block ×3, first 2 shown]
	v_sub_f32_e32 v30, v27, v31
	v_mul_f32_e32 v24, v34, v24
	v_sub_f32_e32 v30, v33, v30
	v_add_f32_e32 v24, v30, v24
	v_cvt_f32_i32_e32 v23, v23
	v_add_f32_e32 v30, v27, v24
	v_mul_f32_e32 v31, v30, v30
	v_mov_b32_e32 v32, 0x3ecc95a3
	v_fmac_f32_e32 v32, 0x3e9b6dac, v31
	v_mov_b32_e32 v33, 0x3f2aaada
	v_fmac_f32_e32 v33, v31, v32
	v_mul_f32_e32 v32, 0x3f317218, v23
	v_fma_f32 v34, v23, s6, -v32
	v_fmac_f32_e32 v34, 0xb102e308, v23
	v_sub_f32_e32 v23, v30, v27
	v_sub_f32_e32 v23, v24, v23
	v_add_f32_e32 v24, v32, v34
	v_sub_f32_e32 v27, v24, v32
	v_ldexp_f32 v32, v30, 1
	v_mul_f32_e32 v30, v30, v31
	v_mul_f32_e32 v30, v30, v33
	v_add_f32_e32 v31, v32, v30
	v_sub_f32_e32 v32, v31, v32
	v_ldexp_f32 v23, v23, 1
	v_sub_f32_e32 v30, v30, v32
	v_add_f32_e32 v23, v23, v30
	v_add_f32_e32 v30, v31, v23
	v_sub_f32_e32 v31, v30, v31
	v_sub_f32_e32 v23, v23, v31
	v_add_f32_e32 v31, v24, v30
	v_sub_f32_e32 v32, v31, v24
	v_sub_f32_e32 v33, v31, v32
	;; [unrolled: 1-line block ×5, first 2 shown]
	v_add_f32_e32 v24, v30, v24
	v_add_f32_e32 v30, v27, v23
	v_sub_f32_e32 v32, v30, v27
	v_sub_f32_e32 v33, v30, v32
	v_sub_f32_e32 v27, v27, v33
	v_sub_f32_e32 v23, v23, v32
	v_add_f32_e32 v24, v30, v24
	v_add_f32_e32 v23, v23, v27
	v_add_f32_e32 v27, v31, v24
	v_sub_f32_e32 v30, v27, v31
	v_sub_f32_e32 v24, v24, v30
	v_add_f32_e32 v23, v23, v24
	v_add_f32_e32 v23, v27, v23
	v_cmp_neq_f32_e64 s[74:75], s3, v26
	s_mov_b32 s3, 0x33800000
	v_cndmask_b32_e64 v23, v25, v23, s[74:75]
	v_cmp_lt_f32_e64 s[74:75], |v26|, s3
	v_cndmask_b32_e64 v23, v23, v26, s[74:75]
	v_add_f32_e32 v11, v11, v23
	v_cvt_f16_f32_e32 v31, v11
	v_cvt_f32_f16_e32 v32, v31
	v_mov_b32_e32 v30, v31
.LBB410_74:
	s_or_b64 exec, exec, s[0:1]
	v_cvt_f32_f16_e32 v11, v12
	v_max_f32_e32 v23, v32, v32
	v_cmp_u_f16_e64 s[76:77], v31, v31
	v_cmp_u_f16_e64 s[74:75], v12, v12
	v_min_f32_e32 v24, v23, v11
	v_max_f32_e32 v23, v23, v11
	v_cndmask_b32_e64 v24, v24, v32, s[76:77]
	v_cndmask_b32_e64 v23, v23, v32, s[76:77]
	;; [unrolled: 1-line block ×4, first 2 shown]
	v_cmp_neq_f32_e64 s[76:77], v24, v23
	v_cmp_class_f32_e64 s[0:1], v24, s2
	s_or_b64 s[2:3], s[76:77], s[0:1]
	s_and_saveexec_b64 s[0:1], s[2:3]
	s_cbranch_execz .LBB410_76
; %bb.75:
	v_sub_f32_e32 v24, v24, v23
	s_mov_b32 s2, 0x3fb8aa3b
	v_mul_f32_e32 v25, 0x3fb8aa3b, v24
	v_fma_f32 v26, v24, s2, -v25
	v_rndne_f32_e32 v27, v25
	v_fmac_f32_e32 v26, 0x32a5705f, v24
	v_sub_f32_e32 v25, v25, v27
	v_add_f32_e32 v25, v25, v26
	v_exp_f32_e32 v25, v25
	v_cvt_i32_f32_e32 v26, v27
	s_mov_b32 s2, 0xc2ce8ed0
	v_cmp_ngt_f32_e64 s[76:77], s2, v24
	s_mov_b32 s2, 0x42b17218
	v_ldexp_f32 v25, v25, v26
	v_cndmask_b32_e64 v25, 0, v25, s[76:77]
	v_mov_b32_e32 v26, 0x7f800000
	v_cmp_nlt_f32_e64 s[76:77], s2, v24
	v_cndmask_b32_e64 v27, v26, v25, s[76:77]
	v_add_f32_e32 v30, 1.0, v27
	v_cvt_f64_f32_e32 v[24:25], v30
	v_add_f32_e32 v31, -1.0, v30
	v_sub_f32_e32 v32, v31, v30
	v_sub_f32_e32 v31, v27, v31
	v_frexp_exp_i32_f64_e32 v24, v[24:25]
	v_add_f32_e32 v25, 1.0, v32
	v_add_f32_e32 v25, v31, v25
	v_frexp_mant_f32_e32 v31, v30
	s_mov_b32 s3, 0x3f2aaaab
	v_cmp_gt_f32_e64 s[76:77], s3, v31
	s_mov_b32 s3, 0x3f317218
	s_mov_b32 s2, 0x7f800000
	v_subbrev_co_u32_e64 v24, s[76:77], 0, v24, s[76:77]
	v_sub_u32_e32 v31, 0, v24
	v_ldexp_f32 v30, v30, v31
	v_ldexp_f32 v25, v25, v31
	v_add_f32_e32 v31, -1.0, v30
	v_add_f32_e32 v34, 1.0, v30
	v_add_f32_e32 v32, 1.0, v31
	v_add_f32_e32 v35, -1.0, v34
	v_sub_f32_e32 v32, v30, v32
	v_sub_f32_e32 v30, v30, v35
	v_add_f32_e32 v32, v25, v32
	v_add_f32_e32 v25, v25, v30
	;; [unrolled: 1-line block ×3, first 2 shown]
	v_rcp_f32_e32 v35, v30
	v_add_f32_e32 v33, v31, v32
	v_sub_f32_e32 v31, v31, v33
	v_add_f32_e32 v31, v32, v31
	v_sub_f32_e32 v32, v34, v30
	v_add_f32_e32 v25, v25, v32
	v_mul_f32_e32 v32, v33, v35
	v_mul_f32_e32 v34, v30, v32
	v_fma_f32 v36, v32, v30, -v34
	v_fmac_f32_e32 v36, v32, v25
	v_add_f32_e32 v37, v34, v36
	v_sub_f32_e32 v38, v33, v37
	v_sub_f32_e32 v33, v33, v38
	;; [unrolled: 1-line block ×4, first 2 shown]
	v_add_f32_e32 v31, v31, v33
	v_sub_f32_e32 v33, v34, v36
	v_add_f32_e32 v31, v33, v31
	v_add_f32_e32 v33, v38, v31
	v_mul_f32_e32 v34, v35, v33
	v_mul_f32_e32 v36, v30, v34
	v_fma_f32 v30, v34, v30, -v36
	v_fmac_f32_e32 v30, v34, v25
	v_sub_f32_e32 v25, v38, v33
	v_add_f32_e32 v25, v31, v25
	v_add_f32_e32 v31, v36, v30
	v_sub_f32_e32 v37, v33, v31
	v_sub_f32_e32 v33, v33, v37
	;; [unrolled: 1-line block ×4, first 2 shown]
	v_add_f32_e32 v25, v25, v31
	v_sub_f32_e32 v30, v36, v30
	v_add_f32_e32 v25, v30, v25
	v_add_f32_e32 v30, v32, v34
	;; [unrolled: 1-line block ×3, first 2 shown]
	v_sub_f32_e32 v31, v30, v32
	v_mul_f32_e32 v25, v35, v25
	v_sub_f32_e32 v31, v34, v31
	v_add_f32_e32 v25, v31, v25
	v_cvt_f32_i32_e32 v24, v24
	v_add_f32_e32 v31, v30, v25
	v_mul_f32_e32 v32, v31, v31
	v_mov_b32_e32 v33, 0x3ecc95a3
	v_fmac_f32_e32 v33, 0x3e9b6dac, v32
	v_mov_b32_e32 v34, 0x3f2aaada
	v_fmac_f32_e32 v34, v32, v33
	v_mul_f32_e32 v33, 0x3f317218, v24
	v_fma_f32 v35, v24, s3, -v33
	v_fmac_f32_e32 v35, 0xb102e308, v24
	v_sub_f32_e32 v24, v31, v30
	v_sub_f32_e32 v24, v25, v24
	v_add_f32_e32 v25, v33, v35
	v_sub_f32_e32 v30, v25, v33
	v_ldexp_f32 v33, v31, 1
	v_mul_f32_e32 v31, v31, v32
	v_mul_f32_e32 v31, v31, v34
	v_add_f32_e32 v32, v33, v31
	v_sub_f32_e32 v33, v32, v33
	v_ldexp_f32 v24, v24, 1
	v_sub_f32_e32 v31, v31, v33
	v_add_f32_e32 v24, v24, v31
	v_add_f32_e32 v31, v32, v24
	v_sub_f32_e32 v32, v31, v32
	v_sub_f32_e32 v24, v24, v32
	v_add_f32_e32 v32, v25, v31
	v_sub_f32_e32 v33, v32, v25
	v_sub_f32_e32 v34, v32, v33
	;; [unrolled: 1-line block ×5, first 2 shown]
	v_add_f32_e32 v25, v31, v25
	v_add_f32_e32 v31, v30, v24
	v_sub_f32_e32 v33, v31, v30
	v_sub_f32_e32 v34, v31, v33
	;; [unrolled: 1-line block ×4, first 2 shown]
	v_add_f32_e32 v25, v31, v25
	v_add_f32_e32 v24, v24, v30
	;; [unrolled: 1-line block ×3, first 2 shown]
	v_sub_f32_e32 v31, v30, v32
	v_sub_f32_e32 v25, v25, v31
	v_add_f32_e32 v24, v24, v25
	v_add_f32_e32 v24, v30, v24
	v_cmp_neq_f32_e64 s[76:77], s2, v27
	s_mov_b32 s2, 0x33800000
	v_cndmask_b32_e64 v24, v26, v24, s[76:77]
	v_cmp_lt_f32_e64 s[76:77], |v27|, s2
	v_cndmask_b32_e64 v24, v24, v27, s[76:77]
	v_add_f32_e32 v23, v23, v24
	v_cvt_f16_f32_e32 v31, v23
	v_cvt_f32_f16_e32 v32, v31
	v_mov_b32_e32 v30, v31
.LBB410_76:
	s_or_b64 exec, exec, s[0:1]
	v_cvt_f32_f16_sdwa v23, v12 dst_sel:DWORD dst_unused:UNUSED_PAD src0_sel:WORD_1
	v_max_f32_e32 v25, v32, v32
	v_cmp_u_f16_e64 s[78:79], v31, v31
	v_cmp_u_f16_sdwa s[76:77], v12, v12 src0_sel:WORD_1 src1_sel:WORD_1
	v_min_f32_e32 v24, v25, v23
	v_max_f32_e32 v12, v25, v23
	v_cndmask_b32_e64 v24, v24, v32, s[78:79]
	v_cndmask_b32_e64 v12, v12, v32, s[78:79]
	;; [unrolled: 1-line block ×4, first 2 shown]
	s_movk_i32 s2, 0x1f8
	v_cmp_neq_f32_e64 s[78:79], v24, v12
	v_cmp_class_f32_e64 s[0:1], v24, s2
	s_or_b64 s[6:7], s[78:79], s[0:1]
	s_and_saveexec_b64 s[0:1], s[6:7]
	s_cbranch_execz .LBB410_78
; %bb.77:
	v_sub_f32_e32 v24, v24, v12
	s_mov_b32 s3, 0x3fb8aa3b
	v_mul_f32_e32 v25, 0x3fb8aa3b, v24
	v_fma_f32 v26, v24, s3, -v25
	v_rndne_f32_e32 v27, v25
	v_fmac_f32_e32 v26, 0x32a5705f, v24
	v_sub_f32_e32 v25, v25, v27
	v_add_f32_e32 v25, v25, v26
	v_exp_f32_e32 v25, v25
	v_cvt_i32_f32_e32 v26, v27
	s_mov_b32 s3, 0xc2ce8ed0
	v_cmp_ngt_f32_e64 s[78:79], s3, v24
	s_mov_b32 s3, 0x42b17218
	v_ldexp_f32 v25, v25, v26
	v_cndmask_b32_e64 v25, 0, v25, s[78:79]
	v_mov_b32_e32 v26, 0x7f800000
	v_cmp_nlt_f32_e64 s[78:79], s3, v24
	v_cndmask_b32_e64 v27, v26, v25, s[78:79]
	v_add_f32_e32 v30, 1.0, v27
	v_cvt_f64_f32_e32 v[24:25], v30
	v_add_f32_e32 v31, -1.0, v30
	v_sub_f32_e32 v32, v31, v30
	v_sub_f32_e32 v31, v27, v31
	v_frexp_exp_i32_f64_e32 v24, v[24:25]
	v_add_f32_e32 v25, 1.0, v32
	v_add_f32_e32 v25, v31, v25
	v_frexp_mant_f32_e32 v31, v30
	s_mov_b32 s6, 0x3f2aaaab
	v_cmp_gt_f32_e64 s[78:79], s6, v31
	s_mov_b32 s6, 0x3f317218
	s_mov_b32 s3, 0x7f800000
	v_subbrev_co_u32_e64 v24, s[78:79], 0, v24, s[78:79]
	v_sub_u32_e32 v31, 0, v24
	v_ldexp_f32 v30, v30, v31
	v_ldexp_f32 v25, v25, v31
	v_add_f32_e32 v31, -1.0, v30
	v_add_f32_e32 v34, 1.0, v30
	v_add_f32_e32 v32, 1.0, v31
	v_add_f32_e32 v35, -1.0, v34
	v_sub_f32_e32 v32, v30, v32
	v_sub_f32_e32 v30, v30, v35
	v_add_f32_e32 v32, v25, v32
	v_add_f32_e32 v25, v25, v30
	;; [unrolled: 1-line block ×3, first 2 shown]
	v_rcp_f32_e32 v35, v30
	v_add_f32_e32 v33, v31, v32
	v_sub_f32_e32 v31, v31, v33
	v_add_f32_e32 v31, v32, v31
	v_sub_f32_e32 v32, v34, v30
	v_add_f32_e32 v25, v25, v32
	v_mul_f32_e32 v32, v33, v35
	v_mul_f32_e32 v34, v30, v32
	v_fma_f32 v36, v32, v30, -v34
	v_fmac_f32_e32 v36, v32, v25
	v_add_f32_e32 v37, v34, v36
	v_sub_f32_e32 v38, v33, v37
	v_sub_f32_e32 v33, v33, v38
	;; [unrolled: 1-line block ×4, first 2 shown]
	v_add_f32_e32 v31, v31, v33
	v_sub_f32_e32 v33, v34, v36
	v_add_f32_e32 v31, v33, v31
	v_add_f32_e32 v33, v38, v31
	v_mul_f32_e32 v34, v35, v33
	v_mul_f32_e32 v36, v30, v34
	v_fma_f32 v30, v34, v30, -v36
	v_fmac_f32_e32 v30, v34, v25
	v_sub_f32_e32 v25, v38, v33
	v_add_f32_e32 v25, v31, v25
	v_add_f32_e32 v31, v36, v30
	v_sub_f32_e32 v37, v33, v31
	v_sub_f32_e32 v33, v33, v37
	v_sub_f32_e32 v36, v31, v36
	v_sub_f32_e32 v31, v33, v31
	v_add_f32_e32 v25, v25, v31
	v_sub_f32_e32 v30, v36, v30
	v_add_f32_e32 v25, v30, v25
	v_add_f32_e32 v30, v32, v34
	;; [unrolled: 1-line block ×3, first 2 shown]
	v_sub_f32_e32 v31, v30, v32
	v_mul_f32_e32 v25, v35, v25
	v_sub_f32_e32 v31, v34, v31
	v_add_f32_e32 v25, v31, v25
	v_cvt_f32_i32_e32 v24, v24
	v_add_f32_e32 v31, v30, v25
	v_mul_f32_e32 v32, v31, v31
	v_mov_b32_e32 v33, 0x3ecc95a3
	v_fmac_f32_e32 v33, 0x3e9b6dac, v32
	v_mov_b32_e32 v34, 0x3f2aaada
	v_fmac_f32_e32 v34, v32, v33
	v_mul_f32_e32 v33, 0x3f317218, v24
	v_fma_f32 v35, v24, s6, -v33
	v_fmac_f32_e32 v35, 0xb102e308, v24
	v_sub_f32_e32 v24, v31, v30
	v_sub_f32_e32 v24, v25, v24
	v_add_f32_e32 v25, v33, v35
	v_sub_f32_e32 v30, v25, v33
	v_ldexp_f32 v33, v31, 1
	v_mul_f32_e32 v31, v31, v32
	v_mul_f32_e32 v31, v31, v34
	v_add_f32_e32 v32, v33, v31
	v_sub_f32_e32 v33, v32, v33
	v_ldexp_f32 v24, v24, 1
	v_sub_f32_e32 v31, v31, v33
	v_add_f32_e32 v24, v24, v31
	v_add_f32_e32 v31, v32, v24
	v_sub_f32_e32 v32, v31, v32
	v_sub_f32_e32 v24, v24, v32
	v_add_f32_e32 v32, v25, v31
	v_sub_f32_e32 v33, v32, v25
	v_sub_f32_e32 v34, v32, v33
	;; [unrolled: 1-line block ×5, first 2 shown]
	v_add_f32_e32 v25, v31, v25
	v_add_f32_e32 v31, v30, v24
	v_sub_f32_e32 v33, v31, v30
	v_sub_f32_e32 v34, v31, v33
	;; [unrolled: 1-line block ×4, first 2 shown]
	v_add_f32_e32 v25, v31, v25
	v_add_f32_e32 v24, v24, v30
	;; [unrolled: 1-line block ×3, first 2 shown]
	v_sub_f32_e32 v31, v30, v32
	v_sub_f32_e32 v25, v25, v31
	v_add_f32_e32 v24, v24, v25
	v_add_f32_e32 v24, v30, v24
	v_cmp_neq_f32_e64 s[78:79], s3, v27
	s_mov_b32 s3, 0x33800000
	v_cndmask_b32_e64 v24, v26, v24, s[78:79]
	v_cmp_lt_f32_e64 s[78:79], |v27|, s3
	v_cndmask_b32_e64 v24, v24, v27, s[78:79]
	v_add_f32_e32 v12, v12, v24
	v_cvt_f16_f32_e32 v31, v12
	v_cvt_f32_f16_e32 v32, v31
	v_mov_b32_e32 v30, v31
.LBB410_78:
	s_or_b64 exec, exec, s[0:1]
	v_cvt_f32_f16_e32 v12, v5
	v_max_f32_e32 v24, v32, v32
	v_cmp_u_f16_e64 s[80:81], v31, v31
	v_cmp_u_f16_e64 s[78:79], v5, v5
	v_min_f32_e32 v25, v24, v12
	v_max_f32_e32 v24, v24, v12
	v_cndmask_b32_e64 v25, v25, v32, s[80:81]
	v_cndmask_b32_e64 v24, v24, v32, s[80:81]
	;; [unrolled: 1-line block ×4, first 2 shown]
	v_cmp_neq_f32_e64 s[80:81], v25, v24
	v_cmp_class_f32_e64 s[0:1], v25, s2
	s_or_b64 s[2:3], s[80:81], s[0:1]
	s_and_saveexec_b64 s[0:1], s[2:3]
	s_cbranch_execz .LBB410_80
; %bb.79:
	v_sub_f32_e32 v25, v25, v24
	s_mov_b32 s2, 0x3fb8aa3b
	v_mul_f32_e32 v26, 0x3fb8aa3b, v25
	v_fma_f32 v27, v25, s2, -v26
	v_rndne_f32_e32 v30, v26
	v_fmac_f32_e32 v27, 0x32a5705f, v25
	v_sub_f32_e32 v26, v26, v30
	v_add_f32_e32 v26, v26, v27
	v_exp_f32_e32 v26, v26
	v_cvt_i32_f32_e32 v27, v30
	s_mov_b32 s2, 0xc2ce8ed0
	v_cmp_ngt_f32_e64 s[80:81], s2, v25
	s_mov_b32 s2, 0x42b17218
	v_ldexp_f32 v26, v26, v27
	v_cndmask_b32_e64 v26, 0, v26, s[80:81]
	v_mov_b32_e32 v27, 0x7f800000
	v_cmp_nlt_f32_e64 s[80:81], s2, v25
	v_cndmask_b32_e64 v30, v27, v26, s[80:81]
	v_add_f32_e32 v31, 1.0, v30
	v_cvt_f64_f32_e32 v[25:26], v31
	v_add_f32_e32 v32, -1.0, v31
	v_sub_f32_e32 v33, v32, v31
	v_sub_f32_e32 v32, v30, v32
	v_frexp_exp_i32_f64_e32 v25, v[25:26]
	v_add_f32_e32 v26, 1.0, v33
	v_add_f32_e32 v26, v32, v26
	v_frexp_mant_f32_e32 v32, v31
	s_mov_b32 s3, 0x3f2aaaab
	v_cmp_gt_f32_e64 s[80:81], s3, v32
	s_mov_b32 s3, 0x3f317218
	s_mov_b32 s2, 0x7f800000
	v_subbrev_co_u32_e64 v25, s[80:81], 0, v25, s[80:81]
	v_sub_u32_e32 v32, 0, v25
	v_ldexp_f32 v31, v31, v32
	v_ldexp_f32 v26, v26, v32
	v_add_f32_e32 v32, -1.0, v31
	v_add_f32_e32 v35, 1.0, v31
	v_add_f32_e32 v33, 1.0, v32
	v_add_f32_e32 v36, -1.0, v35
	v_sub_f32_e32 v33, v31, v33
	v_sub_f32_e32 v31, v31, v36
	v_add_f32_e32 v33, v26, v33
	v_add_f32_e32 v26, v26, v31
	;; [unrolled: 1-line block ×3, first 2 shown]
	v_rcp_f32_e32 v36, v31
	v_add_f32_e32 v34, v32, v33
	v_sub_f32_e32 v32, v32, v34
	v_add_f32_e32 v32, v33, v32
	v_sub_f32_e32 v33, v35, v31
	v_add_f32_e32 v26, v26, v33
	v_mul_f32_e32 v33, v34, v36
	v_mul_f32_e32 v35, v31, v33
	v_fma_f32 v37, v33, v31, -v35
	v_fmac_f32_e32 v37, v33, v26
	v_add_f32_e32 v38, v35, v37
	v_sub_f32_e32 v39, v34, v38
	v_sub_f32_e32 v34, v34, v39
	;; [unrolled: 1-line block ×4, first 2 shown]
	v_add_f32_e32 v32, v32, v34
	v_sub_f32_e32 v34, v35, v37
	v_add_f32_e32 v32, v34, v32
	v_add_f32_e32 v34, v39, v32
	v_mul_f32_e32 v35, v36, v34
	v_mul_f32_e32 v37, v31, v35
	v_fma_f32 v31, v35, v31, -v37
	v_fmac_f32_e32 v31, v35, v26
	v_sub_f32_e32 v26, v39, v34
	v_add_f32_e32 v26, v32, v26
	v_add_f32_e32 v32, v37, v31
	v_sub_f32_e32 v38, v34, v32
	v_sub_f32_e32 v34, v34, v38
	;; [unrolled: 1-line block ×4, first 2 shown]
	v_add_f32_e32 v26, v26, v32
	v_sub_f32_e32 v31, v37, v31
	v_add_f32_e32 v26, v31, v26
	v_add_f32_e32 v31, v33, v35
	;; [unrolled: 1-line block ×3, first 2 shown]
	v_sub_f32_e32 v32, v31, v33
	v_mul_f32_e32 v26, v36, v26
	v_sub_f32_e32 v32, v35, v32
	v_add_f32_e32 v26, v32, v26
	v_cvt_f32_i32_e32 v25, v25
	v_add_f32_e32 v32, v31, v26
	v_mul_f32_e32 v33, v32, v32
	v_mov_b32_e32 v34, 0x3ecc95a3
	v_fmac_f32_e32 v34, 0x3e9b6dac, v33
	v_mov_b32_e32 v35, 0x3f2aaada
	v_fmac_f32_e32 v35, v33, v34
	v_mul_f32_e32 v34, 0x3f317218, v25
	v_fma_f32 v36, v25, s3, -v34
	v_fmac_f32_e32 v36, 0xb102e308, v25
	v_sub_f32_e32 v25, v32, v31
	v_sub_f32_e32 v25, v26, v25
	v_add_f32_e32 v26, v34, v36
	v_sub_f32_e32 v31, v26, v34
	v_ldexp_f32 v34, v32, 1
	v_mul_f32_e32 v32, v32, v33
	v_mul_f32_e32 v32, v32, v35
	v_add_f32_e32 v33, v34, v32
	v_sub_f32_e32 v34, v33, v34
	v_ldexp_f32 v25, v25, 1
	v_sub_f32_e32 v32, v32, v34
	v_add_f32_e32 v25, v25, v32
	v_add_f32_e32 v32, v33, v25
	v_sub_f32_e32 v33, v32, v33
	v_sub_f32_e32 v25, v25, v33
	v_add_f32_e32 v33, v26, v32
	v_sub_f32_e32 v34, v33, v26
	v_sub_f32_e32 v35, v33, v34
	;; [unrolled: 1-line block ×5, first 2 shown]
	v_add_f32_e32 v26, v32, v26
	v_add_f32_e32 v32, v31, v25
	v_sub_f32_e32 v34, v32, v31
	v_sub_f32_e32 v35, v32, v34
	;; [unrolled: 1-line block ×4, first 2 shown]
	v_add_f32_e32 v26, v32, v26
	v_add_f32_e32 v25, v25, v31
	;; [unrolled: 1-line block ×3, first 2 shown]
	v_sub_f32_e32 v32, v31, v33
	v_sub_f32_e32 v26, v26, v32
	v_add_f32_e32 v25, v25, v26
	v_add_f32_e32 v25, v31, v25
	v_cmp_neq_f32_e64 s[80:81], s2, v30
	s_mov_b32 s2, 0x33800000
	v_cndmask_b32_e64 v25, v27, v25, s[80:81]
	v_cmp_lt_f32_e64 s[80:81], |v30|, s2
	v_cndmask_b32_e64 v25, v25, v30, s[80:81]
	v_add_f32_e32 v24, v24, v25
	v_cvt_f16_f32_e32 v31, v24
	v_cvt_f32_f16_e32 v32, v31
	v_mov_b32_e32 v30, v31
.LBB410_80:
	s_or_b64 exec, exec, s[0:1]
	v_cvt_f32_f16_sdwa v24, v5 dst_sel:DWORD dst_unused:UNUSED_PAD src0_sel:WORD_1
	v_max_f32_e32 v26, v32, v32
	v_cmp_u_f16_e64 s[82:83], v31, v31
	v_cmp_u_f16_sdwa s[80:81], v5, v5 src0_sel:WORD_1 src1_sel:WORD_1
	v_min_f32_e32 v25, v26, v24
	v_max_f32_e32 v5, v26, v24
	v_cndmask_b32_e64 v25, v25, v32, s[82:83]
	v_cndmask_b32_e64 v5, v5, v32, s[82:83]
	;; [unrolled: 1-line block ×4, first 2 shown]
	s_movk_i32 s2, 0x1f8
	v_cmp_neq_f32_e64 s[82:83], v25, v5
	v_cmp_class_f32_e64 s[0:1], v25, s2
	s_or_b64 s[6:7], s[82:83], s[0:1]
	s_and_saveexec_b64 s[0:1], s[6:7]
	s_cbranch_execz .LBB410_82
; %bb.81:
	v_sub_f32_e32 v25, v25, v5
	s_mov_b32 s3, 0x3fb8aa3b
	v_mul_f32_e32 v26, 0x3fb8aa3b, v25
	v_fma_f32 v27, v25, s3, -v26
	v_rndne_f32_e32 v30, v26
	v_fmac_f32_e32 v27, 0x32a5705f, v25
	v_sub_f32_e32 v26, v26, v30
	v_add_f32_e32 v26, v26, v27
	v_exp_f32_e32 v26, v26
	v_cvt_i32_f32_e32 v27, v30
	s_mov_b32 s3, 0xc2ce8ed0
	v_cmp_ngt_f32_e64 s[82:83], s3, v25
	s_mov_b32 s3, 0x42b17218
	v_ldexp_f32 v26, v26, v27
	v_cndmask_b32_e64 v26, 0, v26, s[82:83]
	v_mov_b32_e32 v27, 0x7f800000
	v_cmp_nlt_f32_e64 s[82:83], s3, v25
	v_cndmask_b32_e64 v30, v27, v26, s[82:83]
	v_add_f32_e32 v31, 1.0, v30
	v_cvt_f64_f32_e32 v[25:26], v31
	v_add_f32_e32 v32, -1.0, v31
	v_sub_f32_e32 v33, v32, v31
	v_sub_f32_e32 v32, v30, v32
	v_frexp_exp_i32_f64_e32 v25, v[25:26]
	v_add_f32_e32 v26, 1.0, v33
	v_add_f32_e32 v26, v32, v26
	v_frexp_mant_f32_e32 v32, v31
	s_mov_b32 s6, 0x3f2aaaab
	v_cmp_gt_f32_e64 s[82:83], s6, v32
	s_mov_b32 s6, 0x3f317218
	s_mov_b32 s3, 0x7f800000
	v_subbrev_co_u32_e64 v25, s[82:83], 0, v25, s[82:83]
	v_sub_u32_e32 v32, 0, v25
	v_ldexp_f32 v31, v31, v32
	v_ldexp_f32 v26, v26, v32
	v_add_f32_e32 v32, -1.0, v31
	v_add_f32_e32 v35, 1.0, v31
	v_add_f32_e32 v33, 1.0, v32
	v_add_f32_e32 v36, -1.0, v35
	v_sub_f32_e32 v33, v31, v33
	v_sub_f32_e32 v31, v31, v36
	v_add_f32_e32 v33, v26, v33
	v_add_f32_e32 v26, v26, v31
	v_add_f32_e32 v31, v35, v26
	v_rcp_f32_e32 v36, v31
	v_add_f32_e32 v34, v32, v33
	v_sub_f32_e32 v32, v32, v34
	v_add_f32_e32 v32, v33, v32
	v_sub_f32_e32 v33, v35, v31
	v_add_f32_e32 v26, v26, v33
	v_mul_f32_e32 v33, v34, v36
	v_mul_f32_e32 v35, v31, v33
	v_fma_f32 v37, v33, v31, -v35
	v_fmac_f32_e32 v37, v33, v26
	v_add_f32_e32 v38, v35, v37
	v_sub_f32_e32 v39, v34, v38
	v_sub_f32_e32 v34, v34, v39
	;; [unrolled: 1-line block ×4, first 2 shown]
	v_add_f32_e32 v32, v32, v34
	v_sub_f32_e32 v34, v35, v37
	v_add_f32_e32 v32, v34, v32
	v_add_f32_e32 v34, v39, v32
	v_mul_f32_e32 v35, v36, v34
	v_mul_f32_e32 v37, v31, v35
	v_fma_f32 v31, v35, v31, -v37
	v_fmac_f32_e32 v31, v35, v26
	v_sub_f32_e32 v26, v39, v34
	v_add_f32_e32 v26, v32, v26
	v_add_f32_e32 v32, v37, v31
	v_sub_f32_e32 v38, v34, v32
	v_sub_f32_e32 v34, v34, v38
	;; [unrolled: 1-line block ×4, first 2 shown]
	v_add_f32_e32 v26, v26, v32
	v_sub_f32_e32 v31, v37, v31
	v_add_f32_e32 v26, v31, v26
	v_add_f32_e32 v31, v33, v35
	;; [unrolled: 1-line block ×3, first 2 shown]
	v_sub_f32_e32 v32, v31, v33
	v_mul_f32_e32 v26, v36, v26
	v_sub_f32_e32 v32, v35, v32
	v_add_f32_e32 v26, v32, v26
	v_cvt_f32_i32_e32 v25, v25
	v_add_f32_e32 v32, v31, v26
	v_mul_f32_e32 v33, v32, v32
	v_mov_b32_e32 v34, 0x3ecc95a3
	v_fmac_f32_e32 v34, 0x3e9b6dac, v33
	v_mov_b32_e32 v35, 0x3f2aaada
	v_fmac_f32_e32 v35, v33, v34
	v_mul_f32_e32 v34, 0x3f317218, v25
	v_fma_f32 v36, v25, s6, -v34
	v_fmac_f32_e32 v36, 0xb102e308, v25
	v_sub_f32_e32 v25, v32, v31
	v_sub_f32_e32 v25, v26, v25
	v_add_f32_e32 v26, v34, v36
	v_sub_f32_e32 v31, v26, v34
	v_ldexp_f32 v34, v32, 1
	v_mul_f32_e32 v32, v32, v33
	v_mul_f32_e32 v32, v32, v35
	v_add_f32_e32 v33, v34, v32
	v_sub_f32_e32 v34, v33, v34
	v_ldexp_f32 v25, v25, 1
	v_sub_f32_e32 v32, v32, v34
	v_add_f32_e32 v25, v25, v32
	v_add_f32_e32 v32, v33, v25
	v_sub_f32_e32 v33, v32, v33
	v_sub_f32_e32 v25, v25, v33
	v_add_f32_e32 v33, v26, v32
	v_sub_f32_e32 v34, v33, v26
	v_sub_f32_e32 v35, v33, v34
	;; [unrolled: 1-line block ×5, first 2 shown]
	v_add_f32_e32 v26, v32, v26
	v_add_f32_e32 v32, v31, v25
	v_sub_f32_e32 v34, v32, v31
	v_sub_f32_e32 v35, v32, v34
	;; [unrolled: 1-line block ×4, first 2 shown]
	v_add_f32_e32 v26, v32, v26
	v_add_f32_e32 v25, v25, v31
	;; [unrolled: 1-line block ×3, first 2 shown]
	v_sub_f32_e32 v32, v31, v33
	v_sub_f32_e32 v26, v26, v32
	v_add_f32_e32 v25, v25, v26
	v_add_f32_e32 v25, v31, v25
	v_cmp_neq_f32_e64 s[82:83], s3, v30
	s_mov_b32 s3, 0x33800000
	v_cndmask_b32_e64 v25, v27, v25, s[82:83]
	v_cmp_lt_f32_e64 s[82:83], |v30|, s3
	v_cndmask_b32_e64 v25, v25, v30, s[82:83]
	v_add_f32_e32 v5, v5, v25
	v_cvt_f16_f32_e32 v31, v5
	v_cvt_f32_f16_e32 v32, v31
	v_mov_b32_e32 v30, v31
.LBB410_82:
	s_or_b64 exec, exec, s[0:1]
	v_cvt_f32_f16_e32 v5, v6
	v_max_f32_e32 v25, v32, v32
	v_cmp_u_f16_e64 s[84:85], v31, v31
	v_cmp_u_f16_e64 s[82:83], v6, v6
	v_min_f32_e32 v26, v25, v5
	v_max_f32_e32 v25, v25, v5
	v_cndmask_b32_e64 v26, v26, v32, s[84:85]
	v_cndmask_b32_e64 v25, v25, v32, s[84:85]
	;; [unrolled: 1-line block ×4, first 2 shown]
	v_cmp_neq_f32_e64 s[84:85], v26, v25
	v_cmp_class_f32_e64 s[0:1], v26, s2
	s_or_b64 s[2:3], s[84:85], s[0:1]
	s_and_saveexec_b64 s[0:1], s[2:3]
	s_cbranch_execz .LBB410_84
; %bb.83:
	v_sub_f32_e32 v26, v26, v25
	s_mov_b32 s2, 0x3fb8aa3b
	v_mul_f32_e32 v27, 0x3fb8aa3b, v26
	v_fma_f32 v30, v26, s2, -v27
	v_rndne_f32_e32 v31, v27
	v_fmac_f32_e32 v30, 0x32a5705f, v26
	v_sub_f32_e32 v27, v27, v31
	v_add_f32_e32 v27, v27, v30
	v_exp_f32_e32 v27, v27
	v_cvt_i32_f32_e32 v30, v31
	s_mov_b32 s2, 0xc2ce8ed0
	v_cmp_ngt_f32_e64 s[84:85], s2, v26
	s_mov_b32 s2, 0x42b17218
	v_ldexp_f32 v27, v27, v30
	v_cndmask_b32_e64 v27, 0, v27, s[84:85]
	v_mov_b32_e32 v30, 0x7f800000
	v_cmp_nlt_f32_e64 s[84:85], s2, v26
	v_cndmask_b32_e64 v31, v30, v27, s[84:85]
	v_add_f32_e32 v32, 1.0, v31
	v_cvt_f64_f32_e32 v[26:27], v32
	v_add_f32_e32 v33, -1.0, v32
	v_sub_f32_e32 v34, v33, v32
	v_sub_f32_e32 v33, v31, v33
	v_frexp_exp_i32_f64_e32 v26, v[26:27]
	v_add_f32_e32 v27, 1.0, v34
	v_add_f32_e32 v27, v33, v27
	v_frexp_mant_f32_e32 v33, v32
	s_mov_b32 s3, 0x3f2aaaab
	v_cmp_gt_f32_e64 s[84:85], s3, v33
	s_mov_b32 s3, 0x3f317218
	s_mov_b32 s2, 0x7f800000
	v_subbrev_co_u32_e64 v26, s[84:85], 0, v26, s[84:85]
	v_sub_u32_e32 v33, 0, v26
	v_ldexp_f32 v32, v32, v33
	v_ldexp_f32 v27, v27, v33
	v_add_f32_e32 v33, -1.0, v32
	v_add_f32_e32 v36, 1.0, v32
	v_add_f32_e32 v34, 1.0, v33
	v_add_f32_e32 v37, -1.0, v36
	v_sub_f32_e32 v34, v32, v34
	v_sub_f32_e32 v32, v32, v37
	v_add_f32_e32 v34, v27, v34
	v_add_f32_e32 v27, v27, v32
	;; [unrolled: 1-line block ×3, first 2 shown]
	v_rcp_f32_e32 v37, v32
	v_add_f32_e32 v35, v33, v34
	v_sub_f32_e32 v33, v33, v35
	v_add_f32_e32 v33, v34, v33
	v_sub_f32_e32 v34, v36, v32
	v_add_f32_e32 v27, v27, v34
	v_mul_f32_e32 v34, v35, v37
	v_mul_f32_e32 v36, v32, v34
	v_fma_f32 v38, v34, v32, -v36
	v_fmac_f32_e32 v38, v34, v27
	v_add_f32_e32 v39, v36, v38
	v_sub_f32_e32 v40, v35, v39
	v_sub_f32_e32 v35, v35, v40
	;; [unrolled: 1-line block ×4, first 2 shown]
	v_add_f32_e32 v33, v33, v35
	v_sub_f32_e32 v35, v36, v38
	v_add_f32_e32 v33, v35, v33
	v_add_f32_e32 v35, v40, v33
	v_mul_f32_e32 v36, v37, v35
	v_mul_f32_e32 v38, v32, v36
	v_fma_f32 v32, v36, v32, -v38
	v_fmac_f32_e32 v32, v36, v27
	v_sub_f32_e32 v27, v40, v35
	v_add_f32_e32 v27, v33, v27
	v_add_f32_e32 v33, v38, v32
	v_sub_f32_e32 v39, v35, v33
	v_sub_f32_e32 v35, v35, v39
	v_sub_f32_e32 v38, v33, v38
	v_sub_f32_e32 v33, v35, v33
	v_add_f32_e32 v27, v27, v33
	v_sub_f32_e32 v32, v38, v32
	v_add_f32_e32 v27, v32, v27
	v_add_f32_e32 v32, v34, v36
	;; [unrolled: 1-line block ×3, first 2 shown]
	v_sub_f32_e32 v33, v32, v34
	v_mul_f32_e32 v27, v37, v27
	v_sub_f32_e32 v33, v36, v33
	v_add_f32_e32 v27, v33, v27
	v_cvt_f32_i32_e32 v26, v26
	v_add_f32_e32 v33, v32, v27
	v_mul_f32_e32 v34, v33, v33
	v_mov_b32_e32 v35, 0x3ecc95a3
	v_fmac_f32_e32 v35, 0x3e9b6dac, v34
	v_mov_b32_e32 v36, 0x3f2aaada
	v_fmac_f32_e32 v36, v34, v35
	v_mul_f32_e32 v35, 0x3f317218, v26
	v_fma_f32 v37, v26, s3, -v35
	v_fmac_f32_e32 v37, 0xb102e308, v26
	v_sub_f32_e32 v26, v33, v32
	v_sub_f32_e32 v26, v27, v26
	v_add_f32_e32 v27, v35, v37
	v_sub_f32_e32 v32, v27, v35
	v_ldexp_f32 v35, v33, 1
	v_mul_f32_e32 v33, v33, v34
	v_mul_f32_e32 v33, v33, v36
	v_add_f32_e32 v34, v35, v33
	v_sub_f32_e32 v35, v34, v35
	v_ldexp_f32 v26, v26, 1
	v_sub_f32_e32 v33, v33, v35
	v_add_f32_e32 v26, v26, v33
	v_add_f32_e32 v33, v34, v26
	v_sub_f32_e32 v34, v33, v34
	v_sub_f32_e32 v26, v26, v34
	v_add_f32_e32 v34, v27, v33
	v_sub_f32_e32 v35, v34, v27
	v_sub_f32_e32 v36, v34, v35
	;; [unrolled: 1-line block ×5, first 2 shown]
	v_add_f32_e32 v27, v33, v27
	v_add_f32_e32 v33, v32, v26
	v_sub_f32_e32 v35, v33, v32
	v_sub_f32_e32 v36, v33, v35
	;; [unrolled: 1-line block ×4, first 2 shown]
	v_add_f32_e32 v27, v33, v27
	v_add_f32_e32 v26, v26, v32
	;; [unrolled: 1-line block ×3, first 2 shown]
	v_sub_f32_e32 v33, v32, v34
	v_sub_f32_e32 v27, v27, v33
	v_add_f32_e32 v26, v26, v27
	v_add_f32_e32 v26, v32, v26
	v_cmp_neq_f32_e64 s[84:85], s2, v31
	s_mov_b32 s2, 0x33800000
	v_cndmask_b32_e64 v26, v30, v26, s[84:85]
	v_cmp_lt_f32_e64 s[84:85], |v31|, s2
	v_cndmask_b32_e64 v26, v26, v31, s[84:85]
	v_add_f32_e32 v25, v25, v26
	v_cvt_f16_f32_e32 v31, v25
	v_cvt_f32_f16_e32 v32, v31
	v_mov_b32_e32 v30, v31
.LBB410_84:
	s_or_b64 exec, exec, s[0:1]
	v_cvt_f32_f16_sdwa v25, v6 dst_sel:DWORD dst_unused:UNUSED_PAD src0_sel:WORD_1
	v_max_f32_e32 v27, v32, v32
	v_cmp_u_f16_e64 s[86:87], v31, v31
	v_cmp_u_f16_sdwa s[84:85], v6, v6 src0_sel:WORD_1 src1_sel:WORD_1
	v_min_f32_e32 v26, v27, v25
	v_max_f32_e32 v6, v27, v25
	v_cndmask_b32_e64 v26, v26, v32, s[86:87]
	v_cndmask_b32_e64 v6, v6, v32, s[86:87]
	;; [unrolled: 1-line block ×4, first 2 shown]
	s_movk_i32 s2, 0x1f8
	v_cmp_neq_f32_e64 s[86:87], v26, v6
	v_cmp_class_f32_e64 s[0:1], v26, s2
	s_or_b64 s[6:7], s[86:87], s[0:1]
	s_and_saveexec_b64 s[0:1], s[6:7]
	s_cbranch_execz .LBB410_86
; %bb.85:
	v_sub_f32_e32 v26, v26, v6
	s_mov_b32 s3, 0x3fb8aa3b
	v_mul_f32_e32 v27, 0x3fb8aa3b, v26
	v_fma_f32 v30, v26, s3, -v27
	v_rndne_f32_e32 v31, v27
	v_fmac_f32_e32 v30, 0x32a5705f, v26
	v_sub_f32_e32 v27, v27, v31
	v_add_f32_e32 v27, v27, v30
	v_exp_f32_e32 v27, v27
	v_cvt_i32_f32_e32 v30, v31
	s_mov_b32 s3, 0xc2ce8ed0
	v_cmp_ngt_f32_e64 s[86:87], s3, v26
	s_mov_b32 s3, 0x42b17218
	v_ldexp_f32 v27, v27, v30
	v_cndmask_b32_e64 v27, 0, v27, s[86:87]
	v_mov_b32_e32 v30, 0x7f800000
	v_cmp_nlt_f32_e64 s[86:87], s3, v26
	v_cndmask_b32_e64 v31, v30, v27, s[86:87]
	v_add_f32_e32 v32, 1.0, v31
	v_cvt_f64_f32_e32 v[26:27], v32
	v_add_f32_e32 v33, -1.0, v32
	v_sub_f32_e32 v34, v33, v32
	v_sub_f32_e32 v33, v31, v33
	v_frexp_exp_i32_f64_e32 v26, v[26:27]
	v_add_f32_e32 v27, 1.0, v34
	v_add_f32_e32 v27, v33, v27
	v_frexp_mant_f32_e32 v33, v32
	s_mov_b32 s6, 0x3f2aaaab
	v_cmp_gt_f32_e64 s[86:87], s6, v33
	s_mov_b32 s6, 0x3f317218
	s_mov_b32 s3, 0x7f800000
	v_subbrev_co_u32_e64 v26, s[86:87], 0, v26, s[86:87]
	v_sub_u32_e32 v33, 0, v26
	v_ldexp_f32 v32, v32, v33
	v_ldexp_f32 v27, v27, v33
	v_add_f32_e32 v33, -1.0, v32
	v_add_f32_e32 v36, 1.0, v32
	v_add_f32_e32 v34, 1.0, v33
	v_add_f32_e32 v37, -1.0, v36
	v_sub_f32_e32 v34, v32, v34
	v_sub_f32_e32 v32, v32, v37
	v_add_f32_e32 v34, v27, v34
	v_add_f32_e32 v27, v27, v32
	;; [unrolled: 1-line block ×3, first 2 shown]
	v_rcp_f32_e32 v37, v32
	v_add_f32_e32 v35, v33, v34
	v_sub_f32_e32 v33, v33, v35
	v_add_f32_e32 v33, v34, v33
	v_sub_f32_e32 v34, v36, v32
	v_add_f32_e32 v27, v27, v34
	v_mul_f32_e32 v34, v35, v37
	v_mul_f32_e32 v36, v32, v34
	v_fma_f32 v38, v34, v32, -v36
	v_fmac_f32_e32 v38, v34, v27
	v_add_f32_e32 v39, v36, v38
	v_sub_f32_e32 v40, v35, v39
	v_sub_f32_e32 v35, v35, v40
	;; [unrolled: 1-line block ×4, first 2 shown]
	v_add_f32_e32 v33, v33, v35
	v_sub_f32_e32 v35, v36, v38
	v_add_f32_e32 v33, v35, v33
	v_add_f32_e32 v35, v40, v33
	v_mul_f32_e32 v36, v37, v35
	v_mul_f32_e32 v38, v32, v36
	v_fma_f32 v32, v36, v32, -v38
	v_fmac_f32_e32 v32, v36, v27
	v_sub_f32_e32 v27, v40, v35
	v_add_f32_e32 v27, v33, v27
	v_add_f32_e32 v33, v38, v32
	v_sub_f32_e32 v39, v35, v33
	v_sub_f32_e32 v35, v35, v39
	;; [unrolled: 1-line block ×4, first 2 shown]
	v_add_f32_e32 v27, v27, v33
	v_sub_f32_e32 v32, v38, v32
	v_add_f32_e32 v27, v32, v27
	v_add_f32_e32 v32, v34, v36
	;; [unrolled: 1-line block ×3, first 2 shown]
	v_sub_f32_e32 v33, v32, v34
	v_mul_f32_e32 v27, v37, v27
	v_sub_f32_e32 v33, v36, v33
	v_add_f32_e32 v27, v33, v27
	v_cvt_f32_i32_e32 v26, v26
	v_add_f32_e32 v33, v32, v27
	v_mul_f32_e32 v34, v33, v33
	v_mov_b32_e32 v35, 0x3ecc95a3
	v_fmac_f32_e32 v35, 0x3e9b6dac, v34
	v_mov_b32_e32 v36, 0x3f2aaada
	v_fmac_f32_e32 v36, v34, v35
	v_mul_f32_e32 v35, 0x3f317218, v26
	v_fma_f32 v37, v26, s6, -v35
	v_fmac_f32_e32 v37, 0xb102e308, v26
	v_sub_f32_e32 v26, v33, v32
	v_sub_f32_e32 v26, v27, v26
	v_add_f32_e32 v27, v35, v37
	v_sub_f32_e32 v32, v27, v35
	v_ldexp_f32 v35, v33, 1
	v_mul_f32_e32 v33, v33, v34
	v_mul_f32_e32 v33, v33, v36
	v_add_f32_e32 v34, v35, v33
	v_sub_f32_e32 v35, v34, v35
	v_ldexp_f32 v26, v26, 1
	v_sub_f32_e32 v33, v33, v35
	v_add_f32_e32 v26, v26, v33
	v_add_f32_e32 v33, v34, v26
	v_sub_f32_e32 v34, v33, v34
	v_sub_f32_e32 v26, v26, v34
	v_add_f32_e32 v34, v27, v33
	v_sub_f32_e32 v35, v34, v27
	v_sub_f32_e32 v36, v34, v35
	;; [unrolled: 1-line block ×5, first 2 shown]
	v_add_f32_e32 v27, v33, v27
	v_add_f32_e32 v33, v32, v26
	v_sub_f32_e32 v35, v33, v32
	v_sub_f32_e32 v36, v33, v35
	;; [unrolled: 1-line block ×4, first 2 shown]
	v_add_f32_e32 v27, v33, v27
	v_add_f32_e32 v26, v26, v32
	;; [unrolled: 1-line block ×3, first 2 shown]
	v_sub_f32_e32 v33, v32, v34
	v_sub_f32_e32 v27, v27, v33
	v_add_f32_e32 v26, v26, v27
	v_add_f32_e32 v26, v32, v26
	v_cmp_neq_f32_e64 s[86:87], s3, v31
	s_mov_b32 s3, 0x33800000
	v_cndmask_b32_e64 v26, v30, v26, s[86:87]
	v_cmp_lt_f32_e64 s[86:87], |v31|, s3
	v_cndmask_b32_e64 v26, v26, v31, s[86:87]
	v_add_f32_e32 v6, v6, v26
	v_cvt_f16_f32_e32 v31, v6
	v_cvt_f32_f16_e32 v32, v31
	v_mov_b32_e32 v30, v31
.LBB410_86:
	s_or_b64 exec, exec, s[0:1]
	v_cvt_f32_f16_e32 v6, v7
	v_max_f32_e32 v26, v32, v32
	v_cmp_u_f16_e64 s[88:89], v31, v31
	v_cmp_u_f16_e64 s[86:87], v7, v7
	v_min_f32_e32 v27, v26, v6
	v_max_f32_e32 v26, v26, v6
	v_cndmask_b32_e64 v27, v27, v32, s[88:89]
	v_cndmask_b32_e64 v26, v26, v32, s[88:89]
	;; [unrolled: 1-line block ×4, first 2 shown]
	v_cmp_neq_f32_e64 s[88:89], v27, v26
	v_cmp_class_f32_e64 s[0:1], v27, s2
	s_or_b64 s[2:3], s[88:89], s[0:1]
	s_and_saveexec_b64 s[0:1], s[2:3]
	s_cbranch_execz .LBB410_88
; %bb.87:
	v_sub_f32_e32 v27, v27, v26
	s_mov_b32 s2, 0x3fb8aa3b
	v_mul_f32_e32 v30, 0x3fb8aa3b, v27
	v_fma_f32 v31, v27, s2, -v30
	v_rndne_f32_e32 v32, v30
	v_fmac_f32_e32 v31, 0x32a5705f, v27
	v_sub_f32_e32 v30, v30, v32
	v_add_f32_e32 v30, v30, v31
	v_exp_f32_e32 v30, v30
	v_cvt_i32_f32_e32 v31, v32
	s_mov_b32 s2, 0xc2ce8ed0
	v_cmp_ngt_f32_e64 s[88:89], s2, v27
	s_mov_b32 s2, 0x42b17218
	v_ldexp_f32 v30, v30, v31
	v_cndmask_b32_e64 v30, 0, v30, s[88:89]
	v_mov_b32_e32 v32, 0x7f800000
	v_cmp_nlt_f32_e64 s[88:89], s2, v27
	v_cndmask_b32_e64 v27, v32, v30, s[88:89]
	v_add_f32_e32 v33, 1.0, v27
	v_cvt_f64_f32_e32 v[30:31], v33
	v_add_f32_e32 v34, -1.0, v33
	v_sub_f32_e32 v35, v34, v33
	v_sub_f32_e32 v34, v27, v34
	v_frexp_exp_i32_f64_e32 v30, v[30:31]
	v_add_f32_e32 v31, 1.0, v35
	v_add_f32_e32 v31, v34, v31
	v_frexp_mant_f32_e32 v34, v33
	s_mov_b32 s3, 0x3f2aaaab
	v_cmp_gt_f32_e64 s[88:89], s3, v34
	s_mov_b32 s3, 0x3f317218
	s_mov_b32 s2, 0x7f800000
	v_subbrev_co_u32_e64 v30, s[88:89], 0, v30, s[88:89]
	v_sub_u32_e32 v34, 0, v30
	v_ldexp_f32 v33, v33, v34
	v_ldexp_f32 v31, v31, v34
	v_add_f32_e32 v34, -1.0, v33
	v_add_f32_e32 v37, 1.0, v33
	v_add_f32_e32 v35, 1.0, v34
	v_add_f32_e32 v38, -1.0, v37
	v_sub_f32_e32 v35, v33, v35
	v_sub_f32_e32 v33, v33, v38
	v_add_f32_e32 v35, v31, v35
	v_add_f32_e32 v31, v31, v33
	;; [unrolled: 1-line block ×3, first 2 shown]
	v_rcp_f32_e32 v38, v33
	v_add_f32_e32 v36, v34, v35
	v_sub_f32_e32 v34, v34, v36
	v_add_f32_e32 v34, v35, v34
	v_sub_f32_e32 v35, v37, v33
	v_add_f32_e32 v31, v31, v35
	v_mul_f32_e32 v35, v36, v38
	v_mul_f32_e32 v37, v33, v35
	v_fma_f32 v39, v35, v33, -v37
	v_fmac_f32_e32 v39, v35, v31
	v_add_f32_e32 v40, v37, v39
	v_sub_f32_e32 v41, v36, v40
	v_sub_f32_e32 v36, v36, v41
	;; [unrolled: 1-line block ×4, first 2 shown]
	v_add_f32_e32 v34, v34, v36
	v_sub_f32_e32 v36, v37, v39
	v_add_f32_e32 v34, v36, v34
	v_add_f32_e32 v36, v41, v34
	v_mul_f32_e32 v37, v38, v36
	v_mul_f32_e32 v39, v33, v37
	v_fma_f32 v33, v37, v33, -v39
	v_fmac_f32_e32 v33, v37, v31
	v_sub_f32_e32 v31, v41, v36
	v_add_f32_e32 v31, v34, v31
	v_add_f32_e32 v34, v39, v33
	v_sub_f32_e32 v40, v36, v34
	v_sub_f32_e32 v36, v36, v40
	;; [unrolled: 1-line block ×4, first 2 shown]
	v_add_f32_e32 v31, v31, v34
	v_sub_f32_e32 v33, v39, v33
	v_add_f32_e32 v31, v33, v31
	v_add_f32_e32 v33, v35, v37
	;; [unrolled: 1-line block ×3, first 2 shown]
	v_sub_f32_e32 v34, v33, v35
	v_mul_f32_e32 v31, v38, v31
	v_sub_f32_e32 v34, v37, v34
	v_add_f32_e32 v31, v34, v31
	v_cvt_f32_i32_e32 v30, v30
	v_add_f32_e32 v34, v33, v31
	v_mul_f32_e32 v35, v34, v34
	v_mov_b32_e32 v36, 0x3ecc95a3
	v_fmac_f32_e32 v36, 0x3e9b6dac, v35
	v_mov_b32_e32 v37, 0x3f2aaada
	v_fmac_f32_e32 v37, v35, v36
	v_mul_f32_e32 v36, 0x3f317218, v30
	v_fma_f32 v38, v30, s3, -v36
	v_fmac_f32_e32 v38, 0xb102e308, v30
	v_sub_f32_e32 v30, v34, v33
	v_sub_f32_e32 v30, v31, v30
	v_add_f32_e32 v31, v36, v38
	v_sub_f32_e32 v33, v31, v36
	v_ldexp_f32 v36, v34, 1
	v_mul_f32_e32 v34, v34, v35
	v_mul_f32_e32 v34, v34, v37
	v_add_f32_e32 v35, v36, v34
	v_sub_f32_e32 v36, v35, v36
	v_ldexp_f32 v30, v30, 1
	v_sub_f32_e32 v34, v34, v36
	v_add_f32_e32 v30, v30, v34
	v_add_f32_e32 v34, v35, v30
	v_sub_f32_e32 v35, v34, v35
	v_sub_f32_e32 v30, v30, v35
	v_add_f32_e32 v35, v31, v34
	v_sub_f32_e32 v36, v35, v31
	v_sub_f32_e32 v37, v35, v36
	;; [unrolled: 1-line block ×5, first 2 shown]
	v_add_f32_e32 v31, v34, v31
	v_add_f32_e32 v34, v33, v30
	v_sub_f32_e32 v36, v34, v33
	v_sub_f32_e32 v37, v34, v36
	;; [unrolled: 1-line block ×4, first 2 shown]
	v_add_f32_e32 v31, v34, v31
	v_add_f32_e32 v30, v30, v33
	;; [unrolled: 1-line block ×3, first 2 shown]
	v_sub_f32_e32 v34, v33, v35
	v_sub_f32_e32 v31, v31, v34
	v_add_f32_e32 v30, v30, v31
	v_add_f32_e32 v30, v33, v30
	v_cmp_neq_f32_e64 s[88:89], s2, v27
	s_mov_b32 s2, 0x33800000
	v_cndmask_b32_e64 v30, v32, v30, s[88:89]
	v_cmp_lt_f32_e64 s[88:89], |v27|, s2
	v_cndmask_b32_e64 v27, v30, v27, s[88:89]
	v_add_f32_e32 v26, v26, v27
	v_cvt_f16_f32_e32 v31, v26
	v_cvt_f32_f16_e32 v32, v31
	v_mov_b32_e32 v30, v31
.LBB410_88:
	s_or_b64 exec, exec, s[0:1]
	v_cvt_f32_f16_sdwa v26, v7 dst_sel:DWORD dst_unused:UNUSED_PAD src0_sel:WORD_1
	v_max_f32_e32 v33, v32, v32
	v_cmp_u_f16_e64 s[90:91], v31, v31
	v_cmp_u_f16_sdwa s[88:89], v7, v7 src0_sel:WORD_1 src1_sel:WORD_1
	v_min_f32_e32 v27, v33, v26
	v_max_f32_e32 v7, v33, v26
	v_cndmask_b32_e64 v27, v27, v32, s[90:91]
	v_cndmask_b32_e64 v7, v7, v32, s[90:91]
	;; [unrolled: 1-line block ×4, first 2 shown]
	s_movk_i32 s2, 0x1f8
	v_cmp_neq_f32_e64 s[90:91], v27, v7
	v_cmp_class_f32_e64 s[0:1], v27, s2
	s_or_b64 s[6:7], s[90:91], s[0:1]
	s_and_saveexec_b64 s[0:1], s[6:7]
	s_cbranch_execz .LBB410_90
; %bb.89:
	v_sub_f32_e32 v27, v27, v7
	s_mov_b32 s3, 0x3fb8aa3b
	v_mul_f32_e32 v30, 0x3fb8aa3b, v27
	v_fma_f32 v31, v27, s3, -v30
	v_rndne_f32_e32 v32, v30
	v_fmac_f32_e32 v31, 0x32a5705f, v27
	v_sub_f32_e32 v30, v30, v32
	v_add_f32_e32 v30, v30, v31
	v_exp_f32_e32 v30, v30
	v_cvt_i32_f32_e32 v31, v32
	s_mov_b32 s3, 0xc2ce8ed0
	v_cmp_ngt_f32_e64 s[90:91], s3, v27
	s_mov_b32 s3, 0x42b17218
	v_ldexp_f32 v30, v30, v31
	v_cndmask_b32_e64 v30, 0, v30, s[90:91]
	v_mov_b32_e32 v32, 0x7f800000
	v_cmp_nlt_f32_e64 s[90:91], s3, v27
	v_cndmask_b32_e64 v27, v32, v30, s[90:91]
	v_add_f32_e32 v33, 1.0, v27
	v_cvt_f64_f32_e32 v[30:31], v33
	v_add_f32_e32 v34, -1.0, v33
	v_sub_f32_e32 v35, v34, v33
	v_sub_f32_e32 v34, v27, v34
	v_frexp_exp_i32_f64_e32 v30, v[30:31]
	v_add_f32_e32 v31, 1.0, v35
	v_add_f32_e32 v31, v34, v31
	v_frexp_mant_f32_e32 v34, v33
	s_mov_b32 s6, 0x3f2aaaab
	v_cmp_gt_f32_e64 s[90:91], s6, v34
	s_mov_b32 s6, 0x3f317218
	s_mov_b32 s3, 0x7f800000
	v_subbrev_co_u32_e64 v30, s[90:91], 0, v30, s[90:91]
	v_sub_u32_e32 v34, 0, v30
	v_ldexp_f32 v33, v33, v34
	v_ldexp_f32 v31, v31, v34
	v_add_f32_e32 v34, -1.0, v33
	v_add_f32_e32 v37, 1.0, v33
	v_add_f32_e32 v35, 1.0, v34
	v_add_f32_e32 v38, -1.0, v37
	v_sub_f32_e32 v35, v33, v35
	v_sub_f32_e32 v33, v33, v38
	v_add_f32_e32 v35, v31, v35
	v_add_f32_e32 v31, v31, v33
	;; [unrolled: 1-line block ×3, first 2 shown]
	v_rcp_f32_e32 v38, v33
	v_add_f32_e32 v36, v34, v35
	v_sub_f32_e32 v34, v34, v36
	v_add_f32_e32 v34, v35, v34
	v_sub_f32_e32 v35, v37, v33
	v_add_f32_e32 v31, v31, v35
	v_mul_f32_e32 v35, v36, v38
	v_mul_f32_e32 v37, v33, v35
	v_fma_f32 v39, v35, v33, -v37
	v_fmac_f32_e32 v39, v35, v31
	v_add_f32_e32 v40, v37, v39
	v_sub_f32_e32 v41, v36, v40
	v_sub_f32_e32 v36, v36, v41
	;; [unrolled: 1-line block ×4, first 2 shown]
	v_add_f32_e32 v34, v34, v36
	v_sub_f32_e32 v36, v37, v39
	v_add_f32_e32 v34, v36, v34
	v_add_f32_e32 v36, v41, v34
	v_mul_f32_e32 v37, v38, v36
	v_mul_f32_e32 v39, v33, v37
	v_fma_f32 v33, v37, v33, -v39
	v_fmac_f32_e32 v33, v37, v31
	v_sub_f32_e32 v31, v41, v36
	v_add_f32_e32 v31, v34, v31
	v_add_f32_e32 v34, v39, v33
	v_sub_f32_e32 v40, v36, v34
	v_sub_f32_e32 v36, v36, v40
	;; [unrolled: 1-line block ×4, first 2 shown]
	v_add_f32_e32 v31, v31, v34
	v_sub_f32_e32 v33, v39, v33
	v_add_f32_e32 v31, v33, v31
	v_add_f32_e32 v33, v35, v37
	;; [unrolled: 1-line block ×3, first 2 shown]
	v_sub_f32_e32 v34, v33, v35
	v_mul_f32_e32 v31, v38, v31
	v_sub_f32_e32 v34, v37, v34
	v_add_f32_e32 v31, v34, v31
	v_cvt_f32_i32_e32 v30, v30
	v_add_f32_e32 v34, v33, v31
	v_mul_f32_e32 v35, v34, v34
	v_mov_b32_e32 v36, 0x3ecc95a3
	v_fmac_f32_e32 v36, 0x3e9b6dac, v35
	v_mov_b32_e32 v37, 0x3f2aaada
	v_fmac_f32_e32 v37, v35, v36
	v_mul_f32_e32 v36, 0x3f317218, v30
	v_fma_f32 v38, v30, s6, -v36
	v_fmac_f32_e32 v38, 0xb102e308, v30
	v_sub_f32_e32 v30, v34, v33
	v_sub_f32_e32 v30, v31, v30
	v_add_f32_e32 v31, v36, v38
	v_sub_f32_e32 v33, v31, v36
	v_ldexp_f32 v36, v34, 1
	v_mul_f32_e32 v34, v34, v35
	v_mul_f32_e32 v34, v34, v37
	v_add_f32_e32 v35, v36, v34
	v_sub_f32_e32 v36, v35, v36
	v_ldexp_f32 v30, v30, 1
	v_sub_f32_e32 v34, v34, v36
	v_add_f32_e32 v30, v30, v34
	v_add_f32_e32 v34, v35, v30
	v_sub_f32_e32 v35, v34, v35
	v_sub_f32_e32 v30, v30, v35
	v_add_f32_e32 v35, v31, v34
	v_sub_f32_e32 v36, v35, v31
	v_sub_f32_e32 v37, v35, v36
	;; [unrolled: 1-line block ×5, first 2 shown]
	v_add_f32_e32 v31, v34, v31
	v_add_f32_e32 v34, v33, v30
	v_sub_f32_e32 v36, v34, v33
	v_sub_f32_e32 v37, v34, v36
	;; [unrolled: 1-line block ×4, first 2 shown]
	v_add_f32_e32 v31, v34, v31
	v_add_f32_e32 v30, v30, v33
	;; [unrolled: 1-line block ×3, first 2 shown]
	v_sub_f32_e32 v34, v33, v35
	v_sub_f32_e32 v31, v31, v34
	v_add_f32_e32 v30, v30, v31
	v_add_f32_e32 v30, v33, v30
	v_cmp_neq_f32_e64 s[90:91], s3, v27
	s_mov_b32 s3, 0x33800000
	v_cndmask_b32_e64 v30, v32, v30, s[90:91]
	v_cmp_lt_f32_e64 s[90:91], |v27|, s3
	v_cndmask_b32_e64 v27, v30, v27, s[90:91]
	v_add_f32_e32 v7, v7, v27
	v_cvt_f16_f32_e32 v31, v7
	v_cvt_f32_f16_e32 v32, v31
	v_mov_b32_e32 v30, v31
.LBB410_90:
	s_or_b64 exec, exec, s[0:1]
	v_cvt_f32_f16_e32 v7, v8
	v_max_f32_e32 v27, v32, v32
	v_cmp_u_f16_e64 s[92:93], v31, v31
	v_cmp_u_f16_e64 s[90:91], v8, v8
	v_min_f32_e32 v33, v27, v7
	v_max_f32_e32 v27, v27, v7
	v_cndmask_b32_e64 v33, v33, v32, s[92:93]
	v_cndmask_b32_e64 v27, v27, v32, s[92:93]
	;; [unrolled: 1-line block ×4, first 2 shown]
	v_cmp_neq_f32_e64 s[92:93], v33, v27
	v_cmp_class_f32_e64 s[0:1], v33, s2
	s_or_b64 s[2:3], s[92:93], s[0:1]
	s_and_saveexec_b64 s[0:1], s[2:3]
	s_cbranch_execz .LBB410_92
; %bb.91:
	v_sub_f32_e32 v30, v33, v27
	s_mov_b32 s2, 0x3fb8aa3b
	v_mul_f32_e32 v31, 0x3fb8aa3b, v30
	v_fma_f32 v32, v30, s2, -v31
	v_rndne_f32_e32 v33, v31
	v_fmac_f32_e32 v32, 0x32a5705f, v30
	v_sub_f32_e32 v31, v31, v33
	v_add_f32_e32 v31, v31, v32
	v_exp_f32_e32 v31, v31
	v_cvt_i32_f32_e32 v32, v33
	s_mov_b32 s2, 0xc2ce8ed0
	v_cmp_ngt_f32_e64 s[92:93], s2, v30
	s_mov_b32 s2, 0x42b17218
	v_ldexp_f32 v31, v31, v32
	v_cndmask_b32_e64 v31, 0, v31, s[92:93]
	v_mov_b32_e32 v32, 0x7f800000
	v_cmp_nlt_f32_e64 s[92:93], s2, v30
	v_cndmask_b32_e64 v33, v32, v31, s[92:93]
	v_add_f32_e32 v34, 1.0, v33
	v_cvt_f64_f32_e32 v[30:31], v34
	v_add_f32_e32 v35, -1.0, v34
	v_sub_f32_e32 v36, v35, v34
	v_sub_f32_e32 v35, v33, v35
	v_frexp_exp_i32_f64_e32 v30, v[30:31]
	v_add_f32_e32 v31, 1.0, v36
	v_add_f32_e32 v31, v35, v31
	v_frexp_mant_f32_e32 v35, v34
	s_mov_b32 s3, 0x3f2aaaab
	v_cmp_gt_f32_e64 s[92:93], s3, v35
	s_mov_b32 s3, 0x3f317218
	s_mov_b32 s2, 0x7f800000
	v_subbrev_co_u32_e64 v30, s[92:93], 0, v30, s[92:93]
	v_sub_u32_e32 v35, 0, v30
	v_ldexp_f32 v34, v34, v35
	v_ldexp_f32 v31, v31, v35
	v_add_f32_e32 v35, -1.0, v34
	v_add_f32_e32 v38, 1.0, v34
	v_add_f32_e32 v36, 1.0, v35
	v_add_f32_e32 v39, -1.0, v38
	v_sub_f32_e32 v36, v34, v36
	v_sub_f32_e32 v34, v34, v39
	v_add_f32_e32 v36, v31, v36
	v_add_f32_e32 v31, v31, v34
	;; [unrolled: 1-line block ×3, first 2 shown]
	v_rcp_f32_e32 v39, v34
	v_add_f32_e32 v37, v35, v36
	v_sub_f32_e32 v35, v35, v37
	v_add_f32_e32 v35, v36, v35
	v_sub_f32_e32 v36, v38, v34
	v_add_f32_e32 v31, v31, v36
	v_mul_f32_e32 v36, v37, v39
	v_mul_f32_e32 v38, v34, v36
	v_fma_f32 v40, v36, v34, -v38
	v_fmac_f32_e32 v40, v36, v31
	v_add_f32_e32 v41, v38, v40
	v_sub_f32_e32 v42, v37, v41
	v_sub_f32_e32 v37, v37, v42
	;; [unrolled: 1-line block ×4, first 2 shown]
	v_add_f32_e32 v35, v35, v37
	v_sub_f32_e32 v37, v38, v40
	v_add_f32_e32 v35, v37, v35
	v_add_f32_e32 v37, v42, v35
	v_mul_f32_e32 v38, v39, v37
	v_mul_f32_e32 v40, v34, v38
	v_fma_f32 v34, v38, v34, -v40
	v_fmac_f32_e32 v34, v38, v31
	v_sub_f32_e32 v31, v42, v37
	v_add_f32_e32 v31, v35, v31
	v_add_f32_e32 v35, v40, v34
	v_sub_f32_e32 v41, v37, v35
	v_sub_f32_e32 v37, v37, v41
	;; [unrolled: 1-line block ×4, first 2 shown]
	v_add_f32_e32 v31, v31, v35
	v_sub_f32_e32 v34, v40, v34
	v_add_f32_e32 v31, v34, v31
	v_add_f32_e32 v34, v36, v38
	;; [unrolled: 1-line block ×3, first 2 shown]
	v_sub_f32_e32 v35, v34, v36
	v_mul_f32_e32 v31, v39, v31
	v_sub_f32_e32 v35, v38, v35
	v_add_f32_e32 v31, v35, v31
	v_cvt_f32_i32_e32 v30, v30
	v_add_f32_e32 v35, v34, v31
	v_mul_f32_e32 v36, v35, v35
	v_mov_b32_e32 v37, 0x3ecc95a3
	v_fmac_f32_e32 v37, 0x3e9b6dac, v36
	v_mov_b32_e32 v38, 0x3f2aaada
	v_fmac_f32_e32 v38, v36, v37
	v_mul_f32_e32 v37, 0x3f317218, v30
	v_fma_f32 v39, v30, s3, -v37
	v_fmac_f32_e32 v39, 0xb102e308, v30
	v_sub_f32_e32 v30, v35, v34
	v_sub_f32_e32 v30, v31, v30
	v_add_f32_e32 v31, v37, v39
	v_sub_f32_e32 v34, v31, v37
	v_ldexp_f32 v37, v35, 1
	v_mul_f32_e32 v35, v35, v36
	v_mul_f32_e32 v35, v35, v38
	v_add_f32_e32 v36, v37, v35
	v_sub_f32_e32 v37, v36, v37
	v_ldexp_f32 v30, v30, 1
	v_sub_f32_e32 v35, v35, v37
	v_add_f32_e32 v30, v30, v35
	v_add_f32_e32 v35, v36, v30
	v_sub_f32_e32 v36, v35, v36
	v_sub_f32_e32 v30, v30, v36
	v_add_f32_e32 v36, v31, v35
	v_sub_f32_e32 v37, v36, v31
	v_sub_f32_e32 v38, v36, v37
	v_sub_f32_e32 v34, v39, v34
	v_sub_f32_e32 v31, v31, v38
	v_sub_f32_e32 v35, v35, v37
	v_add_f32_e32 v31, v35, v31
	v_add_f32_e32 v35, v34, v30
	v_sub_f32_e32 v37, v35, v34
	v_sub_f32_e32 v38, v35, v37
	;; [unrolled: 1-line block ×4, first 2 shown]
	v_add_f32_e32 v31, v35, v31
	v_add_f32_e32 v30, v30, v34
	;; [unrolled: 1-line block ×3, first 2 shown]
	v_sub_f32_e32 v35, v34, v36
	v_sub_f32_e32 v31, v31, v35
	v_add_f32_e32 v30, v30, v31
	v_add_f32_e32 v30, v34, v30
	v_cmp_neq_f32_e64 s[92:93], s2, v33
	s_mov_b32 s2, 0x33800000
	v_cndmask_b32_e64 v30, v32, v30, s[92:93]
	v_cmp_lt_f32_e64 s[92:93], |v33|, s2
	v_cndmask_b32_e64 v30, v30, v33, s[92:93]
	v_add_f32_e32 v27, v27, v30
	v_cvt_f16_f32_e32 v31, v27
	v_cvt_f32_f16_e32 v32, v31
	v_mov_b32_e32 v30, v31
.LBB410_92:
	s_or_b64 exec, exec, s[0:1]
	v_cvt_f32_f16_sdwa v27, v8 dst_sel:DWORD dst_unused:UNUSED_PAD src0_sel:WORD_1
	v_max_f32_e32 v33, v32, v32
	v_cmp_u_f16_e32 vcc, v31, v31
	v_cmp_u_f16_sdwa s[92:93], v8, v8 src0_sel:WORD_1 src1_sel:WORD_1
	v_min_f32_e32 v34, v33, v27
	v_max_f32_e32 v8, v33, v27
	v_cndmask_b32_e32 v31, v34, v32, vcc
	v_cndmask_b32_e32 v8, v8, v32, vcc
	v_cndmask_b32_e64 v31, v31, v27, s[92:93]
	v_cndmask_b32_e64 v8, v8, v27, s[92:93]
	s_movk_i32 s0, 0x1f8
	v_cmp_neq_f32_e32 vcc, v31, v8
	v_cmp_class_f32_e64 s[0:1], v31, s0
	s_or_b64 s[2:3], vcc, s[0:1]
	s_and_saveexec_b64 s[0:1], s[2:3]
	s_cbranch_execz .LBB410_94
; %bb.93:
	v_sub_f32_e32 v30, v31, v8
	s_mov_b32 s2, 0x3fb8aa3b
	v_mul_f32_e32 v31, 0x3fb8aa3b, v30
	v_fma_f32 v32, v30, s2, -v31
	v_rndne_f32_e32 v33, v31
	v_fmac_f32_e32 v32, 0x32a5705f, v30
	v_sub_f32_e32 v31, v31, v33
	v_add_f32_e32 v31, v31, v32
	v_exp_f32_e32 v31, v31
	v_cvt_i32_f32_e32 v32, v33
	s_mov_b32 s2, 0xc2ce8ed0
	v_cmp_ngt_f32_e32 vcc, s2, v30
	s_mov_b32 s2, 0x42b17218
	v_ldexp_f32 v31, v31, v32
	v_cndmask_b32_e32 v31, 0, v31, vcc
	v_mov_b32_e32 v32, 0x7f800000
	v_cmp_nlt_f32_e32 vcc, s2, v30
	v_cndmask_b32_e32 v33, v32, v31, vcc
	v_add_f32_e32 v34, 1.0, v33
	v_cvt_f64_f32_e32 v[30:31], v34
	v_add_f32_e32 v35, -1.0, v34
	v_sub_f32_e32 v36, v35, v34
	v_sub_f32_e32 v35, v33, v35
	v_frexp_exp_i32_f64_e32 v30, v[30:31]
	v_add_f32_e32 v31, 1.0, v36
	v_add_f32_e32 v31, v35, v31
	v_frexp_mant_f32_e32 v35, v34
	s_mov_b32 s3, 0x3f2aaaab
	v_cmp_gt_f32_e32 vcc, s3, v35
	s_mov_b32 s3, 0x3f317218
	s_mov_b32 s2, 0x7f800000
	v_subbrev_co_u32_e32 v30, vcc, 0, v30, vcc
	v_sub_u32_e32 v35, 0, v30
	v_ldexp_f32 v34, v34, v35
	v_ldexp_f32 v31, v31, v35
	v_add_f32_e32 v35, -1.0, v34
	v_add_f32_e32 v38, 1.0, v34
	v_add_f32_e32 v36, 1.0, v35
	v_add_f32_e32 v39, -1.0, v38
	v_sub_f32_e32 v36, v34, v36
	v_sub_f32_e32 v34, v34, v39
	v_add_f32_e32 v36, v31, v36
	v_add_f32_e32 v31, v31, v34
	;; [unrolled: 1-line block ×3, first 2 shown]
	v_rcp_f32_e32 v39, v34
	v_add_f32_e32 v37, v35, v36
	v_sub_f32_e32 v35, v35, v37
	v_add_f32_e32 v35, v36, v35
	v_sub_f32_e32 v36, v38, v34
	v_add_f32_e32 v31, v31, v36
	v_mul_f32_e32 v36, v37, v39
	v_mul_f32_e32 v38, v34, v36
	v_fma_f32 v40, v36, v34, -v38
	v_fmac_f32_e32 v40, v36, v31
	v_add_f32_e32 v41, v38, v40
	v_sub_f32_e32 v42, v37, v41
	v_sub_f32_e32 v37, v37, v42
	;; [unrolled: 1-line block ×4, first 2 shown]
	v_add_f32_e32 v35, v35, v37
	v_sub_f32_e32 v37, v38, v40
	v_add_f32_e32 v35, v37, v35
	v_add_f32_e32 v37, v42, v35
	v_mul_f32_e32 v38, v39, v37
	v_mul_f32_e32 v40, v34, v38
	v_fma_f32 v34, v38, v34, -v40
	v_fmac_f32_e32 v34, v38, v31
	v_sub_f32_e32 v31, v42, v37
	v_add_f32_e32 v31, v35, v31
	v_add_f32_e32 v35, v40, v34
	v_sub_f32_e32 v41, v37, v35
	v_sub_f32_e32 v37, v37, v41
	;; [unrolled: 1-line block ×4, first 2 shown]
	v_add_f32_e32 v31, v31, v35
	v_sub_f32_e32 v34, v40, v34
	v_add_f32_e32 v31, v34, v31
	v_add_f32_e32 v34, v36, v38
	;; [unrolled: 1-line block ×3, first 2 shown]
	v_sub_f32_e32 v35, v34, v36
	v_mul_f32_e32 v31, v39, v31
	v_sub_f32_e32 v35, v38, v35
	v_add_f32_e32 v31, v35, v31
	v_cvt_f32_i32_e32 v30, v30
	v_add_f32_e32 v35, v34, v31
	v_mul_f32_e32 v36, v35, v35
	v_mov_b32_e32 v37, 0x3ecc95a3
	v_fmac_f32_e32 v37, 0x3e9b6dac, v36
	v_mov_b32_e32 v38, 0x3f2aaada
	v_fmac_f32_e32 v38, v36, v37
	v_mul_f32_e32 v37, 0x3f317218, v30
	v_fma_f32 v39, v30, s3, -v37
	v_fmac_f32_e32 v39, 0xb102e308, v30
	v_sub_f32_e32 v30, v35, v34
	v_sub_f32_e32 v30, v31, v30
	v_add_f32_e32 v31, v37, v39
	v_sub_f32_e32 v34, v31, v37
	v_ldexp_f32 v37, v35, 1
	v_mul_f32_e32 v35, v35, v36
	v_mul_f32_e32 v35, v35, v38
	v_add_f32_e32 v36, v37, v35
	v_sub_f32_e32 v37, v36, v37
	v_ldexp_f32 v30, v30, 1
	v_sub_f32_e32 v35, v35, v37
	v_add_f32_e32 v30, v30, v35
	v_add_f32_e32 v35, v36, v30
	v_sub_f32_e32 v36, v35, v36
	v_sub_f32_e32 v30, v30, v36
	v_add_f32_e32 v36, v31, v35
	v_sub_f32_e32 v37, v36, v31
	v_sub_f32_e32 v38, v36, v37
	;; [unrolled: 1-line block ×5, first 2 shown]
	v_add_f32_e32 v31, v35, v31
	v_add_f32_e32 v35, v34, v30
	v_sub_f32_e32 v37, v35, v34
	v_sub_f32_e32 v38, v35, v37
	;; [unrolled: 1-line block ×4, first 2 shown]
	v_add_f32_e32 v31, v35, v31
	v_add_f32_e32 v30, v30, v34
	;; [unrolled: 1-line block ×3, first 2 shown]
	v_sub_f32_e32 v35, v34, v36
	v_sub_f32_e32 v31, v31, v35
	v_add_f32_e32 v30, v30, v31
	v_add_f32_e32 v30, v34, v30
	v_cmp_neq_f32_e32 vcc, s2, v33
	s_mov_b32 s2, 0x33800000
	v_cndmask_b32_e32 v30, v32, v30, vcc
	v_cmp_lt_f32_e64 vcc, |v33|, s2
	v_cndmask_b32_e32 v30, v30, v33, vcc
	v_add_f32_e32 v8, v8, v30
	v_cvt_f16_f32_e32 v30, v8
.LBB410_94:
	s_or_b64 exec, exec, s[0:1]
	s_load_dwordx2 s[0:1], s[4:5], 0x18
	v_lshrrev_b32_e32 v8, 4, v0
	v_and_b32_e32 v8, 14, v8
	v_lshl_add_u32 v8, v0, 1, v8
	v_cmp_gt_u32_e32 vcc, 64, v0
	ds_write_b16 v8, v30
	s_waitcnt lgkmcnt(0)
	s_barrier
	s_and_saveexec_b64 s[6:7], vcc
	s_cbranch_execz .LBB410_134
; %bb.95:
	v_lshrrev_b32_e32 v8, 2, v0
	v_and_b32_e32 v8, 62, v8
	v_lshlrev_b32_e32 v31, 3, v0
	v_add_u32_e32 v8, v8, v31
	ds_read_u16 v34, v8
	ds_read_u16 v32, v8 offset:2
	s_movk_i32 s8, 0x1f8
	s_waitcnt lgkmcnt(1)
	v_cvt_f32_f16_e32 v31, v34
	s_waitcnt lgkmcnt(0)
	v_cvt_f32_f16_e32 v33, v32
	v_cmp_u_f16_e64 s[4:5], v34, v34
	v_cmp_u_f16_e32 vcc, v32, v32
	v_min_f32_e32 v35, v31, v33
	v_max_f32_e32 v36, v31, v33
	v_cndmask_b32_e64 v35, v35, v31, s[4:5]
	v_cndmask_b32_e64 v36, v36, v31, s[4:5]
	v_cndmask_b32_e32 v35, v35, v33, vcc
	v_cndmask_b32_e32 v32, v36, v33, vcc
	v_cmp_neq_f32_e32 vcc, v35, v32
	v_cmp_class_f32_e64 s[2:3], v35, s8
	s_or_b64 vcc, vcc, s[2:3]
	v_mov_b32_e32 v33, v31
	s_and_saveexec_b64 s[2:3], vcc
	s_cbranch_execz .LBB410_97
; %bb.96:
	v_sub_f32_e32 v33, v35, v32
	s_mov_b32 s9, 0x3fb8aa3b
	v_mul_f32_e32 v34, 0x3fb8aa3b, v33
	v_fma_f32 v35, v33, s9, -v34
	v_rndne_f32_e32 v36, v34
	v_fmac_f32_e32 v35, 0x32a5705f, v33
	v_sub_f32_e32 v34, v34, v36
	v_add_f32_e32 v34, v34, v35
	v_exp_f32_e32 v34, v34
	v_cvt_i32_f32_e32 v35, v36
	s_mov_b32 s9, 0xc2ce8ed0
	v_cmp_ngt_f32_e32 vcc, s9, v33
	s_mov_b32 s9, 0x42b17218
	v_ldexp_f32 v34, v34, v35
	v_cndmask_b32_e32 v34, 0, v34, vcc
	v_mov_b32_e32 v35, 0x7f800000
	v_cmp_nlt_f32_e32 vcc, s9, v33
	v_cndmask_b32_e32 v36, v35, v34, vcc
	v_add_f32_e32 v37, 1.0, v36
	v_cvt_f64_f32_e32 v[33:34], v37
	v_add_f32_e32 v38, -1.0, v37
	v_sub_f32_e32 v39, v38, v37
	v_sub_f32_e32 v38, v36, v38
	v_frexp_exp_i32_f64_e32 v33, v[33:34]
	v_add_f32_e32 v34, 1.0, v39
	v_add_f32_e32 v34, v38, v34
	v_frexp_mant_f32_e32 v38, v37
	s_mov_b32 s10, 0x3f2aaaab
	v_cmp_gt_f32_e32 vcc, s10, v38
	s_mov_b32 s10, 0x3f317218
	s_mov_b32 s9, 0x7f800000
	v_subbrev_co_u32_e32 v33, vcc, 0, v33, vcc
	v_sub_u32_e32 v38, 0, v33
	v_ldexp_f32 v37, v37, v38
	v_ldexp_f32 v34, v34, v38
	v_add_f32_e32 v38, -1.0, v37
	v_add_f32_e32 v41, 1.0, v37
	v_add_f32_e32 v39, 1.0, v38
	v_add_f32_e32 v42, -1.0, v41
	v_sub_f32_e32 v39, v37, v39
	v_sub_f32_e32 v37, v37, v42
	v_add_f32_e32 v39, v34, v39
	v_add_f32_e32 v34, v34, v37
	;; [unrolled: 1-line block ×3, first 2 shown]
	v_rcp_f32_e32 v42, v37
	v_add_f32_e32 v40, v38, v39
	v_sub_f32_e32 v38, v38, v40
	v_add_f32_e32 v38, v39, v38
	v_sub_f32_e32 v39, v41, v37
	v_add_f32_e32 v34, v34, v39
	v_mul_f32_e32 v39, v40, v42
	v_mul_f32_e32 v41, v37, v39
	v_fma_f32 v43, v39, v37, -v41
	v_fmac_f32_e32 v43, v39, v34
	v_add_f32_e32 v44, v41, v43
	v_sub_f32_e32 v45, v40, v44
	v_sub_f32_e32 v40, v40, v45
	;; [unrolled: 1-line block ×4, first 2 shown]
	v_add_f32_e32 v38, v38, v40
	v_sub_f32_e32 v40, v41, v43
	v_add_f32_e32 v38, v40, v38
	v_add_f32_e32 v40, v45, v38
	v_mul_f32_e32 v41, v42, v40
	v_mul_f32_e32 v43, v37, v41
	v_fma_f32 v37, v41, v37, -v43
	v_fmac_f32_e32 v37, v41, v34
	v_sub_f32_e32 v34, v45, v40
	v_add_f32_e32 v34, v38, v34
	v_add_f32_e32 v38, v43, v37
	v_sub_f32_e32 v44, v40, v38
	v_sub_f32_e32 v40, v40, v44
	v_sub_f32_e32 v43, v38, v43
	v_sub_f32_e32 v38, v40, v38
	v_add_f32_e32 v34, v34, v38
	v_sub_f32_e32 v37, v43, v37
	v_add_f32_e32 v34, v37, v34
	v_add_f32_e32 v37, v39, v41
	;; [unrolled: 1-line block ×3, first 2 shown]
	v_sub_f32_e32 v38, v37, v39
	v_mul_f32_e32 v34, v42, v34
	v_sub_f32_e32 v38, v41, v38
	v_add_f32_e32 v34, v38, v34
	v_cvt_f32_i32_e32 v33, v33
	v_add_f32_e32 v38, v37, v34
	v_mul_f32_e32 v39, v38, v38
	v_mov_b32_e32 v40, 0x3ecc95a3
	v_fmac_f32_e32 v40, 0x3e9b6dac, v39
	v_mov_b32_e32 v41, 0x3f2aaada
	v_fmac_f32_e32 v41, v39, v40
	v_mul_f32_e32 v40, 0x3f317218, v33
	v_fma_f32 v42, v33, s10, -v40
	v_fmac_f32_e32 v42, 0xb102e308, v33
	v_sub_f32_e32 v33, v38, v37
	v_sub_f32_e32 v33, v34, v33
	v_add_f32_e32 v34, v40, v42
	v_sub_f32_e32 v37, v34, v40
	v_ldexp_f32 v40, v38, 1
	v_mul_f32_e32 v38, v38, v39
	v_mul_f32_e32 v38, v38, v41
	v_add_f32_e32 v39, v40, v38
	v_sub_f32_e32 v40, v39, v40
	v_ldexp_f32 v33, v33, 1
	v_sub_f32_e32 v38, v38, v40
	v_add_f32_e32 v33, v33, v38
	v_add_f32_e32 v38, v39, v33
	v_sub_f32_e32 v39, v38, v39
	v_sub_f32_e32 v33, v33, v39
	v_add_f32_e32 v39, v34, v38
	v_sub_f32_e32 v40, v39, v34
	v_sub_f32_e32 v41, v39, v40
	;; [unrolled: 1-line block ×5, first 2 shown]
	v_add_f32_e32 v34, v38, v34
	v_add_f32_e32 v38, v37, v33
	v_sub_f32_e32 v40, v38, v37
	v_sub_f32_e32 v41, v38, v40
	;; [unrolled: 1-line block ×4, first 2 shown]
	v_add_f32_e32 v34, v38, v34
	v_add_f32_e32 v33, v33, v37
	;; [unrolled: 1-line block ×3, first 2 shown]
	v_sub_f32_e32 v38, v37, v39
	v_sub_f32_e32 v34, v34, v38
	v_add_f32_e32 v33, v33, v34
	v_add_f32_e32 v33, v37, v33
	v_cmp_neq_f32_e32 vcc, s9, v36
	s_mov_b32 s9, 0x33800000
	v_cndmask_b32_e32 v33, v35, v33, vcc
	v_cmp_lt_f32_e64 vcc, |v36|, s9
	v_cndmask_b32_e32 v33, v33, v36, vcc
	v_add_f32_e32 v32, v32, v33
	v_cvt_f16_f32_e32 v34, v32
	v_cvt_f32_f16_e32 v33, v34
.LBB410_97:
	s_or_b64 exec, exec, s[2:3]
	ds_read_u16 v32, v8 offset:4
	v_max_f32_e32 v35, v33, v33
	v_cmp_u_f16_e32 vcc, v34, v34
	s_waitcnt lgkmcnt(0)
	v_cvt_f32_f16_e32 v36, v32
	v_min_f32_e32 v37, v35, v36
	v_max_f32_e32 v35, v35, v36
	v_cndmask_b32_e32 v37, v37, v33, vcc
	v_cndmask_b32_e32 v38, v35, v33, vcc
	v_cmp_u_f16_e32 vcc, v32, v32
	v_cndmask_b32_e32 v35, v37, v36, vcc
	v_cndmask_b32_e32 v32, v38, v36, vcc
	v_cmp_neq_f32_e32 vcc, v35, v32
	v_cmp_class_f32_e64 s[2:3], v35, s8
	s_or_b64 s[8:9], vcc, s[2:3]
	s_and_saveexec_b64 s[2:3], s[8:9]
	s_cbranch_execz .LBB410_99
; %bb.98:
	v_sub_f32_e32 v33, v35, v32
	s_mov_b32 s8, 0x3fb8aa3b
	v_mul_f32_e32 v34, 0x3fb8aa3b, v33
	v_fma_f32 v35, v33, s8, -v34
	v_rndne_f32_e32 v36, v34
	v_fmac_f32_e32 v35, 0x32a5705f, v33
	v_sub_f32_e32 v34, v34, v36
	v_add_f32_e32 v34, v34, v35
	v_exp_f32_e32 v34, v34
	v_cvt_i32_f32_e32 v35, v36
	s_mov_b32 s8, 0xc2ce8ed0
	v_cmp_ngt_f32_e32 vcc, s8, v33
	s_mov_b32 s8, 0x42b17218
	v_ldexp_f32 v34, v34, v35
	v_cndmask_b32_e32 v34, 0, v34, vcc
	v_mov_b32_e32 v35, 0x7f800000
	v_cmp_nlt_f32_e32 vcc, s8, v33
	v_cndmask_b32_e32 v36, v35, v34, vcc
	v_add_f32_e32 v37, 1.0, v36
	v_cvt_f64_f32_e32 v[33:34], v37
	v_add_f32_e32 v38, -1.0, v37
	v_sub_f32_e32 v39, v38, v37
	v_sub_f32_e32 v38, v36, v38
	v_frexp_exp_i32_f64_e32 v33, v[33:34]
	v_add_f32_e32 v34, 1.0, v39
	v_add_f32_e32 v34, v38, v34
	v_frexp_mant_f32_e32 v38, v37
	s_mov_b32 s9, 0x3f2aaaab
	v_cmp_gt_f32_e32 vcc, s9, v38
	s_mov_b32 s9, 0x3f317218
	s_mov_b32 s8, 0x7f800000
	v_subbrev_co_u32_e32 v33, vcc, 0, v33, vcc
	v_sub_u32_e32 v38, 0, v33
	v_ldexp_f32 v37, v37, v38
	v_ldexp_f32 v34, v34, v38
	v_add_f32_e32 v38, -1.0, v37
	v_add_f32_e32 v41, 1.0, v37
	v_add_f32_e32 v39, 1.0, v38
	v_add_f32_e32 v42, -1.0, v41
	v_sub_f32_e32 v39, v37, v39
	v_sub_f32_e32 v37, v37, v42
	v_add_f32_e32 v39, v34, v39
	v_add_f32_e32 v34, v34, v37
	;; [unrolled: 1-line block ×3, first 2 shown]
	v_rcp_f32_e32 v42, v37
	v_add_f32_e32 v40, v38, v39
	v_sub_f32_e32 v38, v38, v40
	v_add_f32_e32 v38, v39, v38
	v_sub_f32_e32 v39, v41, v37
	v_add_f32_e32 v34, v34, v39
	v_mul_f32_e32 v39, v40, v42
	v_mul_f32_e32 v41, v37, v39
	v_fma_f32 v43, v39, v37, -v41
	v_fmac_f32_e32 v43, v39, v34
	v_add_f32_e32 v44, v41, v43
	v_sub_f32_e32 v45, v40, v44
	v_sub_f32_e32 v40, v40, v45
	v_sub_f32_e32 v41, v44, v41
	v_sub_f32_e32 v40, v40, v44
	v_add_f32_e32 v38, v38, v40
	v_sub_f32_e32 v40, v41, v43
	v_add_f32_e32 v38, v40, v38
	v_add_f32_e32 v40, v45, v38
	v_mul_f32_e32 v41, v42, v40
	v_mul_f32_e32 v43, v37, v41
	v_fma_f32 v37, v41, v37, -v43
	v_fmac_f32_e32 v37, v41, v34
	v_sub_f32_e32 v34, v45, v40
	v_add_f32_e32 v34, v38, v34
	v_add_f32_e32 v38, v43, v37
	v_sub_f32_e32 v44, v40, v38
	v_sub_f32_e32 v40, v40, v44
	;; [unrolled: 1-line block ×4, first 2 shown]
	v_add_f32_e32 v34, v34, v38
	v_sub_f32_e32 v37, v43, v37
	v_add_f32_e32 v34, v37, v34
	v_add_f32_e32 v37, v39, v41
	v_add_f32_e32 v34, v44, v34
	v_sub_f32_e32 v38, v37, v39
	v_mul_f32_e32 v34, v42, v34
	v_sub_f32_e32 v38, v41, v38
	v_add_f32_e32 v34, v38, v34
	v_cvt_f32_i32_e32 v33, v33
	v_add_f32_e32 v38, v37, v34
	v_mul_f32_e32 v39, v38, v38
	v_mov_b32_e32 v40, 0x3ecc95a3
	v_fmac_f32_e32 v40, 0x3e9b6dac, v39
	v_mov_b32_e32 v41, 0x3f2aaada
	v_fmac_f32_e32 v41, v39, v40
	v_mul_f32_e32 v40, 0x3f317218, v33
	v_fma_f32 v42, v33, s9, -v40
	v_fmac_f32_e32 v42, 0xb102e308, v33
	v_sub_f32_e32 v33, v38, v37
	v_sub_f32_e32 v33, v34, v33
	v_add_f32_e32 v34, v40, v42
	v_sub_f32_e32 v37, v34, v40
	v_ldexp_f32 v40, v38, 1
	v_mul_f32_e32 v38, v38, v39
	v_mul_f32_e32 v38, v38, v41
	v_add_f32_e32 v39, v40, v38
	v_sub_f32_e32 v40, v39, v40
	v_ldexp_f32 v33, v33, 1
	v_sub_f32_e32 v38, v38, v40
	v_add_f32_e32 v33, v33, v38
	v_add_f32_e32 v38, v39, v33
	v_sub_f32_e32 v39, v38, v39
	v_sub_f32_e32 v33, v33, v39
	v_add_f32_e32 v39, v34, v38
	v_sub_f32_e32 v40, v39, v34
	v_sub_f32_e32 v41, v39, v40
	;; [unrolled: 1-line block ×5, first 2 shown]
	v_add_f32_e32 v34, v38, v34
	v_add_f32_e32 v38, v37, v33
	v_sub_f32_e32 v40, v38, v37
	v_sub_f32_e32 v41, v38, v40
	;; [unrolled: 1-line block ×4, first 2 shown]
	v_add_f32_e32 v34, v38, v34
	v_add_f32_e32 v33, v33, v37
	;; [unrolled: 1-line block ×3, first 2 shown]
	v_sub_f32_e32 v38, v37, v39
	v_sub_f32_e32 v34, v34, v38
	v_add_f32_e32 v33, v33, v34
	v_add_f32_e32 v33, v37, v33
	v_cmp_neq_f32_e32 vcc, s8, v36
	s_mov_b32 s8, 0x33800000
	v_cndmask_b32_e32 v33, v35, v33, vcc
	v_cmp_lt_f32_e64 vcc, |v36|, s8
	v_cndmask_b32_e32 v33, v33, v36, vcc
	v_add_f32_e32 v32, v32, v33
	v_cvt_f16_f32_e32 v34, v32
	v_cvt_f32_f16_e32 v33, v34
.LBB410_99:
	s_or_b64 exec, exec, s[2:3]
	ds_read_u16 v32, v8 offset:6
	v_max_f32_e32 v36, v33, v33
	v_cmp_u_f16_e32 vcc, v34, v34
	s_movk_i32 s2, 0x1f8
	s_waitcnt lgkmcnt(0)
	v_cvt_f32_f16_e32 v35, v32
	v_min_f32_e32 v37, v36, v35
	v_max_f32_e32 v36, v36, v35
	v_cndmask_b32_e32 v37, v37, v33, vcc
	v_cndmask_b32_e32 v36, v36, v33, vcc
	v_cmp_u_f16_e32 vcc, v32, v32
	v_cndmask_b32_e32 v33, v37, v35, vcc
	v_cndmask_b32_e32 v32, v36, v35, vcc
	v_cmp_neq_f32_e32 vcc, v33, v32
	v_cmp_class_f32_e64 s[2:3], v33, s2
	s_or_b64 s[8:9], vcc, s[2:3]
	s_and_saveexec_b64 s[2:3], s[8:9]
	s_cbranch_execz .LBB410_101
; %bb.100:
	v_sub_f32_e32 v33, v33, v32
	s_mov_b32 s8, 0x3fb8aa3b
	v_mul_f32_e32 v34, 0x3fb8aa3b, v33
	v_fma_f32 v35, v33, s8, -v34
	v_rndne_f32_e32 v36, v34
	v_fmac_f32_e32 v35, 0x32a5705f, v33
	v_sub_f32_e32 v34, v34, v36
	v_add_f32_e32 v34, v34, v35
	v_exp_f32_e32 v34, v34
	v_cvt_i32_f32_e32 v35, v36
	s_mov_b32 s8, 0xc2ce8ed0
	v_cmp_ngt_f32_e32 vcc, s8, v33
	s_mov_b32 s8, 0x42b17218
	v_ldexp_f32 v34, v34, v35
	v_cndmask_b32_e32 v34, 0, v34, vcc
	v_mov_b32_e32 v35, 0x7f800000
	v_cmp_nlt_f32_e32 vcc, s8, v33
	v_cndmask_b32_e32 v36, v35, v34, vcc
	v_add_f32_e32 v37, 1.0, v36
	v_cvt_f64_f32_e32 v[33:34], v37
	v_add_f32_e32 v38, -1.0, v37
	v_sub_f32_e32 v39, v38, v37
	v_sub_f32_e32 v38, v36, v38
	v_frexp_exp_i32_f64_e32 v33, v[33:34]
	v_add_f32_e32 v34, 1.0, v39
	v_add_f32_e32 v34, v38, v34
	v_frexp_mant_f32_e32 v38, v37
	s_mov_b32 s9, 0x3f2aaaab
	v_cmp_gt_f32_e32 vcc, s9, v38
	s_mov_b32 s9, 0x3f317218
	s_mov_b32 s8, 0x7f800000
	v_subbrev_co_u32_e32 v33, vcc, 0, v33, vcc
	v_sub_u32_e32 v38, 0, v33
	v_ldexp_f32 v37, v37, v38
	v_ldexp_f32 v34, v34, v38
	v_add_f32_e32 v38, -1.0, v37
	v_add_f32_e32 v41, 1.0, v37
	v_add_f32_e32 v39, 1.0, v38
	v_add_f32_e32 v42, -1.0, v41
	v_sub_f32_e32 v39, v37, v39
	v_sub_f32_e32 v37, v37, v42
	v_add_f32_e32 v39, v34, v39
	v_add_f32_e32 v34, v34, v37
	;; [unrolled: 1-line block ×3, first 2 shown]
	v_rcp_f32_e32 v42, v37
	v_add_f32_e32 v40, v38, v39
	v_sub_f32_e32 v38, v38, v40
	v_add_f32_e32 v38, v39, v38
	v_sub_f32_e32 v39, v41, v37
	v_add_f32_e32 v34, v34, v39
	v_mul_f32_e32 v39, v40, v42
	v_mul_f32_e32 v41, v37, v39
	v_fma_f32 v43, v39, v37, -v41
	v_fmac_f32_e32 v43, v39, v34
	v_add_f32_e32 v44, v41, v43
	v_sub_f32_e32 v45, v40, v44
	v_sub_f32_e32 v40, v40, v45
	;; [unrolled: 1-line block ×4, first 2 shown]
	v_add_f32_e32 v38, v38, v40
	v_sub_f32_e32 v40, v41, v43
	v_add_f32_e32 v38, v40, v38
	v_add_f32_e32 v40, v45, v38
	v_mul_f32_e32 v41, v42, v40
	v_mul_f32_e32 v43, v37, v41
	v_fma_f32 v37, v41, v37, -v43
	v_fmac_f32_e32 v37, v41, v34
	v_sub_f32_e32 v34, v45, v40
	v_add_f32_e32 v34, v38, v34
	v_add_f32_e32 v38, v43, v37
	v_sub_f32_e32 v44, v40, v38
	v_sub_f32_e32 v40, v40, v44
	;; [unrolled: 1-line block ×4, first 2 shown]
	v_add_f32_e32 v34, v34, v38
	v_sub_f32_e32 v37, v43, v37
	v_add_f32_e32 v34, v37, v34
	v_add_f32_e32 v37, v39, v41
	;; [unrolled: 1-line block ×3, first 2 shown]
	v_sub_f32_e32 v38, v37, v39
	v_mul_f32_e32 v34, v42, v34
	v_sub_f32_e32 v38, v41, v38
	v_add_f32_e32 v34, v38, v34
	v_cvt_f32_i32_e32 v33, v33
	v_add_f32_e32 v38, v37, v34
	v_mul_f32_e32 v39, v38, v38
	v_mov_b32_e32 v40, 0x3ecc95a3
	v_fmac_f32_e32 v40, 0x3e9b6dac, v39
	v_mov_b32_e32 v41, 0x3f2aaada
	v_fmac_f32_e32 v41, v39, v40
	v_mul_f32_e32 v40, 0x3f317218, v33
	v_fma_f32 v42, v33, s9, -v40
	v_fmac_f32_e32 v42, 0xb102e308, v33
	v_sub_f32_e32 v33, v38, v37
	v_sub_f32_e32 v33, v34, v33
	v_add_f32_e32 v34, v40, v42
	v_sub_f32_e32 v37, v34, v40
	v_ldexp_f32 v40, v38, 1
	v_mul_f32_e32 v38, v38, v39
	v_mul_f32_e32 v38, v38, v41
	v_add_f32_e32 v39, v40, v38
	v_sub_f32_e32 v40, v39, v40
	v_ldexp_f32 v33, v33, 1
	v_sub_f32_e32 v38, v38, v40
	v_add_f32_e32 v33, v33, v38
	v_add_f32_e32 v38, v39, v33
	v_sub_f32_e32 v39, v38, v39
	v_sub_f32_e32 v33, v33, v39
	v_add_f32_e32 v39, v34, v38
	v_sub_f32_e32 v40, v39, v34
	v_sub_f32_e32 v41, v39, v40
	;; [unrolled: 1-line block ×5, first 2 shown]
	v_add_f32_e32 v34, v38, v34
	v_add_f32_e32 v38, v37, v33
	v_sub_f32_e32 v40, v38, v37
	v_sub_f32_e32 v41, v38, v40
	;; [unrolled: 1-line block ×4, first 2 shown]
	v_add_f32_e32 v34, v38, v34
	v_add_f32_e32 v33, v33, v37
	;; [unrolled: 1-line block ×3, first 2 shown]
	v_sub_f32_e32 v38, v37, v39
	v_sub_f32_e32 v34, v34, v38
	v_add_f32_e32 v33, v33, v34
	v_add_f32_e32 v33, v37, v33
	v_cmp_neq_f32_e32 vcc, s8, v36
	s_mov_b32 s8, 0x33800000
	v_cndmask_b32_e32 v33, v35, v33, vcc
	v_cmp_lt_f32_e64 vcc, |v36|, s8
	v_cndmask_b32_e32 v33, v33, v36, vcc
	v_add_f32_e32 v32, v32, v33
	v_cvt_f16_f32_e32 v34, v32
.LBB410_101:
	s_or_b64 exec, exec, s[2:3]
	v_mbcnt_lo_u32_b32 v32, -1, 0
	v_mbcnt_hi_u32_b32 v32, -1, v32
	v_and_b32_e32 v33, 15, v32
	v_and_b32_e32 v35, 0xffff, v34
	v_cmp_ne_u32_e32 vcc, 0, v33
	s_nop 0
	v_mov_b32_dpp v36, v35 row_shr:1 row_mask:0xf bank_mask:0xf
	s_and_saveexec_b64 s[2:3], vcc
	s_xor_b64 s[8:9], exec, s[2:3]
	s_cbranch_execz .LBB410_105
; %bb.102:
	v_cvt_f32_f16_e32 v37, v36
	v_cvt_f32_f16_e32 v38, v34
	v_cmp_u_f16_e64 s[2:3], v36, v36
	v_cmp_u_f16_e32 vcc, v34, v34
	v_min_f32_e32 v35, v37, v38
	v_max_f32_e32 v34, v37, v38
	v_cndmask_b32_e64 v35, v35, v37, s[2:3]
	v_cndmask_b32_e64 v34, v34, v37, s[2:3]
	v_cndmask_b32_e32 v35, v35, v38, vcc
	v_cndmask_b32_e32 v34, v34, v38, vcc
	s_movk_i32 s2, 0x1f8
	v_cmp_neq_f32_e32 vcc, v35, v34
	v_cmp_class_f32_e64 s[2:3], v35, s2
	s_or_b64 vcc, vcc, s[2:3]
	s_and_saveexec_b64 s[2:3], vcc
	s_cbranch_execz .LBB410_104
; %bb.103:
	v_sub_f32_e32 v35, v35, v34
	s_mov_b32 s33, 0x3fb8aa3b
	v_mul_f32_e32 v36, 0x3fb8aa3b, v35
	v_fma_f32 v37, v35, s33, -v36
	v_rndne_f32_e32 v38, v36
	v_fmac_f32_e32 v37, 0x32a5705f, v35
	v_sub_f32_e32 v36, v36, v38
	v_add_f32_e32 v36, v36, v37
	v_exp_f32_e32 v36, v36
	v_cvt_i32_f32_e32 v37, v38
	s_mov_b32 s33, 0xc2ce8ed0
	v_cmp_ngt_f32_e32 vcc, s33, v35
	s_mov_b32 s33, 0x42b17218
	v_ldexp_f32 v36, v36, v37
	v_cndmask_b32_e32 v36, 0, v36, vcc
	v_mov_b32_e32 v37, 0x7f800000
	v_cmp_nlt_f32_e32 vcc, s33, v35
	v_cndmask_b32_e32 v38, v37, v36, vcc
	v_add_f32_e32 v39, 1.0, v38
	v_cvt_f64_f32_e32 v[35:36], v39
	v_add_f32_e32 v40, -1.0, v39
	v_sub_f32_e32 v41, v40, v39
	v_sub_f32_e32 v40, v38, v40
	v_frexp_exp_i32_f64_e32 v35, v[35:36]
	v_add_f32_e32 v36, 1.0, v41
	v_add_f32_e32 v36, v40, v36
	v_frexp_mant_f32_e32 v40, v39
	s_mov_b32 s10, 0x3f2aaaab
	v_cmp_gt_f32_e32 vcc, s10, v40
	s_mov_b32 s10, 0x3f317218
	s_mov_b32 s33, 0x7f800000
	v_subbrev_co_u32_e32 v35, vcc, 0, v35, vcc
	v_sub_u32_e32 v40, 0, v35
	v_ldexp_f32 v39, v39, v40
	v_ldexp_f32 v36, v36, v40
	v_add_f32_e32 v40, -1.0, v39
	v_add_f32_e32 v43, 1.0, v39
	v_add_f32_e32 v41, 1.0, v40
	v_add_f32_e32 v44, -1.0, v43
	v_sub_f32_e32 v41, v39, v41
	v_sub_f32_e32 v39, v39, v44
	v_add_f32_e32 v41, v36, v41
	v_add_f32_e32 v36, v36, v39
	;; [unrolled: 1-line block ×3, first 2 shown]
	v_rcp_f32_e32 v44, v39
	v_add_f32_e32 v42, v40, v41
	v_sub_f32_e32 v40, v40, v42
	v_add_f32_e32 v40, v41, v40
	v_sub_f32_e32 v41, v43, v39
	v_add_f32_e32 v36, v36, v41
	v_mul_f32_e32 v41, v42, v44
	v_mul_f32_e32 v43, v39, v41
	v_fma_f32 v45, v41, v39, -v43
	v_fmac_f32_e32 v45, v41, v36
	v_add_f32_e32 v46, v43, v45
	v_sub_f32_e32 v47, v42, v46
	v_sub_f32_e32 v42, v42, v47
	v_sub_f32_e32 v43, v46, v43
	v_sub_f32_e32 v42, v42, v46
	v_add_f32_e32 v40, v40, v42
	v_sub_f32_e32 v42, v43, v45
	v_add_f32_e32 v40, v42, v40
	v_add_f32_e32 v42, v47, v40
	v_mul_f32_e32 v43, v44, v42
	v_mul_f32_e32 v45, v39, v43
	v_fma_f32 v39, v43, v39, -v45
	v_fmac_f32_e32 v39, v43, v36
	v_sub_f32_e32 v36, v47, v42
	v_add_f32_e32 v36, v40, v36
	v_add_f32_e32 v40, v45, v39
	v_sub_f32_e32 v46, v42, v40
	v_sub_f32_e32 v42, v42, v46
	;; [unrolled: 1-line block ×4, first 2 shown]
	v_add_f32_e32 v36, v36, v40
	v_sub_f32_e32 v39, v45, v39
	v_add_f32_e32 v36, v39, v36
	v_add_f32_e32 v39, v41, v43
	;; [unrolled: 1-line block ×3, first 2 shown]
	v_sub_f32_e32 v40, v39, v41
	v_mul_f32_e32 v36, v44, v36
	v_sub_f32_e32 v40, v43, v40
	v_add_f32_e32 v36, v40, v36
	v_cvt_f32_i32_e32 v35, v35
	v_add_f32_e32 v40, v39, v36
	v_mul_f32_e32 v41, v40, v40
	v_mov_b32_e32 v42, 0x3ecc95a3
	v_fmac_f32_e32 v42, 0x3e9b6dac, v41
	v_mov_b32_e32 v43, 0x3f2aaada
	v_fmac_f32_e32 v43, v41, v42
	v_mul_f32_e32 v42, 0x3f317218, v35
	v_fma_f32 v44, v35, s10, -v42
	v_fmac_f32_e32 v44, 0xb102e308, v35
	v_sub_f32_e32 v35, v40, v39
	v_sub_f32_e32 v35, v36, v35
	v_add_f32_e32 v36, v42, v44
	v_sub_f32_e32 v39, v36, v42
	v_ldexp_f32 v42, v40, 1
	v_mul_f32_e32 v40, v40, v41
	v_mul_f32_e32 v40, v40, v43
	v_add_f32_e32 v41, v42, v40
	v_sub_f32_e32 v42, v41, v42
	v_ldexp_f32 v35, v35, 1
	v_sub_f32_e32 v40, v40, v42
	v_add_f32_e32 v35, v35, v40
	v_add_f32_e32 v40, v41, v35
	v_sub_f32_e32 v41, v40, v41
	v_sub_f32_e32 v35, v35, v41
	v_add_f32_e32 v41, v36, v40
	v_sub_f32_e32 v42, v41, v36
	v_sub_f32_e32 v43, v41, v42
	;; [unrolled: 1-line block ×5, first 2 shown]
	v_add_f32_e32 v36, v40, v36
	v_add_f32_e32 v40, v39, v35
	v_sub_f32_e32 v42, v40, v39
	v_sub_f32_e32 v43, v40, v42
	;; [unrolled: 1-line block ×4, first 2 shown]
	v_add_f32_e32 v36, v40, v36
	v_add_f32_e32 v35, v35, v39
	;; [unrolled: 1-line block ×3, first 2 shown]
	v_sub_f32_e32 v40, v39, v41
	v_sub_f32_e32 v36, v36, v40
	v_add_f32_e32 v35, v35, v36
	v_add_f32_e32 v35, v39, v35
	v_cmp_neq_f32_e32 vcc, s33, v38
	s_mov_b32 s10, 0x33800000
	v_cndmask_b32_e32 v35, v37, v35, vcc
	v_cmp_lt_f32_e64 vcc, |v38|, s10
	v_cndmask_b32_e32 v35, v35, v38, vcc
	v_add_f32_e32 v34, v34, v35
	v_cvt_f16_f32_e32 v36, v34
.LBB410_104:
	s_or_b64 exec, exec, s[2:3]
	v_and_b32_e32 v35, 0xffff, v36
	v_mov_b32_e32 v34, v36
.LBB410_105:
	s_or_b64 exec, exec, s[8:9]
	v_mov_b32_dpp v36, v35 row_shr:2 row_mask:0xf bank_mask:0xf
	v_cmp_lt_u32_e32 vcc, 1, v33
	s_and_saveexec_b64 s[8:9], vcc
	s_cbranch_execz .LBB410_109
; %bb.106:
	v_cvt_f32_f16_e32 v37, v36
	v_cvt_f32_f16_e32 v38, v34
	v_cmp_u_f16_e32 vcc, v36, v36
	v_cmp_u_f16_e64 s[2:3], v34, v34
	v_min_f32_e32 v35, v37, v38
	v_max_f32_e32 v34, v37, v38
	v_cndmask_b32_e32 v35, v35, v37, vcc
	v_cndmask_b32_e32 v34, v34, v37, vcc
	v_cndmask_b32_e64 v35, v35, v38, s[2:3]
	v_cndmask_b32_e64 v34, v34, v38, s[2:3]
	s_movk_i32 s2, 0x1f8
	v_cmp_neq_f32_e32 vcc, v35, v34
	v_cmp_class_f32_e64 s[2:3], v35, s2
	s_or_b64 vcc, vcc, s[2:3]
	s_and_saveexec_b64 s[2:3], vcc
	s_cbranch_execz .LBB410_108
; %bb.107:
	v_sub_f32_e32 v35, v35, v34
	s_mov_b32 s10, 0x3fb8aa3b
	v_mul_f32_e32 v36, 0x3fb8aa3b, v35
	v_fma_f32 v37, v35, s10, -v36
	v_rndne_f32_e32 v38, v36
	v_fmac_f32_e32 v37, 0x32a5705f, v35
	v_sub_f32_e32 v36, v36, v38
	v_add_f32_e32 v36, v36, v37
	v_exp_f32_e32 v36, v36
	v_cvt_i32_f32_e32 v37, v38
	s_mov_b32 s10, 0xc2ce8ed0
	v_cmp_ngt_f32_e32 vcc, s10, v35
	s_mov_b32 s10, 0x42b17218
	v_ldexp_f32 v36, v36, v37
	v_cndmask_b32_e32 v36, 0, v36, vcc
	v_mov_b32_e32 v37, 0x7f800000
	v_cmp_nlt_f32_e32 vcc, s10, v35
	v_cndmask_b32_e32 v38, v37, v36, vcc
	v_add_f32_e32 v39, 1.0, v38
	v_cvt_f64_f32_e32 v[35:36], v39
	v_add_f32_e32 v40, -1.0, v39
	v_sub_f32_e32 v41, v40, v39
	v_sub_f32_e32 v40, v38, v40
	v_frexp_exp_i32_f64_e32 v35, v[35:36]
	v_add_f32_e32 v36, 1.0, v41
	v_add_f32_e32 v36, v40, v36
	v_frexp_mant_f32_e32 v40, v39
	s_mov_b32 s11, 0x3f2aaaab
	v_cmp_gt_f32_e32 vcc, s11, v40
	s_mov_b32 s11, 0x3f317218
	s_mov_b32 s10, 0x7f800000
	v_subbrev_co_u32_e32 v35, vcc, 0, v35, vcc
	v_sub_u32_e32 v40, 0, v35
	v_ldexp_f32 v39, v39, v40
	v_ldexp_f32 v36, v36, v40
	v_add_f32_e32 v40, -1.0, v39
	v_add_f32_e32 v43, 1.0, v39
	v_add_f32_e32 v41, 1.0, v40
	v_add_f32_e32 v44, -1.0, v43
	v_sub_f32_e32 v41, v39, v41
	v_sub_f32_e32 v39, v39, v44
	v_add_f32_e32 v41, v36, v41
	v_add_f32_e32 v36, v36, v39
	;; [unrolled: 1-line block ×3, first 2 shown]
	v_rcp_f32_e32 v44, v39
	v_add_f32_e32 v42, v40, v41
	v_sub_f32_e32 v40, v40, v42
	v_add_f32_e32 v40, v41, v40
	v_sub_f32_e32 v41, v43, v39
	v_add_f32_e32 v36, v36, v41
	v_mul_f32_e32 v41, v42, v44
	v_mul_f32_e32 v43, v39, v41
	v_fma_f32 v45, v41, v39, -v43
	v_fmac_f32_e32 v45, v41, v36
	v_add_f32_e32 v46, v43, v45
	v_sub_f32_e32 v47, v42, v46
	v_sub_f32_e32 v42, v42, v47
	;; [unrolled: 1-line block ×4, first 2 shown]
	v_add_f32_e32 v40, v40, v42
	v_sub_f32_e32 v42, v43, v45
	v_add_f32_e32 v40, v42, v40
	v_add_f32_e32 v42, v47, v40
	v_mul_f32_e32 v43, v44, v42
	v_mul_f32_e32 v45, v39, v43
	v_fma_f32 v39, v43, v39, -v45
	v_fmac_f32_e32 v39, v43, v36
	v_sub_f32_e32 v36, v47, v42
	v_add_f32_e32 v36, v40, v36
	v_add_f32_e32 v40, v45, v39
	v_sub_f32_e32 v46, v42, v40
	v_sub_f32_e32 v42, v42, v46
	;; [unrolled: 1-line block ×4, first 2 shown]
	v_add_f32_e32 v36, v36, v40
	v_sub_f32_e32 v39, v45, v39
	v_add_f32_e32 v36, v39, v36
	v_add_f32_e32 v39, v41, v43
	;; [unrolled: 1-line block ×3, first 2 shown]
	v_sub_f32_e32 v40, v39, v41
	v_mul_f32_e32 v36, v44, v36
	v_sub_f32_e32 v40, v43, v40
	v_add_f32_e32 v36, v40, v36
	v_cvt_f32_i32_e32 v35, v35
	v_add_f32_e32 v40, v39, v36
	v_mul_f32_e32 v41, v40, v40
	v_mov_b32_e32 v42, 0x3ecc95a3
	v_fmac_f32_e32 v42, 0x3e9b6dac, v41
	v_mov_b32_e32 v43, 0x3f2aaada
	v_fmac_f32_e32 v43, v41, v42
	v_mul_f32_e32 v42, 0x3f317218, v35
	v_fma_f32 v44, v35, s11, -v42
	v_fmac_f32_e32 v44, 0xb102e308, v35
	v_sub_f32_e32 v35, v40, v39
	v_sub_f32_e32 v35, v36, v35
	v_add_f32_e32 v36, v42, v44
	v_sub_f32_e32 v39, v36, v42
	v_ldexp_f32 v42, v40, 1
	v_mul_f32_e32 v40, v40, v41
	v_mul_f32_e32 v40, v40, v43
	v_add_f32_e32 v41, v42, v40
	v_sub_f32_e32 v42, v41, v42
	v_ldexp_f32 v35, v35, 1
	v_sub_f32_e32 v40, v40, v42
	v_add_f32_e32 v35, v35, v40
	v_add_f32_e32 v40, v41, v35
	v_sub_f32_e32 v41, v40, v41
	v_sub_f32_e32 v35, v35, v41
	v_add_f32_e32 v41, v36, v40
	v_sub_f32_e32 v42, v41, v36
	v_sub_f32_e32 v43, v41, v42
	;; [unrolled: 1-line block ×5, first 2 shown]
	v_add_f32_e32 v36, v40, v36
	v_add_f32_e32 v40, v39, v35
	v_sub_f32_e32 v42, v40, v39
	v_sub_f32_e32 v43, v40, v42
	;; [unrolled: 1-line block ×4, first 2 shown]
	v_add_f32_e32 v36, v40, v36
	v_add_f32_e32 v35, v35, v39
	;; [unrolled: 1-line block ×3, first 2 shown]
	v_sub_f32_e32 v40, v39, v41
	v_sub_f32_e32 v36, v36, v40
	v_add_f32_e32 v35, v35, v36
	v_add_f32_e32 v35, v39, v35
	v_cmp_neq_f32_e32 vcc, s10, v38
	s_mov_b32 s10, 0x33800000
	v_cndmask_b32_e32 v35, v37, v35, vcc
	v_cmp_lt_f32_e64 vcc, |v38|, s10
	v_cndmask_b32_e32 v35, v35, v38, vcc
	v_add_f32_e32 v34, v34, v35
	v_cvt_f16_f32_e32 v36, v34
.LBB410_108:
	s_or_b64 exec, exec, s[2:3]
	v_and_b32_e32 v35, 0xffff, v36
	v_mov_b32_e32 v34, v36
.LBB410_109:
	s_or_b64 exec, exec, s[8:9]
	v_mov_b32_dpp v36, v35 row_shr:4 row_mask:0xf bank_mask:0xf
	v_cmp_lt_u32_e32 vcc, 3, v33
	s_and_saveexec_b64 s[8:9], vcc
	s_cbranch_execz .LBB410_113
; %bb.110:
	v_cvt_f32_f16_e32 v37, v36
	v_cvt_f32_f16_e32 v38, v34
	v_cmp_u_f16_e32 vcc, v36, v36
	v_cmp_u_f16_e64 s[2:3], v34, v34
	v_min_f32_e32 v35, v37, v38
	v_max_f32_e32 v34, v37, v38
	v_cndmask_b32_e32 v35, v35, v37, vcc
	v_cndmask_b32_e32 v34, v34, v37, vcc
	v_cndmask_b32_e64 v35, v35, v38, s[2:3]
	v_cndmask_b32_e64 v34, v34, v38, s[2:3]
	s_movk_i32 s2, 0x1f8
	v_cmp_neq_f32_e32 vcc, v35, v34
	v_cmp_class_f32_e64 s[2:3], v35, s2
	s_or_b64 vcc, vcc, s[2:3]
	s_and_saveexec_b64 s[2:3], vcc
	s_cbranch_execz .LBB410_112
; %bb.111:
	v_sub_f32_e32 v35, v35, v34
	s_mov_b32 s10, 0x3fb8aa3b
	v_mul_f32_e32 v36, 0x3fb8aa3b, v35
	v_fma_f32 v37, v35, s10, -v36
	v_rndne_f32_e32 v38, v36
	v_fmac_f32_e32 v37, 0x32a5705f, v35
	v_sub_f32_e32 v36, v36, v38
	v_add_f32_e32 v36, v36, v37
	v_exp_f32_e32 v36, v36
	v_cvt_i32_f32_e32 v37, v38
	s_mov_b32 s10, 0xc2ce8ed0
	v_cmp_ngt_f32_e32 vcc, s10, v35
	s_mov_b32 s10, 0x42b17218
	v_ldexp_f32 v36, v36, v37
	v_cndmask_b32_e32 v36, 0, v36, vcc
	v_mov_b32_e32 v37, 0x7f800000
	v_cmp_nlt_f32_e32 vcc, s10, v35
	v_cndmask_b32_e32 v38, v37, v36, vcc
	v_add_f32_e32 v39, 1.0, v38
	v_cvt_f64_f32_e32 v[35:36], v39
	v_add_f32_e32 v40, -1.0, v39
	v_sub_f32_e32 v41, v40, v39
	v_sub_f32_e32 v40, v38, v40
	v_frexp_exp_i32_f64_e32 v35, v[35:36]
	v_add_f32_e32 v36, 1.0, v41
	v_add_f32_e32 v36, v40, v36
	v_frexp_mant_f32_e32 v40, v39
	s_mov_b32 s11, 0x3f2aaaab
	v_cmp_gt_f32_e32 vcc, s11, v40
	s_mov_b32 s11, 0x3f317218
	s_mov_b32 s10, 0x7f800000
	v_subbrev_co_u32_e32 v35, vcc, 0, v35, vcc
	v_sub_u32_e32 v40, 0, v35
	v_ldexp_f32 v39, v39, v40
	v_ldexp_f32 v36, v36, v40
	v_add_f32_e32 v40, -1.0, v39
	v_add_f32_e32 v43, 1.0, v39
	v_add_f32_e32 v41, 1.0, v40
	v_add_f32_e32 v44, -1.0, v43
	v_sub_f32_e32 v41, v39, v41
	v_sub_f32_e32 v39, v39, v44
	v_add_f32_e32 v41, v36, v41
	v_add_f32_e32 v36, v36, v39
	;; [unrolled: 1-line block ×3, first 2 shown]
	v_rcp_f32_e32 v44, v39
	v_add_f32_e32 v42, v40, v41
	v_sub_f32_e32 v40, v40, v42
	v_add_f32_e32 v40, v41, v40
	v_sub_f32_e32 v41, v43, v39
	v_add_f32_e32 v36, v36, v41
	v_mul_f32_e32 v41, v42, v44
	v_mul_f32_e32 v43, v39, v41
	v_fma_f32 v45, v41, v39, -v43
	v_fmac_f32_e32 v45, v41, v36
	v_add_f32_e32 v46, v43, v45
	v_sub_f32_e32 v47, v42, v46
	v_sub_f32_e32 v42, v42, v47
	;; [unrolled: 1-line block ×4, first 2 shown]
	v_add_f32_e32 v40, v40, v42
	v_sub_f32_e32 v42, v43, v45
	v_add_f32_e32 v40, v42, v40
	v_add_f32_e32 v42, v47, v40
	v_mul_f32_e32 v43, v44, v42
	v_mul_f32_e32 v45, v39, v43
	v_fma_f32 v39, v43, v39, -v45
	v_fmac_f32_e32 v39, v43, v36
	v_sub_f32_e32 v36, v47, v42
	v_add_f32_e32 v36, v40, v36
	v_add_f32_e32 v40, v45, v39
	v_sub_f32_e32 v46, v42, v40
	v_sub_f32_e32 v42, v42, v46
	v_sub_f32_e32 v45, v40, v45
	v_sub_f32_e32 v40, v42, v40
	v_add_f32_e32 v36, v36, v40
	v_sub_f32_e32 v39, v45, v39
	v_add_f32_e32 v36, v39, v36
	v_add_f32_e32 v39, v41, v43
	;; [unrolled: 1-line block ×3, first 2 shown]
	v_sub_f32_e32 v40, v39, v41
	v_mul_f32_e32 v36, v44, v36
	v_sub_f32_e32 v40, v43, v40
	v_add_f32_e32 v36, v40, v36
	v_cvt_f32_i32_e32 v35, v35
	v_add_f32_e32 v40, v39, v36
	v_mul_f32_e32 v41, v40, v40
	v_mov_b32_e32 v42, 0x3ecc95a3
	v_fmac_f32_e32 v42, 0x3e9b6dac, v41
	v_mov_b32_e32 v43, 0x3f2aaada
	v_fmac_f32_e32 v43, v41, v42
	v_mul_f32_e32 v42, 0x3f317218, v35
	v_fma_f32 v44, v35, s11, -v42
	v_fmac_f32_e32 v44, 0xb102e308, v35
	v_sub_f32_e32 v35, v40, v39
	v_sub_f32_e32 v35, v36, v35
	v_add_f32_e32 v36, v42, v44
	v_sub_f32_e32 v39, v36, v42
	v_ldexp_f32 v42, v40, 1
	v_mul_f32_e32 v40, v40, v41
	v_mul_f32_e32 v40, v40, v43
	v_add_f32_e32 v41, v42, v40
	v_sub_f32_e32 v42, v41, v42
	v_ldexp_f32 v35, v35, 1
	v_sub_f32_e32 v40, v40, v42
	v_add_f32_e32 v35, v35, v40
	v_add_f32_e32 v40, v41, v35
	v_sub_f32_e32 v41, v40, v41
	v_sub_f32_e32 v35, v35, v41
	v_add_f32_e32 v41, v36, v40
	v_sub_f32_e32 v42, v41, v36
	v_sub_f32_e32 v43, v41, v42
	;; [unrolled: 1-line block ×5, first 2 shown]
	v_add_f32_e32 v36, v40, v36
	v_add_f32_e32 v40, v39, v35
	v_sub_f32_e32 v42, v40, v39
	v_sub_f32_e32 v43, v40, v42
	;; [unrolled: 1-line block ×4, first 2 shown]
	v_add_f32_e32 v36, v40, v36
	v_add_f32_e32 v35, v35, v39
	;; [unrolled: 1-line block ×3, first 2 shown]
	v_sub_f32_e32 v40, v39, v41
	v_sub_f32_e32 v36, v36, v40
	v_add_f32_e32 v35, v35, v36
	v_add_f32_e32 v35, v39, v35
	v_cmp_neq_f32_e32 vcc, s10, v38
	s_mov_b32 s10, 0x33800000
	v_cndmask_b32_e32 v35, v37, v35, vcc
	v_cmp_lt_f32_e64 vcc, |v38|, s10
	v_cndmask_b32_e32 v35, v35, v38, vcc
	v_add_f32_e32 v34, v34, v35
	v_cvt_f16_f32_e32 v36, v34
.LBB410_112:
	s_or_b64 exec, exec, s[2:3]
	v_and_b32_e32 v35, 0xffff, v36
	v_mov_b32_e32 v34, v36
.LBB410_113:
	s_or_b64 exec, exec, s[8:9]
	v_mov_b32_dpp v36, v35 row_shr:8 row_mask:0xf bank_mask:0xf
	v_cmp_lt_u32_e32 vcc, 7, v33
	s_and_saveexec_b64 s[8:9], vcc
	s_cbranch_execz .LBB410_117
; %bb.114:
	v_cvt_f32_f16_e32 v33, v36
	v_cvt_f32_f16_e32 v35, v34
	v_cmp_u_f16_e32 vcc, v36, v36
	v_cmp_u_f16_e64 s[2:3], v34, v34
	v_min_f32_e32 v37, v33, v35
	v_cndmask_b32_e32 v37, v37, v33, vcc
	v_cndmask_b32_e64 v34, v37, v35, s[2:3]
	v_max_f32_e32 v37, v33, v35
	v_cndmask_b32_e32 v33, v37, v33, vcc
	v_cndmask_b32_e64 v33, v33, v35, s[2:3]
	s_movk_i32 s2, 0x1f8
	v_cmp_neq_f32_e32 vcc, v34, v33
	v_cmp_class_f32_e64 s[2:3], v34, s2
	s_or_b64 vcc, vcc, s[2:3]
	s_and_saveexec_b64 s[2:3], vcc
	s_cbranch_execz .LBB410_116
; %bb.115:
	v_sub_f32_e32 v34, v34, v33
	s_mov_b32 s10, 0x3fb8aa3b
	v_mul_f32_e32 v35, 0x3fb8aa3b, v34
	v_fma_f32 v36, v34, s10, -v35
	v_rndne_f32_e32 v37, v35
	v_fmac_f32_e32 v36, 0x32a5705f, v34
	v_sub_f32_e32 v35, v35, v37
	v_add_f32_e32 v35, v35, v36
	v_exp_f32_e32 v35, v35
	v_cvt_i32_f32_e32 v36, v37
	s_mov_b32 s10, 0xc2ce8ed0
	v_cmp_ngt_f32_e32 vcc, s10, v34
	s_mov_b32 s10, 0x42b17218
	v_ldexp_f32 v35, v35, v36
	v_cndmask_b32_e32 v35, 0, v35, vcc
	v_mov_b32_e32 v36, 0x7f800000
	v_cmp_nlt_f32_e32 vcc, s10, v34
	v_cndmask_b32_e32 v37, v36, v35, vcc
	v_add_f32_e32 v38, 1.0, v37
	v_cvt_f64_f32_e32 v[34:35], v38
	v_add_f32_e32 v39, -1.0, v38
	v_sub_f32_e32 v40, v39, v38
	v_sub_f32_e32 v39, v37, v39
	v_frexp_exp_i32_f64_e32 v34, v[34:35]
	v_add_f32_e32 v35, 1.0, v40
	v_add_f32_e32 v35, v39, v35
	v_frexp_mant_f32_e32 v39, v38
	s_mov_b32 s11, 0x3f2aaaab
	v_cmp_gt_f32_e32 vcc, s11, v39
	s_mov_b32 s11, 0x3f317218
	s_mov_b32 s10, 0x7f800000
	v_subbrev_co_u32_e32 v34, vcc, 0, v34, vcc
	v_sub_u32_e32 v39, 0, v34
	v_ldexp_f32 v38, v38, v39
	v_ldexp_f32 v35, v35, v39
	v_add_f32_e32 v39, -1.0, v38
	v_add_f32_e32 v42, 1.0, v38
	v_add_f32_e32 v40, 1.0, v39
	v_add_f32_e32 v43, -1.0, v42
	v_sub_f32_e32 v40, v38, v40
	v_sub_f32_e32 v38, v38, v43
	v_add_f32_e32 v40, v35, v40
	v_add_f32_e32 v35, v35, v38
	;; [unrolled: 1-line block ×3, first 2 shown]
	v_rcp_f32_e32 v43, v38
	v_add_f32_e32 v41, v39, v40
	v_sub_f32_e32 v39, v39, v41
	v_add_f32_e32 v39, v40, v39
	v_sub_f32_e32 v40, v42, v38
	v_add_f32_e32 v35, v35, v40
	v_mul_f32_e32 v40, v41, v43
	v_mul_f32_e32 v42, v38, v40
	v_fma_f32 v44, v40, v38, -v42
	v_fmac_f32_e32 v44, v40, v35
	v_add_f32_e32 v45, v42, v44
	v_sub_f32_e32 v46, v41, v45
	v_sub_f32_e32 v41, v41, v46
	;; [unrolled: 1-line block ×4, first 2 shown]
	v_add_f32_e32 v39, v39, v41
	v_sub_f32_e32 v41, v42, v44
	v_add_f32_e32 v39, v41, v39
	v_add_f32_e32 v41, v46, v39
	v_mul_f32_e32 v42, v43, v41
	v_mul_f32_e32 v44, v38, v42
	v_fma_f32 v38, v42, v38, -v44
	v_fmac_f32_e32 v38, v42, v35
	v_sub_f32_e32 v35, v46, v41
	v_add_f32_e32 v35, v39, v35
	v_add_f32_e32 v39, v44, v38
	v_sub_f32_e32 v45, v41, v39
	v_sub_f32_e32 v41, v41, v45
	;; [unrolled: 1-line block ×4, first 2 shown]
	v_add_f32_e32 v35, v35, v39
	v_sub_f32_e32 v38, v44, v38
	v_add_f32_e32 v35, v38, v35
	v_add_f32_e32 v38, v40, v42
	;; [unrolled: 1-line block ×3, first 2 shown]
	v_sub_f32_e32 v39, v38, v40
	v_mul_f32_e32 v35, v43, v35
	v_sub_f32_e32 v39, v42, v39
	v_add_f32_e32 v35, v39, v35
	v_cvt_f32_i32_e32 v34, v34
	v_add_f32_e32 v39, v38, v35
	v_mul_f32_e32 v40, v39, v39
	v_mov_b32_e32 v41, 0x3ecc95a3
	v_fmac_f32_e32 v41, 0x3e9b6dac, v40
	v_mov_b32_e32 v42, 0x3f2aaada
	v_fmac_f32_e32 v42, v40, v41
	v_mul_f32_e32 v41, 0x3f317218, v34
	v_fma_f32 v43, v34, s11, -v41
	v_fmac_f32_e32 v43, 0xb102e308, v34
	v_sub_f32_e32 v34, v39, v38
	v_sub_f32_e32 v34, v35, v34
	v_add_f32_e32 v35, v41, v43
	v_sub_f32_e32 v38, v35, v41
	v_ldexp_f32 v41, v39, 1
	v_mul_f32_e32 v39, v39, v40
	v_mul_f32_e32 v39, v39, v42
	v_add_f32_e32 v40, v41, v39
	v_sub_f32_e32 v41, v40, v41
	v_ldexp_f32 v34, v34, 1
	v_sub_f32_e32 v39, v39, v41
	v_add_f32_e32 v34, v34, v39
	v_add_f32_e32 v39, v40, v34
	v_sub_f32_e32 v40, v39, v40
	v_sub_f32_e32 v34, v34, v40
	v_add_f32_e32 v40, v35, v39
	v_sub_f32_e32 v41, v40, v35
	v_sub_f32_e32 v42, v40, v41
	;; [unrolled: 1-line block ×5, first 2 shown]
	v_add_f32_e32 v35, v39, v35
	v_add_f32_e32 v39, v38, v34
	v_sub_f32_e32 v41, v39, v38
	v_sub_f32_e32 v42, v39, v41
	v_sub_f32_e32 v38, v38, v42
	v_sub_f32_e32 v34, v34, v41
	v_add_f32_e32 v35, v39, v35
	v_add_f32_e32 v34, v34, v38
	;; [unrolled: 1-line block ×3, first 2 shown]
	v_sub_f32_e32 v39, v38, v40
	v_sub_f32_e32 v35, v35, v39
	v_add_f32_e32 v34, v34, v35
	v_add_f32_e32 v34, v38, v34
	v_cmp_neq_f32_e32 vcc, s10, v37
	s_mov_b32 s10, 0x33800000
	v_cndmask_b32_e32 v34, v36, v34, vcc
	v_cmp_lt_f32_e64 vcc, |v37|, s10
	v_cndmask_b32_e32 v34, v34, v37, vcc
	v_add_f32_e32 v33, v33, v34
	v_cvt_f16_f32_e32 v36, v33
.LBB410_116:
	s_or_b64 exec, exec, s[2:3]
	v_and_b32_e32 v35, 0xffff, v36
	v_mov_b32_e32 v34, v36
.LBB410_117:
	s_or_b64 exec, exec, s[8:9]
	v_and_b32_e32 v33, 16, v32
	v_mov_b32_dpp v36, v35 row_bcast:15 row_mask:0xf bank_mask:0xf
	v_cmp_ne_u32_e32 vcc, 0, v33
	s_and_saveexec_b64 s[8:9], vcc
	s_cbranch_execz .LBB410_121
; %bb.118:
	v_cvt_f32_f16_e32 v33, v36
	v_cvt_f32_f16_e32 v35, v34
	v_cmp_u_f16_e32 vcc, v36, v36
	v_cmp_u_f16_e64 s[2:3], v34, v34
	v_min_f32_e32 v37, v33, v35
	v_cndmask_b32_e32 v37, v37, v33, vcc
	v_cndmask_b32_e64 v34, v37, v35, s[2:3]
	v_max_f32_e32 v37, v33, v35
	v_cndmask_b32_e32 v33, v37, v33, vcc
	v_cndmask_b32_e64 v33, v33, v35, s[2:3]
	s_movk_i32 s2, 0x1f8
	v_cmp_neq_f32_e32 vcc, v34, v33
	v_cmp_class_f32_e64 s[2:3], v34, s2
	s_or_b64 vcc, vcc, s[2:3]
	s_and_saveexec_b64 s[2:3], vcc
	s_cbranch_execz .LBB410_120
; %bb.119:
	v_sub_f32_e32 v34, v34, v33
	s_mov_b32 s10, 0x3fb8aa3b
	v_mul_f32_e32 v35, 0x3fb8aa3b, v34
	v_fma_f32 v36, v34, s10, -v35
	v_rndne_f32_e32 v37, v35
	v_fmac_f32_e32 v36, 0x32a5705f, v34
	v_sub_f32_e32 v35, v35, v37
	v_add_f32_e32 v35, v35, v36
	v_exp_f32_e32 v35, v35
	v_cvt_i32_f32_e32 v36, v37
	s_mov_b32 s10, 0xc2ce8ed0
	v_cmp_ngt_f32_e32 vcc, s10, v34
	s_mov_b32 s10, 0x42b17218
	v_ldexp_f32 v35, v35, v36
	v_cndmask_b32_e32 v35, 0, v35, vcc
	v_mov_b32_e32 v36, 0x7f800000
	v_cmp_nlt_f32_e32 vcc, s10, v34
	v_cndmask_b32_e32 v37, v36, v35, vcc
	v_add_f32_e32 v38, 1.0, v37
	v_cvt_f64_f32_e32 v[34:35], v38
	v_add_f32_e32 v39, -1.0, v38
	v_sub_f32_e32 v40, v39, v38
	v_sub_f32_e32 v39, v37, v39
	v_frexp_exp_i32_f64_e32 v34, v[34:35]
	v_add_f32_e32 v35, 1.0, v40
	v_add_f32_e32 v35, v39, v35
	v_frexp_mant_f32_e32 v39, v38
	s_mov_b32 s11, 0x3f2aaaab
	v_cmp_gt_f32_e32 vcc, s11, v39
	s_mov_b32 s11, 0x3f317218
	s_mov_b32 s10, 0x7f800000
	v_subbrev_co_u32_e32 v34, vcc, 0, v34, vcc
	v_sub_u32_e32 v39, 0, v34
	v_ldexp_f32 v38, v38, v39
	v_ldexp_f32 v35, v35, v39
	v_add_f32_e32 v39, -1.0, v38
	v_add_f32_e32 v42, 1.0, v38
	v_add_f32_e32 v40, 1.0, v39
	v_add_f32_e32 v43, -1.0, v42
	v_sub_f32_e32 v40, v38, v40
	v_sub_f32_e32 v38, v38, v43
	v_add_f32_e32 v40, v35, v40
	v_add_f32_e32 v35, v35, v38
	;; [unrolled: 1-line block ×3, first 2 shown]
	v_rcp_f32_e32 v43, v38
	v_add_f32_e32 v41, v39, v40
	v_sub_f32_e32 v39, v39, v41
	v_add_f32_e32 v39, v40, v39
	v_sub_f32_e32 v40, v42, v38
	v_add_f32_e32 v35, v35, v40
	v_mul_f32_e32 v40, v41, v43
	v_mul_f32_e32 v42, v38, v40
	v_fma_f32 v44, v40, v38, -v42
	v_fmac_f32_e32 v44, v40, v35
	v_add_f32_e32 v45, v42, v44
	v_sub_f32_e32 v46, v41, v45
	v_sub_f32_e32 v41, v41, v46
	;; [unrolled: 1-line block ×4, first 2 shown]
	v_add_f32_e32 v39, v39, v41
	v_sub_f32_e32 v41, v42, v44
	v_add_f32_e32 v39, v41, v39
	v_add_f32_e32 v41, v46, v39
	v_mul_f32_e32 v42, v43, v41
	v_mul_f32_e32 v44, v38, v42
	v_fma_f32 v38, v42, v38, -v44
	v_fmac_f32_e32 v38, v42, v35
	v_sub_f32_e32 v35, v46, v41
	v_add_f32_e32 v35, v39, v35
	v_add_f32_e32 v39, v44, v38
	v_sub_f32_e32 v45, v41, v39
	v_sub_f32_e32 v41, v41, v45
	;; [unrolled: 1-line block ×4, first 2 shown]
	v_add_f32_e32 v35, v35, v39
	v_sub_f32_e32 v38, v44, v38
	v_add_f32_e32 v35, v38, v35
	v_add_f32_e32 v38, v40, v42
	;; [unrolled: 1-line block ×3, first 2 shown]
	v_sub_f32_e32 v39, v38, v40
	v_mul_f32_e32 v35, v43, v35
	v_sub_f32_e32 v39, v42, v39
	v_add_f32_e32 v35, v39, v35
	v_cvt_f32_i32_e32 v34, v34
	v_add_f32_e32 v39, v38, v35
	v_mul_f32_e32 v40, v39, v39
	v_mov_b32_e32 v41, 0x3ecc95a3
	v_fmac_f32_e32 v41, 0x3e9b6dac, v40
	v_mov_b32_e32 v42, 0x3f2aaada
	v_fmac_f32_e32 v42, v40, v41
	v_mul_f32_e32 v41, 0x3f317218, v34
	v_fma_f32 v43, v34, s11, -v41
	v_fmac_f32_e32 v43, 0xb102e308, v34
	v_sub_f32_e32 v34, v39, v38
	v_sub_f32_e32 v34, v35, v34
	v_add_f32_e32 v35, v41, v43
	v_sub_f32_e32 v38, v35, v41
	v_ldexp_f32 v41, v39, 1
	v_mul_f32_e32 v39, v39, v40
	v_mul_f32_e32 v39, v39, v42
	v_add_f32_e32 v40, v41, v39
	v_sub_f32_e32 v41, v40, v41
	v_ldexp_f32 v34, v34, 1
	v_sub_f32_e32 v39, v39, v41
	v_add_f32_e32 v34, v34, v39
	v_add_f32_e32 v39, v40, v34
	v_sub_f32_e32 v40, v39, v40
	v_sub_f32_e32 v34, v34, v40
	v_add_f32_e32 v40, v35, v39
	v_sub_f32_e32 v41, v40, v35
	v_sub_f32_e32 v42, v40, v41
	;; [unrolled: 1-line block ×5, first 2 shown]
	v_add_f32_e32 v35, v39, v35
	v_add_f32_e32 v39, v38, v34
	v_sub_f32_e32 v41, v39, v38
	v_sub_f32_e32 v42, v39, v41
	;; [unrolled: 1-line block ×4, first 2 shown]
	v_add_f32_e32 v35, v39, v35
	v_add_f32_e32 v34, v34, v38
	;; [unrolled: 1-line block ×3, first 2 shown]
	v_sub_f32_e32 v39, v38, v40
	v_sub_f32_e32 v35, v35, v39
	v_add_f32_e32 v34, v34, v35
	v_add_f32_e32 v34, v38, v34
	v_cmp_neq_f32_e32 vcc, s10, v37
	s_mov_b32 s10, 0x33800000
	v_cndmask_b32_e32 v34, v36, v34, vcc
	v_cmp_lt_f32_e64 vcc, |v37|, s10
	v_cndmask_b32_e32 v34, v34, v37, vcc
	v_add_f32_e32 v33, v33, v34
	v_cvt_f16_f32_e32 v36, v33
.LBB410_120:
	s_or_b64 exec, exec, s[2:3]
	v_and_b32_e32 v35, 0xffff, v36
	v_mov_b32_e32 v34, v36
.LBB410_121:
	s_or_b64 exec, exec, s[8:9]
	v_mov_b32_dpp v35, v35 row_bcast:31 row_mask:0xf bank_mask:0xf
	v_cmp_lt_u32_e32 vcc, 31, v32
	s_and_saveexec_b64 s[8:9], vcc
	s_cbranch_execz .LBB410_125
; %bb.122:
	v_cvt_f32_f16_e32 v33, v35
	v_cvt_f32_f16_e32 v36, v34
	v_cmp_u_f16_e32 vcc, v35, v35
	v_cmp_u_f16_e64 s[2:3], v34, v34
	v_min_f32_e32 v37, v33, v36
	v_cndmask_b32_e32 v37, v37, v33, vcc
	v_cndmask_b32_e64 v34, v37, v36, s[2:3]
	v_max_f32_e32 v37, v33, v36
	v_cndmask_b32_e32 v33, v37, v33, vcc
	v_cndmask_b32_e64 v33, v33, v36, s[2:3]
	s_movk_i32 s2, 0x1f8
	v_cmp_neq_f32_e32 vcc, v34, v33
	v_cmp_class_f32_e64 s[2:3], v34, s2
	s_or_b64 vcc, vcc, s[2:3]
	s_and_saveexec_b64 s[2:3], vcc
	s_cbranch_execz .LBB410_124
; %bb.123:
	v_sub_f32_e32 v34, v34, v33
	s_mov_b32 s10, 0x3fb8aa3b
	v_mul_f32_e32 v35, 0x3fb8aa3b, v34
	v_fma_f32 v36, v34, s10, -v35
	v_rndne_f32_e32 v37, v35
	v_fmac_f32_e32 v36, 0x32a5705f, v34
	v_sub_f32_e32 v35, v35, v37
	v_add_f32_e32 v35, v35, v36
	v_exp_f32_e32 v35, v35
	v_cvt_i32_f32_e32 v36, v37
	s_mov_b32 s10, 0xc2ce8ed0
	v_cmp_ngt_f32_e32 vcc, s10, v34
	s_mov_b32 s10, 0x42b17218
	v_ldexp_f32 v35, v35, v36
	v_cndmask_b32_e32 v35, 0, v35, vcc
	v_mov_b32_e32 v36, 0x7f800000
	v_cmp_nlt_f32_e32 vcc, s10, v34
	v_cndmask_b32_e32 v37, v36, v35, vcc
	v_add_f32_e32 v38, 1.0, v37
	v_cvt_f64_f32_e32 v[34:35], v38
	v_add_f32_e32 v39, -1.0, v38
	v_sub_f32_e32 v40, v39, v38
	v_sub_f32_e32 v39, v37, v39
	v_frexp_exp_i32_f64_e32 v34, v[34:35]
	v_add_f32_e32 v35, 1.0, v40
	v_add_f32_e32 v35, v39, v35
	v_frexp_mant_f32_e32 v39, v38
	s_mov_b32 s11, 0x3f2aaaab
	v_cmp_gt_f32_e32 vcc, s11, v39
	s_mov_b32 s11, 0x3f317218
	s_mov_b32 s10, 0x7f800000
	v_subbrev_co_u32_e32 v34, vcc, 0, v34, vcc
	v_sub_u32_e32 v39, 0, v34
	v_ldexp_f32 v38, v38, v39
	v_ldexp_f32 v35, v35, v39
	v_add_f32_e32 v39, -1.0, v38
	v_add_f32_e32 v42, 1.0, v38
	v_add_f32_e32 v40, 1.0, v39
	v_add_f32_e32 v43, -1.0, v42
	v_sub_f32_e32 v40, v38, v40
	v_sub_f32_e32 v38, v38, v43
	v_add_f32_e32 v40, v35, v40
	v_add_f32_e32 v35, v35, v38
	;; [unrolled: 1-line block ×3, first 2 shown]
	v_rcp_f32_e32 v43, v38
	v_add_f32_e32 v41, v39, v40
	v_sub_f32_e32 v39, v39, v41
	v_add_f32_e32 v39, v40, v39
	v_sub_f32_e32 v40, v42, v38
	v_add_f32_e32 v35, v35, v40
	v_mul_f32_e32 v40, v41, v43
	v_mul_f32_e32 v42, v38, v40
	v_fma_f32 v44, v40, v38, -v42
	v_fmac_f32_e32 v44, v40, v35
	v_add_f32_e32 v45, v42, v44
	v_sub_f32_e32 v46, v41, v45
	v_sub_f32_e32 v41, v41, v46
	;; [unrolled: 1-line block ×4, first 2 shown]
	v_add_f32_e32 v39, v39, v41
	v_sub_f32_e32 v41, v42, v44
	v_add_f32_e32 v39, v41, v39
	v_add_f32_e32 v41, v46, v39
	v_mul_f32_e32 v42, v43, v41
	v_mul_f32_e32 v44, v38, v42
	v_fma_f32 v38, v42, v38, -v44
	v_fmac_f32_e32 v38, v42, v35
	v_sub_f32_e32 v35, v46, v41
	v_add_f32_e32 v35, v39, v35
	v_add_f32_e32 v39, v44, v38
	v_sub_f32_e32 v45, v41, v39
	v_sub_f32_e32 v41, v41, v45
	v_sub_f32_e32 v44, v39, v44
	v_sub_f32_e32 v39, v41, v39
	v_add_f32_e32 v35, v35, v39
	v_sub_f32_e32 v38, v44, v38
	v_add_f32_e32 v35, v38, v35
	v_add_f32_e32 v38, v40, v42
	;; [unrolled: 1-line block ×3, first 2 shown]
	v_sub_f32_e32 v39, v38, v40
	v_mul_f32_e32 v35, v43, v35
	v_sub_f32_e32 v39, v42, v39
	v_add_f32_e32 v35, v39, v35
	v_cvt_f32_i32_e32 v34, v34
	v_add_f32_e32 v39, v38, v35
	v_mul_f32_e32 v40, v39, v39
	v_mov_b32_e32 v41, 0x3ecc95a3
	v_fmac_f32_e32 v41, 0x3e9b6dac, v40
	v_mov_b32_e32 v42, 0x3f2aaada
	v_fmac_f32_e32 v42, v40, v41
	v_mul_f32_e32 v41, 0x3f317218, v34
	v_fma_f32 v43, v34, s11, -v41
	v_fmac_f32_e32 v43, 0xb102e308, v34
	v_sub_f32_e32 v34, v39, v38
	v_sub_f32_e32 v34, v35, v34
	v_add_f32_e32 v35, v41, v43
	v_sub_f32_e32 v38, v35, v41
	v_ldexp_f32 v41, v39, 1
	v_mul_f32_e32 v39, v39, v40
	v_mul_f32_e32 v39, v39, v42
	v_add_f32_e32 v40, v41, v39
	v_sub_f32_e32 v41, v40, v41
	v_ldexp_f32 v34, v34, 1
	v_sub_f32_e32 v39, v39, v41
	v_add_f32_e32 v34, v34, v39
	v_add_f32_e32 v39, v40, v34
	v_sub_f32_e32 v40, v39, v40
	v_sub_f32_e32 v34, v34, v40
	v_add_f32_e32 v40, v35, v39
	v_sub_f32_e32 v41, v40, v35
	v_sub_f32_e32 v42, v40, v41
	;; [unrolled: 1-line block ×5, first 2 shown]
	v_add_f32_e32 v35, v39, v35
	v_add_f32_e32 v39, v38, v34
	v_sub_f32_e32 v41, v39, v38
	v_sub_f32_e32 v42, v39, v41
	;; [unrolled: 1-line block ×4, first 2 shown]
	v_add_f32_e32 v35, v39, v35
	v_add_f32_e32 v34, v34, v38
	;; [unrolled: 1-line block ×3, first 2 shown]
	v_sub_f32_e32 v39, v38, v40
	v_sub_f32_e32 v35, v35, v39
	v_add_f32_e32 v34, v34, v35
	v_add_f32_e32 v34, v38, v34
	v_cmp_neq_f32_e32 vcc, s10, v37
	s_mov_b32 s10, 0x33800000
	v_cndmask_b32_e32 v34, v36, v34, vcc
	v_cmp_lt_f32_e64 vcc, |v37|, s10
	v_cndmask_b32_e32 v34, v34, v37, vcc
	v_add_f32_e32 v33, v33, v34
	v_cvt_f16_f32_e32 v35, v33
.LBB410_124:
	s_or_b64 exec, exec, s[2:3]
	v_mov_b32_e32 v34, v35
.LBB410_125:
	s_or_b64 exec, exec, s[8:9]
	v_add_u32_e32 v33, -1, v32
	v_and_b32_e32 v35, 64, v32
	v_cmp_lt_i32_e32 vcc, v33, v35
	v_cndmask_b32_e32 v32, v33, v32, vcc
	v_lshlrev_b32_e32 v32, 2, v32
	v_and_b32_e32 v33, 0xffff, v34
	ds_bpermute_b32 v32, v32, v33
	v_max_f32_e32 v34, v31, v31
	s_waitcnt lgkmcnt(0)
	v_cvt_f32_f16_e32 v33, v32
	v_cmp_u_f16_e32 vcc, v32, v32
	v_min_f32_e32 v35, v33, v34
	v_max_f32_e32 v34, v33, v34
	v_cndmask_b32_e32 v35, v35, v33, vcc
	v_cndmask_b32_e32 v34, v34, v33, vcc
	v_cndmask_b32_e64 v33, v35, v31, s[4:5]
	v_cndmask_b32_e64 v31, v34, v31, s[4:5]
	s_movk_i32 s4, 0x1f8
	v_cmp_neq_f32_e32 vcc, v33, v31
	v_cmp_class_f32_e64 s[2:3], v33, s4
	s_or_b64 s[8:9], vcc, s[2:3]
	s_and_saveexec_b64 s[2:3], s[8:9]
	s_cbranch_execz .LBB410_127
; %bb.126:
	v_sub_f32_e32 v32, v33, v31
	s_mov_b32 s5, 0x3fb8aa3b
	v_mul_f32_e32 v33, 0x3fb8aa3b, v32
	v_fma_f32 v34, v32, s5, -v33
	v_rndne_f32_e32 v35, v33
	v_fmac_f32_e32 v34, 0x32a5705f, v32
	v_sub_f32_e32 v33, v33, v35
	v_add_f32_e32 v33, v33, v34
	v_exp_f32_e32 v33, v33
	v_cvt_i32_f32_e32 v34, v35
	s_mov_b32 s5, 0xc2ce8ed0
	v_cmp_ngt_f32_e32 vcc, s5, v32
	s_mov_b32 s5, 0x42b17218
	v_ldexp_f32 v33, v33, v34
	v_cndmask_b32_e32 v33, 0, v33, vcc
	v_mov_b32_e32 v34, 0x7f800000
	v_cmp_nlt_f32_e32 vcc, s5, v32
	v_cndmask_b32_e32 v35, v34, v33, vcc
	v_add_f32_e32 v36, 1.0, v35
	v_cvt_f64_f32_e32 v[32:33], v36
	v_add_f32_e32 v37, -1.0, v36
	v_sub_f32_e32 v38, v37, v36
	v_sub_f32_e32 v37, v35, v37
	v_frexp_exp_i32_f64_e32 v32, v[32:33]
	v_add_f32_e32 v33, 1.0, v38
	v_add_f32_e32 v33, v37, v33
	v_frexp_mant_f32_e32 v37, v36
	s_mov_b32 s8, 0x3f2aaaab
	v_cmp_gt_f32_e32 vcc, s8, v37
	s_mov_b32 s8, 0x3f317218
	s_mov_b32 s5, 0x7f800000
	v_subbrev_co_u32_e32 v32, vcc, 0, v32, vcc
	v_sub_u32_e32 v37, 0, v32
	v_ldexp_f32 v36, v36, v37
	v_ldexp_f32 v33, v33, v37
	v_add_f32_e32 v37, -1.0, v36
	v_add_f32_e32 v40, 1.0, v36
	v_add_f32_e32 v38, 1.0, v37
	v_add_f32_e32 v41, -1.0, v40
	v_sub_f32_e32 v38, v36, v38
	v_sub_f32_e32 v36, v36, v41
	v_add_f32_e32 v38, v33, v38
	v_add_f32_e32 v33, v33, v36
	;; [unrolled: 1-line block ×3, first 2 shown]
	v_rcp_f32_e32 v41, v36
	v_add_f32_e32 v39, v37, v38
	v_sub_f32_e32 v37, v37, v39
	v_add_f32_e32 v37, v38, v37
	v_sub_f32_e32 v38, v40, v36
	v_add_f32_e32 v33, v33, v38
	v_mul_f32_e32 v38, v39, v41
	v_mul_f32_e32 v40, v36, v38
	v_fma_f32 v42, v38, v36, -v40
	v_fmac_f32_e32 v42, v38, v33
	v_add_f32_e32 v43, v40, v42
	v_sub_f32_e32 v44, v39, v43
	v_sub_f32_e32 v39, v39, v44
	;; [unrolled: 1-line block ×4, first 2 shown]
	v_add_f32_e32 v37, v37, v39
	v_sub_f32_e32 v39, v40, v42
	v_add_f32_e32 v37, v39, v37
	v_add_f32_e32 v39, v44, v37
	v_mul_f32_e32 v40, v41, v39
	v_mul_f32_e32 v42, v36, v40
	v_fma_f32 v36, v40, v36, -v42
	v_fmac_f32_e32 v36, v40, v33
	v_sub_f32_e32 v33, v44, v39
	v_add_f32_e32 v33, v37, v33
	v_add_f32_e32 v37, v42, v36
	v_sub_f32_e32 v43, v39, v37
	v_sub_f32_e32 v39, v39, v43
	;; [unrolled: 1-line block ×4, first 2 shown]
	v_add_f32_e32 v33, v33, v37
	v_sub_f32_e32 v36, v42, v36
	v_add_f32_e32 v33, v36, v33
	v_add_f32_e32 v36, v38, v40
	;; [unrolled: 1-line block ×3, first 2 shown]
	v_sub_f32_e32 v37, v36, v38
	v_mul_f32_e32 v33, v41, v33
	v_sub_f32_e32 v37, v40, v37
	v_add_f32_e32 v33, v37, v33
	v_cvt_f32_i32_e32 v32, v32
	v_add_f32_e32 v37, v36, v33
	v_mul_f32_e32 v38, v37, v37
	v_mov_b32_e32 v39, 0x3ecc95a3
	v_fmac_f32_e32 v39, 0x3e9b6dac, v38
	v_mov_b32_e32 v40, 0x3f2aaada
	v_fmac_f32_e32 v40, v38, v39
	v_mul_f32_e32 v39, 0x3f317218, v32
	v_fma_f32 v41, v32, s8, -v39
	v_fmac_f32_e32 v41, 0xb102e308, v32
	v_sub_f32_e32 v32, v37, v36
	v_sub_f32_e32 v32, v33, v32
	v_add_f32_e32 v33, v39, v41
	v_sub_f32_e32 v36, v33, v39
	v_ldexp_f32 v39, v37, 1
	v_mul_f32_e32 v37, v37, v38
	v_mul_f32_e32 v37, v37, v40
	v_add_f32_e32 v38, v39, v37
	v_sub_f32_e32 v39, v38, v39
	v_ldexp_f32 v32, v32, 1
	v_sub_f32_e32 v37, v37, v39
	v_add_f32_e32 v32, v32, v37
	v_add_f32_e32 v37, v38, v32
	v_sub_f32_e32 v38, v37, v38
	v_sub_f32_e32 v32, v32, v38
	v_add_f32_e32 v38, v33, v37
	v_sub_f32_e32 v39, v38, v33
	v_sub_f32_e32 v40, v38, v39
	;; [unrolled: 1-line block ×5, first 2 shown]
	v_add_f32_e32 v33, v37, v33
	v_add_f32_e32 v37, v36, v32
	v_sub_f32_e32 v39, v37, v36
	v_sub_f32_e32 v40, v37, v39
	;; [unrolled: 1-line block ×4, first 2 shown]
	v_add_f32_e32 v33, v37, v33
	v_add_f32_e32 v32, v32, v36
	;; [unrolled: 1-line block ×3, first 2 shown]
	v_sub_f32_e32 v37, v36, v38
	v_sub_f32_e32 v33, v33, v37
	v_add_f32_e32 v32, v32, v33
	v_add_f32_e32 v32, v36, v32
	v_cmp_neq_f32_e32 vcc, s5, v35
	s_mov_b32 s5, 0x33800000
	v_cndmask_b32_e32 v32, v34, v32, vcc
	v_cmp_lt_f32_e64 vcc, |v35|, s5
	v_cndmask_b32_e32 v32, v32, v35, vcc
	v_add_f32_e32 v31, v31, v32
	v_cvt_f16_f32_e32 v32, v31
.LBB410_127:
	s_or_b64 exec, exec, s[2:3]
	v_cmp_eq_u32_e32 vcc, 0, v0
	v_cndmask_b32_e32 v31, v32, v30, vcc
	; wave barrier
	ds_write_b16 v8, v31
	; wave barrier
	ds_read_u16 v30, v8 offset:2
	v_cvt_f32_f16_e32 v32, v31
	v_cmp_u_f16_e32 vcc, v31, v31
	s_waitcnt lgkmcnt(0)
	v_cvt_f32_f16_e32 v34, v30
	v_cmp_u_f16_e64 s[2:3], v30, v30
	v_min_f32_e32 v33, v32, v34
	v_max_f32_e32 v30, v32, v34
	v_cndmask_b32_e32 v33, v33, v32, vcc
	v_cndmask_b32_e32 v30, v30, v32, vcc
	v_cndmask_b32_e64 v33, v33, v34, s[2:3]
	v_cndmask_b32_e64 v30, v30, v34, s[2:3]
	v_cmp_neq_f32_e32 vcc, v33, v30
	v_cmp_class_f32_e64 s[2:3], v33, s4
	s_or_b64 s[4:5], vcc, s[2:3]
	s_and_saveexec_b64 s[2:3], s[4:5]
	s_cbranch_execz .LBB410_129
; %bb.128:
	v_sub_f32_e32 v31, v33, v30
	s_mov_b32 s4, 0x3fb8aa3b
	v_mul_f32_e32 v32, 0x3fb8aa3b, v31
	v_fma_f32 v33, v31, s4, -v32
	v_rndne_f32_e32 v34, v32
	v_fmac_f32_e32 v33, 0x32a5705f, v31
	v_sub_f32_e32 v32, v32, v34
	v_add_f32_e32 v32, v32, v33
	v_exp_f32_e32 v32, v32
	v_cvt_i32_f32_e32 v33, v34
	s_mov_b32 s4, 0xc2ce8ed0
	v_cmp_ngt_f32_e32 vcc, s4, v31
	s_mov_b32 s4, 0x42b17218
	v_ldexp_f32 v32, v32, v33
	v_cndmask_b32_e32 v32, 0, v32, vcc
	v_mov_b32_e32 v33, 0x7f800000
	v_cmp_nlt_f32_e32 vcc, s4, v31
	v_cndmask_b32_e32 v34, v33, v32, vcc
	v_add_f32_e32 v35, 1.0, v34
	v_cvt_f64_f32_e32 v[31:32], v35
	v_add_f32_e32 v36, -1.0, v35
	v_sub_f32_e32 v37, v36, v35
	v_sub_f32_e32 v36, v34, v36
	v_frexp_exp_i32_f64_e32 v31, v[31:32]
	v_add_f32_e32 v32, 1.0, v37
	v_add_f32_e32 v32, v36, v32
	v_frexp_mant_f32_e32 v36, v35
	s_mov_b32 s5, 0x3f2aaaab
	v_cmp_gt_f32_e32 vcc, s5, v36
	s_mov_b32 s5, 0x3f317218
	s_mov_b32 s4, 0x7f800000
	v_subbrev_co_u32_e32 v31, vcc, 0, v31, vcc
	v_sub_u32_e32 v36, 0, v31
	v_ldexp_f32 v35, v35, v36
	v_ldexp_f32 v32, v32, v36
	v_add_f32_e32 v36, -1.0, v35
	v_add_f32_e32 v39, 1.0, v35
	v_add_f32_e32 v37, 1.0, v36
	v_add_f32_e32 v40, -1.0, v39
	v_sub_f32_e32 v37, v35, v37
	v_sub_f32_e32 v35, v35, v40
	v_add_f32_e32 v37, v32, v37
	v_add_f32_e32 v32, v32, v35
	;; [unrolled: 1-line block ×3, first 2 shown]
	v_rcp_f32_e32 v40, v35
	v_add_f32_e32 v38, v36, v37
	v_sub_f32_e32 v36, v36, v38
	v_add_f32_e32 v36, v37, v36
	v_sub_f32_e32 v37, v39, v35
	v_add_f32_e32 v32, v32, v37
	v_mul_f32_e32 v37, v38, v40
	v_mul_f32_e32 v39, v35, v37
	v_fma_f32 v41, v37, v35, -v39
	v_fmac_f32_e32 v41, v37, v32
	v_add_f32_e32 v42, v39, v41
	v_sub_f32_e32 v43, v38, v42
	v_sub_f32_e32 v38, v38, v43
	;; [unrolled: 1-line block ×4, first 2 shown]
	v_add_f32_e32 v36, v36, v38
	v_sub_f32_e32 v38, v39, v41
	v_add_f32_e32 v36, v38, v36
	v_add_f32_e32 v38, v43, v36
	v_mul_f32_e32 v39, v40, v38
	v_mul_f32_e32 v41, v35, v39
	v_fma_f32 v35, v39, v35, -v41
	v_fmac_f32_e32 v35, v39, v32
	v_sub_f32_e32 v32, v43, v38
	v_add_f32_e32 v32, v36, v32
	v_add_f32_e32 v36, v41, v35
	v_sub_f32_e32 v42, v38, v36
	v_sub_f32_e32 v38, v38, v42
	;; [unrolled: 1-line block ×4, first 2 shown]
	v_add_f32_e32 v32, v32, v36
	v_sub_f32_e32 v35, v41, v35
	v_add_f32_e32 v32, v35, v32
	v_add_f32_e32 v35, v37, v39
	;; [unrolled: 1-line block ×3, first 2 shown]
	v_sub_f32_e32 v36, v35, v37
	v_mul_f32_e32 v32, v40, v32
	v_sub_f32_e32 v36, v39, v36
	v_add_f32_e32 v32, v36, v32
	v_cvt_f32_i32_e32 v31, v31
	v_add_f32_e32 v36, v35, v32
	v_mul_f32_e32 v37, v36, v36
	v_mov_b32_e32 v38, 0x3ecc95a3
	v_fmac_f32_e32 v38, 0x3e9b6dac, v37
	v_mov_b32_e32 v39, 0x3f2aaada
	v_fmac_f32_e32 v39, v37, v38
	v_mul_f32_e32 v38, 0x3f317218, v31
	v_fma_f32 v40, v31, s5, -v38
	v_fmac_f32_e32 v40, 0xb102e308, v31
	v_sub_f32_e32 v31, v36, v35
	v_sub_f32_e32 v31, v32, v31
	v_add_f32_e32 v32, v38, v40
	v_sub_f32_e32 v35, v32, v38
	v_ldexp_f32 v38, v36, 1
	v_mul_f32_e32 v36, v36, v37
	v_mul_f32_e32 v36, v36, v39
	v_add_f32_e32 v37, v38, v36
	v_sub_f32_e32 v38, v37, v38
	v_ldexp_f32 v31, v31, 1
	v_sub_f32_e32 v36, v36, v38
	v_add_f32_e32 v31, v31, v36
	v_add_f32_e32 v36, v37, v31
	v_sub_f32_e32 v37, v36, v37
	v_sub_f32_e32 v31, v31, v37
	v_add_f32_e32 v37, v32, v36
	v_sub_f32_e32 v38, v37, v32
	v_sub_f32_e32 v39, v37, v38
	;; [unrolled: 1-line block ×5, first 2 shown]
	v_add_f32_e32 v32, v36, v32
	v_add_f32_e32 v36, v35, v31
	v_sub_f32_e32 v38, v36, v35
	v_sub_f32_e32 v39, v36, v38
	;; [unrolled: 1-line block ×4, first 2 shown]
	v_add_f32_e32 v32, v36, v32
	v_add_f32_e32 v31, v31, v35
	;; [unrolled: 1-line block ×3, first 2 shown]
	v_sub_f32_e32 v36, v35, v37
	v_sub_f32_e32 v32, v32, v36
	v_add_f32_e32 v31, v31, v32
	v_add_f32_e32 v31, v35, v31
	v_cmp_neq_f32_e32 vcc, s4, v34
	s_mov_b32 s4, 0x33800000
	v_cndmask_b32_e32 v31, v33, v31, vcc
	v_cmp_lt_f32_e64 vcc, |v34|, s4
	v_cndmask_b32_e32 v31, v31, v34, vcc
	v_add_f32_e32 v30, v30, v31
	v_cvt_f16_f32_e32 v31, v30
	v_cvt_f32_f16_e32 v32, v31
.LBB410_129:
	s_or_b64 exec, exec, s[2:3]
	ds_read_u16 v30, v8 offset:4
	v_max_f32_e32 v33, v32, v32
	v_cmp_u_f16_e32 vcc, v31, v31
	s_movk_i32 s4, 0x1f8
	ds_write_b16 v8, v31 offset:2
	s_waitcnt lgkmcnt(1)
	v_cvt_f32_f16_e32 v34, v30
	v_min_f32_e32 v35, v33, v34
	v_max_f32_e32 v33, v33, v34
	v_cndmask_b32_e32 v35, v35, v32, vcc
	v_cndmask_b32_e32 v36, v33, v32, vcc
	v_cmp_u_f16_e32 vcc, v30, v30
	v_cndmask_b32_e32 v33, v35, v34, vcc
	v_cndmask_b32_e32 v30, v36, v34, vcc
	v_cmp_neq_f32_e32 vcc, v33, v30
	v_cmp_class_f32_e64 s[2:3], v33, s4
	s_or_b64 s[8:9], vcc, s[2:3]
	s_and_saveexec_b64 s[2:3], s[8:9]
	s_cbranch_execz .LBB410_131
; %bb.130:
	v_sub_f32_e32 v31, v33, v30
	s_mov_b32 s5, 0x3fb8aa3b
	v_mul_f32_e32 v32, 0x3fb8aa3b, v31
	v_fma_f32 v33, v31, s5, -v32
	v_rndne_f32_e32 v34, v32
	v_fmac_f32_e32 v33, 0x32a5705f, v31
	v_sub_f32_e32 v32, v32, v34
	v_add_f32_e32 v32, v32, v33
	v_exp_f32_e32 v32, v32
	v_cvt_i32_f32_e32 v33, v34
	s_mov_b32 s5, 0xc2ce8ed0
	v_cmp_ngt_f32_e32 vcc, s5, v31
	s_mov_b32 s5, 0x42b17218
	v_ldexp_f32 v32, v32, v33
	v_cndmask_b32_e32 v32, 0, v32, vcc
	v_mov_b32_e32 v33, 0x7f800000
	v_cmp_nlt_f32_e32 vcc, s5, v31
	v_cndmask_b32_e32 v34, v33, v32, vcc
	v_add_f32_e32 v35, 1.0, v34
	v_cvt_f64_f32_e32 v[31:32], v35
	v_add_f32_e32 v36, -1.0, v35
	v_sub_f32_e32 v37, v36, v35
	v_sub_f32_e32 v36, v34, v36
	v_frexp_exp_i32_f64_e32 v31, v[31:32]
	v_add_f32_e32 v32, 1.0, v37
	v_add_f32_e32 v32, v36, v32
	v_frexp_mant_f32_e32 v36, v35
	s_mov_b32 s8, 0x3f2aaaab
	v_cmp_gt_f32_e32 vcc, s8, v36
	s_mov_b32 s8, 0x3f317218
	s_mov_b32 s5, 0x7f800000
	v_subbrev_co_u32_e32 v31, vcc, 0, v31, vcc
	v_sub_u32_e32 v36, 0, v31
	v_ldexp_f32 v35, v35, v36
	v_ldexp_f32 v32, v32, v36
	v_add_f32_e32 v36, -1.0, v35
	v_add_f32_e32 v39, 1.0, v35
	v_add_f32_e32 v37, 1.0, v36
	v_add_f32_e32 v40, -1.0, v39
	v_sub_f32_e32 v37, v35, v37
	v_sub_f32_e32 v35, v35, v40
	v_add_f32_e32 v37, v32, v37
	v_add_f32_e32 v32, v32, v35
	;; [unrolled: 1-line block ×3, first 2 shown]
	v_rcp_f32_e32 v40, v35
	v_add_f32_e32 v38, v36, v37
	v_sub_f32_e32 v36, v36, v38
	v_add_f32_e32 v36, v37, v36
	v_sub_f32_e32 v37, v39, v35
	v_add_f32_e32 v32, v32, v37
	v_mul_f32_e32 v37, v38, v40
	v_mul_f32_e32 v39, v35, v37
	v_fma_f32 v41, v37, v35, -v39
	v_fmac_f32_e32 v41, v37, v32
	v_add_f32_e32 v42, v39, v41
	v_sub_f32_e32 v43, v38, v42
	v_sub_f32_e32 v38, v38, v43
	;; [unrolled: 1-line block ×4, first 2 shown]
	v_add_f32_e32 v36, v36, v38
	v_sub_f32_e32 v38, v39, v41
	v_add_f32_e32 v36, v38, v36
	v_add_f32_e32 v38, v43, v36
	v_mul_f32_e32 v39, v40, v38
	v_mul_f32_e32 v41, v35, v39
	v_fma_f32 v35, v39, v35, -v41
	v_fmac_f32_e32 v35, v39, v32
	v_sub_f32_e32 v32, v43, v38
	v_add_f32_e32 v32, v36, v32
	v_add_f32_e32 v36, v41, v35
	v_sub_f32_e32 v42, v38, v36
	v_sub_f32_e32 v38, v38, v42
	;; [unrolled: 1-line block ×4, first 2 shown]
	v_add_f32_e32 v32, v32, v36
	v_sub_f32_e32 v35, v41, v35
	v_add_f32_e32 v32, v35, v32
	v_add_f32_e32 v35, v37, v39
	;; [unrolled: 1-line block ×3, first 2 shown]
	v_sub_f32_e32 v36, v35, v37
	v_mul_f32_e32 v32, v40, v32
	v_sub_f32_e32 v36, v39, v36
	v_add_f32_e32 v32, v36, v32
	v_cvt_f32_i32_e32 v31, v31
	v_add_f32_e32 v36, v35, v32
	v_mul_f32_e32 v37, v36, v36
	v_mov_b32_e32 v38, 0x3ecc95a3
	v_fmac_f32_e32 v38, 0x3e9b6dac, v37
	v_mov_b32_e32 v39, 0x3f2aaada
	v_fmac_f32_e32 v39, v37, v38
	v_mul_f32_e32 v38, 0x3f317218, v31
	v_fma_f32 v40, v31, s8, -v38
	v_fmac_f32_e32 v40, 0xb102e308, v31
	v_sub_f32_e32 v31, v36, v35
	v_sub_f32_e32 v31, v32, v31
	v_add_f32_e32 v32, v38, v40
	v_sub_f32_e32 v35, v32, v38
	v_ldexp_f32 v38, v36, 1
	v_mul_f32_e32 v36, v36, v37
	v_mul_f32_e32 v36, v36, v39
	v_add_f32_e32 v37, v38, v36
	v_sub_f32_e32 v38, v37, v38
	v_ldexp_f32 v31, v31, 1
	v_sub_f32_e32 v36, v36, v38
	v_add_f32_e32 v31, v31, v36
	v_add_f32_e32 v36, v37, v31
	v_sub_f32_e32 v37, v36, v37
	v_sub_f32_e32 v31, v31, v37
	v_add_f32_e32 v37, v32, v36
	v_sub_f32_e32 v38, v37, v32
	v_sub_f32_e32 v39, v37, v38
	;; [unrolled: 1-line block ×5, first 2 shown]
	v_add_f32_e32 v32, v36, v32
	v_add_f32_e32 v36, v35, v31
	v_sub_f32_e32 v38, v36, v35
	v_sub_f32_e32 v39, v36, v38
	v_sub_f32_e32 v35, v35, v39
	v_sub_f32_e32 v31, v31, v38
	v_add_f32_e32 v32, v36, v32
	v_add_f32_e32 v31, v31, v35
	;; [unrolled: 1-line block ×3, first 2 shown]
	v_sub_f32_e32 v36, v35, v37
	v_sub_f32_e32 v32, v32, v36
	v_add_f32_e32 v31, v31, v32
	v_add_f32_e32 v31, v35, v31
	v_cmp_neq_f32_e32 vcc, s5, v34
	s_mov_b32 s5, 0x33800000
	v_cndmask_b32_e32 v31, v33, v31, vcc
	v_cmp_lt_f32_e64 vcc, |v34|, s5
	v_cndmask_b32_e32 v31, v31, v34, vcc
	v_add_f32_e32 v30, v30, v31
	v_cvt_f16_f32_e32 v31, v30
	v_cvt_f32_f16_e32 v32, v31
.LBB410_131:
	s_or_b64 exec, exec, s[2:3]
	ds_read_u16 v30, v8 offset:6
	v_max_f32_e32 v34, v32, v32
	v_cmp_u_f16_e32 vcc, v31, v31
	ds_write_b16 v8, v31 offset:4
	s_waitcnt lgkmcnt(1)
	v_cvt_f32_f16_e32 v33, v30
	v_min_f32_e32 v35, v34, v33
	v_max_f32_e32 v34, v34, v33
	v_cndmask_b32_e32 v35, v35, v32, vcc
	v_cndmask_b32_e32 v34, v34, v32, vcc
	v_cmp_u_f16_e32 vcc, v30, v30
	v_cndmask_b32_e32 v32, v35, v33, vcc
	v_cndmask_b32_e32 v30, v34, v33, vcc
	v_cmp_neq_f32_e32 vcc, v32, v30
	v_cmp_class_f32_e64 s[2:3], v32, s4
	s_or_b64 s[4:5], vcc, s[2:3]
	s_and_saveexec_b64 s[2:3], s[4:5]
	s_cbranch_execz .LBB410_133
; %bb.132:
	v_sub_f32_e32 v31, v32, v30
	s_mov_b32 s4, 0x3fb8aa3b
	v_mul_f32_e32 v32, 0x3fb8aa3b, v31
	v_fma_f32 v33, v31, s4, -v32
	v_rndne_f32_e32 v34, v32
	v_fmac_f32_e32 v33, 0x32a5705f, v31
	v_sub_f32_e32 v32, v32, v34
	v_add_f32_e32 v32, v32, v33
	v_exp_f32_e32 v32, v32
	v_cvt_i32_f32_e32 v33, v34
	s_mov_b32 s4, 0xc2ce8ed0
	v_cmp_ngt_f32_e32 vcc, s4, v31
	s_mov_b32 s4, 0x42b17218
	v_ldexp_f32 v32, v32, v33
	v_cndmask_b32_e32 v32, 0, v32, vcc
	v_mov_b32_e32 v33, 0x7f800000
	v_cmp_nlt_f32_e32 vcc, s4, v31
	v_cndmask_b32_e32 v34, v33, v32, vcc
	v_add_f32_e32 v35, 1.0, v34
	v_cvt_f64_f32_e32 v[31:32], v35
	v_add_f32_e32 v36, -1.0, v35
	v_sub_f32_e32 v37, v36, v35
	v_sub_f32_e32 v36, v34, v36
	v_frexp_exp_i32_f64_e32 v31, v[31:32]
	v_add_f32_e32 v32, 1.0, v37
	v_add_f32_e32 v32, v36, v32
	v_frexp_mant_f32_e32 v36, v35
	s_mov_b32 s5, 0x3f2aaaab
	v_cmp_gt_f32_e32 vcc, s5, v36
	s_mov_b32 s5, 0x3f317218
	s_mov_b32 s4, 0x7f800000
	v_subbrev_co_u32_e32 v31, vcc, 0, v31, vcc
	v_sub_u32_e32 v36, 0, v31
	v_ldexp_f32 v35, v35, v36
	v_ldexp_f32 v32, v32, v36
	v_add_f32_e32 v36, -1.0, v35
	v_add_f32_e32 v39, 1.0, v35
	v_add_f32_e32 v37, 1.0, v36
	v_add_f32_e32 v40, -1.0, v39
	v_sub_f32_e32 v37, v35, v37
	v_sub_f32_e32 v35, v35, v40
	v_add_f32_e32 v37, v32, v37
	v_add_f32_e32 v32, v32, v35
	;; [unrolled: 1-line block ×3, first 2 shown]
	v_rcp_f32_e32 v40, v35
	v_add_f32_e32 v38, v36, v37
	v_sub_f32_e32 v36, v36, v38
	v_add_f32_e32 v36, v37, v36
	v_sub_f32_e32 v37, v39, v35
	v_add_f32_e32 v32, v32, v37
	v_mul_f32_e32 v37, v38, v40
	v_mul_f32_e32 v39, v35, v37
	v_fma_f32 v41, v37, v35, -v39
	v_fmac_f32_e32 v41, v37, v32
	v_add_f32_e32 v42, v39, v41
	v_sub_f32_e32 v43, v38, v42
	v_sub_f32_e32 v38, v38, v43
	;; [unrolled: 1-line block ×4, first 2 shown]
	v_add_f32_e32 v36, v36, v38
	v_sub_f32_e32 v38, v39, v41
	v_add_f32_e32 v36, v38, v36
	v_add_f32_e32 v38, v43, v36
	v_mul_f32_e32 v39, v40, v38
	v_mul_f32_e32 v41, v35, v39
	v_fma_f32 v35, v39, v35, -v41
	v_fmac_f32_e32 v35, v39, v32
	v_sub_f32_e32 v32, v43, v38
	v_add_f32_e32 v32, v36, v32
	v_add_f32_e32 v36, v41, v35
	v_sub_f32_e32 v42, v38, v36
	v_sub_f32_e32 v38, v38, v42
	;; [unrolled: 1-line block ×4, first 2 shown]
	v_add_f32_e32 v32, v32, v36
	v_sub_f32_e32 v35, v41, v35
	v_add_f32_e32 v32, v35, v32
	v_add_f32_e32 v35, v37, v39
	;; [unrolled: 1-line block ×3, first 2 shown]
	v_sub_f32_e32 v36, v35, v37
	v_mul_f32_e32 v32, v40, v32
	v_sub_f32_e32 v36, v39, v36
	v_add_f32_e32 v32, v36, v32
	v_cvt_f32_i32_e32 v31, v31
	v_add_f32_e32 v36, v35, v32
	v_mul_f32_e32 v37, v36, v36
	v_mov_b32_e32 v38, 0x3ecc95a3
	v_fmac_f32_e32 v38, 0x3e9b6dac, v37
	v_mov_b32_e32 v39, 0x3f2aaada
	v_fmac_f32_e32 v39, v37, v38
	v_mul_f32_e32 v38, 0x3f317218, v31
	v_fma_f32 v40, v31, s5, -v38
	v_fmac_f32_e32 v40, 0xb102e308, v31
	v_sub_f32_e32 v31, v36, v35
	v_sub_f32_e32 v31, v32, v31
	v_add_f32_e32 v32, v38, v40
	v_sub_f32_e32 v35, v32, v38
	v_ldexp_f32 v38, v36, 1
	v_mul_f32_e32 v36, v36, v37
	v_mul_f32_e32 v36, v36, v39
	v_add_f32_e32 v37, v38, v36
	v_sub_f32_e32 v38, v37, v38
	v_ldexp_f32 v31, v31, 1
	v_sub_f32_e32 v36, v36, v38
	v_add_f32_e32 v31, v31, v36
	v_add_f32_e32 v36, v37, v31
	v_sub_f32_e32 v37, v36, v37
	v_sub_f32_e32 v31, v31, v37
	v_add_f32_e32 v37, v32, v36
	v_sub_f32_e32 v38, v37, v32
	v_sub_f32_e32 v39, v37, v38
	;; [unrolled: 1-line block ×5, first 2 shown]
	v_add_f32_e32 v32, v36, v32
	v_add_f32_e32 v36, v35, v31
	v_sub_f32_e32 v38, v36, v35
	v_sub_f32_e32 v39, v36, v38
	;; [unrolled: 1-line block ×4, first 2 shown]
	v_add_f32_e32 v32, v36, v32
	v_add_f32_e32 v31, v31, v35
	;; [unrolled: 1-line block ×3, first 2 shown]
	v_sub_f32_e32 v36, v35, v37
	v_sub_f32_e32 v32, v32, v36
	v_add_f32_e32 v31, v31, v32
	v_add_f32_e32 v31, v35, v31
	v_cmp_neq_f32_e32 vcc, s4, v34
	s_mov_b32 s4, 0x33800000
	v_cndmask_b32_e32 v31, v33, v31, vcc
	v_cmp_lt_f32_e64 vcc, |v34|, s4
	v_cndmask_b32_e32 v31, v31, v34, vcc
	v_add_f32_e32 v30, v30, v31
	v_cvt_f16_f32_e32 v31, v30
.LBB410_133:
	s_or_b64 exec, exec, s[2:3]
	ds_write_b16 v8, v31 offset:6
.LBB410_134:
	s_or_b64 exec, exec, s[6:7]
	v_mul_u32_u24_e32 v8, 46, v0
	v_cmp_ne_u32_e32 vcc, 0, v0
	v_mov_b32_e32 v30, v1
	s_waitcnt lgkmcnt(0)
	s_barrier
	s_and_saveexec_b64 s[2:3], vcc
	s_cbranch_execz .LBB410_138
; %bb.135:
	v_add_u32_e32 v0, -1, v0
	v_lshrrev_b32_e32 v1, 4, v0
	v_and_b32_e32 v1, 0xffffffe, v1
	v_lshl_add_u32 v0, v0, 1, v1
	ds_read_u16 v1, v0
	v_max_f32_e32 v0, v14, v14
	s_movk_i32 s4, 0x1f8
	s_waitcnt lgkmcnt(0)
	v_cvt_f32_f16_e32 v31, v1
	v_cmp_u_f16_e32 vcc, v1, v1
	v_min_f32_e32 v28, v31, v0
	v_max_f32_e32 v0, v31, v0
	v_cndmask_b32_e32 v28, v28, v31, vcc
	v_cndmask_b32_e32 v0, v0, v31, vcc
	v_cndmask_b32_e64 v28, v28, v14, s[94:95]
	v_cndmask_b32_e64 v0, v0, v14, s[94:95]
	v_cmp_neq_f32_e32 vcc, v28, v0
	v_cmp_class_f32_e64 s[4:5], v28, s4
	s_or_b64 s[6:7], vcc, s[4:5]
	s_and_saveexec_b64 s[4:5], s[6:7]
	s_cbranch_execz .LBB410_137
; %bb.136:
	v_sub_f32_e32 v1, v28, v0
	s_mov_b32 s6, 0x3fb8aa3b
	v_mul_f32_e32 v14, 0x3fb8aa3b, v1
	v_fma_f32 v28, v1, s6, -v14
	v_rndne_f32_e32 v29, v14
	v_fmac_f32_e32 v28, 0x32a5705f, v1
	v_sub_f32_e32 v14, v14, v29
	v_add_f32_e32 v14, v14, v28
	v_exp_f32_e32 v14, v14
	v_cvt_i32_f32_e32 v28, v29
	s_mov_b32 s6, 0xc2ce8ed0
	v_cmp_ngt_f32_e32 vcc, s6, v1
	s_mov_b32 s6, 0x42b17218
	v_ldexp_f32 v14, v14, v28
	v_cndmask_b32_e32 v14, 0, v14, vcc
	v_mov_b32_e32 v30, 0x7f800000
	v_cmp_nlt_f32_e32 vcc, s6, v1
	v_cndmask_b32_e32 v1, v30, v14, vcc
	v_add_f32_e32 v14, 1.0, v1
	v_cvt_f64_f32_e32 v[28:29], v14
	v_add_f32_e32 v31, -1.0, v14
	v_sub_f32_e32 v32, v31, v14
	v_sub_f32_e32 v31, v1, v31
	v_frexp_exp_i32_f64_e32 v28, v[28:29]
	v_add_f32_e32 v29, 1.0, v32
	v_add_f32_e32 v29, v31, v29
	v_frexp_mant_f32_e32 v31, v14
	s_mov_b32 s7, 0x3f2aaaab
	v_cmp_gt_f32_e32 vcc, s7, v31
	s_mov_b32 s7, 0x3f317218
	s_mov_b32 s6, 0x7f800000
	v_subbrev_co_u32_e32 v28, vcc, 0, v28, vcc
	v_sub_u32_e32 v31, 0, v28
	v_ldexp_f32 v14, v14, v31
	v_ldexp_f32 v29, v29, v31
	v_add_f32_e32 v31, -1.0, v14
	v_add_f32_e32 v34, 1.0, v14
	v_add_f32_e32 v32, 1.0, v31
	v_add_f32_e32 v35, -1.0, v34
	v_sub_f32_e32 v32, v14, v32
	v_sub_f32_e32 v14, v14, v35
	v_add_f32_e32 v14, v29, v14
	v_add_f32_e32 v32, v29, v32
	;; [unrolled: 1-line block ×3, first 2 shown]
	v_rcp_f32_e32 v35, v29
	v_add_f32_e32 v33, v31, v32
	v_sub_f32_e32 v31, v31, v33
	v_add_f32_e32 v31, v32, v31
	v_sub_f32_e32 v32, v34, v29
	v_add_f32_e32 v14, v14, v32
	v_mul_f32_e32 v32, v33, v35
	v_mul_f32_e32 v34, v29, v32
	v_fma_f32 v36, v32, v29, -v34
	v_fmac_f32_e32 v36, v32, v14
	v_add_f32_e32 v37, v34, v36
	v_sub_f32_e32 v38, v33, v37
	v_sub_f32_e32 v33, v33, v38
	;; [unrolled: 1-line block ×4, first 2 shown]
	v_add_f32_e32 v31, v31, v33
	v_sub_f32_e32 v33, v34, v36
	v_add_f32_e32 v31, v33, v31
	v_add_f32_e32 v33, v38, v31
	v_mul_f32_e32 v34, v35, v33
	v_mul_f32_e32 v36, v29, v34
	v_fma_f32 v29, v34, v29, -v36
	v_fmac_f32_e32 v29, v34, v14
	v_sub_f32_e32 v14, v38, v33
	v_add_f32_e32 v14, v31, v14
	v_add_f32_e32 v31, v36, v29
	v_sub_f32_e32 v37, v33, v31
	v_sub_f32_e32 v33, v33, v37
	v_sub_f32_e32 v36, v31, v36
	v_sub_f32_e32 v31, v33, v31
	v_add_f32_e32 v14, v14, v31
	v_sub_f32_e32 v29, v36, v29
	v_add_f32_e32 v14, v29, v14
	v_add_f32_e32 v29, v32, v34
	;; [unrolled: 1-line block ×3, first 2 shown]
	v_sub_f32_e32 v31, v29, v32
	v_mul_f32_e32 v14, v35, v14
	v_sub_f32_e32 v31, v34, v31
	v_add_f32_e32 v14, v31, v14
	v_cvt_f32_i32_e32 v28, v28
	v_add_f32_e32 v31, v29, v14
	v_mul_f32_e32 v32, v31, v31
	v_mov_b32_e32 v33, 0x3ecc95a3
	v_fmac_f32_e32 v33, 0x3e9b6dac, v32
	v_mov_b32_e32 v34, 0x3f2aaada
	v_fmac_f32_e32 v34, v32, v33
	v_mul_f32_e32 v33, 0x3f317218, v28
	v_fma_f32 v35, v28, s7, -v33
	v_fmac_f32_e32 v35, 0xb102e308, v28
	v_sub_f32_e32 v28, v31, v29
	v_sub_f32_e32 v14, v14, v28
	v_add_f32_e32 v28, v33, v35
	v_sub_f32_e32 v29, v28, v33
	v_ldexp_f32 v33, v31, 1
	v_mul_f32_e32 v31, v31, v32
	v_mul_f32_e32 v31, v31, v34
	v_add_f32_e32 v32, v33, v31
	v_sub_f32_e32 v33, v32, v33
	v_ldexp_f32 v14, v14, 1
	v_sub_f32_e32 v31, v31, v33
	v_add_f32_e32 v14, v14, v31
	v_add_f32_e32 v31, v32, v14
	v_sub_f32_e32 v32, v31, v32
	v_sub_f32_e32 v14, v14, v32
	v_add_f32_e32 v32, v28, v31
	v_sub_f32_e32 v33, v32, v28
	v_sub_f32_e32 v34, v32, v33
	v_sub_f32_e32 v29, v35, v29
	v_sub_f32_e32 v28, v28, v34
	v_sub_f32_e32 v31, v31, v33
	v_add_f32_e32 v28, v31, v28
	v_add_f32_e32 v31, v29, v14
	v_sub_f32_e32 v33, v31, v29
	v_sub_f32_e32 v34, v31, v33
	;; [unrolled: 1-line block ×4, first 2 shown]
	v_add_f32_e32 v28, v31, v28
	v_add_f32_e32 v14, v14, v29
	;; [unrolled: 1-line block ×3, first 2 shown]
	v_sub_f32_e32 v31, v29, v32
	v_sub_f32_e32 v28, v28, v31
	v_add_f32_e32 v14, v14, v28
	v_add_f32_e32 v14, v29, v14
	v_cmp_neq_f32_e32 vcc, s6, v1
	s_mov_b32 s6, 0x33800000
	v_cndmask_b32_e32 v14, v30, v14, vcc
	v_cmp_lt_f32_e64 vcc, |v1|, s6
	v_cndmask_b32_e32 v1, v14, v1, vcc
	v_add_f32_e32 v0, v0, v1
	v_cvt_f16_f32_e32 v1, v0
	v_cvt_f32_f16_e32 v31, v1
.LBB410_137:
	s_or_b64 exec, exec, s[4:5]
	v_max_f32_e32 v0, v15, v15
	v_max_f32_e32 v14, v31, v31
	v_min_f32_e32 v28, v14, v0
	v_max_f32_e32 v29, v14, v0
	v_mov_b32_e32 v30, v1
	v_mov_b32_e32 v14, v31
	;;#ASMSTART
	;;#ASMEND
.LBB410_138:
	s_or_b64 exec, exec, s[2:3]
	v_cmp_u_f16_e32 vcc, v30, v30
	v_cndmask_b32_e32 v0, v28, v14, vcc
	v_cndmask_b32_e64 v28, v0, v15, s[48:49]
	v_cndmask_b32_e32 v0, v29, v14, vcc
	v_cndmask_b32_e64 v15, v0, v15, s[48:49]
	s_movk_i32 s4, 0x1f8
	v_cmp_neq_f32_e32 vcc, v28, v15
	v_cmp_class_f32_e64 s[2:3], v28, s4
	s_or_b64 s[6:7], vcc, s[2:3]
	v_mov_b32_e32 v0, v1
	s_and_saveexec_b64 s[2:3], s[6:7]
	s_cbranch_execz .LBB410_140
; %bb.139:
	v_sub_f32_e32 v0, v28, v15
	s_mov_b32 s5, 0x3fb8aa3b
	v_mul_f32_e32 v14, 0x3fb8aa3b, v0
	v_fma_f32 v28, v0, s5, -v14
	v_rndne_f32_e32 v29, v14
	v_fmac_f32_e32 v28, 0x32a5705f, v0
	v_sub_f32_e32 v14, v14, v29
	v_add_f32_e32 v14, v14, v28
	v_exp_f32_e32 v14, v14
	v_cvt_i32_f32_e32 v28, v29
	s_mov_b32 s5, 0xc2ce8ed0
	v_cmp_ngt_f32_e32 vcc, s5, v0
	s_mov_b32 s5, 0x42b17218
	v_ldexp_f32 v14, v14, v28
	v_cndmask_b32_e32 v14, 0, v14, vcc
	v_mov_b32_e32 v30, 0x7f800000
	v_cmp_nlt_f32_e32 vcc, s5, v0
	v_cndmask_b32_e32 v0, v30, v14, vcc
	v_add_f32_e32 v14, 1.0, v0
	v_cvt_f64_f32_e32 v[28:29], v14
	v_add_f32_e32 v31, -1.0, v14
	v_sub_f32_e32 v32, v31, v14
	v_sub_f32_e32 v31, v0, v31
	v_frexp_exp_i32_f64_e32 v28, v[28:29]
	v_add_f32_e32 v29, 1.0, v32
	v_add_f32_e32 v29, v31, v29
	v_frexp_mant_f32_e32 v31, v14
	s_mov_b32 s6, 0x3f2aaaab
	v_cmp_gt_f32_e32 vcc, s6, v31
	s_mov_b32 s6, 0x3f317218
	s_mov_b32 s5, 0x7f800000
	v_subbrev_co_u32_e32 v28, vcc, 0, v28, vcc
	v_sub_u32_e32 v31, 0, v28
	v_ldexp_f32 v14, v14, v31
	v_ldexp_f32 v29, v29, v31
	v_add_f32_e32 v31, -1.0, v14
	v_add_f32_e32 v34, 1.0, v14
	v_add_f32_e32 v32, 1.0, v31
	v_add_f32_e32 v35, -1.0, v34
	v_sub_f32_e32 v32, v14, v32
	v_sub_f32_e32 v14, v14, v35
	v_add_f32_e32 v14, v29, v14
	v_add_f32_e32 v32, v29, v32
	;; [unrolled: 1-line block ×3, first 2 shown]
	v_rcp_f32_e32 v35, v29
	v_add_f32_e32 v33, v31, v32
	v_sub_f32_e32 v31, v31, v33
	v_add_f32_e32 v31, v32, v31
	v_sub_f32_e32 v32, v34, v29
	v_add_f32_e32 v14, v14, v32
	v_mul_f32_e32 v32, v33, v35
	v_mul_f32_e32 v34, v29, v32
	v_fma_f32 v36, v32, v29, -v34
	v_fmac_f32_e32 v36, v32, v14
	v_add_f32_e32 v37, v34, v36
	v_sub_f32_e32 v38, v33, v37
	v_sub_f32_e32 v33, v33, v38
	;; [unrolled: 1-line block ×4, first 2 shown]
	v_add_f32_e32 v31, v31, v33
	v_sub_f32_e32 v33, v34, v36
	v_add_f32_e32 v31, v33, v31
	v_add_f32_e32 v33, v38, v31
	v_mul_f32_e32 v34, v35, v33
	v_mul_f32_e32 v36, v29, v34
	v_fma_f32 v29, v34, v29, -v36
	v_fmac_f32_e32 v29, v34, v14
	v_sub_f32_e32 v14, v38, v33
	v_add_f32_e32 v14, v31, v14
	v_add_f32_e32 v31, v36, v29
	v_sub_f32_e32 v37, v33, v31
	v_sub_f32_e32 v33, v33, v37
	;; [unrolled: 1-line block ×4, first 2 shown]
	v_add_f32_e32 v14, v14, v31
	v_sub_f32_e32 v29, v36, v29
	v_add_f32_e32 v14, v29, v14
	v_add_f32_e32 v29, v32, v34
	;; [unrolled: 1-line block ×3, first 2 shown]
	v_sub_f32_e32 v31, v29, v32
	v_mul_f32_e32 v14, v35, v14
	v_sub_f32_e32 v31, v34, v31
	v_add_f32_e32 v14, v31, v14
	v_cvt_f32_i32_e32 v28, v28
	v_add_f32_e32 v31, v29, v14
	v_mul_f32_e32 v32, v31, v31
	v_mov_b32_e32 v33, 0x3ecc95a3
	v_fmac_f32_e32 v33, 0x3e9b6dac, v32
	v_mov_b32_e32 v34, 0x3f2aaada
	v_fmac_f32_e32 v34, v32, v33
	v_mul_f32_e32 v33, 0x3f317218, v28
	v_fma_f32 v35, v28, s6, -v33
	v_fmac_f32_e32 v35, 0xb102e308, v28
	v_sub_f32_e32 v28, v31, v29
	v_sub_f32_e32 v14, v14, v28
	v_add_f32_e32 v28, v33, v35
	v_sub_f32_e32 v29, v28, v33
	v_ldexp_f32 v33, v31, 1
	v_mul_f32_e32 v31, v31, v32
	v_mul_f32_e32 v31, v31, v34
	v_add_f32_e32 v32, v33, v31
	v_sub_f32_e32 v33, v32, v33
	v_ldexp_f32 v14, v14, 1
	v_sub_f32_e32 v31, v31, v33
	v_add_f32_e32 v14, v14, v31
	v_add_f32_e32 v31, v32, v14
	v_sub_f32_e32 v32, v31, v32
	v_sub_f32_e32 v14, v14, v32
	v_add_f32_e32 v32, v28, v31
	v_sub_f32_e32 v33, v32, v28
	v_sub_f32_e32 v34, v32, v33
	v_sub_f32_e32 v29, v35, v29
	v_sub_f32_e32 v28, v28, v34
	v_sub_f32_e32 v31, v31, v33
	v_add_f32_e32 v28, v31, v28
	v_add_f32_e32 v31, v29, v14
	v_sub_f32_e32 v33, v31, v29
	v_sub_f32_e32 v34, v31, v33
	;; [unrolled: 1-line block ×4, first 2 shown]
	v_add_f32_e32 v28, v31, v28
	v_add_f32_e32 v14, v14, v29
	;; [unrolled: 1-line block ×3, first 2 shown]
	v_sub_f32_e32 v31, v29, v32
	v_sub_f32_e32 v28, v28, v31
	v_add_f32_e32 v14, v14, v28
	v_add_f32_e32 v14, v29, v14
	v_cmp_neq_f32_e32 vcc, s5, v0
	s_mov_b32 s5, 0x33800000
	v_cndmask_b32_e32 v14, v30, v14, vcc
	v_cmp_lt_f32_e64 vcc, |v0|, s5
	v_cndmask_b32_e32 v0, v14, v0, vcc
	v_add_f32_e32 v0, v15, v0
	v_cvt_f16_f32_e32 v30, v0
	v_cvt_f32_f16_e32 v14, v30
	v_mov_b32_e32 v0, v30
.LBB410_140:
	s_or_b64 exec, exec, s[2:3]
	v_max_f32_e32 v15, v16, v16
	v_max_f32_e32 v29, v14, v14
	v_min_f32_e32 v28, v29, v15
	v_cmp_u_f16_e32 vcc, v30, v30
	v_max_f32_e32 v15, v29, v15
	v_cndmask_b32_e32 v28, v28, v14, vcc
	v_cndmask_b32_e32 v15, v15, v14, vcc
	v_cndmask_b32_e64 v28, v28, v16, s[50:51]
	v_cndmask_b32_e64 v16, v15, v16, s[50:51]
	v_cmp_neq_f32_e32 vcc, v28, v16
	v_cmp_class_f32_e64 s[2:3], v28, s4
	s_or_b64 s[4:5], vcc, s[2:3]
	v_mov_b32_e32 v15, v0
	s_and_saveexec_b64 s[2:3], s[4:5]
	s_cbranch_execz .LBB410_142
; %bb.141:
	v_sub_f32_e32 v14, v28, v16
	s_mov_b32 s4, 0x3fb8aa3b
	v_mul_f32_e32 v15, 0x3fb8aa3b, v14
	v_fma_f32 v28, v14, s4, -v15
	v_rndne_f32_e32 v29, v15
	v_fmac_f32_e32 v28, 0x32a5705f, v14
	v_sub_f32_e32 v15, v15, v29
	v_add_f32_e32 v15, v15, v28
	v_exp_f32_e32 v15, v15
	v_cvt_i32_f32_e32 v28, v29
	s_mov_b32 s4, 0xc2ce8ed0
	v_cmp_ngt_f32_e32 vcc, s4, v14
	s_mov_b32 s4, 0x42b17218
	v_ldexp_f32 v15, v15, v28
	v_cndmask_b32_e32 v15, 0, v15, vcc
	v_mov_b32_e32 v28, 0x7f800000
	v_cmp_nlt_f32_e32 vcc, s4, v14
	v_cndmask_b32_e32 v29, v28, v15, vcc
	v_add_f32_e32 v30, 1.0, v29
	v_cvt_f64_f32_e32 v[14:15], v30
	v_add_f32_e32 v31, -1.0, v30
	v_sub_f32_e32 v32, v31, v30
	v_sub_f32_e32 v31, v29, v31
	v_frexp_exp_i32_f64_e32 v14, v[14:15]
	v_add_f32_e32 v15, 1.0, v32
	v_add_f32_e32 v15, v31, v15
	v_frexp_mant_f32_e32 v31, v30
	s_mov_b32 s5, 0x3f2aaaab
	v_cmp_gt_f32_e32 vcc, s5, v31
	s_mov_b32 s5, 0x3f317218
	s_mov_b32 s4, 0x7f800000
	v_subbrev_co_u32_e32 v14, vcc, 0, v14, vcc
	v_sub_u32_e32 v31, 0, v14
	v_ldexp_f32 v30, v30, v31
	v_ldexp_f32 v15, v15, v31
	v_add_f32_e32 v31, -1.0, v30
	v_add_f32_e32 v34, 1.0, v30
	v_add_f32_e32 v32, 1.0, v31
	v_add_f32_e32 v35, -1.0, v34
	v_sub_f32_e32 v32, v30, v32
	v_sub_f32_e32 v30, v30, v35
	v_add_f32_e32 v32, v15, v32
	v_add_f32_e32 v15, v15, v30
	;; [unrolled: 1-line block ×3, first 2 shown]
	v_rcp_f32_e32 v35, v30
	v_add_f32_e32 v33, v31, v32
	v_sub_f32_e32 v31, v31, v33
	v_add_f32_e32 v31, v32, v31
	v_sub_f32_e32 v32, v34, v30
	v_add_f32_e32 v15, v15, v32
	v_mul_f32_e32 v32, v33, v35
	v_mul_f32_e32 v34, v30, v32
	v_fma_f32 v36, v32, v30, -v34
	v_fmac_f32_e32 v36, v32, v15
	v_add_f32_e32 v37, v34, v36
	v_sub_f32_e32 v38, v33, v37
	v_sub_f32_e32 v33, v33, v38
	;; [unrolled: 1-line block ×4, first 2 shown]
	v_add_f32_e32 v31, v31, v33
	v_sub_f32_e32 v33, v34, v36
	v_add_f32_e32 v31, v33, v31
	v_add_f32_e32 v33, v38, v31
	v_mul_f32_e32 v34, v35, v33
	v_mul_f32_e32 v36, v30, v34
	v_fma_f32 v30, v34, v30, -v36
	v_fmac_f32_e32 v30, v34, v15
	v_sub_f32_e32 v15, v38, v33
	v_add_f32_e32 v15, v31, v15
	v_add_f32_e32 v31, v36, v30
	v_sub_f32_e32 v37, v33, v31
	v_sub_f32_e32 v33, v33, v37
	v_sub_f32_e32 v36, v31, v36
	v_sub_f32_e32 v31, v33, v31
	v_add_f32_e32 v15, v15, v31
	v_sub_f32_e32 v30, v36, v30
	v_add_f32_e32 v15, v30, v15
	v_add_f32_e32 v30, v32, v34
	;; [unrolled: 1-line block ×3, first 2 shown]
	v_sub_f32_e32 v31, v30, v32
	v_mul_f32_e32 v15, v35, v15
	v_sub_f32_e32 v31, v34, v31
	v_add_f32_e32 v15, v31, v15
	v_cvt_f32_i32_e32 v14, v14
	v_add_f32_e32 v31, v30, v15
	v_mul_f32_e32 v32, v31, v31
	v_mov_b32_e32 v33, 0x3ecc95a3
	v_fmac_f32_e32 v33, 0x3e9b6dac, v32
	v_mov_b32_e32 v34, 0x3f2aaada
	v_fmac_f32_e32 v34, v32, v33
	v_mul_f32_e32 v33, 0x3f317218, v14
	v_fma_f32 v35, v14, s5, -v33
	v_fmac_f32_e32 v35, 0xb102e308, v14
	v_sub_f32_e32 v14, v31, v30
	v_sub_f32_e32 v14, v15, v14
	v_add_f32_e32 v15, v33, v35
	v_sub_f32_e32 v30, v15, v33
	v_ldexp_f32 v33, v31, 1
	v_mul_f32_e32 v31, v31, v32
	v_mul_f32_e32 v31, v31, v34
	v_add_f32_e32 v32, v33, v31
	v_sub_f32_e32 v33, v32, v33
	v_ldexp_f32 v14, v14, 1
	v_sub_f32_e32 v31, v31, v33
	v_add_f32_e32 v14, v14, v31
	v_add_f32_e32 v31, v32, v14
	v_sub_f32_e32 v32, v31, v32
	v_sub_f32_e32 v14, v14, v32
	v_add_f32_e32 v32, v15, v31
	v_sub_f32_e32 v33, v32, v15
	v_sub_f32_e32 v34, v32, v33
	;; [unrolled: 1-line block ×5, first 2 shown]
	v_add_f32_e32 v15, v31, v15
	v_add_f32_e32 v31, v30, v14
	v_sub_f32_e32 v33, v31, v30
	v_sub_f32_e32 v34, v31, v33
	;; [unrolled: 1-line block ×4, first 2 shown]
	v_add_f32_e32 v15, v31, v15
	v_add_f32_e32 v14, v14, v30
	v_add_f32_e32 v30, v32, v15
	v_sub_f32_e32 v31, v30, v32
	v_sub_f32_e32 v15, v15, v31
	v_add_f32_e32 v14, v14, v15
	v_add_f32_e32 v14, v30, v14
	v_cmp_neq_f32_e32 vcc, s4, v29
	s_mov_b32 s4, 0x33800000
	v_cndmask_b32_e32 v14, v28, v14, vcc
	v_cmp_lt_f32_e64 vcc, |v29|, s4
	v_cndmask_b32_e32 v14, v14, v29, vcc
	v_add_f32_e32 v14, v16, v14
	v_cvt_f16_f32_e32 v30, v14
	v_cvt_f32_f16_e32 v14, v30
	v_mov_b32_e32 v15, v30
.LBB410_142:
	s_or_b64 exec, exec, s[2:3]
	v_max_f32_e32 v16, v17, v17
	v_max_f32_e32 v29, v14, v14
	v_min_f32_e32 v28, v29, v16
	v_cmp_u_f16_e32 vcc, v30, v30
	v_max_f32_e32 v16, v29, v16
	v_cndmask_b32_e32 v28, v28, v14, vcc
	v_cndmask_b32_e32 v16, v16, v14, vcc
	v_cndmask_b32_e64 v28, v28, v17, s[52:53]
	v_cndmask_b32_e64 v17, v16, v17, s[52:53]
	s_movk_i32 s4, 0x1f8
	v_cmp_neq_f32_e32 vcc, v28, v17
	v_cmp_class_f32_e64 s[2:3], v28, s4
	s_or_b64 s[6:7], vcc, s[2:3]
	v_mov_b32_e32 v16, v15
	s_and_saveexec_b64 s[2:3], s[6:7]
	s_cbranch_execz .LBB410_144
; %bb.143:
	v_sub_f32_e32 v14, v28, v17
	s_mov_b32 s5, 0x3fb8aa3b
	v_mul_f32_e32 v16, 0x3fb8aa3b, v14
	v_fma_f32 v28, v14, s5, -v16
	v_rndne_f32_e32 v29, v16
	v_fmac_f32_e32 v28, 0x32a5705f, v14
	v_sub_f32_e32 v16, v16, v29
	v_add_f32_e32 v16, v16, v28
	v_exp_f32_e32 v16, v16
	v_cvt_i32_f32_e32 v28, v29
	s_mov_b32 s5, 0xc2ce8ed0
	v_cmp_ngt_f32_e32 vcc, s5, v14
	s_mov_b32 s5, 0x42b17218
	v_ldexp_f32 v16, v16, v28
	v_cndmask_b32_e32 v16, 0, v16, vcc
	v_mov_b32_e32 v30, 0x7f800000
	v_cmp_nlt_f32_e32 vcc, s5, v14
	v_cndmask_b32_e32 v14, v30, v16, vcc
	v_add_f32_e32 v16, 1.0, v14
	v_cvt_f64_f32_e32 v[28:29], v16
	v_add_f32_e32 v31, -1.0, v16
	v_sub_f32_e32 v32, v31, v16
	v_sub_f32_e32 v31, v14, v31
	v_frexp_exp_i32_f64_e32 v28, v[28:29]
	v_add_f32_e32 v29, 1.0, v32
	v_add_f32_e32 v29, v31, v29
	v_frexp_mant_f32_e32 v31, v16
	s_mov_b32 s6, 0x3f2aaaab
	v_cmp_gt_f32_e32 vcc, s6, v31
	s_mov_b32 s6, 0x3f317218
	s_mov_b32 s5, 0x7f800000
	v_subbrev_co_u32_e32 v28, vcc, 0, v28, vcc
	v_sub_u32_e32 v31, 0, v28
	v_ldexp_f32 v16, v16, v31
	v_ldexp_f32 v29, v29, v31
	v_add_f32_e32 v31, -1.0, v16
	v_add_f32_e32 v34, 1.0, v16
	v_add_f32_e32 v32, 1.0, v31
	v_add_f32_e32 v35, -1.0, v34
	v_sub_f32_e32 v32, v16, v32
	v_sub_f32_e32 v16, v16, v35
	v_add_f32_e32 v16, v29, v16
	v_add_f32_e32 v32, v29, v32
	;; [unrolled: 1-line block ×3, first 2 shown]
	v_rcp_f32_e32 v35, v29
	v_add_f32_e32 v33, v31, v32
	v_sub_f32_e32 v31, v31, v33
	v_add_f32_e32 v31, v32, v31
	v_sub_f32_e32 v32, v34, v29
	v_add_f32_e32 v16, v16, v32
	v_mul_f32_e32 v32, v33, v35
	v_mul_f32_e32 v34, v29, v32
	v_fma_f32 v36, v32, v29, -v34
	v_fmac_f32_e32 v36, v32, v16
	v_add_f32_e32 v37, v34, v36
	v_sub_f32_e32 v38, v33, v37
	v_sub_f32_e32 v33, v33, v38
	;; [unrolled: 1-line block ×4, first 2 shown]
	v_add_f32_e32 v31, v31, v33
	v_sub_f32_e32 v33, v34, v36
	v_add_f32_e32 v31, v33, v31
	v_add_f32_e32 v33, v38, v31
	v_mul_f32_e32 v34, v35, v33
	v_mul_f32_e32 v36, v29, v34
	v_fma_f32 v29, v34, v29, -v36
	v_fmac_f32_e32 v29, v34, v16
	v_sub_f32_e32 v16, v38, v33
	v_add_f32_e32 v16, v31, v16
	v_add_f32_e32 v31, v36, v29
	v_sub_f32_e32 v37, v33, v31
	v_sub_f32_e32 v33, v33, v37
	;; [unrolled: 1-line block ×4, first 2 shown]
	v_add_f32_e32 v16, v16, v31
	v_sub_f32_e32 v29, v36, v29
	v_add_f32_e32 v16, v29, v16
	v_add_f32_e32 v29, v32, v34
	;; [unrolled: 1-line block ×3, first 2 shown]
	v_sub_f32_e32 v31, v29, v32
	v_mul_f32_e32 v16, v35, v16
	v_sub_f32_e32 v31, v34, v31
	v_add_f32_e32 v16, v31, v16
	v_cvt_f32_i32_e32 v28, v28
	v_add_f32_e32 v31, v29, v16
	v_mul_f32_e32 v32, v31, v31
	v_mov_b32_e32 v33, 0x3ecc95a3
	v_fmac_f32_e32 v33, 0x3e9b6dac, v32
	v_mov_b32_e32 v34, 0x3f2aaada
	v_fmac_f32_e32 v34, v32, v33
	v_mul_f32_e32 v33, 0x3f317218, v28
	v_fma_f32 v35, v28, s6, -v33
	v_fmac_f32_e32 v35, 0xb102e308, v28
	v_sub_f32_e32 v28, v31, v29
	v_sub_f32_e32 v16, v16, v28
	v_add_f32_e32 v28, v33, v35
	v_sub_f32_e32 v29, v28, v33
	v_ldexp_f32 v33, v31, 1
	v_mul_f32_e32 v31, v31, v32
	v_mul_f32_e32 v31, v31, v34
	v_add_f32_e32 v32, v33, v31
	v_sub_f32_e32 v33, v32, v33
	v_ldexp_f32 v16, v16, 1
	v_sub_f32_e32 v31, v31, v33
	v_add_f32_e32 v16, v16, v31
	v_add_f32_e32 v31, v32, v16
	v_sub_f32_e32 v32, v31, v32
	v_sub_f32_e32 v16, v16, v32
	v_add_f32_e32 v32, v28, v31
	v_sub_f32_e32 v33, v32, v28
	v_sub_f32_e32 v34, v32, v33
	;; [unrolled: 1-line block ×5, first 2 shown]
	v_add_f32_e32 v28, v31, v28
	v_add_f32_e32 v31, v29, v16
	v_sub_f32_e32 v33, v31, v29
	v_sub_f32_e32 v34, v31, v33
	;; [unrolled: 1-line block ×4, first 2 shown]
	v_add_f32_e32 v28, v31, v28
	v_add_f32_e32 v16, v16, v29
	;; [unrolled: 1-line block ×3, first 2 shown]
	v_sub_f32_e32 v31, v29, v32
	v_sub_f32_e32 v28, v28, v31
	v_add_f32_e32 v16, v16, v28
	v_add_f32_e32 v16, v29, v16
	v_cmp_neq_f32_e32 vcc, s5, v14
	s_mov_b32 s5, 0x33800000
	v_cndmask_b32_e32 v16, v30, v16, vcc
	v_cmp_lt_f32_e64 vcc, |v14|, s5
	v_cndmask_b32_e32 v14, v16, v14, vcc
	v_add_f32_e32 v14, v17, v14
	v_cvt_f16_f32_e32 v30, v14
	v_cvt_f32_f16_e32 v14, v30
	v_mov_b32_e32 v16, v30
.LBB410_144:
	s_or_b64 exec, exec, s[2:3]
	v_max_f32_e32 v17, v2, v2
	v_max_f32_e32 v29, v14, v14
	v_min_f32_e32 v28, v29, v17
	v_cmp_u_f16_e32 vcc, v30, v30
	v_max_f32_e32 v17, v29, v17
	v_cndmask_b32_e32 v28, v28, v14, vcc
	v_cndmask_b32_e32 v17, v17, v14, vcc
	v_cndmask_b32_e64 v28, v28, v2, s[54:55]
	v_cndmask_b32_e64 v17, v17, v2, s[54:55]
	v_cmp_neq_f32_e32 vcc, v28, v17
	v_cmp_class_f32_e64 s[2:3], v28, s4
	s_or_b64 s[4:5], vcc, s[2:3]
	v_mov_b32_e32 v2, v16
	s_and_saveexec_b64 s[2:3], s[4:5]
	s_cbranch_execz .LBB410_146
; %bb.145:
	v_sub_f32_e32 v2, v28, v17
	s_mov_b32 s4, 0x3fb8aa3b
	v_mul_f32_e32 v14, 0x3fb8aa3b, v2
	v_fma_f32 v28, v2, s4, -v14
	v_rndne_f32_e32 v29, v14
	v_fmac_f32_e32 v28, 0x32a5705f, v2
	v_sub_f32_e32 v14, v14, v29
	v_add_f32_e32 v14, v14, v28
	v_exp_f32_e32 v14, v14
	v_cvt_i32_f32_e32 v28, v29
	s_mov_b32 s4, 0xc2ce8ed0
	v_cmp_ngt_f32_e32 vcc, s4, v2
	s_mov_b32 s4, 0x42b17218
	v_ldexp_f32 v14, v14, v28
	v_cndmask_b32_e32 v14, 0, v14, vcc
	v_mov_b32_e32 v30, 0x7f800000
	v_cmp_nlt_f32_e32 vcc, s4, v2
	v_cndmask_b32_e32 v2, v30, v14, vcc
	v_add_f32_e32 v14, 1.0, v2
	v_cvt_f64_f32_e32 v[28:29], v14
	v_add_f32_e32 v31, -1.0, v14
	v_sub_f32_e32 v32, v31, v14
	v_sub_f32_e32 v31, v2, v31
	v_frexp_exp_i32_f64_e32 v28, v[28:29]
	v_add_f32_e32 v29, 1.0, v32
	v_add_f32_e32 v29, v31, v29
	v_frexp_mant_f32_e32 v31, v14
	s_mov_b32 s5, 0x3f2aaaab
	v_cmp_gt_f32_e32 vcc, s5, v31
	s_mov_b32 s5, 0x3f317218
	s_mov_b32 s4, 0x7f800000
	v_subbrev_co_u32_e32 v28, vcc, 0, v28, vcc
	v_sub_u32_e32 v31, 0, v28
	v_ldexp_f32 v14, v14, v31
	v_ldexp_f32 v29, v29, v31
	v_add_f32_e32 v31, -1.0, v14
	v_add_f32_e32 v34, 1.0, v14
	v_add_f32_e32 v32, 1.0, v31
	v_add_f32_e32 v35, -1.0, v34
	v_sub_f32_e32 v32, v14, v32
	v_sub_f32_e32 v14, v14, v35
	v_add_f32_e32 v14, v29, v14
	v_add_f32_e32 v32, v29, v32
	;; [unrolled: 1-line block ×3, first 2 shown]
	v_rcp_f32_e32 v35, v29
	v_add_f32_e32 v33, v31, v32
	v_sub_f32_e32 v31, v31, v33
	v_add_f32_e32 v31, v32, v31
	v_sub_f32_e32 v32, v34, v29
	v_add_f32_e32 v14, v14, v32
	v_mul_f32_e32 v32, v33, v35
	v_mul_f32_e32 v34, v29, v32
	v_fma_f32 v36, v32, v29, -v34
	v_fmac_f32_e32 v36, v32, v14
	v_add_f32_e32 v37, v34, v36
	v_sub_f32_e32 v38, v33, v37
	v_sub_f32_e32 v33, v33, v38
	;; [unrolled: 1-line block ×4, first 2 shown]
	v_add_f32_e32 v31, v31, v33
	v_sub_f32_e32 v33, v34, v36
	v_add_f32_e32 v31, v33, v31
	v_add_f32_e32 v33, v38, v31
	v_mul_f32_e32 v34, v35, v33
	v_mul_f32_e32 v36, v29, v34
	v_fma_f32 v29, v34, v29, -v36
	v_fmac_f32_e32 v29, v34, v14
	v_sub_f32_e32 v14, v38, v33
	v_add_f32_e32 v14, v31, v14
	v_add_f32_e32 v31, v36, v29
	v_sub_f32_e32 v37, v33, v31
	v_sub_f32_e32 v33, v33, v37
	;; [unrolled: 1-line block ×4, first 2 shown]
	v_add_f32_e32 v14, v14, v31
	v_sub_f32_e32 v29, v36, v29
	v_add_f32_e32 v14, v29, v14
	v_add_f32_e32 v29, v32, v34
	;; [unrolled: 1-line block ×3, first 2 shown]
	v_sub_f32_e32 v31, v29, v32
	v_mul_f32_e32 v14, v35, v14
	v_sub_f32_e32 v31, v34, v31
	v_add_f32_e32 v14, v31, v14
	v_cvt_f32_i32_e32 v28, v28
	v_add_f32_e32 v31, v29, v14
	v_mul_f32_e32 v32, v31, v31
	v_mov_b32_e32 v33, 0x3ecc95a3
	v_fmac_f32_e32 v33, 0x3e9b6dac, v32
	v_mov_b32_e32 v34, 0x3f2aaada
	v_fmac_f32_e32 v34, v32, v33
	v_mul_f32_e32 v33, 0x3f317218, v28
	v_fma_f32 v35, v28, s5, -v33
	v_fmac_f32_e32 v35, 0xb102e308, v28
	v_sub_f32_e32 v28, v31, v29
	v_sub_f32_e32 v14, v14, v28
	v_add_f32_e32 v28, v33, v35
	v_sub_f32_e32 v29, v28, v33
	v_ldexp_f32 v33, v31, 1
	v_mul_f32_e32 v31, v31, v32
	v_mul_f32_e32 v31, v31, v34
	v_add_f32_e32 v32, v33, v31
	v_sub_f32_e32 v33, v32, v33
	v_ldexp_f32 v14, v14, 1
	v_sub_f32_e32 v31, v31, v33
	v_add_f32_e32 v14, v14, v31
	v_add_f32_e32 v31, v32, v14
	v_sub_f32_e32 v32, v31, v32
	v_sub_f32_e32 v14, v14, v32
	v_add_f32_e32 v32, v28, v31
	v_sub_f32_e32 v33, v32, v28
	v_sub_f32_e32 v34, v32, v33
	;; [unrolled: 1-line block ×5, first 2 shown]
	v_add_f32_e32 v28, v31, v28
	v_add_f32_e32 v31, v29, v14
	v_sub_f32_e32 v33, v31, v29
	v_sub_f32_e32 v34, v31, v33
	;; [unrolled: 1-line block ×4, first 2 shown]
	v_add_f32_e32 v28, v31, v28
	v_add_f32_e32 v14, v14, v29
	;; [unrolled: 1-line block ×3, first 2 shown]
	v_sub_f32_e32 v31, v29, v32
	v_sub_f32_e32 v28, v28, v31
	v_add_f32_e32 v14, v14, v28
	v_add_f32_e32 v14, v29, v14
	v_cmp_neq_f32_e32 vcc, s4, v2
	s_mov_b32 s4, 0x33800000
	v_cndmask_b32_e32 v14, v30, v14, vcc
	v_cmp_lt_f32_e64 vcc, |v2|, s4
	v_cndmask_b32_e32 v2, v14, v2, vcc
	v_add_f32_e32 v2, v17, v2
	v_cvt_f16_f32_e32 v30, v2
	v_cvt_f32_f16_e32 v14, v30
	v_mov_b32_e32 v2, v30
.LBB410_146:
	s_or_b64 exec, exec, s[2:3]
	v_max_f32_e32 v17, v18, v18
	v_max_f32_e32 v29, v14, v14
	v_min_f32_e32 v28, v29, v17
	v_cmp_u_f16_e32 vcc, v30, v30
	v_max_f32_e32 v17, v29, v17
	v_cndmask_b32_e32 v28, v28, v14, vcc
	v_cndmask_b32_e32 v17, v17, v14, vcc
	v_cndmask_b32_e64 v28, v28, v18, s[56:57]
	v_cndmask_b32_e64 v18, v17, v18, s[56:57]
	s_movk_i32 s4, 0x1f8
	v_cmp_neq_f32_e32 vcc, v28, v18
	v_cmp_class_f32_e64 s[2:3], v28, s4
	s_or_b64 s[6:7], vcc, s[2:3]
	v_mov_b32_e32 v17, v2
	s_and_saveexec_b64 s[2:3], s[6:7]
	s_cbranch_execz .LBB410_148
; %bb.147:
	v_sub_f32_e32 v14, v28, v18
	s_mov_b32 s5, 0x3fb8aa3b
	v_mul_f32_e32 v17, 0x3fb8aa3b, v14
	v_fma_f32 v28, v14, s5, -v17
	v_rndne_f32_e32 v29, v17
	v_fmac_f32_e32 v28, 0x32a5705f, v14
	v_sub_f32_e32 v17, v17, v29
	v_add_f32_e32 v17, v17, v28
	v_exp_f32_e32 v17, v17
	v_cvt_i32_f32_e32 v28, v29
	s_mov_b32 s5, 0xc2ce8ed0
	v_cmp_ngt_f32_e32 vcc, s5, v14
	s_mov_b32 s5, 0x42b17218
	v_ldexp_f32 v17, v17, v28
	v_cndmask_b32_e32 v17, 0, v17, vcc
	v_mov_b32_e32 v30, 0x7f800000
	v_cmp_nlt_f32_e32 vcc, s5, v14
	v_cndmask_b32_e32 v14, v30, v17, vcc
	v_add_f32_e32 v17, 1.0, v14
	v_cvt_f64_f32_e32 v[28:29], v17
	v_add_f32_e32 v31, -1.0, v17
	v_sub_f32_e32 v32, v31, v17
	v_sub_f32_e32 v31, v14, v31
	v_frexp_exp_i32_f64_e32 v28, v[28:29]
	v_add_f32_e32 v29, 1.0, v32
	v_add_f32_e32 v29, v31, v29
	v_frexp_mant_f32_e32 v31, v17
	s_mov_b32 s6, 0x3f2aaaab
	v_cmp_gt_f32_e32 vcc, s6, v31
	s_mov_b32 s6, 0x3f317218
	s_mov_b32 s5, 0x7f800000
	v_subbrev_co_u32_e32 v28, vcc, 0, v28, vcc
	v_sub_u32_e32 v31, 0, v28
	v_ldexp_f32 v17, v17, v31
	v_ldexp_f32 v29, v29, v31
	v_add_f32_e32 v31, -1.0, v17
	v_add_f32_e32 v34, 1.0, v17
	v_add_f32_e32 v32, 1.0, v31
	v_add_f32_e32 v35, -1.0, v34
	v_sub_f32_e32 v32, v17, v32
	v_sub_f32_e32 v17, v17, v35
	v_add_f32_e32 v17, v29, v17
	v_add_f32_e32 v32, v29, v32
	;; [unrolled: 1-line block ×3, first 2 shown]
	v_rcp_f32_e32 v35, v29
	v_add_f32_e32 v33, v31, v32
	v_sub_f32_e32 v31, v31, v33
	v_add_f32_e32 v31, v32, v31
	v_sub_f32_e32 v32, v34, v29
	v_add_f32_e32 v17, v17, v32
	v_mul_f32_e32 v32, v33, v35
	v_mul_f32_e32 v34, v29, v32
	v_fma_f32 v36, v32, v29, -v34
	v_fmac_f32_e32 v36, v32, v17
	v_add_f32_e32 v37, v34, v36
	v_sub_f32_e32 v38, v33, v37
	v_sub_f32_e32 v33, v33, v38
	;; [unrolled: 1-line block ×4, first 2 shown]
	v_add_f32_e32 v31, v31, v33
	v_sub_f32_e32 v33, v34, v36
	v_add_f32_e32 v31, v33, v31
	v_add_f32_e32 v33, v38, v31
	v_mul_f32_e32 v34, v35, v33
	v_mul_f32_e32 v36, v29, v34
	v_fma_f32 v29, v34, v29, -v36
	v_fmac_f32_e32 v29, v34, v17
	v_sub_f32_e32 v17, v38, v33
	v_add_f32_e32 v17, v31, v17
	v_add_f32_e32 v31, v36, v29
	v_sub_f32_e32 v37, v33, v31
	v_sub_f32_e32 v33, v33, v37
	;; [unrolled: 1-line block ×4, first 2 shown]
	v_add_f32_e32 v17, v17, v31
	v_sub_f32_e32 v29, v36, v29
	v_add_f32_e32 v17, v29, v17
	v_add_f32_e32 v29, v32, v34
	;; [unrolled: 1-line block ×3, first 2 shown]
	v_sub_f32_e32 v31, v29, v32
	v_mul_f32_e32 v17, v35, v17
	v_sub_f32_e32 v31, v34, v31
	v_add_f32_e32 v17, v31, v17
	v_cvt_f32_i32_e32 v28, v28
	v_add_f32_e32 v31, v29, v17
	v_mul_f32_e32 v32, v31, v31
	v_mov_b32_e32 v33, 0x3ecc95a3
	v_fmac_f32_e32 v33, 0x3e9b6dac, v32
	v_mov_b32_e32 v34, 0x3f2aaada
	v_fmac_f32_e32 v34, v32, v33
	v_mul_f32_e32 v33, 0x3f317218, v28
	v_fma_f32 v35, v28, s6, -v33
	v_fmac_f32_e32 v35, 0xb102e308, v28
	v_sub_f32_e32 v28, v31, v29
	v_sub_f32_e32 v17, v17, v28
	v_add_f32_e32 v28, v33, v35
	v_sub_f32_e32 v29, v28, v33
	v_ldexp_f32 v33, v31, 1
	v_mul_f32_e32 v31, v31, v32
	v_mul_f32_e32 v31, v31, v34
	v_add_f32_e32 v32, v33, v31
	v_sub_f32_e32 v33, v32, v33
	v_ldexp_f32 v17, v17, 1
	v_sub_f32_e32 v31, v31, v33
	v_add_f32_e32 v17, v17, v31
	v_add_f32_e32 v31, v32, v17
	v_sub_f32_e32 v32, v31, v32
	v_sub_f32_e32 v17, v17, v32
	v_add_f32_e32 v32, v28, v31
	v_sub_f32_e32 v33, v32, v28
	v_sub_f32_e32 v34, v32, v33
	;; [unrolled: 1-line block ×5, first 2 shown]
	v_add_f32_e32 v28, v31, v28
	v_add_f32_e32 v31, v29, v17
	v_sub_f32_e32 v33, v31, v29
	v_sub_f32_e32 v34, v31, v33
	;; [unrolled: 1-line block ×4, first 2 shown]
	v_add_f32_e32 v28, v31, v28
	v_add_f32_e32 v17, v17, v29
	;; [unrolled: 1-line block ×3, first 2 shown]
	v_sub_f32_e32 v31, v29, v32
	v_sub_f32_e32 v28, v28, v31
	v_add_f32_e32 v17, v17, v28
	v_add_f32_e32 v17, v29, v17
	v_cmp_neq_f32_e32 vcc, s5, v14
	s_mov_b32 s5, 0x33800000
	v_cndmask_b32_e32 v17, v30, v17, vcc
	v_cmp_lt_f32_e64 vcc, |v14|, s5
	v_cndmask_b32_e32 v14, v17, v14, vcc
	v_add_f32_e32 v14, v18, v14
	v_cvt_f16_f32_e32 v30, v14
	v_cvt_f32_f16_e32 v14, v30
	v_mov_b32_e32 v17, v30
.LBB410_148:
	s_or_b64 exec, exec, s[2:3]
	v_max_f32_e32 v18, v3, v3
	v_max_f32_e32 v29, v14, v14
	v_min_f32_e32 v28, v29, v18
	v_cmp_u_f16_e32 vcc, v30, v30
	v_max_f32_e32 v18, v29, v18
	v_cndmask_b32_e32 v28, v28, v14, vcc
	v_cndmask_b32_e32 v18, v18, v14, vcc
	v_cndmask_b32_e64 v28, v28, v3, s[58:59]
	v_cndmask_b32_e64 v18, v18, v3, s[58:59]
	v_cmp_neq_f32_e32 vcc, v28, v18
	v_cmp_class_f32_e64 s[2:3], v28, s4
	s_or_b64 s[4:5], vcc, s[2:3]
	v_mov_b32_e32 v3, v17
	s_and_saveexec_b64 s[2:3], s[4:5]
	s_cbranch_execz .LBB410_150
; %bb.149:
	v_sub_f32_e32 v3, v28, v18
	s_mov_b32 s4, 0x3fb8aa3b
	v_mul_f32_e32 v14, 0x3fb8aa3b, v3
	v_fma_f32 v28, v3, s4, -v14
	v_rndne_f32_e32 v29, v14
	v_fmac_f32_e32 v28, 0x32a5705f, v3
	v_sub_f32_e32 v14, v14, v29
	v_add_f32_e32 v14, v14, v28
	v_exp_f32_e32 v14, v14
	v_cvt_i32_f32_e32 v28, v29
	s_mov_b32 s4, 0xc2ce8ed0
	v_cmp_ngt_f32_e32 vcc, s4, v3
	s_mov_b32 s4, 0x42b17218
	v_ldexp_f32 v14, v14, v28
	v_cndmask_b32_e32 v14, 0, v14, vcc
	v_mov_b32_e32 v30, 0x7f800000
	v_cmp_nlt_f32_e32 vcc, s4, v3
	v_cndmask_b32_e32 v3, v30, v14, vcc
	v_add_f32_e32 v14, 1.0, v3
	v_cvt_f64_f32_e32 v[28:29], v14
	v_add_f32_e32 v31, -1.0, v14
	v_sub_f32_e32 v32, v31, v14
	v_sub_f32_e32 v31, v3, v31
	v_frexp_exp_i32_f64_e32 v28, v[28:29]
	v_add_f32_e32 v29, 1.0, v32
	v_add_f32_e32 v29, v31, v29
	v_frexp_mant_f32_e32 v31, v14
	s_mov_b32 s5, 0x3f2aaaab
	v_cmp_gt_f32_e32 vcc, s5, v31
	s_mov_b32 s5, 0x3f317218
	s_mov_b32 s4, 0x7f800000
	v_subbrev_co_u32_e32 v28, vcc, 0, v28, vcc
	v_sub_u32_e32 v31, 0, v28
	v_ldexp_f32 v14, v14, v31
	v_ldexp_f32 v29, v29, v31
	v_add_f32_e32 v31, -1.0, v14
	v_add_f32_e32 v34, 1.0, v14
	v_add_f32_e32 v32, 1.0, v31
	v_add_f32_e32 v35, -1.0, v34
	v_sub_f32_e32 v32, v14, v32
	v_sub_f32_e32 v14, v14, v35
	v_add_f32_e32 v14, v29, v14
	v_add_f32_e32 v32, v29, v32
	;; [unrolled: 1-line block ×3, first 2 shown]
	v_rcp_f32_e32 v35, v29
	v_add_f32_e32 v33, v31, v32
	v_sub_f32_e32 v31, v31, v33
	v_add_f32_e32 v31, v32, v31
	v_sub_f32_e32 v32, v34, v29
	v_add_f32_e32 v14, v14, v32
	v_mul_f32_e32 v32, v33, v35
	v_mul_f32_e32 v34, v29, v32
	v_fma_f32 v36, v32, v29, -v34
	v_fmac_f32_e32 v36, v32, v14
	v_add_f32_e32 v37, v34, v36
	v_sub_f32_e32 v38, v33, v37
	v_sub_f32_e32 v33, v33, v38
	;; [unrolled: 1-line block ×4, first 2 shown]
	v_add_f32_e32 v31, v31, v33
	v_sub_f32_e32 v33, v34, v36
	v_add_f32_e32 v31, v33, v31
	v_add_f32_e32 v33, v38, v31
	v_mul_f32_e32 v34, v35, v33
	v_mul_f32_e32 v36, v29, v34
	v_fma_f32 v29, v34, v29, -v36
	v_fmac_f32_e32 v29, v34, v14
	v_sub_f32_e32 v14, v38, v33
	v_add_f32_e32 v14, v31, v14
	v_add_f32_e32 v31, v36, v29
	v_sub_f32_e32 v37, v33, v31
	v_sub_f32_e32 v33, v33, v37
	;; [unrolled: 1-line block ×4, first 2 shown]
	v_add_f32_e32 v14, v14, v31
	v_sub_f32_e32 v29, v36, v29
	v_add_f32_e32 v14, v29, v14
	v_add_f32_e32 v29, v32, v34
	;; [unrolled: 1-line block ×3, first 2 shown]
	v_sub_f32_e32 v31, v29, v32
	v_mul_f32_e32 v14, v35, v14
	v_sub_f32_e32 v31, v34, v31
	v_add_f32_e32 v14, v31, v14
	v_cvt_f32_i32_e32 v28, v28
	v_add_f32_e32 v31, v29, v14
	v_mul_f32_e32 v32, v31, v31
	v_mov_b32_e32 v33, 0x3ecc95a3
	v_fmac_f32_e32 v33, 0x3e9b6dac, v32
	v_mov_b32_e32 v34, 0x3f2aaada
	v_fmac_f32_e32 v34, v32, v33
	v_mul_f32_e32 v33, 0x3f317218, v28
	v_fma_f32 v35, v28, s5, -v33
	v_fmac_f32_e32 v35, 0xb102e308, v28
	v_sub_f32_e32 v28, v31, v29
	v_sub_f32_e32 v14, v14, v28
	v_add_f32_e32 v28, v33, v35
	v_sub_f32_e32 v29, v28, v33
	v_ldexp_f32 v33, v31, 1
	v_mul_f32_e32 v31, v31, v32
	v_mul_f32_e32 v31, v31, v34
	v_add_f32_e32 v32, v33, v31
	v_sub_f32_e32 v33, v32, v33
	v_ldexp_f32 v14, v14, 1
	v_sub_f32_e32 v31, v31, v33
	v_add_f32_e32 v14, v14, v31
	v_add_f32_e32 v31, v32, v14
	v_sub_f32_e32 v32, v31, v32
	v_sub_f32_e32 v14, v14, v32
	v_add_f32_e32 v32, v28, v31
	v_sub_f32_e32 v33, v32, v28
	v_sub_f32_e32 v34, v32, v33
	;; [unrolled: 1-line block ×5, first 2 shown]
	v_add_f32_e32 v28, v31, v28
	v_add_f32_e32 v31, v29, v14
	v_sub_f32_e32 v33, v31, v29
	v_sub_f32_e32 v34, v31, v33
	;; [unrolled: 1-line block ×4, first 2 shown]
	v_add_f32_e32 v28, v31, v28
	v_add_f32_e32 v14, v14, v29
	;; [unrolled: 1-line block ×3, first 2 shown]
	v_sub_f32_e32 v31, v29, v32
	v_sub_f32_e32 v28, v28, v31
	v_add_f32_e32 v14, v14, v28
	v_add_f32_e32 v14, v29, v14
	v_cmp_neq_f32_e32 vcc, s4, v3
	s_mov_b32 s4, 0x33800000
	v_cndmask_b32_e32 v14, v30, v14, vcc
	v_cmp_lt_f32_e64 vcc, |v3|, s4
	v_cndmask_b32_e32 v3, v14, v3, vcc
	v_add_f32_e32 v3, v18, v3
	v_cvt_f16_f32_e32 v30, v3
	v_cvt_f32_f16_e32 v14, v30
	v_mov_b32_e32 v3, v30
.LBB410_150:
	s_or_b64 exec, exec, s[2:3]
	v_max_f32_e32 v18, v19, v19
	v_max_f32_e32 v29, v14, v14
	v_min_f32_e32 v28, v29, v18
	v_cmp_u_f16_e32 vcc, v30, v30
	v_max_f32_e32 v18, v29, v18
	v_cndmask_b32_e32 v28, v28, v14, vcc
	v_cndmask_b32_e32 v18, v18, v14, vcc
	v_cndmask_b32_e64 v28, v28, v19, s[60:61]
	v_cndmask_b32_e64 v19, v18, v19, s[60:61]
	s_movk_i32 s4, 0x1f8
	v_cmp_neq_f32_e32 vcc, v28, v19
	v_cmp_class_f32_e64 s[2:3], v28, s4
	s_or_b64 s[6:7], vcc, s[2:3]
	v_mov_b32_e32 v18, v3
	s_and_saveexec_b64 s[2:3], s[6:7]
	s_cbranch_execz .LBB410_152
; %bb.151:
	v_sub_f32_e32 v14, v28, v19
	s_mov_b32 s5, 0x3fb8aa3b
	v_mul_f32_e32 v18, 0x3fb8aa3b, v14
	v_fma_f32 v28, v14, s5, -v18
	v_rndne_f32_e32 v29, v18
	v_fmac_f32_e32 v28, 0x32a5705f, v14
	v_sub_f32_e32 v18, v18, v29
	v_add_f32_e32 v18, v18, v28
	v_exp_f32_e32 v18, v18
	v_cvt_i32_f32_e32 v28, v29
	s_mov_b32 s5, 0xc2ce8ed0
	v_cmp_ngt_f32_e32 vcc, s5, v14
	s_mov_b32 s5, 0x42b17218
	v_ldexp_f32 v18, v18, v28
	v_cndmask_b32_e32 v18, 0, v18, vcc
	v_mov_b32_e32 v30, 0x7f800000
	v_cmp_nlt_f32_e32 vcc, s5, v14
	v_cndmask_b32_e32 v14, v30, v18, vcc
	v_add_f32_e32 v18, 1.0, v14
	v_cvt_f64_f32_e32 v[28:29], v18
	v_add_f32_e32 v31, -1.0, v18
	v_sub_f32_e32 v32, v31, v18
	v_sub_f32_e32 v31, v14, v31
	v_frexp_exp_i32_f64_e32 v28, v[28:29]
	v_add_f32_e32 v29, 1.0, v32
	v_add_f32_e32 v29, v31, v29
	v_frexp_mant_f32_e32 v31, v18
	s_mov_b32 s6, 0x3f2aaaab
	v_cmp_gt_f32_e32 vcc, s6, v31
	s_mov_b32 s6, 0x3f317218
	s_mov_b32 s5, 0x7f800000
	v_subbrev_co_u32_e32 v28, vcc, 0, v28, vcc
	v_sub_u32_e32 v31, 0, v28
	v_ldexp_f32 v18, v18, v31
	v_ldexp_f32 v29, v29, v31
	v_add_f32_e32 v31, -1.0, v18
	v_add_f32_e32 v34, 1.0, v18
	v_add_f32_e32 v32, 1.0, v31
	v_add_f32_e32 v35, -1.0, v34
	v_sub_f32_e32 v32, v18, v32
	v_sub_f32_e32 v18, v18, v35
	v_add_f32_e32 v18, v29, v18
	v_add_f32_e32 v32, v29, v32
	;; [unrolled: 1-line block ×3, first 2 shown]
	v_rcp_f32_e32 v35, v29
	v_add_f32_e32 v33, v31, v32
	v_sub_f32_e32 v31, v31, v33
	v_add_f32_e32 v31, v32, v31
	v_sub_f32_e32 v32, v34, v29
	v_add_f32_e32 v18, v18, v32
	v_mul_f32_e32 v32, v33, v35
	v_mul_f32_e32 v34, v29, v32
	v_fma_f32 v36, v32, v29, -v34
	v_fmac_f32_e32 v36, v32, v18
	v_add_f32_e32 v37, v34, v36
	v_sub_f32_e32 v38, v33, v37
	v_sub_f32_e32 v33, v33, v38
	;; [unrolled: 1-line block ×4, first 2 shown]
	v_add_f32_e32 v31, v31, v33
	v_sub_f32_e32 v33, v34, v36
	v_add_f32_e32 v31, v33, v31
	v_add_f32_e32 v33, v38, v31
	v_mul_f32_e32 v34, v35, v33
	v_mul_f32_e32 v36, v29, v34
	v_fma_f32 v29, v34, v29, -v36
	v_fmac_f32_e32 v29, v34, v18
	v_sub_f32_e32 v18, v38, v33
	v_add_f32_e32 v18, v31, v18
	v_add_f32_e32 v31, v36, v29
	v_sub_f32_e32 v37, v33, v31
	v_sub_f32_e32 v33, v33, v37
	;; [unrolled: 1-line block ×4, first 2 shown]
	v_add_f32_e32 v18, v18, v31
	v_sub_f32_e32 v29, v36, v29
	v_add_f32_e32 v18, v29, v18
	v_add_f32_e32 v29, v32, v34
	;; [unrolled: 1-line block ×3, first 2 shown]
	v_sub_f32_e32 v31, v29, v32
	v_mul_f32_e32 v18, v35, v18
	v_sub_f32_e32 v31, v34, v31
	v_add_f32_e32 v18, v31, v18
	v_cvt_f32_i32_e32 v28, v28
	v_add_f32_e32 v31, v29, v18
	v_mul_f32_e32 v32, v31, v31
	v_mov_b32_e32 v33, 0x3ecc95a3
	v_fmac_f32_e32 v33, 0x3e9b6dac, v32
	v_mov_b32_e32 v34, 0x3f2aaada
	v_fmac_f32_e32 v34, v32, v33
	v_mul_f32_e32 v33, 0x3f317218, v28
	v_fma_f32 v35, v28, s6, -v33
	v_fmac_f32_e32 v35, 0xb102e308, v28
	v_sub_f32_e32 v28, v31, v29
	v_sub_f32_e32 v18, v18, v28
	v_add_f32_e32 v28, v33, v35
	v_sub_f32_e32 v29, v28, v33
	v_ldexp_f32 v33, v31, 1
	v_mul_f32_e32 v31, v31, v32
	v_mul_f32_e32 v31, v31, v34
	v_add_f32_e32 v32, v33, v31
	v_sub_f32_e32 v33, v32, v33
	v_ldexp_f32 v18, v18, 1
	v_sub_f32_e32 v31, v31, v33
	v_add_f32_e32 v18, v18, v31
	v_add_f32_e32 v31, v32, v18
	v_sub_f32_e32 v32, v31, v32
	v_sub_f32_e32 v18, v18, v32
	v_add_f32_e32 v32, v28, v31
	v_sub_f32_e32 v33, v32, v28
	v_sub_f32_e32 v34, v32, v33
	;; [unrolled: 1-line block ×5, first 2 shown]
	v_add_f32_e32 v28, v31, v28
	v_add_f32_e32 v31, v29, v18
	v_sub_f32_e32 v33, v31, v29
	v_sub_f32_e32 v34, v31, v33
	v_sub_f32_e32 v29, v29, v34
	v_sub_f32_e32 v18, v18, v33
	v_add_f32_e32 v28, v31, v28
	v_add_f32_e32 v18, v18, v29
	v_add_f32_e32 v29, v32, v28
	v_sub_f32_e32 v31, v29, v32
	v_sub_f32_e32 v28, v28, v31
	v_add_f32_e32 v18, v18, v28
	v_add_f32_e32 v18, v29, v18
	v_cmp_neq_f32_e32 vcc, s5, v14
	s_mov_b32 s5, 0x33800000
	v_cndmask_b32_e32 v18, v30, v18, vcc
	v_cmp_lt_f32_e64 vcc, |v14|, s5
	v_cndmask_b32_e32 v14, v18, v14, vcc
	v_add_f32_e32 v14, v19, v14
	v_cvt_f16_f32_e32 v30, v14
	v_cvt_f32_f16_e32 v14, v30
	v_mov_b32_e32 v18, v30
.LBB410_152:
	s_or_b64 exec, exec, s[2:3]
	v_max_f32_e32 v19, v4, v4
	v_max_f32_e32 v29, v14, v14
	v_min_f32_e32 v28, v29, v19
	v_cmp_u_f16_e32 vcc, v30, v30
	v_max_f32_e32 v19, v29, v19
	v_cndmask_b32_e32 v28, v28, v14, vcc
	v_cndmask_b32_e32 v19, v19, v14, vcc
	v_cndmask_b32_e64 v28, v28, v4, s[62:63]
	v_cndmask_b32_e64 v19, v19, v4, s[62:63]
	v_cmp_neq_f32_e32 vcc, v28, v19
	v_cmp_class_f32_e64 s[2:3], v28, s4
	s_or_b64 s[4:5], vcc, s[2:3]
	v_mov_b32_e32 v4, v18
	s_and_saveexec_b64 s[2:3], s[4:5]
	s_cbranch_execz .LBB410_154
; %bb.153:
	v_sub_f32_e32 v4, v28, v19
	s_mov_b32 s4, 0x3fb8aa3b
	v_mul_f32_e32 v14, 0x3fb8aa3b, v4
	v_fma_f32 v28, v4, s4, -v14
	v_rndne_f32_e32 v29, v14
	v_fmac_f32_e32 v28, 0x32a5705f, v4
	v_sub_f32_e32 v14, v14, v29
	v_add_f32_e32 v14, v14, v28
	v_exp_f32_e32 v14, v14
	v_cvt_i32_f32_e32 v28, v29
	s_mov_b32 s4, 0xc2ce8ed0
	v_cmp_ngt_f32_e32 vcc, s4, v4
	s_mov_b32 s4, 0x42b17218
	v_ldexp_f32 v14, v14, v28
	v_cndmask_b32_e32 v14, 0, v14, vcc
	v_mov_b32_e32 v30, 0x7f800000
	v_cmp_nlt_f32_e32 vcc, s4, v4
	v_cndmask_b32_e32 v4, v30, v14, vcc
	v_add_f32_e32 v14, 1.0, v4
	v_cvt_f64_f32_e32 v[28:29], v14
	v_add_f32_e32 v31, -1.0, v14
	v_sub_f32_e32 v32, v31, v14
	v_sub_f32_e32 v31, v4, v31
	v_frexp_exp_i32_f64_e32 v28, v[28:29]
	v_add_f32_e32 v29, 1.0, v32
	v_add_f32_e32 v29, v31, v29
	v_frexp_mant_f32_e32 v31, v14
	s_mov_b32 s5, 0x3f2aaaab
	v_cmp_gt_f32_e32 vcc, s5, v31
	s_mov_b32 s5, 0x3f317218
	s_mov_b32 s4, 0x7f800000
	v_subbrev_co_u32_e32 v28, vcc, 0, v28, vcc
	v_sub_u32_e32 v31, 0, v28
	v_ldexp_f32 v14, v14, v31
	v_ldexp_f32 v29, v29, v31
	v_add_f32_e32 v31, -1.0, v14
	v_add_f32_e32 v34, 1.0, v14
	v_add_f32_e32 v32, 1.0, v31
	v_add_f32_e32 v35, -1.0, v34
	v_sub_f32_e32 v32, v14, v32
	v_sub_f32_e32 v14, v14, v35
	v_add_f32_e32 v14, v29, v14
	v_add_f32_e32 v32, v29, v32
	;; [unrolled: 1-line block ×3, first 2 shown]
	v_rcp_f32_e32 v35, v29
	v_add_f32_e32 v33, v31, v32
	v_sub_f32_e32 v31, v31, v33
	v_add_f32_e32 v31, v32, v31
	v_sub_f32_e32 v32, v34, v29
	v_add_f32_e32 v14, v14, v32
	v_mul_f32_e32 v32, v33, v35
	v_mul_f32_e32 v34, v29, v32
	v_fma_f32 v36, v32, v29, -v34
	v_fmac_f32_e32 v36, v32, v14
	v_add_f32_e32 v37, v34, v36
	v_sub_f32_e32 v38, v33, v37
	v_sub_f32_e32 v33, v33, v38
	;; [unrolled: 1-line block ×4, first 2 shown]
	v_add_f32_e32 v31, v31, v33
	v_sub_f32_e32 v33, v34, v36
	v_add_f32_e32 v31, v33, v31
	v_add_f32_e32 v33, v38, v31
	v_mul_f32_e32 v34, v35, v33
	v_mul_f32_e32 v36, v29, v34
	v_fma_f32 v29, v34, v29, -v36
	v_fmac_f32_e32 v29, v34, v14
	v_sub_f32_e32 v14, v38, v33
	v_add_f32_e32 v14, v31, v14
	v_add_f32_e32 v31, v36, v29
	v_sub_f32_e32 v37, v33, v31
	v_sub_f32_e32 v33, v33, v37
	;; [unrolled: 1-line block ×4, first 2 shown]
	v_add_f32_e32 v14, v14, v31
	v_sub_f32_e32 v29, v36, v29
	v_add_f32_e32 v14, v29, v14
	v_add_f32_e32 v29, v32, v34
	;; [unrolled: 1-line block ×3, first 2 shown]
	v_sub_f32_e32 v31, v29, v32
	v_mul_f32_e32 v14, v35, v14
	v_sub_f32_e32 v31, v34, v31
	v_add_f32_e32 v14, v31, v14
	v_cvt_f32_i32_e32 v28, v28
	v_add_f32_e32 v31, v29, v14
	v_mul_f32_e32 v32, v31, v31
	v_mov_b32_e32 v33, 0x3ecc95a3
	v_fmac_f32_e32 v33, 0x3e9b6dac, v32
	v_mov_b32_e32 v34, 0x3f2aaada
	v_fmac_f32_e32 v34, v32, v33
	v_mul_f32_e32 v33, 0x3f317218, v28
	v_fma_f32 v35, v28, s5, -v33
	v_fmac_f32_e32 v35, 0xb102e308, v28
	v_sub_f32_e32 v28, v31, v29
	v_sub_f32_e32 v14, v14, v28
	v_add_f32_e32 v28, v33, v35
	v_sub_f32_e32 v29, v28, v33
	v_ldexp_f32 v33, v31, 1
	v_mul_f32_e32 v31, v31, v32
	v_mul_f32_e32 v31, v31, v34
	v_add_f32_e32 v32, v33, v31
	v_sub_f32_e32 v33, v32, v33
	v_ldexp_f32 v14, v14, 1
	v_sub_f32_e32 v31, v31, v33
	v_add_f32_e32 v14, v14, v31
	v_add_f32_e32 v31, v32, v14
	v_sub_f32_e32 v32, v31, v32
	v_sub_f32_e32 v14, v14, v32
	v_add_f32_e32 v32, v28, v31
	v_sub_f32_e32 v33, v32, v28
	v_sub_f32_e32 v34, v32, v33
	;; [unrolled: 1-line block ×5, first 2 shown]
	v_add_f32_e32 v28, v31, v28
	v_add_f32_e32 v31, v29, v14
	v_sub_f32_e32 v33, v31, v29
	v_sub_f32_e32 v34, v31, v33
	;; [unrolled: 1-line block ×4, first 2 shown]
	v_add_f32_e32 v28, v31, v28
	v_add_f32_e32 v14, v14, v29
	;; [unrolled: 1-line block ×3, first 2 shown]
	v_sub_f32_e32 v31, v29, v32
	v_sub_f32_e32 v28, v28, v31
	v_add_f32_e32 v14, v14, v28
	v_add_f32_e32 v14, v29, v14
	v_cmp_neq_f32_e32 vcc, s4, v4
	s_mov_b32 s4, 0x33800000
	v_cndmask_b32_e32 v14, v30, v14, vcc
	v_cmp_lt_f32_e64 vcc, |v4|, s4
	v_cndmask_b32_e32 v4, v14, v4, vcc
	v_add_f32_e32 v4, v19, v4
	v_cvt_f16_f32_e32 v30, v4
	v_cvt_f32_f16_e32 v14, v30
	v_mov_b32_e32 v4, v30
.LBB410_154:
	s_or_b64 exec, exec, s[2:3]
	v_max_f32_e32 v19, v20, v20
	v_max_f32_e32 v29, v14, v14
	v_min_f32_e32 v28, v29, v19
	v_cmp_u_f16_e32 vcc, v30, v30
	v_max_f32_e32 v19, v29, v19
	v_cndmask_b32_e32 v28, v28, v14, vcc
	v_cndmask_b32_e32 v19, v19, v14, vcc
	v_cndmask_b32_e64 v28, v28, v20, s[64:65]
	v_cndmask_b32_e64 v20, v19, v20, s[64:65]
	s_movk_i32 s4, 0x1f8
	v_cmp_neq_f32_e32 vcc, v28, v20
	v_cmp_class_f32_e64 s[2:3], v28, s4
	s_or_b64 s[6:7], vcc, s[2:3]
	v_mov_b32_e32 v19, v4
	s_and_saveexec_b64 s[2:3], s[6:7]
	s_cbranch_execz .LBB410_156
; %bb.155:
	v_sub_f32_e32 v14, v28, v20
	s_mov_b32 s5, 0x3fb8aa3b
	v_mul_f32_e32 v19, 0x3fb8aa3b, v14
	v_fma_f32 v28, v14, s5, -v19
	v_rndne_f32_e32 v29, v19
	v_fmac_f32_e32 v28, 0x32a5705f, v14
	v_sub_f32_e32 v19, v19, v29
	v_add_f32_e32 v19, v19, v28
	v_exp_f32_e32 v19, v19
	v_cvt_i32_f32_e32 v28, v29
	s_mov_b32 s5, 0xc2ce8ed0
	v_cmp_ngt_f32_e32 vcc, s5, v14
	s_mov_b32 s5, 0x42b17218
	v_ldexp_f32 v19, v19, v28
	v_cndmask_b32_e32 v19, 0, v19, vcc
	v_mov_b32_e32 v30, 0x7f800000
	v_cmp_nlt_f32_e32 vcc, s5, v14
	v_cndmask_b32_e32 v14, v30, v19, vcc
	v_add_f32_e32 v19, 1.0, v14
	v_cvt_f64_f32_e32 v[28:29], v19
	v_add_f32_e32 v31, -1.0, v19
	v_sub_f32_e32 v32, v31, v19
	v_sub_f32_e32 v31, v14, v31
	v_frexp_exp_i32_f64_e32 v28, v[28:29]
	v_add_f32_e32 v29, 1.0, v32
	v_add_f32_e32 v29, v31, v29
	v_frexp_mant_f32_e32 v31, v19
	s_mov_b32 s6, 0x3f2aaaab
	v_cmp_gt_f32_e32 vcc, s6, v31
	s_mov_b32 s6, 0x3f317218
	s_mov_b32 s5, 0x7f800000
	v_subbrev_co_u32_e32 v28, vcc, 0, v28, vcc
	v_sub_u32_e32 v31, 0, v28
	v_ldexp_f32 v19, v19, v31
	v_ldexp_f32 v29, v29, v31
	v_add_f32_e32 v31, -1.0, v19
	v_add_f32_e32 v34, 1.0, v19
	v_add_f32_e32 v32, 1.0, v31
	v_add_f32_e32 v35, -1.0, v34
	v_sub_f32_e32 v32, v19, v32
	v_sub_f32_e32 v19, v19, v35
	v_add_f32_e32 v19, v29, v19
	v_add_f32_e32 v32, v29, v32
	;; [unrolled: 1-line block ×3, first 2 shown]
	v_rcp_f32_e32 v35, v29
	v_add_f32_e32 v33, v31, v32
	v_sub_f32_e32 v31, v31, v33
	v_add_f32_e32 v31, v32, v31
	v_sub_f32_e32 v32, v34, v29
	v_add_f32_e32 v19, v19, v32
	v_mul_f32_e32 v32, v33, v35
	v_mul_f32_e32 v34, v29, v32
	v_fma_f32 v36, v32, v29, -v34
	v_fmac_f32_e32 v36, v32, v19
	v_add_f32_e32 v37, v34, v36
	v_sub_f32_e32 v38, v33, v37
	v_sub_f32_e32 v33, v33, v38
	;; [unrolled: 1-line block ×4, first 2 shown]
	v_add_f32_e32 v31, v31, v33
	v_sub_f32_e32 v33, v34, v36
	v_add_f32_e32 v31, v33, v31
	v_add_f32_e32 v33, v38, v31
	v_mul_f32_e32 v34, v35, v33
	v_mul_f32_e32 v36, v29, v34
	v_fma_f32 v29, v34, v29, -v36
	v_fmac_f32_e32 v29, v34, v19
	v_sub_f32_e32 v19, v38, v33
	v_add_f32_e32 v19, v31, v19
	v_add_f32_e32 v31, v36, v29
	v_sub_f32_e32 v37, v33, v31
	v_sub_f32_e32 v33, v33, v37
	;; [unrolled: 1-line block ×4, first 2 shown]
	v_add_f32_e32 v19, v19, v31
	v_sub_f32_e32 v29, v36, v29
	v_add_f32_e32 v19, v29, v19
	v_add_f32_e32 v29, v32, v34
	;; [unrolled: 1-line block ×3, first 2 shown]
	v_sub_f32_e32 v31, v29, v32
	v_mul_f32_e32 v19, v35, v19
	v_sub_f32_e32 v31, v34, v31
	v_add_f32_e32 v19, v31, v19
	v_cvt_f32_i32_e32 v28, v28
	v_add_f32_e32 v31, v29, v19
	v_mul_f32_e32 v32, v31, v31
	v_mov_b32_e32 v33, 0x3ecc95a3
	v_fmac_f32_e32 v33, 0x3e9b6dac, v32
	v_mov_b32_e32 v34, 0x3f2aaada
	v_fmac_f32_e32 v34, v32, v33
	v_mul_f32_e32 v33, 0x3f317218, v28
	v_fma_f32 v35, v28, s6, -v33
	v_fmac_f32_e32 v35, 0xb102e308, v28
	v_sub_f32_e32 v28, v31, v29
	v_sub_f32_e32 v19, v19, v28
	v_add_f32_e32 v28, v33, v35
	v_sub_f32_e32 v29, v28, v33
	v_ldexp_f32 v33, v31, 1
	v_mul_f32_e32 v31, v31, v32
	v_mul_f32_e32 v31, v31, v34
	v_add_f32_e32 v32, v33, v31
	v_sub_f32_e32 v33, v32, v33
	v_ldexp_f32 v19, v19, 1
	v_sub_f32_e32 v31, v31, v33
	v_add_f32_e32 v19, v19, v31
	v_add_f32_e32 v31, v32, v19
	v_sub_f32_e32 v32, v31, v32
	v_sub_f32_e32 v19, v19, v32
	v_add_f32_e32 v32, v28, v31
	v_sub_f32_e32 v33, v32, v28
	v_sub_f32_e32 v34, v32, v33
	;; [unrolled: 1-line block ×5, first 2 shown]
	v_add_f32_e32 v28, v31, v28
	v_add_f32_e32 v31, v29, v19
	v_sub_f32_e32 v33, v31, v29
	v_sub_f32_e32 v34, v31, v33
	;; [unrolled: 1-line block ×4, first 2 shown]
	v_add_f32_e32 v28, v31, v28
	v_add_f32_e32 v19, v19, v29
	;; [unrolled: 1-line block ×3, first 2 shown]
	v_sub_f32_e32 v31, v29, v32
	v_sub_f32_e32 v28, v28, v31
	v_add_f32_e32 v19, v19, v28
	v_add_f32_e32 v19, v29, v19
	v_cmp_neq_f32_e32 vcc, s5, v14
	s_mov_b32 s5, 0x33800000
	v_cndmask_b32_e32 v19, v30, v19, vcc
	v_cmp_lt_f32_e64 vcc, |v14|, s5
	v_cndmask_b32_e32 v14, v19, v14, vcc
	v_add_f32_e32 v14, v20, v14
	v_cvt_f16_f32_e32 v30, v14
	v_cvt_f32_f16_e32 v14, v30
	v_mov_b32_e32 v19, v30
.LBB410_156:
	s_or_b64 exec, exec, s[2:3]
	v_max_f32_e32 v20, v9, v9
	v_max_f32_e32 v29, v14, v14
	v_min_f32_e32 v28, v29, v20
	v_cmp_u_f16_e32 vcc, v30, v30
	v_max_f32_e32 v20, v29, v20
	v_cndmask_b32_e32 v28, v28, v14, vcc
	v_cndmask_b32_e32 v20, v20, v14, vcc
	v_cndmask_b32_e64 v28, v28, v9, s[66:67]
	v_cndmask_b32_e64 v20, v20, v9, s[66:67]
	v_cmp_neq_f32_e32 vcc, v28, v20
	v_cmp_class_f32_e64 s[2:3], v28, s4
	s_or_b64 s[4:5], vcc, s[2:3]
	v_mov_b32_e32 v9, v19
	s_and_saveexec_b64 s[2:3], s[4:5]
	s_cbranch_execz .LBB410_158
; %bb.157:
	v_sub_f32_e32 v9, v28, v20
	s_mov_b32 s4, 0x3fb8aa3b
	v_mul_f32_e32 v14, 0x3fb8aa3b, v9
	v_fma_f32 v28, v9, s4, -v14
	v_rndne_f32_e32 v29, v14
	v_fmac_f32_e32 v28, 0x32a5705f, v9
	v_sub_f32_e32 v14, v14, v29
	v_add_f32_e32 v14, v14, v28
	v_exp_f32_e32 v14, v14
	v_cvt_i32_f32_e32 v28, v29
	s_mov_b32 s4, 0xc2ce8ed0
	v_cmp_ngt_f32_e32 vcc, s4, v9
	s_mov_b32 s4, 0x42b17218
	v_ldexp_f32 v14, v14, v28
	v_cndmask_b32_e32 v14, 0, v14, vcc
	v_mov_b32_e32 v30, 0x7f800000
	v_cmp_nlt_f32_e32 vcc, s4, v9
	v_cndmask_b32_e32 v9, v30, v14, vcc
	v_add_f32_e32 v14, 1.0, v9
	v_cvt_f64_f32_e32 v[28:29], v14
	v_add_f32_e32 v31, -1.0, v14
	v_sub_f32_e32 v32, v31, v14
	v_sub_f32_e32 v31, v9, v31
	v_frexp_exp_i32_f64_e32 v28, v[28:29]
	v_add_f32_e32 v29, 1.0, v32
	v_add_f32_e32 v29, v31, v29
	v_frexp_mant_f32_e32 v31, v14
	s_mov_b32 s5, 0x3f2aaaab
	v_cmp_gt_f32_e32 vcc, s5, v31
	s_mov_b32 s5, 0x3f317218
	s_mov_b32 s4, 0x7f800000
	v_subbrev_co_u32_e32 v28, vcc, 0, v28, vcc
	v_sub_u32_e32 v31, 0, v28
	v_ldexp_f32 v14, v14, v31
	v_ldexp_f32 v29, v29, v31
	v_add_f32_e32 v31, -1.0, v14
	v_add_f32_e32 v34, 1.0, v14
	v_add_f32_e32 v32, 1.0, v31
	v_add_f32_e32 v35, -1.0, v34
	v_sub_f32_e32 v32, v14, v32
	v_sub_f32_e32 v14, v14, v35
	v_add_f32_e32 v14, v29, v14
	v_add_f32_e32 v32, v29, v32
	;; [unrolled: 1-line block ×3, first 2 shown]
	v_rcp_f32_e32 v35, v29
	v_add_f32_e32 v33, v31, v32
	v_sub_f32_e32 v31, v31, v33
	v_add_f32_e32 v31, v32, v31
	v_sub_f32_e32 v32, v34, v29
	v_add_f32_e32 v14, v14, v32
	v_mul_f32_e32 v32, v33, v35
	v_mul_f32_e32 v34, v29, v32
	v_fma_f32 v36, v32, v29, -v34
	v_fmac_f32_e32 v36, v32, v14
	v_add_f32_e32 v37, v34, v36
	v_sub_f32_e32 v38, v33, v37
	v_sub_f32_e32 v33, v33, v38
	;; [unrolled: 1-line block ×4, first 2 shown]
	v_add_f32_e32 v31, v31, v33
	v_sub_f32_e32 v33, v34, v36
	v_add_f32_e32 v31, v33, v31
	v_add_f32_e32 v33, v38, v31
	v_mul_f32_e32 v34, v35, v33
	v_mul_f32_e32 v36, v29, v34
	v_fma_f32 v29, v34, v29, -v36
	v_fmac_f32_e32 v29, v34, v14
	v_sub_f32_e32 v14, v38, v33
	v_add_f32_e32 v14, v31, v14
	v_add_f32_e32 v31, v36, v29
	v_sub_f32_e32 v37, v33, v31
	v_sub_f32_e32 v33, v33, v37
	;; [unrolled: 1-line block ×4, first 2 shown]
	v_add_f32_e32 v14, v14, v31
	v_sub_f32_e32 v29, v36, v29
	v_add_f32_e32 v14, v29, v14
	v_add_f32_e32 v29, v32, v34
	;; [unrolled: 1-line block ×3, first 2 shown]
	v_sub_f32_e32 v31, v29, v32
	v_mul_f32_e32 v14, v35, v14
	v_sub_f32_e32 v31, v34, v31
	v_add_f32_e32 v14, v31, v14
	v_cvt_f32_i32_e32 v28, v28
	v_add_f32_e32 v31, v29, v14
	v_mul_f32_e32 v32, v31, v31
	v_mov_b32_e32 v33, 0x3ecc95a3
	v_fmac_f32_e32 v33, 0x3e9b6dac, v32
	v_mov_b32_e32 v34, 0x3f2aaada
	v_fmac_f32_e32 v34, v32, v33
	v_mul_f32_e32 v33, 0x3f317218, v28
	v_fma_f32 v35, v28, s5, -v33
	v_fmac_f32_e32 v35, 0xb102e308, v28
	v_sub_f32_e32 v28, v31, v29
	v_sub_f32_e32 v14, v14, v28
	v_add_f32_e32 v28, v33, v35
	v_sub_f32_e32 v29, v28, v33
	v_ldexp_f32 v33, v31, 1
	v_mul_f32_e32 v31, v31, v32
	v_mul_f32_e32 v31, v31, v34
	v_add_f32_e32 v32, v33, v31
	v_sub_f32_e32 v33, v32, v33
	v_ldexp_f32 v14, v14, 1
	v_sub_f32_e32 v31, v31, v33
	v_add_f32_e32 v14, v14, v31
	v_add_f32_e32 v31, v32, v14
	v_sub_f32_e32 v32, v31, v32
	v_sub_f32_e32 v14, v14, v32
	v_add_f32_e32 v32, v28, v31
	v_sub_f32_e32 v33, v32, v28
	v_sub_f32_e32 v34, v32, v33
	;; [unrolled: 1-line block ×5, first 2 shown]
	v_add_f32_e32 v28, v31, v28
	v_add_f32_e32 v31, v29, v14
	v_sub_f32_e32 v33, v31, v29
	v_sub_f32_e32 v34, v31, v33
	;; [unrolled: 1-line block ×4, first 2 shown]
	v_add_f32_e32 v28, v31, v28
	v_add_f32_e32 v14, v14, v29
	;; [unrolled: 1-line block ×3, first 2 shown]
	v_sub_f32_e32 v31, v29, v32
	v_sub_f32_e32 v28, v28, v31
	v_add_f32_e32 v14, v14, v28
	v_add_f32_e32 v14, v29, v14
	v_cmp_neq_f32_e32 vcc, s4, v9
	s_mov_b32 s4, 0x33800000
	v_cndmask_b32_e32 v14, v30, v14, vcc
	v_cmp_lt_f32_e64 vcc, |v9|, s4
	v_cndmask_b32_e32 v9, v14, v9, vcc
	v_add_f32_e32 v9, v20, v9
	v_cvt_f16_f32_e32 v30, v9
	v_cvt_f32_f16_e32 v14, v30
	v_mov_b32_e32 v9, v30
.LBB410_158:
	s_or_b64 exec, exec, s[2:3]
	v_max_f32_e32 v20, v21, v21
	v_max_f32_e32 v29, v14, v14
	v_min_f32_e32 v28, v29, v20
	v_cmp_u_f16_e32 vcc, v30, v30
	v_max_f32_e32 v20, v29, v20
	v_cndmask_b32_e32 v28, v28, v14, vcc
	v_cndmask_b32_e32 v20, v20, v14, vcc
	v_cndmask_b32_e64 v28, v28, v21, s[68:69]
	v_cndmask_b32_e64 v21, v20, v21, s[68:69]
	s_movk_i32 s4, 0x1f8
	v_cmp_neq_f32_e32 vcc, v28, v21
	v_cmp_class_f32_e64 s[2:3], v28, s4
	s_or_b64 s[6:7], vcc, s[2:3]
	v_mov_b32_e32 v20, v9
	s_and_saveexec_b64 s[2:3], s[6:7]
	s_cbranch_execz .LBB410_160
; %bb.159:
	v_sub_f32_e32 v14, v28, v21
	s_mov_b32 s5, 0x3fb8aa3b
	v_mul_f32_e32 v20, 0x3fb8aa3b, v14
	v_fma_f32 v28, v14, s5, -v20
	v_rndne_f32_e32 v29, v20
	v_fmac_f32_e32 v28, 0x32a5705f, v14
	v_sub_f32_e32 v20, v20, v29
	v_add_f32_e32 v20, v20, v28
	v_exp_f32_e32 v20, v20
	v_cvt_i32_f32_e32 v28, v29
	s_mov_b32 s5, 0xc2ce8ed0
	v_cmp_ngt_f32_e32 vcc, s5, v14
	s_mov_b32 s5, 0x42b17218
	v_ldexp_f32 v20, v20, v28
	v_cndmask_b32_e32 v20, 0, v20, vcc
	v_mov_b32_e32 v30, 0x7f800000
	v_cmp_nlt_f32_e32 vcc, s5, v14
	v_cndmask_b32_e32 v14, v30, v20, vcc
	v_add_f32_e32 v20, 1.0, v14
	v_cvt_f64_f32_e32 v[28:29], v20
	v_add_f32_e32 v31, -1.0, v20
	v_sub_f32_e32 v32, v31, v20
	v_sub_f32_e32 v31, v14, v31
	v_frexp_exp_i32_f64_e32 v28, v[28:29]
	v_add_f32_e32 v29, 1.0, v32
	v_add_f32_e32 v29, v31, v29
	v_frexp_mant_f32_e32 v31, v20
	s_mov_b32 s6, 0x3f2aaaab
	v_cmp_gt_f32_e32 vcc, s6, v31
	s_mov_b32 s6, 0x3f317218
	s_mov_b32 s5, 0x7f800000
	v_subbrev_co_u32_e32 v28, vcc, 0, v28, vcc
	v_sub_u32_e32 v31, 0, v28
	v_ldexp_f32 v20, v20, v31
	v_ldexp_f32 v29, v29, v31
	v_add_f32_e32 v31, -1.0, v20
	v_add_f32_e32 v34, 1.0, v20
	v_add_f32_e32 v32, 1.0, v31
	v_add_f32_e32 v35, -1.0, v34
	v_sub_f32_e32 v32, v20, v32
	v_sub_f32_e32 v20, v20, v35
	v_add_f32_e32 v20, v29, v20
	v_add_f32_e32 v32, v29, v32
	;; [unrolled: 1-line block ×3, first 2 shown]
	v_rcp_f32_e32 v35, v29
	v_add_f32_e32 v33, v31, v32
	v_sub_f32_e32 v31, v31, v33
	v_add_f32_e32 v31, v32, v31
	v_sub_f32_e32 v32, v34, v29
	v_add_f32_e32 v20, v20, v32
	v_mul_f32_e32 v32, v33, v35
	v_mul_f32_e32 v34, v29, v32
	v_fma_f32 v36, v32, v29, -v34
	v_fmac_f32_e32 v36, v32, v20
	v_add_f32_e32 v37, v34, v36
	v_sub_f32_e32 v38, v33, v37
	v_sub_f32_e32 v33, v33, v38
	;; [unrolled: 1-line block ×4, first 2 shown]
	v_add_f32_e32 v31, v31, v33
	v_sub_f32_e32 v33, v34, v36
	v_add_f32_e32 v31, v33, v31
	v_add_f32_e32 v33, v38, v31
	v_mul_f32_e32 v34, v35, v33
	v_mul_f32_e32 v36, v29, v34
	v_fma_f32 v29, v34, v29, -v36
	v_fmac_f32_e32 v29, v34, v20
	v_sub_f32_e32 v20, v38, v33
	v_add_f32_e32 v20, v31, v20
	v_add_f32_e32 v31, v36, v29
	v_sub_f32_e32 v37, v33, v31
	v_sub_f32_e32 v33, v33, v37
	;; [unrolled: 1-line block ×4, first 2 shown]
	v_add_f32_e32 v20, v20, v31
	v_sub_f32_e32 v29, v36, v29
	v_add_f32_e32 v20, v29, v20
	v_add_f32_e32 v29, v32, v34
	;; [unrolled: 1-line block ×3, first 2 shown]
	v_sub_f32_e32 v31, v29, v32
	v_mul_f32_e32 v20, v35, v20
	v_sub_f32_e32 v31, v34, v31
	v_add_f32_e32 v20, v31, v20
	v_cvt_f32_i32_e32 v28, v28
	v_add_f32_e32 v31, v29, v20
	v_mul_f32_e32 v32, v31, v31
	v_mov_b32_e32 v33, 0x3ecc95a3
	v_fmac_f32_e32 v33, 0x3e9b6dac, v32
	v_mov_b32_e32 v34, 0x3f2aaada
	v_fmac_f32_e32 v34, v32, v33
	v_mul_f32_e32 v33, 0x3f317218, v28
	v_fma_f32 v35, v28, s6, -v33
	v_fmac_f32_e32 v35, 0xb102e308, v28
	v_sub_f32_e32 v28, v31, v29
	v_sub_f32_e32 v20, v20, v28
	v_add_f32_e32 v28, v33, v35
	v_sub_f32_e32 v29, v28, v33
	v_ldexp_f32 v33, v31, 1
	v_mul_f32_e32 v31, v31, v32
	v_mul_f32_e32 v31, v31, v34
	v_add_f32_e32 v32, v33, v31
	v_sub_f32_e32 v33, v32, v33
	v_ldexp_f32 v20, v20, 1
	v_sub_f32_e32 v31, v31, v33
	v_add_f32_e32 v20, v20, v31
	v_add_f32_e32 v31, v32, v20
	v_sub_f32_e32 v32, v31, v32
	v_sub_f32_e32 v20, v20, v32
	v_add_f32_e32 v32, v28, v31
	v_sub_f32_e32 v33, v32, v28
	v_sub_f32_e32 v34, v32, v33
	;; [unrolled: 1-line block ×5, first 2 shown]
	v_add_f32_e32 v28, v31, v28
	v_add_f32_e32 v31, v29, v20
	v_sub_f32_e32 v33, v31, v29
	v_sub_f32_e32 v34, v31, v33
	;; [unrolled: 1-line block ×4, first 2 shown]
	v_add_f32_e32 v28, v31, v28
	v_add_f32_e32 v20, v20, v29
	;; [unrolled: 1-line block ×3, first 2 shown]
	v_sub_f32_e32 v31, v29, v32
	v_sub_f32_e32 v28, v28, v31
	v_add_f32_e32 v20, v20, v28
	v_add_f32_e32 v20, v29, v20
	v_cmp_neq_f32_e32 vcc, s5, v14
	s_mov_b32 s5, 0x33800000
	v_cndmask_b32_e32 v20, v30, v20, vcc
	v_cmp_lt_f32_e64 vcc, |v14|, s5
	v_cndmask_b32_e32 v14, v20, v14, vcc
	v_add_f32_e32 v14, v21, v14
	v_cvt_f16_f32_e32 v30, v14
	v_cvt_f32_f16_e32 v14, v30
	v_mov_b32_e32 v20, v30
.LBB410_160:
	s_or_b64 exec, exec, s[2:3]
	v_max_f32_e32 v21, v10, v10
	v_max_f32_e32 v29, v14, v14
	v_min_f32_e32 v28, v29, v21
	v_cmp_u_f16_e32 vcc, v30, v30
	v_max_f32_e32 v21, v29, v21
	v_cndmask_b32_e32 v28, v28, v14, vcc
	v_cndmask_b32_e32 v21, v21, v14, vcc
	v_cndmask_b32_e64 v28, v28, v10, s[70:71]
	v_cndmask_b32_e64 v21, v21, v10, s[70:71]
	v_cmp_neq_f32_e32 vcc, v28, v21
	v_cmp_class_f32_e64 s[2:3], v28, s4
	s_or_b64 s[4:5], vcc, s[2:3]
	v_mov_b32_e32 v10, v20
	s_and_saveexec_b64 s[2:3], s[4:5]
	s_cbranch_execz .LBB410_162
; %bb.161:
	v_sub_f32_e32 v10, v28, v21
	s_mov_b32 s4, 0x3fb8aa3b
	v_mul_f32_e32 v14, 0x3fb8aa3b, v10
	v_fma_f32 v28, v10, s4, -v14
	v_rndne_f32_e32 v29, v14
	v_fmac_f32_e32 v28, 0x32a5705f, v10
	v_sub_f32_e32 v14, v14, v29
	v_add_f32_e32 v14, v14, v28
	v_exp_f32_e32 v14, v14
	v_cvt_i32_f32_e32 v28, v29
	s_mov_b32 s4, 0xc2ce8ed0
	v_cmp_ngt_f32_e32 vcc, s4, v10
	s_mov_b32 s4, 0x42b17218
	v_ldexp_f32 v14, v14, v28
	v_cndmask_b32_e32 v14, 0, v14, vcc
	v_mov_b32_e32 v30, 0x7f800000
	v_cmp_nlt_f32_e32 vcc, s4, v10
	v_cndmask_b32_e32 v10, v30, v14, vcc
	v_add_f32_e32 v14, 1.0, v10
	v_cvt_f64_f32_e32 v[28:29], v14
	v_add_f32_e32 v31, -1.0, v14
	v_sub_f32_e32 v32, v31, v14
	v_sub_f32_e32 v31, v10, v31
	v_frexp_exp_i32_f64_e32 v28, v[28:29]
	v_add_f32_e32 v29, 1.0, v32
	v_add_f32_e32 v29, v31, v29
	v_frexp_mant_f32_e32 v31, v14
	s_mov_b32 s5, 0x3f2aaaab
	v_cmp_gt_f32_e32 vcc, s5, v31
	s_mov_b32 s5, 0x3f317218
	s_mov_b32 s4, 0x7f800000
	v_subbrev_co_u32_e32 v28, vcc, 0, v28, vcc
	v_sub_u32_e32 v31, 0, v28
	v_ldexp_f32 v14, v14, v31
	v_ldexp_f32 v29, v29, v31
	v_add_f32_e32 v31, -1.0, v14
	v_add_f32_e32 v34, 1.0, v14
	v_add_f32_e32 v32, 1.0, v31
	v_add_f32_e32 v35, -1.0, v34
	v_sub_f32_e32 v32, v14, v32
	v_sub_f32_e32 v14, v14, v35
	v_add_f32_e32 v14, v29, v14
	v_add_f32_e32 v32, v29, v32
	;; [unrolled: 1-line block ×3, first 2 shown]
	v_rcp_f32_e32 v35, v29
	v_add_f32_e32 v33, v31, v32
	v_sub_f32_e32 v31, v31, v33
	v_add_f32_e32 v31, v32, v31
	v_sub_f32_e32 v32, v34, v29
	v_add_f32_e32 v14, v14, v32
	v_mul_f32_e32 v32, v33, v35
	v_mul_f32_e32 v34, v29, v32
	v_fma_f32 v36, v32, v29, -v34
	v_fmac_f32_e32 v36, v32, v14
	v_add_f32_e32 v37, v34, v36
	v_sub_f32_e32 v38, v33, v37
	v_sub_f32_e32 v33, v33, v38
	;; [unrolled: 1-line block ×4, first 2 shown]
	v_add_f32_e32 v31, v31, v33
	v_sub_f32_e32 v33, v34, v36
	v_add_f32_e32 v31, v33, v31
	v_add_f32_e32 v33, v38, v31
	v_mul_f32_e32 v34, v35, v33
	v_mul_f32_e32 v36, v29, v34
	v_fma_f32 v29, v34, v29, -v36
	v_fmac_f32_e32 v29, v34, v14
	v_sub_f32_e32 v14, v38, v33
	v_add_f32_e32 v14, v31, v14
	v_add_f32_e32 v31, v36, v29
	v_sub_f32_e32 v37, v33, v31
	v_sub_f32_e32 v33, v33, v37
	;; [unrolled: 1-line block ×4, first 2 shown]
	v_add_f32_e32 v14, v14, v31
	v_sub_f32_e32 v29, v36, v29
	v_add_f32_e32 v14, v29, v14
	v_add_f32_e32 v29, v32, v34
	v_add_f32_e32 v14, v37, v14
	v_sub_f32_e32 v31, v29, v32
	v_mul_f32_e32 v14, v35, v14
	v_sub_f32_e32 v31, v34, v31
	v_add_f32_e32 v14, v31, v14
	v_cvt_f32_i32_e32 v28, v28
	v_add_f32_e32 v31, v29, v14
	v_mul_f32_e32 v32, v31, v31
	v_mov_b32_e32 v33, 0x3ecc95a3
	v_fmac_f32_e32 v33, 0x3e9b6dac, v32
	v_mov_b32_e32 v34, 0x3f2aaada
	v_fmac_f32_e32 v34, v32, v33
	v_mul_f32_e32 v33, 0x3f317218, v28
	v_fma_f32 v35, v28, s5, -v33
	v_fmac_f32_e32 v35, 0xb102e308, v28
	v_sub_f32_e32 v28, v31, v29
	v_sub_f32_e32 v14, v14, v28
	v_add_f32_e32 v28, v33, v35
	v_sub_f32_e32 v29, v28, v33
	v_ldexp_f32 v33, v31, 1
	v_mul_f32_e32 v31, v31, v32
	v_mul_f32_e32 v31, v31, v34
	v_add_f32_e32 v32, v33, v31
	v_sub_f32_e32 v33, v32, v33
	v_ldexp_f32 v14, v14, 1
	v_sub_f32_e32 v31, v31, v33
	v_add_f32_e32 v14, v14, v31
	v_add_f32_e32 v31, v32, v14
	v_sub_f32_e32 v32, v31, v32
	v_sub_f32_e32 v14, v14, v32
	v_add_f32_e32 v32, v28, v31
	v_sub_f32_e32 v33, v32, v28
	v_sub_f32_e32 v34, v32, v33
	;; [unrolled: 1-line block ×5, first 2 shown]
	v_add_f32_e32 v28, v31, v28
	v_add_f32_e32 v31, v29, v14
	v_sub_f32_e32 v33, v31, v29
	v_sub_f32_e32 v34, v31, v33
	;; [unrolled: 1-line block ×4, first 2 shown]
	v_add_f32_e32 v28, v31, v28
	v_add_f32_e32 v14, v14, v29
	;; [unrolled: 1-line block ×3, first 2 shown]
	v_sub_f32_e32 v31, v29, v32
	v_sub_f32_e32 v28, v28, v31
	v_add_f32_e32 v14, v14, v28
	v_add_f32_e32 v14, v29, v14
	v_cmp_neq_f32_e32 vcc, s4, v10
	s_mov_b32 s4, 0x33800000
	v_cndmask_b32_e32 v14, v30, v14, vcc
	v_cmp_lt_f32_e64 vcc, |v10|, s4
	v_cndmask_b32_e32 v10, v14, v10, vcc
	v_add_f32_e32 v10, v21, v10
	v_cvt_f16_f32_e32 v30, v10
	v_cvt_f32_f16_e32 v14, v30
	v_mov_b32_e32 v10, v30
.LBB410_162:
	s_or_b64 exec, exec, s[2:3]
	v_max_f32_e32 v21, v22, v22
	v_max_f32_e32 v29, v14, v14
	v_min_f32_e32 v28, v29, v21
	v_cmp_u_f16_e32 vcc, v30, v30
	v_max_f32_e32 v21, v29, v21
	v_cndmask_b32_e32 v28, v28, v14, vcc
	v_cndmask_b32_e32 v21, v21, v14, vcc
	v_cndmask_b32_e64 v28, v28, v22, s[72:73]
	v_cndmask_b32_e64 v22, v21, v22, s[72:73]
	s_movk_i32 s4, 0x1f8
	v_cmp_neq_f32_e32 vcc, v28, v22
	v_cmp_class_f32_e64 s[2:3], v28, s4
	s_or_b64 s[6:7], vcc, s[2:3]
	v_mov_b32_e32 v21, v10
	s_and_saveexec_b64 s[2:3], s[6:7]
	s_cbranch_execz .LBB410_164
; %bb.163:
	v_sub_f32_e32 v14, v28, v22
	s_mov_b32 s5, 0x3fb8aa3b
	v_mul_f32_e32 v21, 0x3fb8aa3b, v14
	v_fma_f32 v28, v14, s5, -v21
	v_rndne_f32_e32 v29, v21
	v_fmac_f32_e32 v28, 0x32a5705f, v14
	v_sub_f32_e32 v21, v21, v29
	v_add_f32_e32 v21, v21, v28
	v_exp_f32_e32 v21, v21
	v_cvt_i32_f32_e32 v28, v29
	s_mov_b32 s5, 0xc2ce8ed0
	v_cmp_ngt_f32_e32 vcc, s5, v14
	s_mov_b32 s5, 0x42b17218
	v_ldexp_f32 v21, v21, v28
	v_cndmask_b32_e32 v21, 0, v21, vcc
	v_mov_b32_e32 v30, 0x7f800000
	v_cmp_nlt_f32_e32 vcc, s5, v14
	v_cndmask_b32_e32 v14, v30, v21, vcc
	v_add_f32_e32 v21, 1.0, v14
	v_cvt_f64_f32_e32 v[28:29], v21
	v_add_f32_e32 v31, -1.0, v21
	v_sub_f32_e32 v32, v31, v21
	v_sub_f32_e32 v31, v14, v31
	v_frexp_exp_i32_f64_e32 v28, v[28:29]
	v_add_f32_e32 v29, 1.0, v32
	v_add_f32_e32 v29, v31, v29
	v_frexp_mant_f32_e32 v31, v21
	s_mov_b32 s6, 0x3f2aaaab
	v_cmp_gt_f32_e32 vcc, s6, v31
	s_mov_b32 s6, 0x3f317218
	s_mov_b32 s5, 0x7f800000
	v_subbrev_co_u32_e32 v28, vcc, 0, v28, vcc
	v_sub_u32_e32 v31, 0, v28
	v_ldexp_f32 v21, v21, v31
	v_ldexp_f32 v29, v29, v31
	v_add_f32_e32 v31, -1.0, v21
	v_add_f32_e32 v34, 1.0, v21
	v_add_f32_e32 v32, 1.0, v31
	v_add_f32_e32 v35, -1.0, v34
	v_sub_f32_e32 v32, v21, v32
	v_sub_f32_e32 v21, v21, v35
	v_add_f32_e32 v21, v29, v21
	v_add_f32_e32 v32, v29, v32
	;; [unrolled: 1-line block ×3, first 2 shown]
	v_rcp_f32_e32 v35, v29
	v_add_f32_e32 v33, v31, v32
	v_sub_f32_e32 v31, v31, v33
	v_add_f32_e32 v31, v32, v31
	v_sub_f32_e32 v32, v34, v29
	v_add_f32_e32 v21, v21, v32
	v_mul_f32_e32 v32, v33, v35
	v_mul_f32_e32 v34, v29, v32
	v_fma_f32 v36, v32, v29, -v34
	v_fmac_f32_e32 v36, v32, v21
	v_add_f32_e32 v37, v34, v36
	v_sub_f32_e32 v38, v33, v37
	v_sub_f32_e32 v33, v33, v38
	;; [unrolled: 1-line block ×4, first 2 shown]
	v_add_f32_e32 v31, v31, v33
	v_sub_f32_e32 v33, v34, v36
	v_add_f32_e32 v31, v33, v31
	v_add_f32_e32 v33, v38, v31
	v_mul_f32_e32 v34, v35, v33
	v_mul_f32_e32 v36, v29, v34
	v_fma_f32 v29, v34, v29, -v36
	v_fmac_f32_e32 v29, v34, v21
	v_sub_f32_e32 v21, v38, v33
	v_add_f32_e32 v21, v31, v21
	v_add_f32_e32 v31, v36, v29
	v_sub_f32_e32 v37, v33, v31
	v_sub_f32_e32 v33, v33, v37
	;; [unrolled: 1-line block ×4, first 2 shown]
	v_add_f32_e32 v21, v21, v31
	v_sub_f32_e32 v29, v36, v29
	v_add_f32_e32 v21, v29, v21
	v_add_f32_e32 v29, v32, v34
	v_add_f32_e32 v21, v37, v21
	v_sub_f32_e32 v31, v29, v32
	v_mul_f32_e32 v21, v35, v21
	v_sub_f32_e32 v31, v34, v31
	v_add_f32_e32 v21, v31, v21
	v_cvt_f32_i32_e32 v28, v28
	v_add_f32_e32 v31, v29, v21
	v_mul_f32_e32 v32, v31, v31
	v_mov_b32_e32 v33, 0x3ecc95a3
	v_fmac_f32_e32 v33, 0x3e9b6dac, v32
	v_mov_b32_e32 v34, 0x3f2aaada
	v_fmac_f32_e32 v34, v32, v33
	v_mul_f32_e32 v33, 0x3f317218, v28
	v_fma_f32 v35, v28, s6, -v33
	v_fmac_f32_e32 v35, 0xb102e308, v28
	v_sub_f32_e32 v28, v31, v29
	v_sub_f32_e32 v21, v21, v28
	v_add_f32_e32 v28, v33, v35
	v_sub_f32_e32 v29, v28, v33
	v_ldexp_f32 v33, v31, 1
	v_mul_f32_e32 v31, v31, v32
	v_mul_f32_e32 v31, v31, v34
	v_add_f32_e32 v32, v33, v31
	v_sub_f32_e32 v33, v32, v33
	v_ldexp_f32 v21, v21, 1
	v_sub_f32_e32 v31, v31, v33
	v_add_f32_e32 v21, v21, v31
	v_add_f32_e32 v31, v32, v21
	v_sub_f32_e32 v32, v31, v32
	v_sub_f32_e32 v21, v21, v32
	v_add_f32_e32 v32, v28, v31
	v_sub_f32_e32 v33, v32, v28
	v_sub_f32_e32 v34, v32, v33
	;; [unrolled: 1-line block ×5, first 2 shown]
	v_add_f32_e32 v28, v31, v28
	v_add_f32_e32 v31, v29, v21
	v_sub_f32_e32 v33, v31, v29
	v_sub_f32_e32 v34, v31, v33
	;; [unrolled: 1-line block ×4, first 2 shown]
	v_add_f32_e32 v28, v31, v28
	v_add_f32_e32 v21, v21, v29
	;; [unrolled: 1-line block ×3, first 2 shown]
	v_sub_f32_e32 v31, v29, v32
	v_sub_f32_e32 v28, v28, v31
	v_add_f32_e32 v21, v21, v28
	v_add_f32_e32 v21, v29, v21
	v_cmp_neq_f32_e32 vcc, s5, v14
	s_mov_b32 s5, 0x33800000
	v_cndmask_b32_e32 v21, v30, v21, vcc
	v_cmp_lt_f32_e64 vcc, |v14|, s5
	v_cndmask_b32_e32 v14, v21, v14, vcc
	v_add_f32_e32 v14, v22, v14
	v_cvt_f16_f32_e32 v30, v14
	v_cvt_f32_f16_e32 v14, v30
	v_mov_b32_e32 v21, v30
.LBB410_164:
	s_or_b64 exec, exec, s[2:3]
	v_max_f32_e32 v22, v11, v11
	v_max_f32_e32 v29, v14, v14
	v_min_f32_e32 v28, v29, v22
	v_cmp_u_f16_e32 vcc, v30, v30
	v_max_f32_e32 v22, v29, v22
	v_cndmask_b32_e32 v28, v28, v14, vcc
	v_cndmask_b32_e32 v22, v22, v14, vcc
	v_cndmask_b32_e64 v28, v28, v11, s[74:75]
	v_cndmask_b32_e64 v22, v22, v11, s[74:75]
	v_cmp_neq_f32_e32 vcc, v28, v22
	v_cmp_class_f32_e64 s[2:3], v28, s4
	s_or_b64 s[4:5], vcc, s[2:3]
	v_mov_b32_e32 v11, v21
	s_and_saveexec_b64 s[2:3], s[4:5]
	s_cbranch_execz .LBB410_166
; %bb.165:
	v_sub_f32_e32 v11, v28, v22
	s_mov_b32 s4, 0x3fb8aa3b
	v_mul_f32_e32 v14, 0x3fb8aa3b, v11
	v_fma_f32 v28, v11, s4, -v14
	v_rndne_f32_e32 v29, v14
	v_fmac_f32_e32 v28, 0x32a5705f, v11
	v_sub_f32_e32 v14, v14, v29
	v_add_f32_e32 v14, v14, v28
	v_exp_f32_e32 v14, v14
	v_cvt_i32_f32_e32 v28, v29
	s_mov_b32 s4, 0xc2ce8ed0
	v_cmp_ngt_f32_e32 vcc, s4, v11
	s_mov_b32 s4, 0x42b17218
	v_ldexp_f32 v14, v14, v28
	v_cndmask_b32_e32 v14, 0, v14, vcc
	v_mov_b32_e32 v30, 0x7f800000
	v_cmp_nlt_f32_e32 vcc, s4, v11
	v_cndmask_b32_e32 v11, v30, v14, vcc
	v_add_f32_e32 v14, 1.0, v11
	v_cvt_f64_f32_e32 v[28:29], v14
	v_add_f32_e32 v31, -1.0, v14
	v_sub_f32_e32 v32, v31, v14
	v_sub_f32_e32 v31, v11, v31
	v_frexp_exp_i32_f64_e32 v28, v[28:29]
	v_add_f32_e32 v29, 1.0, v32
	v_add_f32_e32 v29, v31, v29
	v_frexp_mant_f32_e32 v31, v14
	s_mov_b32 s5, 0x3f2aaaab
	v_cmp_gt_f32_e32 vcc, s5, v31
	s_mov_b32 s5, 0x3f317218
	s_mov_b32 s4, 0x7f800000
	v_subbrev_co_u32_e32 v28, vcc, 0, v28, vcc
	v_sub_u32_e32 v31, 0, v28
	v_ldexp_f32 v14, v14, v31
	v_ldexp_f32 v29, v29, v31
	v_add_f32_e32 v31, -1.0, v14
	v_add_f32_e32 v34, 1.0, v14
	v_add_f32_e32 v32, 1.0, v31
	v_add_f32_e32 v35, -1.0, v34
	v_sub_f32_e32 v32, v14, v32
	v_sub_f32_e32 v14, v14, v35
	v_add_f32_e32 v14, v29, v14
	v_add_f32_e32 v32, v29, v32
	;; [unrolled: 1-line block ×3, first 2 shown]
	v_rcp_f32_e32 v35, v29
	v_add_f32_e32 v33, v31, v32
	v_sub_f32_e32 v31, v31, v33
	v_add_f32_e32 v31, v32, v31
	v_sub_f32_e32 v32, v34, v29
	v_add_f32_e32 v14, v14, v32
	v_mul_f32_e32 v32, v33, v35
	v_mul_f32_e32 v34, v29, v32
	v_fma_f32 v36, v32, v29, -v34
	v_fmac_f32_e32 v36, v32, v14
	v_add_f32_e32 v37, v34, v36
	v_sub_f32_e32 v38, v33, v37
	v_sub_f32_e32 v33, v33, v38
	;; [unrolled: 1-line block ×4, first 2 shown]
	v_add_f32_e32 v31, v31, v33
	v_sub_f32_e32 v33, v34, v36
	v_add_f32_e32 v31, v33, v31
	v_add_f32_e32 v33, v38, v31
	v_mul_f32_e32 v34, v35, v33
	v_mul_f32_e32 v36, v29, v34
	v_fma_f32 v29, v34, v29, -v36
	v_fmac_f32_e32 v29, v34, v14
	v_sub_f32_e32 v14, v38, v33
	v_add_f32_e32 v14, v31, v14
	v_add_f32_e32 v31, v36, v29
	v_sub_f32_e32 v37, v33, v31
	v_sub_f32_e32 v33, v33, v37
	;; [unrolled: 1-line block ×4, first 2 shown]
	v_add_f32_e32 v14, v14, v31
	v_sub_f32_e32 v29, v36, v29
	v_add_f32_e32 v14, v29, v14
	v_add_f32_e32 v29, v32, v34
	;; [unrolled: 1-line block ×3, first 2 shown]
	v_sub_f32_e32 v31, v29, v32
	v_mul_f32_e32 v14, v35, v14
	v_sub_f32_e32 v31, v34, v31
	v_add_f32_e32 v14, v31, v14
	v_cvt_f32_i32_e32 v28, v28
	v_add_f32_e32 v31, v29, v14
	v_mul_f32_e32 v32, v31, v31
	v_mov_b32_e32 v33, 0x3ecc95a3
	v_fmac_f32_e32 v33, 0x3e9b6dac, v32
	v_mov_b32_e32 v34, 0x3f2aaada
	v_fmac_f32_e32 v34, v32, v33
	v_mul_f32_e32 v33, 0x3f317218, v28
	v_fma_f32 v35, v28, s5, -v33
	v_fmac_f32_e32 v35, 0xb102e308, v28
	v_sub_f32_e32 v28, v31, v29
	v_sub_f32_e32 v14, v14, v28
	v_add_f32_e32 v28, v33, v35
	v_sub_f32_e32 v29, v28, v33
	v_ldexp_f32 v33, v31, 1
	v_mul_f32_e32 v31, v31, v32
	v_mul_f32_e32 v31, v31, v34
	v_add_f32_e32 v32, v33, v31
	v_sub_f32_e32 v33, v32, v33
	v_ldexp_f32 v14, v14, 1
	v_sub_f32_e32 v31, v31, v33
	v_add_f32_e32 v14, v14, v31
	v_add_f32_e32 v31, v32, v14
	v_sub_f32_e32 v32, v31, v32
	v_sub_f32_e32 v14, v14, v32
	v_add_f32_e32 v32, v28, v31
	v_sub_f32_e32 v33, v32, v28
	v_sub_f32_e32 v34, v32, v33
	;; [unrolled: 1-line block ×5, first 2 shown]
	v_add_f32_e32 v28, v31, v28
	v_add_f32_e32 v31, v29, v14
	v_sub_f32_e32 v33, v31, v29
	v_sub_f32_e32 v34, v31, v33
	;; [unrolled: 1-line block ×4, first 2 shown]
	v_add_f32_e32 v28, v31, v28
	v_add_f32_e32 v14, v14, v29
	;; [unrolled: 1-line block ×3, first 2 shown]
	v_sub_f32_e32 v31, v29, v32
	v_sub_f32_e32 v28, v28, v31
	v_add_f32_e32 v14, v14, v28
	v_add_f32_e32 v14, v29, v14
	v_cmp_neq_f32_e32 vcc, s4, v11
	s_mov_b32 s4, 0x33800000
	v_cndmask_b32_e32 v14, v30, v14, vcc
	v_cmp_lt_f32_e64 vcc, |v11|, s4
	v_cndmask_b32_e32 v11, v14, v11, vcc
	v_add_f32_e32 v11, v22, v11
	v_cvt_f16_f32_e32 v30, v11
	v_cvt_f32_f16_e32 v14, v30
	v_mov_b32_e32 v11, v30
.LBB410_166:
	s_or_b64 exec, exec, s[2:3]
	v_max_f32_e32 v22, v23, v23
	v_max_f32_e32 v29, v14, v14
	v_min_f32_e32 v28, v29, v22
	v_cmp_u_f16_e32 vcc, v30, v30
	v_max_f32_e32 v22, v29, v22
	v_cndmask_b32_e32 v28, v28, v14, vcc
	v_cndmask_b32_e32 v22, v22, v14, vcc
	v_cndmask_b32_e64 v28, v28, v23, s[76:77]
	v_cndmask_b32_e64 v23, v22, v23, s[76:77]
	s_movk_i32 s4, 0x1f8
	v_cmp_neq_f32_e32 vcc, v28, v23
	v_cmp_class_f32_e64 s[2:3], v28, s4
	s_or_b64 s[6:7], vcc, s[2:3]
	v_mov_b32_e32 v22, v11
	s_and_saveexec_b64 s[2:3], s[6:7]
	s_cbranch_execz .LBB410_168
; %bb.167:
	v_sub_f32_e32 v14, v28, v23
	s_mov_b32 s5, 0x3fb8aa3b
	v_mul_f32_e32 v22, 0x3fb8aa3b, v14
	v_fma_f32 v28, v14, s5, -v22
	v_rndne_f32_e32 v29, v22
	v_fmac_f32_e32 v28, 0x32a5705f, v14
	v_sub_f32_e32 v22, v22, v29
	v_add_f32_e32 v22, v22, v28
	v_exp_f32_e32 v22, v22
	v_cvt_i32_f32_e32 v28, v29
	s_mov_b32 s5, 0xc2ce8ed0
	v_cmp_ngt_f32_e32 vcc, s5, v14
	s_mov_b32 s5, 0x42b17218
	v_ldexp_f32 v22, v22, v28
	v_cndmask_b32_e32 v22, 0, v22, vcc
	v_mov_b32_e32 v30, 0x7f800000
	v_cmp_nlt_f32_e32 vcc, s5, v14
	v_cndmask_b32_e32 v14, v30, v22, vcc
	v_add_f32_e32 v22, 1.0, v14
	v_cvt_f64_f32_e32 v[28:29], v22
	v_add_f32_e32 v31, -1.0, v22
	v_sub_f32_e32 v32, v31, v22
	v_sub_f32_e32 v31, v14, v31
	v_frexp_exp_i32_f64_e32 v28, v[28:29]
	v_add_f32_e32 v29, 1.0, v32
	v_add_f32_e32 v29, v31, v29
	v_frexp_mant_f32_e32 v31, v22
	s_mov_b32 s6, 0x3f2aaaab
	v_cmp_gt_f32_e32 vcc, s6, v31
	s_mov_b32 s6, 0x3f317218
	s_mov_b32 s5, 0x7f800000
	v_subbrev_co_u32_e32 v28, vcc, 0, v28, vcc
	v_sub_u32_e32 v31, 0, v28
	v_ldexp_f32 v22, v22, v31
	v_ldexp_f32 v29, v29, v31
	v_add_f32_e32 v31, -1.0, v22
	v_add_f32_e32 v34, 1.0, v22
	v_add_f32_e32 v32, 1.0, v31
	v_add_f32_e32 v35, -1.0, v34
	v_sub_f32_e32 v32, v22, v32
	v_sub_f32_e32 v22, v22, v35
	v_add_f32_e32 v22, v29, v22
	v_add_f32_e32 v32, v29, v32
	;; [unrolled: 1-line block ×3, first 2 shown]
	v_rcp_f32_e32 v35, v29
	v_add_f32_e32 v33, v31, v32
	v_sub_f32_e32 v31, v31, v33
	v_add_f32_e32 v31, v32, v31
	v_sub_f32_e32 v32, v34, v29
	v_add_f32_e32 v22, v22, v32
	v_mul_f32_e32 v32, v33, v35
	v_mul_f32_e32 v34, v29, v32
	v_fma_f32 v36, v32, v29, -v34
	v_fmac_f32_e32 v36, v32, v22
	v_add_f32_e32 v37, v34, v36
	v_sub_f32_e32 v38, v33, v37
	v_sub_f32_e32 v33, v33, v38
	;; [unrolled: 1-line block ×4, first 2 shown]
	v_add_f32_e32 v31, v31, v33
	v_sub_f32_e32 v33, v34, v36
	v_add_f32_e32 v31, v33, v31
	v_add_f32_e32 v33, v38, v31
	v_mul_f32_e32 v34, v35, v33
	v_mul_f32_e32 v36, v29, v34
	v_fma_f32 v29, v34, v29, -v36
	v_fmac_f32_e32 v29, v34, v22
	v_sub_f32_e32 v22, v38, v33
	v_add_f32_e32 v22, v31, v22
	v_add_f32_e32 v31, v36, v29
	v_sub_f32_e32 v37, v33, v31
	v_sub_f32_e32 v33, v33, v37
	;; [unrolled: 1-line block ×4, first 2 shown]
	v_add_f32_e32 v22, v22, v31
	v_sub_f32_e32 v29, v36, v29
	v_add_f32_e32 v22, v29, v22
	v_add_f32_e32 v29, v32, v34
	;; [unrolled: 1-line block ×3, first 2 shown]
	v_sub_f32_e32 v31, v29, v32
	v_mul_f32_e32 v22, v35, v22
	v_sub_f32_e32 v31, v34, v31
	v_add_f32_e32 v22, v31, v22
	v_cvt_f32_i32_e32 v28, v28
	v_add_f32_e32 v31, v29, v22
	v_mul_f32_e32 v32, v31, v31
	v_mov_b32_e32 v33, 0x3ecc95a3
	v_fmac_f32_e32 v33, 0x3e9b6dac, v32
	v_mov_b32_e32 v34, 0x3f2aaada
	v_fmac_f32_e32 v34, v32, v33
	v_mul_f32_e32 v33, 0x3f317218, v28
	v_fma_f32 v35, v28, s6, -v33
	v_fmac_f32_e32 v35, 0xb102e308, v28
	v_sub_f32_e32 v28, v31, v29
	v_sub_f32_e32 v22, v22, v28
	v_add_f32_e32 v28, v33, v35
	v_sub_f32_e32 v29, v28, v33
	v_ldexp_f32 v33, v31, 1
	v_mul_f32_e32 v31, v31, v32
	v_mul_f32_e32 v31, v31, v34
	v_add_f32_e32 v32, v33, v31
	v_sub_f32_e32 v33, v32, v33
	v_ldexp_f32 v22, v22, 1
	v_sub_f32_e32 v31, v31, v33
	v_add_f32_e32 v22, v22, v31
	v_add_f32_e32 v31, v32, v22
	v_sub_f32_e32 v32, v31, v32
	v_sub_f32_e32 v22, v22, v32
	v_add_f32_e32 v32, v28, v31
	v_sub_f32_e32 v33, v32, v28
	v_sub_f32_e32 v34, v32, v33
	;; [unrolled: 1-line block ×5, first 2 shown]
	v_add_f32_e32 v28, v31, v28
	v_add_f32_e32 v31, v29, v22
	v_sub_f32_e32 v33, v31, v29
	v_sub_f32_e32 v34, v31, v33
	;; [unrolled: 1-line block ×4, first 2 shown]
	v_add_f32_e32 v28, v31, v28
	v_add_f32_e32 v22, v22, v29
	;; [unrolled: 1-line block ×3, first 2 shown]
	v_sub_f32_e32 v31, v29, v32
	v_sub_f32_e32 v28, v28, v31
	v_add_f32_e32 v22, v22, v28
	v_add_f32_e32 v22, v29, v22
	v_cmp_neq_f32_e32 vcc, s5, v14
	s_mov_b32 s5, 0x33800000
	v_cndmask_b32_e32 v22, v30, v22, vcc
	v_cmp_lt_f32_e64 vcc, |v14|, s5
	v_cndmask_b32_e32 v14, v22, v14, vcc
	v_add_f32_e32 v14, v23, v14
	v_cvt_f16_f32_e32 v30, v14
	v_cvt_f32_f16_e32 v14, v30
	v_mov_b32_e32 v22, v30
.LBB410_168:
	s_or_b64 exec, exec, s[2:3]
	v_max_f32_e32 v23, v12, v12
	v_max_f32_e32 v29, v14, v14
	v_min_f32_e32 v28, v29, v23
	v_cmp_u_f16_e32 vcc, v30, v30
	v_max_f32_e32 v23, v29, v23
	v_cndmask_b32_e32 v28, v28, v14, vcc
	v_cndmask_b32_e32 v23, v23, v14, vcc
	v_cndmask_b32_e64 v28, v28, v12, s[78:79]
	v_cndmask_b32_e64 v23, v23, v12, s[78:79]
	v_cmp_neq_f32_e32 vcc, v28, v23
	v_cmp_class_f32_e64 s[2:3], v28, s4
	s_or_b64 s[4:5], vcc, s[2:3]
	v_mov_b32_e32 v12, v22
	s_and_saveexec_b64 s[2:3], s[4:5]
	s_cbranch_execz .LBB410_170
; %bb.169:
	v_sub_f32_e32 v12, v28, v23
	s_mov_b32 s4, 0x3fb8aa3b
	v_mul_f32_e32 v14, 0x3fb8aa3b, v12
	v_fma_f32 v28, v12, s4, -v14
	v_rndne_f32_e32 v29, v14
	v_fmac_f32_e32 v28, 0x32a5705f, v12
	v_sub_f32_e32 v14, v14, v29
	v_add_f32_e32 v14, v14, v28
	v_exp_f32_e32 v14, v14
	v_cvt_i32_f32_e32 v28, v29
	s_mov_b32 s4, 0xc2ce8ed0
	v_cmp_ngt_f32_e32 vcc, s4, v12
	s_mov_b32 s4, 0x42b17218
	v_ldexp_f32 v14, v14, v28
	v_cndmask_b32_e32 v14, 0, v14, vcc
	v_mov_b32_e32 v30, 0x7f800000
	v_cmp_nlt_f32_e32 vcc, s4, v12
	v_cndmask_b32_e32 v12, v30, v14, vcc
	v_add_f32_e32 v14, 1.0, v12
	v_cvt_f64_f32_e32 v[28:29], v14
	v_add_f32_e32 v31, -1.0, v14
	v_sub_f32_e32 v32, v31, v14
	v_sub_f32_e32 v31, v12, v31
	v_frexp_exp_i32_f64_e32 v28, v[28:29]
	v_add_f32_e32 v29, 1.0, v32
	v_add_f32_e32 v29, v31, v29
	v_frexp_mant_f32_e32 v31, v14
	s_mov_b32 s5, 0x3f2aaaab
	v_cmp_gt_f32_e32 vcc, s5, v31
	s_mov_b32 s5, 0x3f317218
	s_mov_b32 s4, 0x7f800000
	v_subbrev_co_u32_e32 v28, vcc, 0, v28, vcc
	v_sub_u32_e32 v31, 0, v28
	v_ldexp_f32 v14, v14, v31
	v_ldexp_f32 v29, v29, v31
	v_add_f32_e32 v31, -1.0, v14
	v_add_f32_e32 v34, 1.0, v14
	v_add_f32_e32 v32, 1.0, v31
	v_add_f32_e32 v35, -1.0, v34
	v_sub_f32_e32 v32, v14, v32
	v_sub_f32_e32 v14, v14, v35
	v_add_f32_e32 v14, v29, v14
	v_add_f32_e32 v32, v29, v32
	;; [unrolled: 1-line block ×3, first 2 shown]
	v_rcp_f32_e32 v35, v29
	v_add_f32_e32 v33, v31, v32
	v_sub_f32_e32 v31, v31, v33
	v_add_f32_e32 v31, v32, v31
	v_sub_f32_e32 v32, v34, v29
	v_add_f32_e32 v14, v14, v32
	v_mul_f32_e32 v32, v33, v35
	v_mul_f32_e32 v34, v29, v32
	v_fma_f32 v36, v32, v29, -v34
	v_fmac_f32_e32 v36, v32, v14
	v_add_f32_e32 v37, v34, v36
	v_sub_f32_e32 v38, v33, v37
	v_sub_f32_e32 v33, v33, v38
	;; [unrolled: 1-line block ×4, first 2 shown]
	v_add_f32_e32 v31, v31, v33
	v_sub_f32_e32 v33, v34, v36
	v_add_f32_e32 v31, v33, v31
	v_add_f32_e32 v33, v38, v31
	v_mul_f32_e32 v34, v35, v33
	v_mul_f32_e32 v36, v29, v34
	v_fma_f32 v29, v34, v29, -v36
	v_fmac_f32_e32 v29, v34, v14
	v_sub_f32_e32 v14, v38, v33
	v_add_f32_e32 v14, v31, v14
	v_add_f32_e32 v31, v36, v29
	v_sub_f32_e32 v37, v33, v31
	v_sub_f32_e32 v33, v33, v37
	;; [unrolled: 1-line block ×4, first 2 shown]
	v_add_f32_e32 v14, v14, v31
	v_sub_f32_e32 v29, v36, v29
	v_add_f32_e32 v14, v29, v14
	v_add_f32_e32 v29, v32, v34
	;; [unrolled: 1-line block ×3, first 2 shown]
	v_sub_f32_e32 v31, v29, v32
	v_mul_f32_e32 v14, v35, v14
	v_sub_f32_e32 v31, v34, v31
	v_add_f32_e32 v14, v31, v14
	v_cvt_f32_i32_e32 v28, v28
	v_add_f32_e32 v31, v29, v14
	v_mul_f32_e32 v32, v31, v31
	v_mov_b32_e32 v33, 0x3ecc95a3
	v_fmac_f32_e32 v33, 0x3e9b6dac, v32
	v_mov_b32_e32 v34, 0x3f2aaada
	v_fmac_f32_e32 v34, v32, v33
	v_mul_f32_e32 v33, 0x3f317218, v28
	v_fma_f32 v35, v28, s5, -v33
	v_fmac_f32_e32 v35, 0xb102e308, v28
	v_sub_f32_e32 v28, v31, v29
	v_sub_f32_e32 v14, v14, v28
	v_add_f32_e32 v28, v33, v35
	v_sub_f32_e32 v29, v28, v33
	v_ldexp_f32 v33, v31, 1
	v_mul_f32_e32 v31, v31, v32
	v_mul_f32_e32 v31, v31, v34
	v_add_f32_e32 v32, v33, v31
	v_sub_f32_e32 v33, v32, v33
	v_ldexp_f32 v14, v14, 1
	v_sub_f32_e32 v31, v31, v33
	v_add_f32_e32 v14, v14, v31
	v_add_f32_e32 v31, v32, v14
	v_sub_f32_e32 v32, v31, v32
	v_sub_f32_e32 v14, v14, v32
	v_add_f32_e32 v32, v28, v31
	v_sub_f32_e32 v33, v32, v28
	v_sub_f32_e32 v34, v32, v33
	;; [unrolled: 1-line block ×5, first 2 shown]
	v_add_f32_e32 v28, v31, v28
	v_add_f32_e32 v31, v29, v14
	v_sub_f32_e32 v33, v31, v29
	v_sub_f32_e32 v34, v31, v33
	v_sub_f32_e32 v29, v29, v34
	v_sub_f32_e32 v14, v14, v33
	v_add_f32_e32 v28, v31, v28
	v_add_f32_e32 v14, v14, v29
	;; [unrolled: 1-line block ×3, first 2 shown]
	v_sub_f32_e32 v31, v29, v32
	v_sub_f32_e32 v28, v28, v31
	v_add_f32_e32 v14, v14, v28
	v_add_f32_e32 v14, v29, v14
	v_cmp_neq_f32_e32 vcc, s4, v12
	s_mov_b32 s4, 0x33800000
	v_cndmask_b32_e32 v14, v30, v14, vcc
	v_cmp_lt_f32_e64 vcc, |v12|, s4
	v_cndmask_b32_e32 v12, v14, v12, vcc
	v_add_f32_e32 v12, v23, v12
	v_cvt_f16_f32_e32 v30, v12
	v_cvt_f32_f16_e32 v14, v30
	v_mov_b32_e32 v12, v30
.LBB410_170:
	s_or_b64 exec, exec, s[2:3]
	v_max_f32_e32 v23, v24, v24
	v_max_f32_e32 v29, v14, v14
	v_min_f32_e32 v28, v29, v23
	v_cmp_u_f16_e32 vcc, v30, v30
	v_max_f32_e32 v23, v29, v23
	v_cndmask_b32_e32 v28, v28, v14, vcc
	v_cndmask_b32_e32 v23, v23, v14, vcc
	v_cndmask_b32_e64 v28, v28, v24, s[80:81]
	v_cndmask_b32_e64 v24, v23, v24, s[80:81]
	s_movk_i32 s4, 0x1f8
	v_cmp_neq_f32_e32 vcc, v28, v24
	v_cmp_class_f32_e64 s[2:3], v28, s4
	s_or_b64 s[6:7], vcc, s[2:3]
	v_mov_b32_e32 v23, v12
	s_and_saveexec_b64 s[2:3], s[6:7]
	s_cbranch_execz .LBB410_172
; %bb.171:
	v_sub_f32_e32 v14, v28, v24
	s_mov_b32 s5, 0x3fb8aa3b
	v_mul_f32_e32 v23, 0x3fb8aa3b, v14
	v_fma_f32 v28, v14, s5, -v23
	v_rndne_f32_e32 v29, v23
	v_fmac_f32_e32 v28, 0x32a5705f, v14
	v_sub_f32_e32 v23, v23, v29
	v_add_f32_e32 v23, v23, v28
	v_exp_f32_e32 v23, v23
	v_cvt_i32_f32_e32 v28, v29
	s_mov_b32 s5, 0xc2ce8ed0
	v_cmp_ngt_f32_e32 vcc, s5, v14
	s_mov_b32 s5, 0x42b17218
	v_ldexp_f32 v23, v23, v28
	v_cndmask_b32_e32 v23, 0, v23, vcc
	v_mov_b32_e32 v30, 0x7f800000
	v_cmp_nlt_f32_e32 vcc, s5, v14
	v_cndmask_b32_e32 v14, v30, v23, vcc
	v_add_f32_e32 v23, 1.0, v14
	v_cvt_f64_f32_e32 v[28:29], v23
	v_add_f32_e32 v31, -1.0, v23
	v_sub_f32_e32 v32, v31, v23
	v_sub_f32_e32 v31, v14, v31
	v_frexp_exp_i32_f64_e32 v28, v[28:29]
	v_add_f32_e32 v29, 1.0, v32
	v_add_f32_e32 v29, v31, v29
	v_frexp_mant_f32_e32 v31, v23
	s_mov_b32 s6, 0x3f2aaaab
	v_cmp_gt_f32_e32 vcc, s6, v31
	s_mov_b32 s6, 0x3f317218
	s_mov_b32 s5, 0x7f800000
	v_subbrev_co_u32_e32 v28, vcc, 0, v28, vcc
	v_sub_u32_e32 v31, 0, v28
	v_ldexp_f32 v23, v23, v31
	v_ldexp_f32 v29, v29, v31
	v_add_f32_e32 v31, -1.0, v23
	v_add_f32_e32 v34, 1.0, v23
	v_add_f32_e32 v32, 1.0, v31
	v_add_f32_e32 v35, -1.0, v34
	v_sub_f32_e32 v32, v23, v32
	v_sub_f32_e32 v23, v23, v35
	v_add_f32_e32 v23, v29, v23
	v_add_f32_e32 v32, v29, v32
	;; [unrolled: 1-line block ×3, first 2 shown]
	v_rcp_f32_e32 v35, v29
	v_add_f32_e32 v33, v31, v32
	v_sub_f32_e32 v31, v31, v33
	v_add_f32_e32 v31, v32, v31
	v_sub_f32_e32 v32, v34, v29
	v_add_f32_e32 v23, v23, v32
	v_mul_f32_e32 v32, v33, v35
	v_mul_f32_e32 v34, v29, v32
	v_fma_f32 v36, v32, v29, -v34
	v_fmac_f32_e32 v36, v32, v23
	v_add_f32_e32 v37, v34, v36
	v_sub_f32_e32 v38, v33, v37
	v_sub_f32_e32 v33, v33, v38
	;; [unrolled: 1-line block ×4, first 2 shown]
	v_add_f32_e32 v31, v31, v33
	v_sub_f32_e32 v33, v34, v36
	v_add_f32_e32 v31, v33, v31
	v_add_f32_e32 v33, v38, v31
	v_mul_f32_e32 v34, v35, v33
	v_mul_f32_e32 v36, v29, v34
	v_fma_f32 v29, v34, v29, -v36
	v_fmac_f32_e32 v29, v34, v23
	v_sub_f32_e32 v23, v38, v33
	v_add_f32_e32 v23, v31, v23
	v_add_f32_e32 v31, v36, v29
	v_sub_f32_e32 v37, v33, v31
	v_sub_f32_e32 v33, v33, v37
	;; [unrolled: 1-line block ×4, first 2 shown]
	v_add_f32_e32 v23, v23, v31
	v_sub_f32_e32 v29, v36, v29
	v_add_f32_e32 v23, v29, v23
	v_add_f32_e32 v29, v32, v34
	;; [unrolled: 1-line block ×3, first 2 shown]
	v_sub_f32_e32 v31, v29, v32
	v_mul_f32_e32 v23, v35, v23
	v_sub_f32_e32 v31, v34, v31
	v_add_f32_e32 v23, v31, v23
	v_cvt_f32_i32_e32 v28, v28
	v_add_f32_e32 v31, v29, v23
	v_mul_f32_e32 v32, v31, v31
	v_mov_b32_e32 v33, 0x3ecc95a3
	v_fmac_f32_e32 v33, 0x3e9b6dac, v32
	v_mov_b32_e32 v34, 0x3f2aaada
	v_fmac_f32_e32 v34, v32, v33
	v_mul_f32_e32 v33, 0x3f317218, v28
	v_fma_f32 v35, v28, s6, -v33
	v_fmac_f32_e32 v35, 0xb102e308, v28
	v_sub_f32_e32 v28, v31, v29
	v_sub_f32_e32 v23, v23, v28
	v_add_f32_e32 v28, v33, v35
	v_sub_f32_e32 v29, v28, v33
	v_ldexp_f32 v33, v31, 1
	v_mul_f32_e32 v31, v31, v32
	v_mul_f32_e32 v31, v31, v34
	v_add_f32_e32 v32, v33, v31
	v_sub_f32_e32 v33, v32, v33
	v_ldexp_f32 v23, v23, 1
	v_sub_f32_e32 v31, v31, v33
	v_add_f32_e32 v23, v23, v31
	v_add_f32_e32 v31, v32, v23
	v_sub_f32_e32 v32, v31, v32
	v_sub_f32_e32 v23, v23, v32
	v_add_f32_e32 v32, v28, v31
	v_sub_f32_e32 v33, v32, v28
	v_sub_f32_e32 v34, v32, v33
	;; [unrolled: 1-line block ×5, first 2 shown]
	v_add_f32_e32 v28, v31, v28
	v_add_f32_e32 v31, v29, v23
	v_sub_f32_e32 v33, v31, v29
	v_sub_f32_e32 v34, v31, v33
	;; [unrolled: 1-line block ×4, first 2 shown]
	v_add_f32_e32 v28, v31, v28
	v_add_f32_e32 v23, v23, v29
	;; [unrolled: 1-line block ×3, first 2 shown]
	v_sub_f32_e32 v31, v29, v32
	v_sub_f32_e32 v28, v28, v31
	v_add_f32_e32 v23, v23, v28
	v_add_f32_e32 v23, v29, v23
	v_cmp_neq_f32_e32 vcc, s5, v14
	s_mov_b32 s5, 0x33800000
	v_cndmask_b32_e32 v23, v30, v23, vcc
	v_cmp_lt_f32_e64 vcc, |v14|, s5
	v_cndmask_b32_e32 v14, v23, v14, vcc
	v_add_f32_e32 v14, v24, v14
	v_cvt_f16_f32_e32 v30, v14
	v_cvt_f32_f16_e32 v14, v30
	v_mov_b32_e32 v23, v30
.LBB410_172:
	s_or_b64 exec, exec, s[2:3]
	v_max_f32_e32 v24, v5, v5
	v_max_f32_e32 v29, v14, v14
	v_min_f32_e32 v28, v29, v24
	v_cmp_u_f16_e32 vcc, v30, v30
	v_max_f32_e32 v24, v29, v24
	v_cndmask_b32_e32 v28, v28, v14, vcc
	v_cndmask_b32_e32 v24, v24, v14, vcc
	v_cndmask_b32_e64 v28, v28, v5, s[82:83]
	v_cndmask_b32_e64 v24, v24, v5, s[82:83]
	v_cmp_neq_f32_e32 vcc, v28, v24
	v_cmp_class_f32_e64 s[2:3], v28, s4
	s_or_b64 s[4:5], vcc, s[2:3]
	v_mov_b32_e32 v5, v23
	s_and_saveexec_b64 s[2:3], s[4:5]
	s_cbranch_execz .LBB410_174
; %bb.173:
	v_sub_f32_e32 v5, v28, v24
	s_mov_b32 s4, 0x3fb8aa3b
	v_mul_f32_e32 v14, 0x3fb8aa3b, v5
	v_fma_f32 v28, v5, s4, -v14
	v_rndne_f32_e32 v29, v14
	v_fmac_f32_e32 v28, 0x32a5705f, v5
	v_sub_f32_e32 v14, v14, v29
	v_add_f32_e32 v14, v14, v28
	v_exp_f32_e32 v14, v14
	v_cvt_i32_f32_e32 v28, v29
	s_mov_b32 s4, 0xc2ce8ed0
	v_cmp_ngt_f32_e32 vcc, s4, v5
	s_mov_b32 s4, 0x42b17218
	v_ldexp_f32 v14, v14, v28
	v_cndmask_b32_e32 v14, 0, v14, vcc
	v_mov_b32_e32 v30, 0x7f800000
	v_cmp_nlt_f32_e32 vcc, s4, v5
	v_cndmask_b32_e32 v5, v30, v14, vcc
	v_add_f32_e32 v14, 1.0, v5
	v_cvt_f64_f32_e32 v[28:29], v14
	v_add_f32_e32 v31, -1.0, v14
	v_sub_f32_e32 v32, v31, v14
	v_sub_f32_e32 v31, v5, v31
	v_frexp_exp_i32_f64_e32 v28, v[28:29]
	v_add_f32_e32 v29, 1.0, v32
	v_add_f32_e32 v29, v31, v29
	v_frexp_mant_f32_e32 v31, v14
	s_mov_b32 s5, 0x3f2aaaab
	v_cmp_gt_f32_e32 vcc, s5, v31
	s_mov_b32 s5, 0x3f317218
	s_mov_b32 s4, 0x7f800000
	v_subbrev_co_u32_e32 v28, vcc, 0, v28, vcc
	v_sub_u32_e32 v31, 0, v28
	v_ldexp_f32 v14, v14, v31
	v_ldexp_f32 v29, v29, v31
	v_add_f32_e32 v31, -1.0, v14
	v_add_f32_e32 v34, 1.0, v14
	v_add_f32_e32 v32, 1.0, v31
	v_add_f32_e32 v35, -1.0, v34
	v_sub_f32_e32 v32, v14, v32
	v_sub_f32_e32 v14, v14, v35
	v_add_f32_e32 v14, v29, v14
	v_add_f32_e32 v32, v29, v32
	;; [unrolled: 1-line block ×3, first 2 shown]
	v_rcp_f32_e32 v35, v29
	v_add_f32_e32 v33, v31, v32
	v_sub_f32_e32 v31, v31, v33
	v_add_f32_e32 v31, v32, v31
	v_sub_f32_e32 v32, v34, v29
	v_add_f32_e32 v14, v14, v32
	v_mul_f32_e32 v32, v33, v35
	v_mul_f32_e32 v34, v29, v32
	v_fma_f32 v36, v32, v29, -v34
	v_fmac_f32_e32 v36, v32, v14
	v_add_f32_e32 v37, v34, v36
	v_sub_f32_e32 v38, v33, v37
	v_sub_f32_e32 v33, v33, v38
	;; [unrolled: 1-line block ×4, first 2 shown]
	v_add_f32_e32 v31, v31, v33
	v_sub_f32_e32 v33, v34, v36
	v_add_f32_e32 v31, v33, v31
	v_add_f32_e32 v33, v38, v31
	v_mul_f32_e32 v34, v35, v33
	v_mul_f32_e32 v36, v29, v34
	v_fma_f32 v29, v34, v29, -v36
	v_fmac_f32_e32 v29, v34, v14
	v_sub_f32_e32 v14, v38, v33
	v_add_f32_e32 v14, v31, v14
	v_add_f32_e32 v31, v36, v29
	v_sub_f32_e32 v37, v33, v31
	v_sub_f32_e32 v33, v33, v37
	;; [unrolled: 1-line block ×4, first 2 shown]
	v_add_f32_e32 v14, v14, v31
	v_sub_f32_e32 v29, v36, v29
	v_add_f32_e32 v14, v29, v14
	v_add_f32_e32 v29, v32, v34
	;; [unrolled: 1-line block ×3, first 2 shown]
	v_sub_f32_e32 v31, v29, v32
	v_mul_f32_e32 v14, v35, v14
	v_sub_f32_e32 v31, v34, v31
	v_add_f32_e32 v14, v31, v14
	v_cvt_f32_i32_e32 v28, v28
	v_add_f32_e32 v31, v29, v14
	v_mul_f32_e32 v32, v31, v31
	v_mov_b32_e32 v33, 0x3ecc95a3
	v_fmac_f32_e32 v33, 0x3e9b6dac, v32
	v_mov_b32_e32 v34, 0x3f2aaada
	v_fmac_f32_e32 v34, v32, v33
	v_mul_f32_e32 v33, 0x3f317218, v28
	v_fma_f32 v35, v28, s5, -v33
	v_fmac_f32_e32 v35, 0xb102e308, v28
	v_sub_f32_e32 v28, v31, v29
	v_sub_f32_e32 v14, v14, v28
	v_add_f32_e32 v28, v33, v35
	v_sub_f32_e32 v29, v28, v33
	v_ldexp_f32 v33, v31, 1
	v_mul_f32_e32 v31, v31, v32
	v_mul_f32_e32 v31, v31, v34
	v_add_f32_e32 v32, v33, v31
	v_sub_f32_e32 v33, v32, v33
	v_ldexp_f32 v14, v14, 1
	v_sub_f32_e32 v31, v31, v33
	v_add_f32_e32 v14, v14, v31
	v_add_f32_e32 v31, v32, v14
	v_sub_f32_e32 v32, v31, v32
	v_sub_f32_e32 v14, v14, v32
	v_add_f32_e32 v32, v28, v31
	v_sub_f32_e32 v33, v32, v28
	v_sub_f32_e32 v34, v32, v33
	;; [unrolled: 1-line block ×5, first 2 shown]
	v_add_f32_e32 v28, v31, v28
	v_add_f32_e32 v31, v29, v14
	v_sub_f32_e32 v33, v31, v29
	v_sub_f32_e32 v34, v31, v33
	;; [unrolled: 1-line block ×4, first 2 shown]
	v_add_f32_e32 v28, v31, v28
	v_add_f32_e32 v14, v14, v29
	;; [unrolled: 1-line block ×3, first 2 shown]
	v_sub_f32_e32 v31, v29, v32
	v_sub_f32_e32 v28, v28, v31
	v_add_f32_e32 v14, v14, v28
	v_add_f32_e32 v14, v29, v14
	v_cmp_neq_f32_e32 vcc, s4, v5
	s_mov_b32 s4, 0x33800000
	v_cndmask_b32_e32 v14, v30, v14, vcc
	v_cmp_lt_f32_e64 vcc, |v5|, s4
	v_cndmask_b32_e32 v5, v14, v5, vcc
	v_add_f32_e32 v5, v24, v5
	v_cvt_f16_f32_e32 v30, v5
	v_cvt_f32_f16_e32 v14, v30
	v_mov_b32_e32 v5, v30
.LBB410_174:
	s_or_b64 exec, exec, s[2:3]
	v_max_f32_e32 v24, v25, v25
	v_max_f32_e32 v29, v14, v14
	v_min_f32_e32 v28, v29, v24
	v_cmp_u_f16_e32 vcc, v30, v30
	v_max_f32_e32 v24, v29, v24
	v_cndmask_b32_e32 v28, v28, v14, vcc
	v_cndmask_b32_e32 v24, v24, v14, vcc
	v_cndmask_b32_e64 v28, v28, v25, s[84:85]
	v_cndmask_b32_e64 v25, v24, v25, s[84:85]
	s_movk_i32 s4, 0x1f8
	v_cmp_neq_f32_e32 vcc, v28, v25
	v_cmp_class_f32_e64 s[2:3], v28, s4
	s_or_b64 s[6:7], vcc, s[2:3]
	v_mov_b32_e32 v24, v5
	s_and_saveexec_b64 s[2:3], s[6:7]
	s_cbranch_execz .LBB410_176
; %bb.175:
	v_sub_f32_e32 v14, v28, v25
	s_mov_b32 s5, 0x3fb8aa3b
	v_mul_f32_e32 v24, 0x3fb8aa3b, v14
	v_fma_f32 v28, v14, s5, -v24
	v_rndne_f32_e32 v29, v24
	v_fmac_f32_e32 v28, 0x32a5705f, v14
	v_sub_f32_e32 v24, v24, v29
	v_add_f32_e32 v24, v24, v28
	v_exp_f32_e32 v24, v24
	v_cvt_i32_f32_e32 v28, v29
	s_mov_b32 s5, 0xc2ce8ed0
	v_cmp_ngt_f32_e32 vcc, s5, v14
	s_mov_b32 s5, 0x42b17218
	v_ldexp_f32 v24, v24, v28
	v_cndmask_b32_e32 v24, 0, v24, vcc
	v_mov_b32_e32 v30, 0x7f800000
	v_cmp_nlt_f32_e32 vcc, s5, v14
	v_cndmask_b32_e32 v14, v30, v24, vcc
	v_add_f32_e32 v24, 1.0, v14
	v_cvt_f64_f32_e32 v[28:29], v24
	v_add_f32_e32 v31, -1.0, v24
	v_sub_f32_e32 v32, v31, v24
	v_sub_f32_e32 v31, v14, v31
	v_frexp_exp_i32_f64_e32 v28, v[28:29]
	v_add_f32_e32 v29, 1.0, v32
	v_add_f32_e32 v29, v31, v29
	v_frexp_mant_f32_e32 v31, v24
	s_mov_b32 s6, 0x3f2aaaab
	v_cmp_gt_f32_e32 vcc, s6, v31
	s_mov_b32 s6, 0x3f317218
	s_mov_b32 s5, 0x7f800000
	v_subbrev_co_u32_e32 v28, vcc, 0, v28, vcc
	v_sub_u32_e32 v31, 0, v28
	v_ldexp_f32 v24, v24, v31
	v_ldexp_f32 v29, v29, v31
	v_add_f32_e32 v31, -1.0, v24
	v_add_f32_e32 v34, 1.0, v24
	v_add_f32_e32 v32, 1.0, v31
	v_add_f32_e32 v35, -1.0, v34
	v_sub_f32_e32 v32, v24, v32
	v_sub_f32_e32 v24, v24, v35
	v_add_f32_e32 v24, v29, v24
	v_add_f32_e32 v32, v29, v32
	;; [unrolled: 1-line block ×3, first 2 shown]
	v_rcp_f32_e32 v35, v29
	v_add_f32_e32 v33, v31, v32
	v_sub_f32_e32 v31, v31, v33
	v_add_f32_e32 v31, v32, v31
	v_sub_f32_e32 v32, v34, v29
	v_add_f32_e32 v24, v24, v32
	v_mul_f32_e32 v32, v33, v35
	v_mul_f32_e32 v34, v29, v32
	v_fma_f32 v36, v32, v29, -v34
	v_fmac_f32_e32 v36, v32, v24
	v_add_f32_e32 v37, v34, v36
	v_sub_f32_e32 v38, v33, v37
	v_sub_f32_e32 v33, v33, v38
	v_sub_f32_e32 v34, v37, v34
	v_sub_f32_e32 v33, v33, v37
	v_add_f32_e32 v31, v31, v33
	v_sub_f32_e32 v33, v34, v36
	v_add_f32_e32 v31, v33, v31
	v_add_f32_e32 v33, v38, v31
	v_mul_f32_e32 v34, v35, v33
	v_mul_f32_e32 v36, v29, v34
	v_fma_f32 v29, v34, v29, -v36
	v_fmac_f32_e32 v29, v34, v24
	v_sub_f32_e32 v24, v38, v33
	v_add_f32_e32 v24, v31, v24
	v_add_f32_e32 v31, v36, v29
	v_sub_f32_e32 v37, v33, v31
	v_sub_f32_e32 v33, v33, v37
	;; [unrolled: 1-line block ×4, first 2 shown]
	v_add_f32_e32 v24, v24, v31
	v_sub_f32_e32 v29, v36, v29
	v_add_f32_e32 v24, v29, v24
	v_add_f32_e32 v29, v32, v34
	;; [unrolled: 1-line block ×3, first 2 shown]
	v_sub_f32_e32 v31, v29, v32
	v_mul_f32_e32 v24, v35, v24
	v_sub_f32_e32 v31, v34, v31
	v_add_f32_e32 v24, v31, v24
	v_cvt_f32_i32_e32 v28, v28
	v_add_f32_e32 v31, v29, v24
	v_mul_f32_e32 v32, v31, v31
	v_mov_b32_e32 v33, 0x3ecc95a3
	v_fmac_f32_e32 v33, 0x3e9b6dac, v32
	v_mov_b32_e32 v34, 0x3f2aaada
	v_fmac_f32_e32 v34, v32, v33
	v_mul_f32_e32 v33, 0x3f317218, v28
	v_fma_f32 v35, v28, s6, -v33
	v_fmac_f32_e32 v35, 0xb102e308, v28
	v_sub_f32_e32 v28, v31, v29
	v_sub_f32_e32 v24, v24, v28
	v_add_f32_e32 v28, v33, v35
	v_sub_f32_e32 v29, v28, v33
	v_ldexp_f32 v33, v31, 1
	v_mul_f32_e32 v31, v31, v32
	v_mul_f32_e32 v31, v31, v34
	v_add_f32_e32 v32, v33, v31
	v_sub_f32_e32 v33, v32, v33
	v_ldexp_f32 v24, v24, 1
	v_sub_f32_e32 v31, v31, v33
	v_add_f32_e32 v24, v24, v31
	v_add_f32_e32 v31, v32, v24
	v_sub_f32_e32 v32, v31, v32
	v_sub_f32_e32 v24, v24, v32
	v_add_f32_e32 v32, v28, v31
	v_sub_f32_e32 v33, v32, v28
	v_sub_f32_e32 v34, v32, v33
	;; [unrolled: 1-line block ×5, first 2 shown]
	v_add_f32_e32 v28, v31, v28
	v_add_f32_e32 v31, v29, v24
	v_sub_f32_e32 v33, v31, v29
	v_sub_f32_e32 v34, v31, v33
	v_sub_f32_e32 v29, v29, v34
	v_sub_f32_e32 v24, v24, v33
	v_add_f32_e32 v28, v31, v28
	v_add_f32_e32 v24, v24, v29
	;; [unrolled: 1-line block ×3, first 2 shown]
	v_sub_f32_e32 v31, v29, v32
	v_sub_f32_e32 v28, v28, v31
	v_add_f32_e32 v24, v24, v28
	v_add_f32_e32 v24, v29, v24
	v_cmp_neq_f32_e32 vcc, s5, v14
	s_mov_b32 s5, 0x33800000
	v_cndmask_b32_e32 v24, v30, v24, vcc
	v_cmp_lt_f32_e64 vcc, |v14|, s5
	v_cndmask_b32_e32 v14, v24, v14, vcc
	v_add_f32_e32 v14, v25, v14
	v_cvt_f16_f32_e32 v30, v14
	v_cvt_f32_f16_e32 v14, v30
	v_mov_b32_e32 v24, v30
.LBB410_176:
	s_or_b64 exec, exec, s[2:3]
	v_max_f32_e32 v25, v6, v6
	v_max_f32_e32 v29, v14, v14
	v_min_f32_e32 v28, v29, v25
	v_cmp_u_f16_e32 vcc, v30, v30
	v_max_f32_e32 v25, v29, v25
	v_cndmask_b32_e32 v28, v28, v14, vcc
	v_cndmask_b32_e32 v25, v25, v14, vcc
	v_cndmask_b32_e64 v28, v28, v6, s[86:87]
	v_cndmask_b32_e64 v25, v25, v6, s[86:87]
	v_cmp_neq_f32_e32 vcc, v28, v25
	v_cmp_class_f32_e64 s[2:3], v28, s4
	s_or_b64 s[4:5], vcc, s[2:3]
	v_mov_b32_e32 v6, v24
	s_and_saveexec_b64 s[2:3], s[4:5]
	s_cbranch_execz .LBB410_178
; %bb.177:
	v_sub_f32_e32 v6, v28, v25
	s_mov_b32 s4, 0x3fb8aa3b
	v_mul_f32_e32 v14, 0x3fb8aa3b, v6
	v_fma_f32 v28, v6, s4, -v14
	v_rndne_f32_e32 v29, v14
	v_fmac_f32_e32 v28, 0x32a5705f, v6
	v_sub_f32_e32 v14, v14, v29
	v_add_f32_e32 v14, v14, v28
	v_exp_f32_e32 v14, v14
	v_cvt_i32_f32_e32 v28, v29
	s_mov_b32 s4, 0xc2ce8ed0
	v_cmp_ngt_f32_e32 vcc, s4, v6
	s_mov_b32 s4, 0x42b17218
	v_ldexp_f32 v14, v14, v28
	v_cndmask_b32_e32 v14, 0, v14, vcc
	v_mov_b32_e32 v30, 0x7f800000
	v_cmp_nlt_f32_e32 vcc, s4, v6
	v_cndmask_b32_e32 v6, v30, v14, vcc
	v_add_f32_e32 v14, 1.0, v6
	v_cvt_f64_f32_e32 v[28:29], v14
	v_add_f32_e32 v31, -1.0, v14
	v_sub_f32_e32 v32, v31, v14
	v_sub_f32_e32 v31, v6, v31
	v_frexp_exp_i32_f64_e32 v28, v[28:29]
	v_add_f32_e32 v29, 1.0, v32
	v_add_f32_e32 v29, v31, v29
	v_frexp_mant_f32_e32 v31, v14
	s_mov_b32 s5, 0x3f2aaaab
	v_cmp_gt_f32_e32 vcc, s5, v31
	s_mov_b32 s5, 0x3f317218
	s_mov_b32 s4, 0x7f800000
	v_subbrev_co_u32_e32 v28, vcc, 0, v28, vcc
	v_sub_u32_e32 v31, 0, v28
	v_ldexp_f32 v14, v14, v31
	v_ldexp_f32 v29, v29, v31
	v_add_f32_e32 v31, -1.0, v14
	v_add_f32_e32 v34, 1.0, v14
	v_add_f32_e32 v32, 1.0, v31
	v_add_f32_e32 v35, -1.0, v34
	v_sub_f32_e32 v32, v14, v32
	v_sub_f32_e32 v14, v14, v35
	v_add_f32_e32 v14, v29, v14
	v_add_f32_e32 v32, v29, v32
	;; [unrolled: 1-line block ×3, first 2 shown]
	v_rcp_f32_e32 v35, v29
	v_add_f32_e32 v33, v31, v32
	v_sub_f32_e32 v31, v31, v33
	v_add_f32_e32 v31, v32, v31
	v_sub_f32_e32 v32, v34, v29
	v_add_f32_e32 v14, v14, v32
	v_mul_f32_e32 v32, v33, v35
	v_mul_f32_e32 v34, v29, v32
	v_fma_f32 v36, v32, v29, -v34
	v_fmac_f32_e32 v36, v32, v14
	v_add_f32_e32 v37, v34, v36
	v_sub_f32_e32 v38, v33, v37
	v_sub_f32_e32 v33, v33, v38
	;; [unrolled: 1-line block ×4, first 2 shown]
	v_add_f32_e32 v31, v31, v33
	v_sub_f32_e32 v33, v34, v36
	v_add_f32_e32 v31, v33, v31
	v_add_f32_e32 v33, v38, v31
	v_mul_f32_e32 v34, v35, v33
	v_mul_f32_e32 v36, v29, v34
	v_fma_f32 v29, v34, v29, -v36
	v_fmac_f32_e32 v29, v34, v14
	v_sub_f32_e32 v14, v38, v33
	v_add_f32_e32 v14, v31, v14
	v_add_f32_e32 v31, v36, v29
	v_sub_f32_e32 v37, v33, v31
	v_sub_f32_e32 v33, v33, v37
	;; [unrolled: 1-line block ×4, first 2 shown]
	v_add_f32_e32 v14, v14, v31
	v_sub_f32_e32 v29, v36, v29
	v_add_f32_e32 v14, v29, v14
	v_add_f32_e32 v29, v32, v34
	;; [unrolled: 1-line block ×3, first 2 shown]
	v_sub_f32_e32 v31, v29, v32
	v_mul_f32_e32 v14, v35, v14
	v_sub_f32_e32 v31, v34, v31
	v_add_f32_e32 v14, v31, v14
	v_cvt_f32_i32_e32 v28, v28
	v_add_f32_e32 v31, v29, v14
	v_mul_f32_e32 v32, v31, v31
	v_mov_b32_e32 v33, 0x3ecc95a3
	v_fmac_f32_e32 v33, 0x3e9b6dac, v32
	v_mov_b32_e32 v34, 0x3f2aaada
	v_fmac_f32_e32 v34, v32, v33
	v_mul_f32_e32 v33, 0x3f317218, v28
	v_fma_f32 v35, v28, s5, -v33
	v_fmac_f32_e32 v35, 0xb102e308, v28
	v_sub_f32_e32 v28, v31, v29
	v_sub_f32_e32 v14, v14, v28
	v_add_f32_e32 v28, v33, v35
	v_sub_f32_e32 v29, v28, v33
	v_ldexp_f32 v33, v31, 1
	v_mul_f32_e32 v31, v31, v32
	v_mul_f32_e32 v31, v31, v34
	v_add_f32_e32 v32, v33, v31
	v_sub_f32_e32 v33, v32, v33
	v_ldexp_f32 v14, v14, 1
	v_sub_f32_e32 v31, v31, v33
	v_add_f32_e32 v14, v14, v31
	v_add_f32_e32 v31, v32, v14
	v_sub_f32_e32 v32, v31, v32
	v_sub_f32_e32 v14, v14, v32
	v_add_f32_e32 v32, v28, v31
	v_sub_f32_e32 v33, v32, v28
	v_sub_f32_e32 v34, v32, v33
	;; [unrolled: 1-line block ×5, first 2 shown]
	v_add_f32_e32 v28, v31, v28
	v_add_f32_e32 v31, v29, v14
	v_sub_f32_e32 v33, v31, v29
	v_sub_f32_e32 v34, v31, v33
	;; [unrolled: 1-line block ×4, first 2 shown]
	v_add_f32_e32 v28, v31, v28
	v_add_f32_e32 v14, v14, v29
	;; [unrolled: 1-line block ×3, first 2 shown]
	v_sub_f32_e32 v31, v29, v32
	v_sub_f32_e32 v28, v28, v31
	v_add_f32_e32 v14, v14, v28
	v_add_f32_e32 v14, v29, v14
	v_cmp_neq_f32_e32 vcc, s4, v6
	s_mov_b32 s4, 0x33800000
	v_cndmask_b32_e32 v14, v30, v14, vcc
	v_cmp_lt_f32_e64 vcc, |v6|, s4
	v_cndmask_b32_e32 v6, v14, v6, vcc
	v_add_f32_e32 v6, v25, v6
	v_cvt_f16_f32_e32 v30, v6
	v_cvt_f32_f16_e32 v14, v30
	v_mov_b32_e32 v6, v30
.LBB410_178:
	s_or_b64 exec, exec, s[2:3]
	v_max_f32_e32 v25, v26, v26
	v_max_f32_e32 v29, v14, v14
	v_min_f32_e32 v28, v29, v25
	v_cmp_u_f16_e32 vcc, v30, v30
	v_max_f32_e32 v25, v29, v25
	v_cndmask_b32_e32 v28, v28, v14, vcc
	v_cndmask_b32_e32 v25, v25, v14, vcc
	v_cndmask_b32_e64 v28, v28, v26, s[88:89]
	v_cndmask_b32_e64 v26, v25, v26, s[88:89]
	s_movk_i32 s4, 0x1f8
	v_cmp_neq_f32_e32 vcc, v28, v26
	v_cmp_class_f32_e64 s[2:3], v28, s4
	s_or_b64 s[6:7], vcc, s[2:3]
	v_mov_b32_e32 v25, v6
	s_and_saveexec_b64 s[2:3], s[6:7]
	s_cbranch_execz .LBB410_180
; %bb.179:
	v_sub_f32_e32 v14, v28, v26
	s_mov_b32 s5, 0x3fb8aa3b
	v_mul_f32_e32 v25, 0x3fb8aa3b, v14
	v_fma_f32 v28, v14, s5, -v25
	v_rndne_f32_e32 v29, v25
	v_fmac_f32_e32 v28, 0x32a5705f, v14
	v_sub_f32_e32 v25, v25, v29
	v_add_f32_e32 v25, v25, v28
	v_exp_f32_e32 v25, v25
	v_cvt_i32_f32_e32 v28, v29
	s_mov_b32 s5, 0xc2ce8ed0
	v_cmp_ngt_f32_e32 vcc, s5, v14
	s_mov_b32 s5, 0x42b17218
	v_ldexp_f32 v25, v25, v28
	v_cndmask_b32_e32 v25, 0, v25, vcc
	v_mov_b32_e32 v30, 0x7f800000
	v_cmp_nlt_f32_e32 vcc, s5, v14
	v_cndmask_b32_e32 v14, v30, v25, vcc
	v_add_f32_e32 v25, 1.0, v14
	v_cvt_f64_f32_e32 v[28:29], v25
	v_add_f32_e32 v31, -1.0, v25
	v_sub_f32_e32 v32, v31, v25
	v_sub_f32_e32 v31, v14, v31
	v_frexp_exp_i32_f64_e32 v28, v[28:29]
	v_add_f32_e32 v29, 1.0, v32
	v_add_f32_e32 v29, v31, v29
	v_frexp_mant_f32_e32 v31, v25
	s_mov_b32 s6, 0x3f2aaaab
	v_cmp_gt_f32_e32 vcc, s6, v31
	s_mov_b32 s6, 0x3f317218
	s_mov_b32 s5, 0x7f800000
	v_subbrev_co_u32_e32 v28, vcc, 0, v28, vcc
	v_sub_u32_e32 v31, 0, v28
	v_ldexp_f32 v25, v25, v31
	v_ldexp_f32 v29, v29, v31
	v_add_f32_e32 v31, -1.0, v25
	v_add_f32_e32 v34, 1.0, v25
	v_add_f32_e32 v32, 1.0, v31
	v_add_f32_e32 v35, -1.0, v34
	v_sub_f32_e32 v32, v25, v32
	v_sub_f32_e32 v25, v25, v35
	v_add_f32_e32 v25, v29, v25
	v_add_f32_e32 v32, v29, v32
	v_add_f32_e32 v29, v34, v25
	v_rcp_f32_e32 v35, v29
	v_add_f32_e32 v33, v31, v32
	v_sub_f32_e32 v31, v31, v33
	v_add_f32_e32 v31, v32, v31
	v_sub_f32_e32 v32, v34, v29
	v_add_f32_e32 v25, v25, v32
	v_mul_f32_e32 v32, v33, v35
	v_mul_f32_e32 v34, v29, v32
	v_fma_f32 v36, v32, v29, -v34
	v_fmac_f32_e32 v36, v32, v25
	v_add_f32_e32 v37, v34, v36
	v_sub_f32_e32 v38, v33, v37
	v_sub_f32_e32 v33, v33, v38
	;; [unrolled: 1-line block ×4, first 2 shown]
	v_add_f32_e32 v31, v31, v33
	v_sub_f32_e32 v33, v34, v36
	v_add_f32_e32 v31, v33, v31
	v_add_f32_e32 v33, v38, v31
	v_mul_f32_e32 v34, v35, v33
	v_mul_f32_e32 v36, v29, v34
	v_fma_f32 v29, v34, v29, -v36
	v_fmac_f32_e32 v29, v34, v25
	v_sub_f32_e32 v25, v38, v33
	v_add_f32_e32 v25, v31, v25
	v_add_f32_e32 v31, v36, v29
	v_sub_f32_e32 v37, v33, v31
	v_sub_f32_e32 v33, v33, v37
	;; [unrolled: 1-line block ×4, first 2 shown]
	v_add_f32_e32 v25, v25, v31
	v_sub_f32_e32 v29, v36, v29
	v_add_f32_e32 v25, v29, v25
	v_add_f32_e32 v29, v32, v34
	;; [unrolled: 1-line block ×3, first 2 shown]
	v_sub_f32_e32 v31, v29, v32
	v_mul_f32_e32 v25, v35, v25
	v_sub_f32_e32 v31, v34, v31
	v_add_f32_e32 v25, v31, v25
	v_cvt_f32_i32_e32 v28, v28
	v_add_f32_e32 v31, v29, v25
	v_mul_f32_e32 v32, v31, v31
	v_mov_b32_e32 v33, 0x3ecc95a3
	v_fmac_f32_e32 v33, 0x3e9b6dac, v32
	v_mov_b32_e32 v34, 0x3f2aaada
	v_fmac_f32_e32 v34, v32, v33
	v_mul_f32_e32 v33, 0x3f317218, v28
	v_fma_f32 v35, v28, s6, -v33
	v_fmac_f32_e32 v35, 0xb102e308, v28
	v_sub_f32_e32 v28, v31, v29
	v_sub_f32_e32 v25, v25, v28
	v_add_f32_e32 v28, v33, v35
	v_sub_f32_e32 v29, v28, v33
	v_ldexp_f32 v33, v31, 1
	v_mul_f32_e32 v31, v31, v32
	v_mul_f32_e32 v31, v31, v34
	v_add_f32_e32 v32, v33, v31
	v_sub_f32_e32 v33, v32, v33
	v_ldexp_f32 v25, v25, 1
	v_sub_f32_e32 v31, v31, v33
	v_add_f32_e32 v25, v25, v31
	v_add_f32_e32 v31, v32, v25
	v_sub_f32_e32 v32, v31, v32
	v_sub_f32_e32 v25, v25, v32
	v_add_f32_e32 v32, v28, v31
	v_sub_f32_e32 v33, v32, v28
	v_sub_f32_e32 v34, v32, v33
	;; [unrolled: 1-line block ×5, first 2 shown]
	v_add_f32_e32 v28, v31, v28
	v_add_f32_e32 v31, v29, v25
	v_sub_f32_e32 v33, v31, v29
	v_sub_f32_e32 v34, v31, v33
	;; [unrolled: 1-line block ×4, first 2 shown]
	v_add_f32_e32 v28, v31, v28
	v_add_f32_e32 v25, v25, v29
	;; [unrolled: 1-line block ×3, first 2 shown]
	v_sub_f32_e32 v31, v29, v32
	v_sub_f32_e32 v28, v28, v31
	v_add_f32_e32 v25, v25, v28
	v_add_f32_e32 v25, v29, v25
	v_cmp_neq_f32_e32 vcc, s5, v14
	s_mov_b32 s5, 0x33800000
	v_cndmask_b32_e32 v25, v30, v25, vcc
	v_cmp_lt_f32_e64 vcc, |v14|, s5
	v_cndmask_b32_e32 v14, v25, v14, vcc
	v_add_f32_e32 v14, v26, v14
	v_cvt_f16_f32_e32 v30, v14
	v_cvt_f32_f16_e32 v14, v30
	v_mov_b32_e32 v25, v30
.LBB410_180:
	s_or_b64 exec, exec, s[2:3]
	v_max_f32_e32 v26, v7, v7
	v_max_f32_e32 v29, v14, v14
	v_min_f32_e32 v28, v29, v26
	v_cmp_u_f16_e32 vcc, v30, v30
	v_max_f32_e32 v26, v29, v26
	v_cndmask_b32_e32 v28, v28, v14, vcc
	v_cndmask_b32_e32 v26, v26, v14, vcc
	v_cndmask_b32_e64 v28, v28, v7, s[90:91]
	v_cndmask_b32_e64 v26, v26, v7, s[90:91]
	v_cmp_neq_f32_e32 vcc, v28, v26
	v_cmp_class_f32_e64 s[2:3], v28, s4
	s_or_b64 s[4:5], vcc, s[2:3]
	v_mov_b32_e32 v7, v25
	s_and_saveexec_b64 s[2:3], s[4:5]
	s_cbranch_execz .LBB410_182
; %bb.181:
	v_sub_f32_e32 v7, v28, v26
	s_mov_b32 s4, 0x3fb8aa3b
	v_mul_f32_e32 v14, 0x3fb8aa3b, v7
	v_fma_f32 v28, v7, s4, -v14
	v_rndne_f32_e32 v29, v14
	v_fmac_f32_e32 v28, 0x32a5705f, v7
	v_sub_f32_e32 v14, v14, v29
	v_add_f32_e32 v14, v14, v28
	v_exp_f32_e32 v14, v14
	v_cvt_i32_f32_e32 v28, v29
	s_mov_b32 s4, 0xc2ce8ed0
	v_cmp_ngt_f32_e32 vcc, s4, v7
	s_mov_b32 s4, 0x42b17218
	v_ldexp_f32 v14, v14, v28
	v_cndmask_b32_e32 v14, 0, v14, vcc
	v_mov_b32_e32 v30, 0x7f800000
	v_cmp_nlt_f32_e32 vcc, s4, v7
	v_cndmask_b32_e32 v7, v30, v14, vcc
	v_add_f32_e32 v14, 1.0, v7
	v_cvt_f64_f32_e32 v[28:29], v14
	v_add_f32_e32 v31, -1.0, v14
	v_sub_f32_e32 v32, v31, v14
	v_sub_f32_e32 v31, v7, v31
	v_frexp_exp_i32_f64_e32 v28, v[28:29]
	v_add_f32_e32 v29, 1.0, v32
	v_add_f32_e32 v29, v31, v29
	v_frexp_mant_f32_e32 v31, v14
	s_mov_b32 s5, 0x3f2aaaab
	v_cmp_gt_f32_e32 vcc, s5, v31
	s_mov_b32 s5, 0x3f317218
	s_mov_b32 s4, 0x7f800000
	v_subbrev_co_u32_e32 v28, vcc, 0, v28, vcc
	v_sub_u32_e32 v31, 0, v28
	v_ldexp_f32 v14, v14, v31
	v_ldexp_f32 v29, v29, v31
	v_add_f32_e32 v31, -1.0, v14
	v_add_f32_e32 v34, 1.0, v14
	v_add_f32_e32 v32, 1.0, v31
	v_add_f32_e32 v35, -1.0, v34
	v_sub_f32_e32 v32, v14, v32
	v_sub_f32_e32 v14, v14, v35
	v_add_f32_e32 v14, v29, v14
	v_add_f32_e32 v32, v29, v32
	;; [unrolled: 1-line block ×3, first 2 shown]
	v_rcp_f32_e32 v35, v29
	v_add_f32_e32 v33, v31, v32
	v_sub_f32_e32 v31, v31, v33
	v_add_f32_e32 v31, v32, v31
	v_sub_f32_e32 v32, v34, v29
	v_add_f32_e32 v14, v14, v32
	v_mul_f32_e32 v32, v33, v35
	v_mul_f32_e32 v34, v29, v32
	v_fma_f32 v36, v32, v29, -v34
	v_fmac_f32_e32 v36, v32, v14
	v_add_f32_e32 v37, v34, v36
	v_sub_f32_e32 v38, v33, v37
	v_sub_f32_e32 v33, v33, v38
	;; [unrolled: 1-line block ×4, first 2 shown]
	v_add_f32_e32 v31, v31, v33
	v_sub_f32_e32 v33, v34, v36
	v_add_f32_e32 v31, v33, v31
	v_add_f32_e32 v33, v38, v31
	v_mul_f32_e32 v34, v35, v33
	v_mul_f32_e32 v36, v29, v34
	v_fma_f32 v29, v34, v29, -v36
	v_fmac_f32_e32 v29, v34, v14
	v_sub_f32_e32 v14, v38, v33
	v_add_f32_e32 v14, v31, v14
	v_add_f32_e32 v31, v36, v29
	v_sub_f32_e32 v37, v33, v31
	v_sub_f32_e32 v33, v33, v37
	;; [unrolled: 1-line block ×4, first 2 shown]
	v_add_f32_e32 v14, v14, v31
	v_sub_f32_e32 v29, v36, v29
	v_add_f32_e32 v14, v29, v14
	v_add_f32_e32 v29, v32, v34
	;; [unrolled: 1-line block ×3, first 2 shown]
	v_sub_f32_e32 v31, v29, v32
	v_mul_f32_e32 v14, v35, v14
	v_sub_f32_e32 v31, v34, v31
	v_add_f32_e32 v14, v31, v14
	v_cvt_f32_i32_e32 v28, v28
	v_add_f32_e32 v31, v29, v14
	v_mul_f32_e32 v32, v31, v31
	v_mov_b32_e32 v33, 0x3ecc95a3
	v_fmac_f32_e32 v33, 0x3e9b6dac, v32
	v_mov_b32_e32 v34, 0x3f2aaada
	v_fmac_f32_e32 v34, v32, v33
	v_mul_f32_e32 v33, 0x3f317218, v28
	v_fma_f32 v35, v28, s5, -v33
	v_fmac_f32_e32 v35, 0xb102e308, v28
	v_sub_f32_e32 v28, v31, v29
	v_sub_f32_e32 v14, v14, v28
	v_add_f32_e32 v28, v33, v35
	v_sub_f32_e32 v29, v28, v33
	v_ldexp_f32 v33, v31, 1
	v_mul_f32_e32 v31, v31, v32
	v_mul_f32_e32 v31, v31, v34
	v_add_f32_e32 v32, v33, v31
	v_sub_f32_e32 v33, v32, v33
	v_ldexp_f32 v14, v14, 1
	v_sub_f32_e32 v31, v31, v33
	v_add_f32_e32 v14, v14, v31
	v_add_f32_e32 v31, v32, v14
	v_sub_f32_e32 v32, v31, v32
	v_sub_f32_e32 v14, v14, v32
	v_add_f32_e32 v32, v28, v31
	v_sub_f32_e32 v33, v32, v28
	v_sub_f32_e32 v34, v32, v33
	;; [unrolled: 1-line block ×5, first 2 shown]
	v_add_f32_e32 v28, v31, v28
	v_add_f32_e32 v31, v29, v14
	v_sub_f32_e32 v33, v31, v29
	v_sub_f32_e32 v34, v31, v33
	;; [unrolled: 1-line block ×4, first 2 shown]
	v_add_f32_e32 v28, v31, v28
	v_add_f32_e32 v14, v14, v29
	v_add_f32_e32 v29, v32, v28
	v_sub_f32_e32 v31, v29, v32
	v_sub_f32_e32 v28, v28, v31
	v_add_f32_e32 v14, v14, v28
	v_add_f32_e32 v14, v29, v14
	v_cmp_neq_f32_e32 vcc, s4, v7
	s_mov_b32 s4, 0x33800000
	v_cndmask_b32_e32 v14, v30, v14, vcc
	v_cmp_lt_f32_e64 vcc, |v7|, s4
	v_cndmask_b32_e32 v7, v14, v7, vcc
	v_add_f32_e32 v7, v26, v7
	v_cvt_f16_f32_e32 v30, v7
	v_cvt_f32_f16_e32 v14, v30
	v_mov_b32_e32 v7, v30
.LBB410_182:
	s_or_b64 exec, exec, s[2:3]
	v_max_f32_e32 v26, v27, v27
	v_max_f32_e32 v29, v14, v14
	v_min_f32_e32 v28, v29, v26
	v_cmp_u_f16_e32 vcc, v30, v30
	v_max_f32_e32 v26, v29, v26
	v_cndmask_b32_e32 v28, v28, v14, vcc
	v_cndmask_b32_e32 v14, v26, v14, vcc
	v_cndmask_b32_e64 v28, v28, v27, s[92:93]
	v_cndmask_b32_e64 v14, v14, v27, s[92:93]
	s_movk_i32 s2, 0x1f8
	v_cmp_neq_f32_e32 vcc, v28, v14
	v_cmp_class_f32_e64 s[2:3], v28, s2
	s_or_b64 s[4:5], vcc, s[2:3]
	v_mov_b32_e32 v26, v7
	s_and_saveexec_b64 s[2:3], s[4:5]
	s_cbranch_execz .LBB410_184
; %bb.183:
	v_sub_f32_e32 v26, v28, v14
	s_mov_b32 s4, 0x3fb8aa3b
	v_mul_f32_e32 v27, 0x3fb8aa3b, v26
	v_fma_f32 v28, v26, s4, -v27
	v_rndne_f32_e32 v29, v27
	v_fmac_f32_e32 v28, 0x32a5705f, v26
	v_sub_f32_e32 v27, v27, v29
	v_add_f32_e32 v27, v27, v28
	v_exp_f32_e32 v27, v27
	v_cvt_i32_f32_e32 v28, v29
	s_mov_b32 s4, 0xc2ce8ed0
	v_cmp_ngt_f32_e32 vcc, s4, v26
	s_mov_b32 s4, 0x42b17218
	v_ldexp_f32 v27, v27, v28
	v_cndmask_b32_e32 v27, 0, v27, vcc
	v_mov_b32_e32 v28, 0x7f800000
	v_cmp_nlt_f32_e32 vcc, s4, v26
	v_cndmask_b32_e32 v29, v28, v27, vcc
	v_add_f32_e32 v30, 1.0, v29
	v_cvt_f64_f32_e32 v[26:27], v30
	v_add_f32_e32 v31, -1.0, v30
	v_sub_f32_e32 v32, v31, v30
	v_sub_f32_e32 v31, v29, v31
	v_frexp_exp_i32_f64_e32 v26, v[26:27]
	v_add_f32_e32 v27, 1.0, v32
	v_add_f32_e32 v27, v31, v27
	v_frexp_mant_f32_e32 v31, v30
	s_mov_b32 s5, 0x3f2aaaab
	v_cmp_gt_f32_e32 vcc, s5, v31
	s_mov_b32 s5, 0x3f317218
	s_mov_b32 s4, 0x7f800000
	v_subbrev_co_u32_e32 v26, vcc, 0, v26, vcc
	v_sub_u32_e32 v31, 0, v26
	v_ldexp_f32 v30, v30, v31
	v_ldexp_f32 v27, v27, v31
	v_add_f32_e32 v31, -1.0, v30
	v_add_f32_e32 v34, 1.0, v30
	v_add_f32_e32 v32, 1.0, v31
	v_add_f32_e32 v35, -1.0, v34
	v_sub_f32_e32 v32, v30, v32
	v_sub_f32_e32 v30, v30, v35
	v_add_f32_e32 v32, v27, v32
	v_add_f32_e32 v27, v27, v30
	;; [unrolled: 1-line block ×3, first 2 shown]
	v_rcp_f32_e32 v35, v30
	v_add_f32_e32 v33, v31, v32
	v_sub_f32_e32 v31, v31, v33
	v_add_f32_e32 v31, v32, v31
	v_sub_f32_e32 v32, v34, v30
	v_add_f32_e32 v27, v27, v32
	v_mul_f32_e32 v32, v33, v35
	v_mul_f32_e32 v34, v30, v32
	v_fma_f32 v36, v32, v30, -v34
	v_fmac_f32_e32 v36, v32, v27
	v_add_f32_e32 v37, v34, v36
	v_sub_f32_e32 v38, v33, v37
	v_sub_f32_e32 v33, v33, v38
	;; [unrolled: 1-line block ×4, first 2 shown]
	v_add_f32_e32 v31, v31, v33
	v_sub_f32_e32 v33, v34, v36
	v_add_f32_e32 v31, v33, v31
	v_add_f32_e32 v33, v38, v31
	v_mul_f32_e32 v34, v35, v33
	v_mul_f32_e32 v36, v30, v34
	v_fma_f32 v30, v34, v30, -v36
	v_fmac_f32_e32 v30, v34, v27
	v_sub_f32_e32 v27, v38, v33
	v_add_f32_e32 v27, v31, v27
	v_add_f32_e32 v31, v36, v30
	v_sub_f32_e32 v37, v33, v31
	v_sub_f32_e32 v33, v33, v37
	;; [unrolled: 1-line block ×4, first 2 shown]
	v_add_f32_e32 v27, v27, v31
	v_sub_f32_e32 v30, v36, v30
	v_add_f32_e32 v27, v30, v27
	v_add_f32_e32 v30, v32, v34
	v_add_f32_e32 v27, v37, v27
	v_sub_f32_e32 v31, v30, v32
	v_mul_f32_e32 v27, v35, v27
	v_sub_f32_e32 v31, v34, v31
	v_add_f32_e32 v27, v31, v27
	v_cvt_f32_i32_e32 v26, v26
	v_add_f32_e32 v31, v30, v27
	v_mul_f32_e32 v32, v31, v31
	v_mov_b32_e32 v33, 0x3ecc95a3
	v_fmac_f32_e32 v33, 0x3e9b6dac, v32
	v_mov_b32_e32 v34, 0x3f2aaada
	v_fmac_f32_e32 v34, v32, v33
	v_mul_f32_e32 v33, 0x3f317218, v26
	v_fma_f32 v35, v26, s5, -v33
	v_fmac_f32_e32 v35, 0xb102e308, v26
	v_sub_f32_e32 v26, v31, v30
	v_sub_f32_e32 v26, v27, v26
	v_add_f32_e32 v27, v33, v35
	v_sub_f32_e32 v30, v27, v33
	v_ldexp_f32 v33, v31, 1
	v_mul_f32_e32 v31, v31, v32
	v_mul_f32_e32 v31, v31, v34
	v_add_f32_e32 v32, v33, v31
	v_sub_f32_e32 v33, v32, v33
	v_ldexp_f32 v26, v26, 1
	v_sub_f32_e32 v31, v31, v33
	v_add_f32_e32 v26, v26, v31
	v_add_f32_e32 v31, v32, v26
	v_sub_f32_e32 v32, v31, v32
	v_sub_f32_e32 v26, v26, v32
	v_add_f32_e32 v32, v27, v31
	v_sub_f32_e32 v33, v32, v27
	v_sub_f32_e32 v34, v32, v33
	;; [unrolled: 1-line block ×5, first 2 shown]
	v_add_f32_e32 v27, v31, v27
	v_add_f32_e32 v31, v30, v26
	v_sub_f32_e32 v33, v31, v30
	v_sub_f32_e32 v34, v31, v33
	;; [unrolled: 1-line block ×4, first 2 shown]
	v_add_f32_e32 v27, v31, v27
	v_add_f32_e32 v26, v26, v30
	;; [unrolled: 1-line block ×3, first 2 shown]
	v_sub_f32_e32 v31, v30, v32
	v_sub_f32_e32 v27, v27, v31
	v_add_f32_e32 v26, v26, v27
	v_add_f32_e32 v26, v30, v26
	v_cmp_neq_f32_e32 vcc, s4, v29
	s_mov_b32 s4, 0x33800000
	v_cndmask_b32_e32 v26, v28, v26, vcc
	v_cmp_lt_f32_e64 vcc, |v29|, s4
	v_cndmask_b32_e32 v26, v26, v29, vcc
	v_add_f32_e32 v14, v14, v26
	v_cvt_f16_f32_e32 v26, v14
.LBB410_184:
	s_or_b64 exec, exec, s[2:3]
	s_mov_b32 s2, 0x5040100
	v_add_u32_e32 v8, v13, v8
	v_perm_b32 v18, v18, v3, s2
	v_perm_b32 v17, v17, v2, s2
	;; [unrolled: 1-line block ×8, first 2 shown]
	s_barrier
	ds_write_b128 v8, v[0:3] offset:16
	v_perm_b32 v3, v26, v7, s2
	v_perm_b32 v2, v25, v6, s2
	;; [unrolled: 1-line block ×4, first 2 shown]
	ds_write_b128 v8, v[15:18]
	ds_write_b128 v8, v[0:3] offset:32
	s_waitcnt lgkmcnt(0)
	s_barrier
	ds_read_u16 v25, v13 offset:512
	ds_read_u16 v24, v13 offset:1024
	;; [unrolled: 1-line block ×23, first 2 shown]
	v_mov_b32_e32 v1, s1
	v_add_co_u32_e32 v0, vcc, s0, v13
	v_addc_co_u32_e32 v1, vcc, 0, v1, vcc
	s_mov_b64 s[0:1], exec
	v_readlane_b32 s2, v48, 0
	v_readlane_b32 s3, v48, 1
	s_and_b64 s[2:3], s[0:1], s[2:3]
	s_mov_b64 exec, s[2:3]
	s_cbranch_execz .LBB410_186
; %bb.185:
	ds_read_u16 v13, v13
	s_waitcnt lgkmcnt(0)
	global_store_short v[0:1], v13, off
.LBB410_186:
	s_or_b64 exec, exec, s[0:1]
	s_mov_b64 s[0:1], exec
	v_readlane_b32 s2, v48, 2
	v_readlane_b32 s3, v48, 3
	s_and_b64 s[2:3], s[0:1], s[2:3]
	s_mov_b64 exec, s[2:3]
	s_cbranch_execz .LBB410_188
; %bb.187:
	s_waitcnt lgkmcnt(14)
	global_store_short v[0:1], v25, off offset:512
.LBB410_188:
	s_or_b64 exec, exec, s[0:1]
	s_mov_b64 s[0:1], exec
	v_readlane_b32 s2, v48, 4
	v_readlane_b32 s3, v48, 5
	s_and_b64 s[2:3], s[0:1], s[2:3]
	s_mov_b64 exec, s[2:3]
	s_cbranch_execz .LBB410_190
; %bb.189:
	s_waitcnt lgkmcnt(14)
	global_store_short v[0:1], v24, off offset:1024
.LBB410_190:
	;; [unrolled: 11-line block ×5, first 2 shown]
	s_or_b64 exec, exec, s[0:1]
	s_mov_b64 s[0:1], exec
	v_readlane_b32 s2, v48, 12
	v_readlane_b32 s3, v48, 13
	s_and_b64 s[2:3], s[0:1], s[2:3]
	s_mov_b64 exec, s[2:3]
	s_cbranch_execnz .LBB410_215
; %bb.197:
	s_or_b64 exec, exec, s[0:1]
	s_and_saveexec_b64 s[0:1], s[12:13]
	s_cbranch_execnz .LBB410_216
.LBB410_198:
	s_or_b64 exec, exec, s[0:1]
	s_and_saveexec_b64 s[0:1], s[14:15]
	s_cbranch_execnz .LBB410_217
.LBB410_199:
	s_or_b64 exec, exec, s[0:1]
	s_and_saveexec_b64 s[0:1], s[16:17]
	s_cbranch_execnz .LBB410_218
.LBB410_200:
	s_or_b64 exec, exec, s[0:1]
	s_and_saveexec_b64 s[0:1], s[18:19]
	s_cbranch_execnz .LBB410_219
.LBB410_201:
	s_or_b64 exec, exec, s[0:1]
	s_and_saveexec_b64 s[0:1], s[20:21]
	s_cbranch_execnz .LBB410_220
.LBB410_202:
	s_or_b64 exec, exec, s[0:1]
	s_and_saveexec_b64 s[0:1], s[22:23]
	s_cbranch_execnz .LBB410_221
.LBB410_203:
	s_or_b64 exec, exec, s[0:1]
	s_and_saveexec_b64 s[0:1], s[24:25]
	s_cbranch_execnz .LBB410_222
.LBB410_204:
	s_or_b64 exec, exec, s[0:1]
	s_and_saveexec_b64 s[0:1], s[26:27]
	s_cbranch_execnz .LBB410_223
.LBB410_205:
	s_or_b64 exec, exec, s[0:1]
	s_and_saveexec_b64 s[0:1], s[28:29]
	s_cbranch_execnz .LBB410_224
.LBB410_206:
	s_or_b64 exec, exec, s[0:1]
	s_and_saveexec_b64 s[0:1], s[30:31]
	s_cbranch_execnz .LBB410_225
.LBB410_207:
	s_or_b64 exec, exec, s[0:1]
	s_and_saveexec_b64 s[0:1], s[34:35]
	s_cbranch_execnz .LBB410_226
.LBB410_208:
	s_or_b64 exec, exec, s[0:1]
	s_and_saveexec_b64 s[0:1], s[36:37]
	s_cbranch_execnz .LBB410_227
.LBB410_209:
	s_or_b64 exec, exec, s[0:1]
	s_and_saveexec_b64 s[0:1], s[38:39]
	s_cbranch_execnz .LBB410_228
.LBB410_210:
	s_or_b64 exec, exec, s[0:1]
	s_and_saveexec_b64 s[0:1], s[40:41]
	s_cbranch_execnz .LBB410_229
.LBB410_211:
	s_or_b64 exec, exec, s[0:1]
	s_and_saveexec_b64 s[0:1], s[42:43]
	s_cbranch_execnz .LBB410_230
.LBB410_212:
	s_or_b64 exec, exec, s[0:1]
	s_and_saveexec_b64 s[0:1], s[44:45]
	s_cbranch_execnz .LBB410_231
.LBB410_213:
	s_or_b64 exec, exec, s[0:1]
	s_and_saveexec_b64 s[0:1], s[46:47]
	s_cbranch_execnz .LBB410_232
.LBB410_214:
	s_endpgm
.LBB410_215:
	s_waitcnt lgkmcnt(14)
	global_store_short v[0:1], v20, off offset:3072
	s_or_b64 exec, exec, s[0:1]
	s_and_saveexec_b64 s[0:1], s[12:13]
	s_cbranch_execz .LBB410_198
.LBB410_216:
	s_waitcnt lgkmcnt(14)
	global_store_short v[0:1], v19, off offset:3584
	s_or_b64 exec, exec, s[0:1]
	s_and_saveexec_b64 s[0:1], s[14:15]
	s_cbranch_execz .LBB410_199
.LBB410_217:
	s_waitcnt lgkmcnt(14)
	v_add_co_u32_e32 v19, vcc, 0x1000, v0
	v_addc_co_u32_e32 v20, vcc, 0, v1, vcc
	global_store_short v[19:20], v18, off
	s_or_b64 exec, exec, s[0:1]
	s_and_saveexec_b64 s[0:1], s[16:17]
	s_cbranch_execz .LBB410_200
.LBB410_218:
	s_waitcnt lgkmcnt(14)
	v_add_co_u32_e32 v18, vcc, 0x1000, v0
	v_addc_co_u32_e32 v19, vcc, 0, v1, vcc
	global_store_short v[18:19], v17, off offset:512
	s_or_b64 exec, exec, s[0:1]
	s_and_saveexec_b64 s[0:1], s[18:19]
	s_cbranch_execz .LBB410_201
.LBB410_219:
	s_waitcnt lgkmcnt(14)
	v_add_co_u32_e32 v17, vcc, 0x1000, v0
	v_addc_co_u32_e32 v18, vcc, 0, v1, vcc
	s_waitcnt lgkmcnt(13)
	global_store_short v[17:18], v16, off offset:1024
	s_or_b64 exec, exec, s[0:1]
	s_and_saveexec_b64 s[0:1], s[20:21]
	s_cbranch_execz .LBB410_202
.LBB410_220:
	s_waitcnt lgkmcnt(13)
	v_add_co_u32_e32 v16, vcc, 0x1000, v0
	v_addc_co_u32_e32 v17, vcc, 0, v1, vcc
	s_waitcnt lgkmcnt(12)
	global_store_short v[16:17], v15, off offset:1536
	s_or_b64 exec, exec, s[0:1]
	s_and_saveexec_b64 s[0:1], s[22:23]
	s_cbranch_execz .LBB410_203
.LBB410_221:
	s_waitcnt lgkmcnt(12)
	v_add_co_u32_e32 v15, vcc, 0x1000, v0
	v_addc_co_u32_e32 v16, vcc, 0, v1, vcc
	s_waitcnt lgkmcnt(11)
	global_store_short v[15:16], v14, off offset:2048
	s_or_b64 exec, exec, s[0:1]
	s_and_saveexec_b64 s[0:1], s[24:25]
	s_cbranch_execz .LBB410_204
.LBB410_222:
	v_add_co_u32_e32 v13, vcc, 0x1000, v0
	s_waitcnt lgkmcnt(11)
	v_addc_co_u32_e32 v14, vcc, 0, v1, vcc
	s_waitcnt lgkmcnt(10)
	global_store_short v[13:14], v12, off offset:2560
	s_or_b64 exec, exec, s[0:1]
	s_and_saveexec_b64 s[0:1], s[26:27]
	s_cbranch_execz .LBB410_205
.LBB410_223:
	s_waitcnt lgkmcnt(10)
	v_add_co_u32_e32 v12, vcc, 0x1000, v0
	v_addc_co_u32_e32 v13, vcc, 0, v1, vcc
	s_waitcnt lgkmcnt(9)
	global_store_short v[12:13], v11, off offset:3072
	s_or_b64 exec, exec, s[0:1]
	s_and_saveexec_b64 s[0:1], s[28:29]
	s_cbranch_execz .LBB410_206
.LBB410_224:
	s_waitcnt lgkmcnt(9)
	v_add_co_u32_e32 v11, vcc, 0x1000, v0
	v_addc_co_u32_e32 v12, vcc, 0, v1, vcc
	s_waitcnt lgkmcnt(8)
	global_store_short v[11:12], v10, off offset:3584
	s_or_b64 exec, exec, s[0:1]
	s_and_saveexec_b64 s[0:1], s[30:31]
	s_cbranch_execz .LBB410_207
.LBB410_225:
	s_waitcnt lgkmcnt(8)
	v_add_co_u32_e32 v10, vcc, 0x2000, v0
	v_addc_co_u32_e32 v11, vcc, 0, v1, vcc
	s_waitcnt lgkmcnt(7)
	global_store_short v[10:11], v9, off
	s_or_b64 exec, exec, s[0:1]
	s_and_saveexec_b64 s[0:1], s[34:35]
	s_cbranch_execz .LBB410_208
.LBB410_226:
	s_waitcnt lgkmcnt(7)
	v_add_co_u32_e32 v9, vcc, 0x2000, v0
	v_addc_co_u32_e32 v10, vcc, 0, v1, vcc
	s_waitcnt lgkmcnt(6)
	global_store_short v[9:10], v8, off offset:512
	s_or_b64 exec, exec, s[0:1]
	s_and_saveexec_b64 s[0:1], s[36:37]
	s_cbranch_execz .LBB410_209
.LBB410_227:
	s_waitcnt lgkmcnt(6)
	v_add_co_u32_e32 v8, vcc, 0x2000, v0
	v_addc_co_u32_e32 v9, vcc, 0, v1, vcc
	s_waitcnt lgkmcnt(5)
	global_store_short v[8:9], v7, off offset:1024
	s_or_b64 exec, exec, s[0:1]
	s_and_saveexec_b64 s[0:1], s[38:39]
	s_cbranch_execz .LBB410_210
.LBB410_228:
	s_waitcnt lgkmcnt(5)
	v_add_co_u32_e32 v7, vcc, 0x2000, v0
	v_addc_co_u32_e32 v8, vcc, 0, v1, vcc
	s_waitcnt lgkmcnt(4)
	global_store_short v[7:8], v6, off offset:1536
	s_or_b64 exec, exec, s[0:1]
	s_and_saveexec_b64 s[0:1], s[40:41]
	s_cbranch_execz .LBB410_211
.LBB410_229:
	s_waitcnt lgkmcnt(4)
	v_add_co_u32_e32 v6, vcc, 0x2000, v0
	v_addc_co_u32_e32 v7, vcc, 0, v1, vcc
	s_waitcnt lgkmcnt(3)
	global_store_short v[6:7], v5, off offset:2048
	s_or_b64 exec, exec, s[0:1]
	s_and_saveexec_b64 s[0:1], s[42:43]
	s_cbranch_execz .LBB410_212
.LBB410_230:
	s_waitcnt lgkmcnt(3)
	v_add_co_u32_e32 v5, vcc, 0x2000, v0
	v_addc_co_u32_e32 v6, vcc, 0, v1, vcc
	s_waitcnt lgkmcnt(2)
	global_store_short v[5:6], v4, off offset:2560
	s_or_b64 exec, exec, s[0:1]
	s_and_saveexec_b64 s[0:1], s[44:45]
	s_cbranch_execz .LBB410_213
.LBB410_231:
	s_waitcnt lgkmcnt(2)
	v_add_co_u32_e32 v4, vcc, 0x2000, v0
	v_addc_co_u32_e32 v5, vcc, 0, v1, vcc
	s_waitcnt lgkmcnt(1)
	global_store_short v[4:5], v3, off offset:3072
	s_or_b64 exec, exec, s[0:1]
	s_and_saveexec_b64 s[0:1], s[46:47]
	s_cbranch_execz .LBB410_214
.LBB410_232:
	v_add_co_u32_e32 v0, vcc, 0x2000, v0
	v_addc_co_u32_e32 v1, vcc, 0, v1, vcc
	s_waitcnt lgkmcnt(0)
	global_store_short v[0:1], v2, off offset:3584
	s_endpgm
	.section	.rodata,"a",@progbits
	.p2align	6, 0x0
	.amdhsa_kernel _ZN7rocprim17ROCPRIM_400000_NS6detail17trampoline_kernelINS0_14default_configENS1_20scan_config_selectorIN3c104HalfEEEZZNS1_9scan_implILNS1_25lookback_scan_determinismE0ELb0ELb0ES3_PKS6_PS6_S6_ZZZN2at6native31launch_logcumsumexp_cuda_kernelERKNSD_10TensorBaseESH_lENKUlvE_clEvENKUlvE3_clEvEUlS6_S6_E_S6_EEDaPvRmT3_T4_T5_mT6_P12ihipStream_tbENKUlT_T0_E_clISt17integral_constantIbLb1EESX_IbLb0EEEEDaST_SU_EUlST_E0_NS1_11comp_targetILNS1_3genE2ELNS1_11target_archE906ELNS1_3gpuE6ELNS1_3repE0EEENS1_30default_config_static_selectorELNS0_4arch9wavefront6targetE1EEEvT1_
		.amdhsa_group_segment_fixed_size 12288
		.amdhsa_private_segment_fixed_size 0
		.amdhsa_kernarg_size 32
		.amdhsa_user_sgpr_count 6
		.amdhsa_user_sgpr_private_segment_buffer 1
		.amdhsa_user_sgpr_dispatch_ptr 0
		.amdhsa_user_sgpr_queue_ptr 0
		.amdhsa_user_sgpr_kernarg_segment_ptr 1
		.amdhsa_user_sgpr_dispatch_id 0
		.amdhsa_user_sgpr_flat_scratch_init 0
		.amdhsa_user_sgpr_private_segment_size 0
		.amdhsa_uses_dynamic_stack 0
		.amdhsa_system_sgpr_private_segment_wavefront_offset 0
		.amdhsa_system_sgpr_workgroup_id_x 1
		.amdhsa_system_sgpr_workgroup_id_y 0
		.amdhsa_system_sgpr_workgroup_id_z 0
		.amdhsa_system_sgpr_workgroup_info 0
		.amdhsa_system_vgpr_workitem_id 0
		.amdhsa_next_free_vgpr 49
		.amdhsa_next_free_sgpr 98
		.amdhsa_reserve_vcc 1
		.amdhsa_reserve_flat_scratch 0
		.amdhsa_float_round_mode_32 0
		.amdhsa_float_round_mode_16_64 0
		.amdhsa_float_denorm_mode_32 3
		.amdhsa_float_denorm_mode_16_64 3
		.amdhsa_dx10_clamp 1
		.amdhsa_ieee_mode 1
		.amdhsa_fp16_overflow 0
		.amdhsa_exception_fp_ieee_invalid_op 0
		.amdhsa_exception_fp_denorm_src 0
		.amdhsa_exception_fp_ieee_div_zero 0
		.amdhsa_exception_fp_ieee_overflow 0
		.amdhsa_exception_fp_ieee_underflow 0
		.amdhsa_exception_fp_ieee_inexact 0
		.amdhsa_exception_int_div_zero 0
	.end_amdhsa_kernel
	.section	.text._ZN7rocprim17ROCPRIM_400000_NS6detail17trampoline_kernelINS0_14default_configENS1_20scan_config_selectorIN3c104HalfEEEZZNS1_9scan_implILNS1_25lookback_scan_determinismE0ELb0ELb0ES3_PKS6_PS6_S6_ZZZN2at6native31launch_logcumsumexp_cuda_kernelERKNSD_10TensorBaseESH_lENKUlvE_clEvENKUlvE3_clEvEUlS6_S6_E_S6_EEDaPvRmT3_T4_T5_mT6_P12ihipStream_tbENKUlT_T0_E_clISt17integral_constantIbLb1EESX_IbLb0EEEEDaST_SU_EUlST_E0_NS1_11comp_targetILNS1_3genE2ELNS1_11target_archE906ELNS1_3gpuE6ELNS1_3repE0EEENS1_30default_config_static_selectorELNS0_4arch9wavefront6targetE1EEEvT1_,"axG",@progbits,_ZN7rocprim17ROCPRIM_400000_NS6detail17trampoline_kernelINS0_14default_configENS1_20scan_config_selectorIN3c104HalfEEEZZNS1_9scan_implILNS1_25lookback_scan_determinismE0ELb0ELb0ES3_PKS6_PS6_S6_ZZZN2at6native31launch_logcumsumexp_cuda_kernelERKNSD_10TensorBaseESH_lENKUlvE_clEvENKUlvE3_clEvEUlS6_S6_E_S6_EEDaPvRmT3_T4_T5_mT6_P12ihipStream_tbENKUlT_T0_E_clISt17integral_constantIbLb1EESX_IbLb0EEEEDaST_SU_EUlST_E0_NS1_11comp_targetILNS1_3genE2ELNS1_11target_archE906ELNS1_3gpuE6ELNS1_3repE0EEENS1_30default_config_static_selectorELNS0_4arch9wavefront6targetE1EEEvT1_,comdat
.Lfunc_end410:
	.size	_ZN7rocprim17ROCPRIM_400000_NS6detail17trampoline_kernelINS0_14default_configENS1_20scan_config_selectorIN3c104HalfEEEZZNS1_9scan_implILNS1_25lookback_scan_determinismE0ELb0ELb0ES3_PKS6_PS6_S6_ZZZN2at6native31launch_logcumsumexp_cuda_kernelERKNSD_10TensorBaseESH_lENKUlvE_clEvENKUlvE3_clEvEUlS6_S6_E_S6_EEDaPvRmT3_T4_T5_mT6_P12ihipStream_tbENKUlT_T0_E_clISt17integral_constantIbLb1EESX_IbLb0EEEEDaST_SU_EUlST_E0_NS1_11comp_targetILNS1_3genE2ELNS1_11target_archE906ELNS1_3gpuE6ELNS1_3repE0EEENS1_30default_config_static_selectorELNS0_4arch9wavefront6targetE1EEEvT1_, .Lfunc_end410-_ZN7rocprim17ROCPRIM_400000_NS6detail17trampoline_kernelINS0_14default_configENS1_20scan_config_selectorIN3c104HalfEEEZZNS1_9scan_implILNS1_25lookback_scan_determinismE0ELb0ELb0ES3_PKS6_PS6_S6_ZZZN2at6native31launch_logcumsumexp_cuda_kernelERKNSD_10TensorBaseESH_lENKUlvE_clEvENKUlvE3_clEvEUlS6_S6_E_S6_EEDaPvRmT3_T4_T5_mT6_P12ihipStream_tbENKUlT_T0_E_clISt17integral_constantIbLb1EESX_IbLb0EEEEDaST_SU_EUlST_E0_NS1_11comp_targetILNS1_3genE2ELNS1_11target_archE906ELNS1_3gpuE6ELNS1_3repE0EEENS1_30default_config_static_selectorELNS0_4arch9wavefront6targetE1EEEvT1_
                                        ; -- End function
	.set _ZN7rocprim17ROCPRIM_400000_NS6detail17trampoline_kernelINS0_14default_configENS1_20scan_config_selectorIN3c104HalfEEEZZNS1_9scan_implILNS1_25lookback_scan_determinismE0ELb0ELb0ES3_PKS6_PS6_S6_ZZZN2at6native31launch_logcumsumexp_cuda_kernelERKNSD_10TensorBaseESH_lENKUlvE_clEvENKUlvE3_clEvEUlS6_S6_E_S6_EEDaPvRmT3_T4_T5_mT6_P12ihipStream_tbENKUlT_T0_E_clISt17integral_constantIbLb1EESX_IbLb0EEEEDaST_SU_EUlST_E0_NS1_11comp_targetILNS1_3genE2ELNS1_11target_archE906ELNS1_3gpuE6ELNS1_3repE0EEENS1_30default_config_static_selectorELNS0_4arch9wavefront6targetE1EEEvT1_.num_vgpr, 49
	.set _ZN7rocprim17ROCPRIM_400000_NS6detail17trampoline_kernelINS0_14default_configENS1_20scan_config_selectorIN3c104HalfEEEZZNS1_9scan_implILNS1_25lookback_scan_determinismE0ELb0ELb0ES3_PKS6_PS6_S6_ZZZN2at6native31launch_logcumsumexp_cuda_kernelERKNSD_10TensorBaseESH_lENKUlvE_clEvENKUlvE3_clEvEUlS6_S6_E_S6_EEDaPvRmT3_T4_T5_mT6_P12ihipStream_tbENKUlT_T0_E_clISt17integral_constantIbLb1EESX_IbLb0EEEEDaST_SU_EUlST_E0_NS1_11comp_targetILNS1_3genE2ELNS1_11target_archE906ELNS1_3gpuE6ELNS1_3repE0EEENS1_30default_config_static_selectorELNS0_4arch9wavefront6targetE1EEEvT1_.num_agpr, 0
	.set _ZN7rocprim17ROCPRIM_400000_NS6detail17trampoline_kernelINS0_14default_configENS1_20scan_config_selectorIN3c104HalfEEEZZNS1_9scan_implILNS1_25lookback_scan_determinismE0ELb0ELb0ES3_PKS6_PS6_S6_ZZZN2at6native31launch_logcumsumexp_cuda_kernelERKNSD_10TensorBaseESH_lENKUlvE_clEvENKUlvE3_clEvEUlS6_S6_E_S6_EEDaPvRmT3_T4_T5_mT6_P12ihipStream_tbENKUlT_T0_E_clISt17integral_constantIbLb1EESX_IbLb0EEEEDaST_SU_EUlST_E0_NS1_11comp_targetILNS1_3genE2ELNS1_11target_archE906ELNS1_3gpuE6ELNS1_3repE0EEENS1_30default_config_static_selectorELNS0_4arch9wavefront6targetE1EEEvT1_.numbered_sgpr, 96
	.set _ZN7rocprim17ROCPRIM_400000_NS6detail17trampoline_kernelINS0_14default_configENS1_20scan_config_selectorIN3c104HalfEEEZZNS1_9scan_implILNS1_25lookback_scan_determinismE0ELb0ELb0ES3_PKS6_PS6_S6_ZZZN2at6native31launch_logcumsumexp_cuda_kernelERKNSD_10TensorBaseESH_lENKUlvE_clEvENKUlvE3_clEvEUlS6_S6_E_S6_EEDaPvRmT3_T4_T5_mT6_P12ihipStream_tbENKUlT_T0_E_clISt17integral_constantIbLb1EESX_IbLb0EEEEDaST_SU_EUlST_E0_NS1_11comp_targetILNS1_3genE2ELNS1_11target_archE906ELNS1_3gpuE6ELNS1_3repE0EEENS1_30default_config_static_selectorELNS0_4arch9wavefront6targetE1EEEvT1_.num_named_barrier, 0
	.set _ZN7rocprim17ROCPRIM_400000_NS6detail17trampoline_kernelINS0_14default_configENS1_20scan_config_selectorIN3c104HalfEEEZZNS1_9scan_implILNS1_25lookback_scan_determinismE0ELb0ELb0ES3_PKS6_PS6_S6_ZZZN2at6native31launch_logcumsumexp_cuda_kernelERKNSD_10TensorBaseESH_lENKUlvE_clEvENKUlvE3_clEvEUlS6_S6_E_S6_EEDaPvRmT3_T4_T5_mT6_P12ihipStream_tbENKUlT_T0_E_clISt17integral_constantIbLb1EESX_IbLb0EEEEDaST_SU_EUlST_E0_NS1_11comp_targetILNS1_3genE2ELNS1_11target_archE906ELNS1_3gpuE6ELNS1_3repE0EEENS1_30default_config_static_selectorELNS0_4arch9wavefront6targetE1EEEvT1_.private_seg_size, 0
	.set _ZN7rocprim17ROCPRIM_400000_NS6detail17trampoline_kernelINS0_14default_configENS1_20scan_config_selectorIN3c104HalfEEEZZNS1_9scan_implILNS1_25lookback_scan_determinismE0ELb0ELb0ES3_PKS6_PS6_S6_ZZZN2at6native31launch_logcumsumexp_cuda_kernelERKNSD_10TensorBaseESH_lENKUlvE_clEvENKUlvE3_clEvEUlS6_S6_E_S6_EEDaPvRmT3_T4_T5_mT6_P12ihipStream_tbENKUlT_T0_E_clISt17integral_constantIbLb1EESX_IbLb0EEEEDaST_SU_EUlST_E0_NS1_11comp_targetILNS1_3genE2ELNS1_11target_archE906ELNS1_3gpuE6ELNS1_3repE0EEENS1_30default_config_static_selectorELNS0_4arch9wavefront6targetE1EEEvT1_.uses_vcc, 1
	.set _ZN7rocprim17ROCPRIM_400000_NS6detail17trampoline_kernelINS0_14default_configENS1_20scan_config_selectorIN3c104HalfEEEZZNS1_9scan_implILNS1_25lookback_scan_determinismE0ELb0ELb0ES3_PKS6_PS6_S6_ZZZN2at6native31launch_logcumsumexp_cuda_kernelERKNSD_10TensorBaseESH_lENKUlvE_clEvENKUlvE3_clEvEUlS6_S6_E_S6_EEDaPvRmT3_T4_T5_mT6_P12ihipStream_tbENKUlT_T0_E_clISt17integral_constantIbLb1EESX_IbLb0EEEEDaST_SU_EUlST_E0_NS1_11comp_targetILNS1_3genE2ELNS1_11target_archE906ELNS1_3gpuE6ELNS1_3repE0EEENS1_30default_config_static_selectorELNS0_4arch9wavefront6targetE1EEEvT1_.uses_flat_scratch, 0
	.set _ZN7rocprim17ROCPRIM_400000_NS6detail17trampoline_kernelINS0_14default_configENS1_20scan_config_selectorIN3c104HalfEEEZZNS1_9scan_implILNS1_25lookback_scan_determinismE0ELb0ELb0ES3_PKS6_PS6_S6_ZZZN2at6native31launch_logcumsumexp_cuda_kernelERKNSD_10TensorBaseESH_lENKUlvE_clEvENKUlvE3_clEvEUlS6_S6_E_S6_EEDaPvRmT3_T4_T5_mT6_P12ihipStream_tbENKUlT_T0_E_clISt17integral_constantIbLb1EESX_IbLb0EEEEDaST_SU_EUlST_E0_NS1_11comp_targetILNS1_3genE2ELNS1_11target_archE906ELNS1_3gpuE6ELNS1_3repE0EEENS1_30default_config_static_selectorELNS0_4arch9wavefront6targetE1EEEvT1_.has_dyn_sized_stack, 0
	.set _ZN7rocprim17ROCPRIM_400000_NS6detail17trampoline_kernelINS0_14default_configENS1_20scan_config_selectorIN3c104HalfEEEZZNS1_9scan_implILNS1_25lookback_scan_determinismE0ELb0ELb0ES3_PKS6_PS6_S6_ZZZN2at6native31launch_logcumsumexp_cuda_kernelERKNSD_10TensorBaseESH_lENKUlvE_clEvENKUlvE3_clEvEUlS6_S6_E_S6_EEDaPvRmT3_T4_T5_mT6_P12ihipStream_tbENKUlT_T0_E_clISt17integral_constantIbLb1EESX_IbLb0EEEEDaST_SU_EUlST_E0_NS1_11comp_targetILNS1_3genE2ELNS1_11target_archE906ELNS1_3gpuE6ELNS1_3repE0EEENS1_30default_config_static_selectorELNS0_4arch9wavefront6targetE1EEEvT1_.has_recursion, 0
	.set _ZN7rocprim17ROCPRIM_400000_NS6detail17trampoline_kernelINS0_14default_configENS1_20scan_config_selectorIN3c104HalfEEEZZNS1_9scan_implILNS1_25lookback_scan_determinismE0ELb0ELb0ES3_PKS6_PS6_S6_ZZZN2at6native31launch_logcumsumexp_cuda_kernelERKNSD_10TensorBaseESH_lENKUlvE_clEvENKUlvE3_clEvEUlS6_S6_E_S6_EEDaPvRmT3_T4_T5_mT6_P12ihipStream_tbENKUlT_T0_E_clISt17integral_constantIbLb1EESX_IbLb0EEEEDaST_SU_EUlST_E0_NS1_11comp_targetILNS1_3genE2ELNS1_11target_archE906ELNS1_3gpuE6ELNS1_3repE0EEENS1_30default_config_static_selectorELNS0_4arch9wavefront6targetE1EEEvT1_.has_indirect_call, 0
	.section	.AMDGPU.csdata,"",@progbits
; Kernel info:
; codeLenInByte = 48084
; TotalNumSgprs: 100
; NumVgprs: 49
; ScratchSize: 0
; MemoryBound: 0
; FloatMode: 240
; IeeeMode: 1
; LDSByteSize: 12288 bytes/workgroup (compile time only)
; SGPRBlocks: 12
; VGPRBlocks: 12
; NumSGPRsForWavesPerEU: 102
; NumVGPRsForWavesPerEU: 49
; Occupancy: 4
; WaveLimiterHint : 0
; COMPUTE_PGM_RSRC2:SCRATCH_EN: 0
; COMPUTE_PGM_RSRC2:USER_SGPR: 6
; COMPUTE_PGM_RSRC2:TRAP_HANDLER: 0
; COMPUTE_PGM_RSRC2:TGID_X_EN: 1
; COMPUTE_PGM_RSRC2:TGID_Y_EN: 0
; COMPUTE_PGM_RSRC2:TGID_Z_EN: 0
; COMPUTE_PGM_RSRC2:TIDIG_COMP_CNT: 0
	.section	.text._ZN7rocprim17ROCPRIM_400000_NS6detail17trampoline_kernelINS0_14default_configENS1_20scan_config_selectorIN3c104HalfEEEZZNS1_9scan_implILNS1_25lookback_scan_determinismE0ELb0ELb0ES3_PKS6_PS6_S6_ZZZN2at6native31launch_logcumsumexp_cuda_kernelERKNSD_10TensorBaseESH_lENKUlvE_clEvENKUlvE3_clEvEUlS6_S6_E_S6_EEDaPvRmT3_T4_T5_mT6_P12ihipStream_tbENKUlT_T0_E_clISt17integral_constantIbLb1EESX_IbLb0EEEEDaST_SU_EUlST_E0_NS1_11comp_targetILNS1_3genE10ELNS1_11target_archE1201ELNS1_3gpuE5ELNS1_3repE0EEENS1_30default_config_static_selectorELNS0_4arch9wavefront6targetE1EEEvT1_,"axG",@progbits,_ZN7rocprim17ROCPRIM_400000_NS6detail17trampoline_kernelINS0_14default_configENS1_20scan_config_selectorIN3c104HalfEEEZZNS1_9scan_implILNS1_25lookback_scan_determinismE0ELb0ELb0ES3_PKS6_PS6_S6_ZZZN2at6native31launch_logcumsumexp_cuda_kernelERKNSD_10TensorBaseESH_lENKUlvE_clEvENKUlvE3_clEvEUlS6_S6_E_S6_EEDaPvRmT3_T4_T5_mT6_P12ihipStream_tbENKUlT_T0_E_clISt17integral_constantIbLb1EESX_IbLb0EEEEDaST_SU_EUlST_E0_NS1_11comp_targetILNS1_3genE10ELNS1_11target_archE1201ELNS1_3gpuE5ELNS1_3repE0EEENS1_30default_config_static_selectorELNS0_4arch9wavefront6targetE1EEEvT1_,comdat
	.globl	_ZN7rocprim17ROCPRIM_400000_NS6detail17trampoline_kernelINS0_14default_configENS1_20scan_config_selectorIN3c104HalfEEEZZNS1_9scan_implILNS1_25lookback_scan_determinismE0ELb0ELb0ES3_PKS6_PS6_S6_ZZZN2at6native31launch_logcumsumexp_cuda_kernelERKNSD_10TensorBaseESH_lENKUlvE_clEvENKUlvE3_clEvEUlS6_S6_E_S6_EEDaPvRmT3_T4_T5_mT6_P12ihipStream_tbENKUlT_T0_E_clISt17integral_constantIbLb1EESX_IbLb0EEEEDaST_SU_EUlST_E0_NS1_11comp_targetILNS1_3genE10ELNS1_11target_archE1201ELNS1_3gpuE5ELNS1_3repE0EEENS1_30default_config_static_selectorELNS0_4arch9wavefront6targetE1EEEvT1_ ; -- Begin function _ZN7rocprim17ROCPRIM_400000_NS6detail17trampoline_kernelINS0_14default_configENS1_20scan_config_selectorIN3c104HalfEEEZZNS1_9scan_implILNS1_25lookback_scan_determinismE0ELb0ELb0ES3_PKS6_PS6_S6_ZZZN2at6native31launch_logcumsumexp_cuda_kernelERKNSD_10TensorBaseESH_lENKUlvE_clEvENKUlvE3_clEvEUlS6_S6_E_S6_EEDaPvRmT3_T4_T5_mT6_P12ihipStream_tbENKUlT_T0_E_clISt17integral_constantIbLb1EESX_IbLb0EEEEDaST_SU_EUlST_E0_NS1_11comp_targetILNS1_3genE10ELNS1_11target_archE1201ELNS1_3gpuE5ELNS1_3repE0EEENS1_30default_config_static_selectorELNS0_4arch9wavefront6targetE1EEEvT1_
	.p2align	8
	.type	_ZN7rocprim17ROCPRIM_400000_NS6detail17trampoline_kernelINS0_14default_configENS1_20scan_config_selectorIN3c104HalfEEEZZNS1_9scan_implILNS1_25lookback_scan_determinismE0ELb0ELb0ES3_PKS6_PS6_S6_ZZZN2at6native31launch_logcumsumexp_cuda_kernelERKNSD_10TensorBaseESH_lENKUlvE_clEvENKUlvE3_clEvEUlS6_S6_E_S6_EEDaPvRmT3_T4_T5_mT6_P12ihipStream_tbENKUlT_T0_E_clISt17integral_constantIbLb1EESX_IbLb0EEEEDaST_SU_EUlST_E0_NS1_11comp_targetILNS1_3genE10ELNS1_11target_archE1201ELNS1_3gpuE5ELNS1_3repE0EEENS1_30default_config_static_selectorELNS0_4arch9wavefront6targetE1EEEvT1_,@function
_ZN7rocprim17ROCPRIM_400000_NS6detail17trampoline_kernelINS0_14default_configENS1_20scan_config_selectorIN3c104HalfEEEZZNS1_9scan_implILNS1_25lookback_scan_determinismE0ELb0ELb0ES3_PKS6_PS6_S6_ZZZN2at6native31launch_logcumsumexp_cuda_kernelERKNSD_10TensorBaseESH_lENKUlvE_clEvENKUlvE3_clEvEUlS6_S6_E_S6_EEDaPvRmT3_T4_T5_mT6_P12ihipStream_tbENKUlT_T0_E_clISt17integral_constantIbLb1EESX_IbLb0EEEEDaST_SU_EUlST_E0_NS1_11comp_targetILNS1_3genE10ELNS1_11target_archE1201ELNS1_3gpuE5ELNS1_3repE0EEENS1_30default_config_static_selectorELNS0_4arch9wavefront6targetE1EEEvT1_: ; @_ZN7rocprim17ROCPRIM_400000_NS6detail17trampoline_kernelINS0_14default_configENS1_20scan_config_selectorIN3c104HalfEEEZZNS1_9scan_implILNS1_25lookback_scan_determinismE0ELb0ELb0ES3_PKS6_PS6_S6_ZZZN2at6native31launch_logcumsumexp_cuda_kernelERKNSD_10TensorBaseESH_lENKUlvE_clEvENKUlvE3_clEvEUlS6_S6_E_S6_EEDaPvRmT3_T4_T5_mT6_P12ihipStream_tbENKUlT_T0_E_clISt17integral_constantIbLb1EESX_IbLb0EEEEDaST_SU_EUlST_E0_NS1_11comp_targetILNS1_3genE10ELNS1_11target_archE1201ELNS1_3gpuE5ELNS1_3repE0EEENS1_30default_config_static_selectorELNS0_4arch9wavefront6targetE1EEEvT1_
; %bb.0:
	.section	.rodata,"a",@progbits
	.p2align	6, 0x0
	.amdhsa_kernel _ZN7rocprim17ROCPRIM_400000_NS6detail17trampoline_kernelINS0_14default_configENS1_20scan_config_selectorIN3c104HalfEEEZZNS1_9scan_implILNS1_25lookback_scan_determinismE0ELb0ELb0ES3_PKS6_PS6_S6_ZZZN2at6native31launch_logcumsumexp_cuda_kernelERKNSD_10TensorBaseESH_lENKUlvE_clEvENKUlvE3_clEvEUlS6_S6_E_S6_EEDaPvRmT3_T4_T5_mT6_P12ihipStream_tbENKUlT_T0_E_clISt17integral_constantIbLb1EESX_IbLb0EEEEDaST_SU_EUlST_E0_NS1_11comp_targetILNS1_3genE10ELNS1_11target_archE1201ELNS1_3gpuE5ELNS1_3repE0EEENS1_30default_config_static_selectorELNS0_4arch9wavefront6targetE1EEEvT1_
		.amdhsa_group_segment_fixed_size 0
		.amdhsa_private_segment_fixed_size 0
		.amdhsa_kernarg_size 32
		.amdhsa_user_sgpr_count 6
		.amdhsa_user_sgpr_private_segment_buffer 1
		.amdhsa_user_sgpr_dispatch_ptr 0
		.amdhsa_user_sgpr_queue_ptr 0
		.amdhsa_user_sgpr_kernarg_segment_ptr 1
		.amdhsa_user_sgpr_dispatch_id 0
		.amdhsa_user_sgpr_flat_scratch_init 0
		.amdhsa_user_sgpr_private_segment_size 0
		.amdhsa_uses_dynamic_stack 0
		.amdhsa_system_sgpr_private_segment_wavefront_offset 0
		.amdhsa_system_sgpr_workgroup_id_x 1
		.amdhsa_system_sgpr_workgroup_id_y 0
		.amdhsa_system_sgpr_workgroup_id_z 0
		.amdhsa_system_sgpr_workgroup_info 0
		.amdhsa_system_vgpr_workitem_id 0
		.amdhsa_next_free_vgpr 1
		.amdhsa_next_free_sgpr 0
		.amdhsa_reserve_vcc 0
		.amdhsa_reserve_flat_scratch 0
		.amdhsa_float_round_mode_32 0
		.amdhsa_float_round_mode_16_64 0
		.amdhsa_float_denorm_mode_32 3
		.amdhsa_float_denorm_mode_16_64 3
		.amdhsa_dx10_clamp 1
		.amdhsa_ieee_mode 1
		.amdhsa_fp16_overflow 0
		.amdhsa_exception_fp_ieee_invalid_op 0
		.amdhsa_exception_fp_denorm_src 0
		.amdhsa_exception_fp_ieee_div_zero 0
		.amdhsa_exception_fp_ieee_overflow 0
		.amdhsa_exception_fp_ieee_underflow 0
		.amdhsa_exception_fp_ieee_inexact 0
		.amdhsa_exception_int_div_zero 0
	.end_amdhsa_kernel
	.section	.text._ZN7rocprim17ROCPRIM_400000_NS6detail17trampoline_kernelINS0_14default_configENS1_20scan_config_selectorIN3c104HalfEEEZZNS1_9scan_implILNS1_25lookback_scan_determinismE0ELb0ELb0ES3_PKS6_PS6_S6_ZZZN2at6native31launch_logcumsumexp_cuda_kernelERKNSD_10TensorBaseESH_lENKUlvE_clEvENKUlvE3_clEvEUlS6_S6_E_S6_EEDaPvRmT3_T4_T5_mT6_P12ihipStream_tbENKUlT_T0_E_clISt17integral_constantIbLb1EESX_IbLb0EEEEDaST_SU_EUlST_E0_NS1_11comp_targetILNS1_3genE10ELNS1_11target_archE1201ELNS1_3gpuE5ELNS1_3repE0EEENS1_30default_config_static_selectorELNS0_4arch9wavefront6targetE1EEEvT1_,"axG",@progbits,_ZN7rocprim17ROCPRIM_400000_NS6detail17trampoline_kernelINS0_14default_configENS1_20scan_config_selectorIN3c104HalfEEEZZNS1_9scan_implILNS1_25lookback_scan_determinismE0ELb0ELb0ES3_PKS6_PS6_S6_ZZZN2at6native31launch_logcumsumexp_cuda_kernelERKNSD_10TensorBaseESH_lENKUlvE_clEvENKUlvE3_clEvEUlS6_S6_E_S6_EEDaPvRmT3_T4_T5_mT6_P12ihipStream_tbENKUlT_T0_E_clISt17integral_constantIbLb1EESX_IbLb0EEEEDaST_SU_EUlST_E0_NS1_11comp_targetILNS1_3genE10ELNS1_11target_archE1201ELNS1_3gpuE5ELNS1_3repE0EEENS1_30default_config_static_selectorELNS0_4arch9wavefront6targetE1EEEvT1_,comdat
.Lfunc_end411:
	.size	_ZN7rocprim17ROCPRIM_400000_NS6detail17trampoline_kernelINS0_14default_configENS1_20scan_config_selectorIN3c104HalfEEEZZNS1_9scan_implILNS1_25lookback_scan_determinismE0ELb0ELb0ES3_PKS6_PS6_S6_ZZZN2at6native31launch_logcumsumexp_cuda_kernelERKNSD_10TensorBaseESH_lENKUlvE_clEvENKUlvE3_clEvEUlS6_S6_E_S6_EEDaPvRmT3_T4_T5_mT6_P12ihipStream_tbENKUlT_T0_E_clISt17integral_constantIbLb1EESX_IbLb0EEEEDaST_SU_EUlST_E0_NS1_11comp_targetILNS1_3genE10ELNS1_11target_archE1201ELNS1_3gpuE5ELNS1_3repE0EEENS1_30default_config_static_selectorELNS0_4arch9wavefront6targetE1EEEvT1_, .Lfunc_end411-_ZN7rocprim17ROCPRIM_400000_NS6detail17trampoline_kernelINS0_14default_configENS1_20scan_config_selectorIN3c104HalfEEEZZNS1_9scan_implILNS1_25lookback_scan_determinismE0ELb0ELb0ES3_PKS6_PS6_S6_ZZZN2at6native31launch_logcumsumexp_cuda_kernelERKNSD_10TensorBaseESH_lENKUlvE_clEvENKUlvE3_clEvEUlS6_S6_E_S6_EEDaPvRmT3_T4_T5_mT6_P12ihipStream_tbENKUlT_T0_E_clISt17integral_constantIbLb1EESX_IbLb0EEEEDaST_SU_EUlST_E0_NS1_11comp_targetILNS1_3genE10ELNS1_11target_archE1201ELNS1_3gpuE5ELNS1_3repE0EEENS1_30default_config_static_selectorELNS0_4arch9wavefront6targetE1EEEvT1_
                                        ; -- End function
	.set _ZN7rocprim17ROCPRIM_400000_NS6detail17trampoline_kernelINS0_14default_configENS1_20scan_config_selectorIN3c104HalfEEEZZNS1_9scan_implILNS1_25lookback_scan_determinismE0ELb0ELb0ES3_PKS6_PS6_S6_ZZZN2at6native31launch_logcumsumexp_cuda_kernelERKNSD_10TensorBaseESH_lENKUlvE_clEvENKUlvE3_clEvEUlS6_S6_E_S6_EEDaPvRmT3_T4_T5_mT6_P12ihipStream_tbENKUlT_T0_E_clISt17integral_constantIbLb1EESX_IbLb0EEEEDaST_SU_EUlST_E0_NS1_11comp_targetILNS1_3genE10ELNS1_11target_archE1201ELNS1_3gpuE5ELNS1_3repE0EEENS1_30default_config_static_selectorELNS0_4arch9wavefront6targetE1EEEvT1_.num_vgpr, 0
	.set _ZN7rocprim17ROCPRIM_400000_NS6detail17trampoline_kernelINS0_14default_configENS1_20scan_config_selectorIN3c104HalfEEEZZNS1_9scan_implILNS1_25lookback_scan_determinismE0ELb0ELb0ES3_PKS6_PS6_S6_ZZZN2at6native31launch_logcumsumexp_cuda_kernelERKNSD_10TensorBaseESH_lENKUlvE_clEvENKUlvE3_clEvEUlS6_S6_E_S6_EEDaPvRmT3_T4_T5_mT6_P12ihipStream_tbENKUlT_T0_E_clISt17integral_constantIbLb1EESX_IbLb0EEEEDaST_SU_EUlST_E0_NS1_11comp_targetILNS1_3genE10ELNS1_11target_archE1201ELNS1_3gpuE5ELNS1_3repE0EEENS1_30default_config_static_selectorELNS0_4arch9wavefront6targetE1EEEvT1_.num_agpr, 0
	.set _ZN7rocprim17ROCPRIM_400000_NS6detail17trampoline_kernelINS0_14default_configENS1_20scan_config_selectorIN3c104HalfEEEZZNS1_9scan_implILNS1_25lookback_scan_determinismE0ELb0ELb0ES3_PKS6_PS6_S6_ZZZN2at6native31launch_logcumsumexp_cuda_kernelERKNSD_10TensorBaseESH_lENKUlvE_clEvENKUlvE3_clEvEUlS6_S6_E_S6_EEDaPvRmT3_T4_T5_mT6_P12ihipStream_tbENKUlT_T0_E_clISt17integral_constantIbLb1EESX_IbLb0EEEEDaST_SU_EUlST_E0_NS1_11comp_targetILNS1_3genE10ELNS1_11target_archE1201ELNS1_3gpuE5ELNS1_3repE0EEENS1_30default_config_static_selectorELNS0_4arch9wavefront6targetE1EEEvT1_.numbered_sgpr, 0
	.set _ZN7rocprim17ROCPRIM_400000_NS6detail17trampoline_kernelINS0_14default_configENS1_20scan_config_selectorIN3c104HalfEEEZZNS1_9scan_implILNS1_25lookback_scan_determinismE0ELb0ELb0ES3_PKS6_PS6_S6_ZZZN2at6native31launch_logcumsumexp_cuda_kernelERKNSD_10TensorBaseESH_lENKUlvE_clEvENKUlvE3_clEvEUlS6_S6_E_S6_EEDaPvRmT3_T4_T5_mT6_P12ihipStream_tbENKUlT_T0_E_clISt17integral_constantIbLb1EESX_IbLb0EEEEDaST_SU_EUlST_E0_NS1_11comp_targetILNS1_3genE10ELNS1_11target_archE1201ELNS1_3gpuE5ELNS1_3repE0EEENS1_30default_config_static_selectorELNS0_4arch9wavefront6targetE1EEEvT1_.num_named_barrier, 0
	.set _ZN7rocprim17ROCPRIM_400000_NS6detail17trampoline_kernelINS0_14default_configENS1_20scan_config_selectorIN3c104HalfEEEZZNS1_9scan_implILNS1_25lookback_scan_determinismE0ELb0ELb0ES3_PKS6_PS6_S6_ZZZN2at6native31launch_logcumsumexp_cuda_kernelERKNSD_10TensorBaseESH_lENKUlvE_clEvENKUlvE3_clEvEUlS6_S6_E_S6_EEDaPvRmT3_T4_T5_mT6_P12ihipStream_tbENKUlT_T0_E_clISt17integral_constantIbLb1EESX_IbLb0EEEEDaST_SU_EUlST_E0_NS1_11comp_targetILNS1_3genE10ELNS1_11target_archE1201ELNS1_3gpuE5ELNS1_3repE0EEENS1_30default_config_static_selectorELNS0_4arch9wavefront6targetE1EEEvT1_.private_seg_size, 0
	.set _ZN7rocprim17ROCPRIM_400000_NS6detail17trampoline_kernelINS0_14default_configENS1_20scan_config_selectorIN3c104HalfEEEZZNS1_9scan_implILNS1_25lookback_scan_determinismE0ELb0ELb0ES3_PKS6_PS6_S6_ZZZN2at6native31launch_logcumsumexp_cuda_kernelERKNSD_10TensorBaseESH_lENKUlvE_clEvENKUlvE3_clEvEUlS6_S6_E_S6_EEDaPvRmT3_T4_T5_mT6_P12ihipStream_tbENKUlT_T0_E_clISt17integral_constantIbLb1EESX_IbLb0EEEEDaST_SU_EUlST_E0_NS1_11comp_targetILNS1_3genE10ELNS1_11target_archE1201ELNS1_3gpuE5ELNS1_3repE0EEENS1_30default_config_static_selectorELNS0_4arch9wavefront6targetE1EEEvT1_.uses_vcc, 0
	.set _ZN7rocprim17ROCPRIM_400000_NS6detail17trampoline_kernelINS0_14default_configENS1_20scan_config_selectorIN3c104HalfEEEZZNS1_9scan_implILNS1_25lookback_scan_determinismE0ELb0ELb0ES3_PKS6_PS6_S6_ZZZN2at6native31launch_logcumsumexp_cuda_kernelERKNSD_10TensorBaseESH_lENKUlvE_clEvENKUlvE3_clEvEUlS6_S6_E_S6_EEDaPvRmT3_T4_T5_mT6_P12ihipStream_tbENKUlT_T0_E_clISt17integral_constantIbLb1EESX_IbLb0EEEEDaST_SU_EUlST_E0_NS1_11comp_targetILNS1_3genE10ELNS1_11target_archE1201ELNS1_3gpuE5ELNS1_3repE0EEENS1_30default_config_static_selectorELNS0_4arch9wavefront6targetE1EEEvT1_.uses_flat_scratch, 0
	.set _ZN7rocprim17ROCPRIM_400000_NS6detail17trampoline_kernelINS0_14default_configENS1_20scan_config_selectorIN3c104HalfEEEZZNS1_9scan_implILNS1_25lookback_scan_determinismE0ELb0ELb0ES3_PKS6_PS6_S6_ZZZN2at6native31launch_logcumsumexp_cuda_kernelERKNSD_10TensorBaseESH_lENKUlvE_clEvENKUlvE3_clEvEUlS6_S6_E_S6_EEDaPvRmT3_T4_T5_mT6_P12ihipStream_tbENKUlT_T0_E_clISt17integral_constantIbLb1EESX_IbLb0EEEEDaST_SU_EUlST_E0_NS1_11comp_targetILNS1_3genE10ELNS1_11target_archE1201ELNS1_3gpuE5ELNS1_3repE0EEENS1_30default_config_static_selectorELNS0_4arch9wavefront6targetE1EEEvT1_.has_dyn_sized_stack, 0
	.set _ZN7rocprim17ROCPRIM_400000_NS6detail17trampoline_kernelINS0_14default_configENS1_20scan_config_selectorIN3c104HalfEEEZZNS1_9scan_implILNS1_25lookback_scan_determinismE0ELb0ELb0ES3_PKS6_PS6_S6_ZZZN2at6native31launch_logcumsumexp_cuda_kernelERKNSD_10TensorBaseESH_lENKUlvE_clEvENKUlvE3_clEvEUlS6_S6_E_S6_EEDaPvRmT3_T4_T5_mT6_P12ihipStream_tbENKUlT_T0_E_clISt17integral_constantIbLb1EESX_IbLb0EEEEDaST_SU_EUlST_E0_NS1_11comp_targetILNS1_3genE10ELNS1_11target_archE1201ELNS1_3gpuE5ELNS1_3repE0EEENS1_30default_config_static_selectorELNS0_4arch9wavefront6targetE1EEEvT1_.has_recursion, 0
	.set _ZN7rocprim17ROCPRIM_400000_NS6detail17trampoline_kernelINS0_14default_configENS1_20scan_config_selectorIN3c104HalfEEEZZNS1_9scan_implILNS1_25lookback_scan_determinismE0ELb0ELb0ES3_PKS6_PS6_S6_ZZZN2at6native31launch_logcumsumexp_cuda_kernelERKNSD_10TensorBaseESH_lENKUlvE_clEvENKUlvE3_clEvEUlS6_S6_E_S6_EEDaPvRmT3_T4_T5_mT6_P12ihipStream_tbENKUlT_T0_E_clISt17integral_constantIbLb1EESX_IbLb0EEEEDaST_SU_EUlST_E0_NS1_11comp_targetILNS1_3genE10ELNS1_11target_archE1201ELNS1_3gpuE5ELNS1_3repE0EEENS1_30default_config_static_selectorELNS0_4arch9wavefront6targetE1EEEvT1_.has_indirect_call, 0
	.section	.AMDGPU.csdata,"",@progbits
; Kernel info:
; codeLenInByte = 0
; TotalNumSgprs: 4
; NumVgprs: 0
; ScratchSize: 0
; MemoryBound: 0
; FloatMode: 240
; IeeeMode: 1
; LDSByteSize: 0 bytes/workgroup (compile time only)
; SGPRBlocks: 0
; VGPRBlocks: 0
; NumSGPRsForWavesPerEU: 4
; NumVGPRsForWavesPerEU: 1
; Occupancy: 10
; WaveLimiterHint : 0
; COMPUTE_PGM_RSRC2:SCRATCH_EN: 0
; COMPUTE_PGM_RSRC2:USER_SGPR: 6
; COMPUTE_PGM_RSRC2:TRAP_HANDLER: 0
; COMPUTE_PGM_RSRC2:TGID_X_EN: 1
; COMPUTE_PGM_RSRC2:TGID_Y_EN: 0
; COMPUTE_PGM_RSRC2:TGID_Z_EN: 0
; COMPUTE_PGM_RSRC2:TIDIG_COMP_CNT: 0
	.section	.text._ZN7rocprim17ROCPRIM_400000_NS6detail17trampoline_kernelINS0_14default_configENS1_20scan_config_selectorIN3c104HalfEEEZZNS1_9scan_implILNS1_25lookback_scan_determinismE0ELb0ELb0ES3_PKS6_PS6_S6_ZZZN2at6native31launch_logcumsumexp_cuda_kernelERKNSD_10TensorBaseESH_lENKUlvE_clEvENKUlvE3_clEvEUlS6_S6_E_S6_EEDaPvRmT3_T4_T5_mT6_P12ihipStream_tbENKUlT_T0_E_clISt17integral_constantIbLb1EESX_IbLb0EEEEDaST_SU_EUlST_E0_NS1_11comp_targetILNS1_3genE10ELNS1_11target_archE1200ELNS1_3gpuE4ELNS1_3repE0EEENS1_30default_config_static_selectorELNS0_4arch9wavefront6targetE1EEEvT1_,"axG",@progbits,_ZN7rocprim17ROCPRIM_400000_NS6detail17trampoline_kernelINS0_14default_configENS1_20scan_config_selectorIN3c104HalfEEEZZNS1_9scan_implILNS1_25lookback_scan_determinismE0ELb0ELb0ES3_PKS6_PS6_S6_ZZZN2at6native31launch_logcumsumexp_cuda_kernelERKNSD_10TensorBaseESH_lENKUlvE_clEvENKUlvE3_clEvEUlS6_S6_E_S6_EEDaPvRmT3_T4_T5_mT6_P12ihipStream_tbENKUlT_T0_E_clISt17integral_constantIbLb1EESX_IbLb0EEEEDaST_SU_EUlST_E0_NS1_11comp_targetILNS1_3genE10ELNS1_11target_archE1200ELNS1_3gpuE4ELNS1_3repE0EEENS1_30default_config_static_selectorELNS0_4arch9wavefront6targetE1EEEvT1_,comdat
	.globl	_ZN7rocprim17ROCPRIM_400000_NS6detail17trampoline_kernelINS0_14default_configENS1_20scan_config_selectorIN3c104HalfEEEZZNS1_9scan_implILNS1_25lookback_scan_determinismE0ELb0ELb0ES3_PKS6_PS6_S6_ZZZN2at6native31launch_logcumsumexp_cuda_kernelERKNSD_10TensorBaseESH_lENKUlvE_clEvENKUlvE3_clEvEUlS6_S6_E_S6_EEDaPvRmT3_T4_T5_mT6_P12ihipStream_tbENKUlT_T0_E_clISt17integral_constantIbLb1EESX_IbLb0EEEEDaST_SU_EUlST_E0_NS1_11comp_targetILNS1_3genE10ELNS1_11target_archE1200ELNS1_3gpuE4ELNS1_3repE0EEENS1_30default_config_static_selectorELNS0_4arch9wavefront6targetE1EEEvT1_ ; -- Begin function _ZN7rocprim17ROCPRIM_400000_NS6detail17trampoline_kernelINS0_14default_configENS1_20scan_config_selectorIN3c104HalfEEEZZNS1_9scan_implILNS1_25lookback_scan_determinismE0ELb0ELb0ES3_PKS6_PS6_S6_ZZZN2at6native31launch_logcumsumexp_cuda_kernelERKNSD_10TensorBaseESH_lENKUlvE_clEvENKUlvE3_clEvEUlS6_S6_E_S6_EEDaPvRmT3_T4_T5_mT6_P12ihipStream_tbENKUlT_T0_E_clISt17integral_constantIbLb1EESX_IbLb0EEEEDaST_SU_EUlST_E0_NS1_11comp_targetILNS1_3genE10ELNS1_11target_archE1200ELNS1_3gpuE4ELNS1_3repE0EEENS1_30default_config_static_selectorELNS0_4arch9wavefront6targetE1EEEvT1_
	.p2align	8
	.type	_ZN7rocprim17ROCPRIM_400000_NS6detail17trampoline_kernelINS0_14default_configENS1_20scan_config_selectorIN3c104HalfEEEZZNS1_9scan_implILNS1_25lookback_scan_determinismE0ELb0ELb0ES3_PKS6_PS6_S6_ZZZN2at6native31launch_logcumsumexp_cuda_kernelERKNSD_10TensorBaseESH_lENKUlvE_clEvENKUlvE3_clEvEUlS6_S6_E_S6_EEDaPvRmT3_T4_T5_mT6_P12ihipStream_tbENKUlT_T0_E_clISt17integral_constantIbLb1EESX_IbLb0EEEEDaST_SU_EUlST_E0_NS1_11comp_targetILNS1_3genE10ELNS1_11target_archE1200ELNS1_3gpuE4ELNS1_3repE0EEENS1_30default_config_static_selectorELNS0_4arch9wavefront6targetE1EEEvT1_,@function
_ZN7rocprim17ROCPRIM_400000_NS6detail17trampoline_kernelINS0_14default_configENS1_20scan_config_selectorIN3c104HalfEEEZZNS1_9scan_implILNS1_25lookback_scan_determinismE0ELb0ELb0ES3_PKS6_PS6_S6_ZZZN2at6native31launch_logcumsumexp_cuda_kernelERKNSD_10TensorBaseESH_lENKUlvE_clEvENKUlvE3_clEvEUlS6_S6_E_S6_EEDaPvRmT3_T4_T5_mT6_P12ihipStream_tbENKUlT_T0_E_clISt17integral_constantIbLb1EESX_IbLb0EEEEDaST_SU_EUlST_E0_NS1_11comp_targetILNS1_3genE10ELNS1_11target_archE1200ELNS1_3gpuE4ELNS1_3repE0EEENS1_30default_config_static_selectorELNS0_4arch9wavefront6targetE1EEEvT1_: ; @_ZN7rocprim17ROCPRIM_400000_NS6detail17trampoline_kernelINS0_14default_configENS1_20scan_config_selectorIN3c104HalfEEEZZNS1_9scan_implILNS1_25lookback_scan_determinismE0ELb0ELb0ES3_PKS6_PS6_S6_ZZZN2at6native31launch_logcumsumexp_cuda_kernelERKNSD_10TensorBaseESH_lENKUlvE_clEvENKUlvE3_clEvEUlS6_S6_E_S6_EEDaPvRmT3_T4_T5_mT6_P12ihipStream_tbENKUlT_T0_E_clISt17integral_constantIbLb1EESX_IbLb0EEEEDaST_SU_EUlST_E0_NS1_11comp_targetILNS1_3genE10ELNS1_11target_archE1200ELNS1_3gpuE4ELNS1_3repE0EEENS1_30default_config_static_selectorELNS0_4arch9wavefront6targetE1EEEvT1_
; %bb.0:
	.section	.rodata,"a",@progbits
	.p2align	6, 0x0
	.amdhsa_kernel _ZN7rocprim17ROCPRIM_400000_NS6detail17trampoline_kernelINS0_14default_configENS1_20scan_config_selectorIN3c104HalfEEEZZNS1_9scan_implILNS1_25lookback_scan_determinismE0ELb0ELb0ES3_PKS6_PS6_S6_ZZZN2at6native31launch_logcumsumexp_cuda_kernelERKNSD_10TensorBaseESH_lENKUlvE_clEvENKUlvE3_clEvEUlS6_S6_E_S6_EEDaPvRmT3_T4_T5_mT6_P12ihipStream_tbENKUlT_T0_E_clISt17integral_constantIbLb1EESX_IbLb0EEEEDaST_SU_EUlST_E0_NS1_11comp_targetILNS1_3genE10ELNS1_11target_archE1200ELNS1_3gpuE4ELNS1_3repE0EEENS1_30default_config_static_selectorELNS0_4arch9wavefront6targetE1EEEvT1_
		.amdhsa_group_segment_fixed_size 0
		.amdhsa_private_segment_fixed_size 0
		.amdhsa_kernarg_size 32
		.amdhsa_user_sgpr_count 6
		.amdhsa_user_sgpr_private_segment_buffer 1
		.amdhsa_user_sgpr_dispatch_ptr 0
		.amdhsa_user_sgpr_queue_ptr 0
		.amdhsa_user_sgpr_kernarg_segment_ptr 1
		.amdhsa_user_sgpr_dispatch_id 0
		.amdhsa_user_sgpr_flat_scratch_init 0
		.amdhsa_user_sgpr_private_segment_size 0
		.amdhsa_uses_dynamic_stack 0
		.amdhsa_system_sgpr_private_segment_wavefront_offset 0
		.amdhsa_system_sgpr_workgroup_id_x 1
		.amdhsa_system_sgpr_workgroup_id_y 0
		.amdhsa_system_sgpr_workgroup_id_z 0
		.amdhsa_system_sgpr_workgroup_info 0
		.amdhsa_system_vgpr_workitem_id 0
		.amdhsa_next_free_vgpr 1
		.amdhsa_next_free_sgpr 0
		.amdhsa_reserve_vcc 0
		.amdhsa_reserve_flat_scratch 0
		.amdhsa_float_round_mode_32 0
		.amdhsa_float_round_mode_16_64 0
		.amdhsa_float_denorm_mode_32 3
		.amdhsa_float_denorm_mode_16_64 3
		.amdhsa_dx10_clamp 1
		.amdhsa_ieee_mode 1
		.amdhsa_fp16_overflow 0
		.amdhsa_exception_fp_ieee_invalid_op 0
		.amdhsa_exception_fp_denorm_src 0
		.amdhsa_exception_fp_ieee_div_zero 0
		.amdhsa_exception_fp_ieee_overflow 0
		.amdhsa_exception_fp_ieee_underflow 0
		.amdhsa_exception_fp_ieee_inexact 0
		.amdhsa_exception_int_div_zero 0
	.end_amdhsa_kernel
	.section	.text._ZN7rocprim17ROCPRIM_400000_NS6detail17trampoline_kernelINS0_14default_configENS1_20scan_config_selectorIN3c104HalfEEEZZNS1_9scan_implILNS1_25lookback_scan_determinismE0ELb0ELb0ES3_PKS6_PS6_S6_ZZZN2at6native31launch_logcumsumexp_cuda_kernelERKNSD_10TensorBaseESH_lENKUlvE_clEvENKUlvE3_clEvEUlS6_S6_E_S6_EEDaPvRmT3_T4_T5_mT6_P12ihipStream_tbENKUlT_T0_E_clISt17integral_constantIbLb1EESX_IbLb0EEEEDaST_SU_EUlST_E0_NS1_11comp_targetILNS1_3genE10ELNS1_11target_archE1200ELNS1_3gpuE4ELNS1_3repE0EEENS1_30default_config_static_selectorELNS0_4arch9wavefront6targetE1EEEvT1_,"axG",@progbits,_ZN7rocprim17ROCPRIM_400000_NS6detail17trampoline_kernelINS0_14default_configENS1_20scan_config_selectorIN3c104HalfEEEZZNS1_9scan_implILNS1_25lookback_scan_determinismE0ELb0ELb0ES3_PKS6_PS6_S6_ZZZN2at6native31launch_logcumsumexp_cuda_kernelERKNSD_10TensorBaseESH_lENKUlvE_clEvENKUlvE3_clEvEUlS6_S6_E_S6_EEDaPvRmT3_T4_T5_mT6_P12ihipStream_tbENKUlT_T0_E_clISt17integral_constantIbLb1EESX_IbLb0EEEEDaST_SU_EUlST_E0_NS1_11comp_targetILNS1_3genE10ELNS1_11target_archE1200ELNS1_3gpuE4ELNS1_3repE0EEENS1_30default_config_static_selectorELNS0_4arch9wavefront6targetE1EEEvT1_,comdat
.Lfunc_end412:
	.size	_ZN7rocprim17ROCPRIM_400000_NS6detail17trampoline_kernelINS0_14default_configENS1_20scan_config_selectorIN3c104HalfEEEZZNS1_9scan_implILNS1_25lookback_scan_determinismE0ELb0ELb0ES3_PKS6_PS6_S6_ZZZN2at6native31launch_logcumsumexp_cuda_kernelERKNSD_10TensorBaseESH_lENKUlvE_clEvENKUlvE3_clEvEUlS6_S6_E_S6_EEDaPvRmT3_T4_T5_mT6_P12ihipStream_tbENKUlT_T0_E_clISt17integral_constantIbLb1EESX_IbLb0EEEEDaST_SU_EUlST_E0_NS1_11comp_targetILNS1_3genE10ELNS1_11target_archE1200ELNS1_3gpuE4ELNS1_3repE0EEENS1_30default_config_static_selectorELNS0_4arch9wavefront6targetE1EEEvT1_, .Lfunc_end412-_ZN7rocprim17ROCPRIM_400000_NS6detail17trampoline_kernelINS0_14default_configENS1_20scan_config_selectorIN3c104HalfEEEZZNS1_9scan_implILNS1_25lookback_scan_determinismE0ELb0ELb0ES3_PKS6_PS6_S6_ZZZN2at6native31launch_logcumsumexp_cuda_kernelERKNSD_10TensorBaseESH_lENKUlvE_clEvENKUlvE3_clEvEUlS6_S6_E_S6_EEDaPvRmT3_T4_T5_mT6_P12ihipStream_tbENKUlT_T0_E_clISt17integral_constantIbLb1EESX_IbLb0EEEEDaST_SU_EUlST_E0_NS1_11comp_targetILNS1_3genE10ELNS1_11target_archE1200ELNS1_3gpuE4ELNS1_3repE0EEENS1_30default_config_static_selectorELNS0_4arch9wavefront6targetE1EEEvT1_
                                        ; -- End function
	.set _ZN7rocprim17ROCPRIM_400000_NS6detail17trampoline_kernelINS0_14default_configENS1_20scan_config_selectorIN3c104HalfEEEZZNS1_9scan_implILNS1_25lookback_scan_determinismE0ELb0ELb0ES3_PKS6_PS6_S6_ZZZN2at6native31launch_logcumsumexp_cuda_kernelERKNSD_10TensorBaseESH_lENKUlvE_clEvENKUlvE3_clEvEUlS6_S6_E_S6_EEDaPvRmT3_T4_T5_mT6_P12ihipStream_tbENKUlT_T0_E_clISt17integral_constantIbLb1EESX_IbLb0EEEEDaST_SU_EUlST_E0_NS1_11comp_targetILNS1_3genE10ELNS1_11target_archE1200ELNS1_3gpuE4ELNS1_3repE0EEENS1_30default_config_static_selectorELNS0_4arch9wavefront6targetE1EEEvT1_.num_vgpr, 0
	.set _ZN7rocprim17ROCPRIM_400000_NS6detail17trampoline_kernelINS0_14default_configENS1_20scan_config_selectorIN3c104HalfEEEZZNS1_9scan_implILNS1_25lookback_scan_determinismE0ELb0ELb0ES3_PKS6_PS6_S6_ZZZN2at6native31launch_logcumsumexp_cuda_kernelERKNSD_10TensorBaseESH_lENKUlvE_clEvENKUlvE3_clEvEUlS6_S6_E_S6_EEDaPvRmT3_T4_T5_mT6_P12ihipStream_tbENKUlT_T0_E_clISt17integral_constantIbLb1EESX_IbLb0EEEEDaST_SU_EUlST_E0_NS1_11comp_targetILNS1_3genE10ELNS1_11target_archE1200ELNS1_3gpuE4ELNS1_3repE0EEENS1_30default_config_static_selectorELNS0_4arch9wavefront6targetE1EEEvT1_.num_agpr, 0
	.set _ZN7rocprim17ROCPRIM_400000_NS6detail17trampoline_kernelINS0_14default_configENS1_20scan_config_selectorIN3c104HalfEEEZZNS1_9scan_implILNS1_25lookback_scan_determinismE0ELb0ELb0ES3_PKS6_PS6_S6_ZZZN2at6native31launch_logcumsumexp_cuda_kernelERKNSD_10TensorBaseESH_lENKUlvE_clEvENKUlvE3_clEvEUlS6_S6_E_S6_EEDaPvRmT3_T4_T5_mT6_P12ihipStream_tbENKUlT_T0_E_clISt17integral_constantIbLb1EESX_IbLb0EEEEDaST_SU_EUlST_E0_NS1_11comp_targetILNS1_3genE10ELNS1_11target_archE1200ELNS1_3gpuE4ELNS1_3repE0EEENS1_30default_config_static_selectorELNS0_4arch9wavefront6targetE1EEEvT1_.numbered_sgpr, 0
	.set _ZN7rocprim17ROCPRIM_400000_NS6detail17trampoline_kernelINS0_14default_configENS1_20scan_config_selectorIN3c104HalfEEEZZNS1_9scan_implILNS1_25lookback_scan_determinismE0ELb0ELb0ES3_PKS6_PS6_S6_ZZZN2at6native31launch_logcumsumexp_cuda_kernelERKNSD_10TensorBaseESH_lENKUlvE_clEvENKUlvE3_clEvEUlS6_S6_E_S6_EEDaPvRmT3_T4_T5_mT6_P12ihipStream_tbENKUlT_T0_E_clISt17integral_constantIbLb1EESX_IbLb0EEEEDaST_SU_EUlST_E0_NS1_11comp_targetILNS1_3genE10ELNS1_11target_archE1200ELNS1_3gpuE4ELNS1_3repE0EEENS1_30default_config_static_selectorELNS0_4arch9wavefront6targetE1EEEvT1_.num_named_barrier, 0
	.set _ZN7rocprim17ROCPRIM_400000_NS6detail17trampoline_kernelINS0_14default_configENS1_20scan_config_selectorIN3c104HalfEEEZZNS1_9scan_implILNS1_25lookback_scan_determinismE0ELb0ELb0ES3_PKS6_PS6_S6_ZZZN2at6native31launch_logcumsumexp_cuda_kernelERKNSD_10TensorBaseESH_lENKUlvE_clEvENKUlvE3_clEvEUlS6_S6_E_S6_EEDaPvRmT3_T4_T5_mT6_P12ihipStream_tbENKUlT_T0_E_clISt17integral_constantIbLb1EESX_IbLb0EEEEDaST_SU_EUlST_E0_NS1_11comp_targetILNS1_3genE10ELNS1_11target_archE1200ELNS1_3gpuE4ELNS1_3repE0EEENS1_30default_config_static_selectorELNS0_4arch9wavefront6targetE1EEEvT1_.private_seg_size, 0
	.set _ZN7rocprim17ROCPRIM_400000_NS6detail17trampoline_kernelINS0_14default_configENS1_20scan_config_selectorIN3c104HalfEEEZZNS1_9scan_implILNS1_25lookback_scan_determinismE0ELb0ELb0ES3_PKS6_PS6_S6_ZZZN2at6native31launch_logcumsumexp_cuda_kernelERKNSD_10TensorBaseESH_lENKUlvE_clEvENKUlvE3_clEvEUlS6_S6_E_S6_EEDaPvRmT3_T4_T5_mT6_P12ihipStream_tbENKUlT_T0_E_clISt17integral_constantIbLb1EESX_IbLb0EEEEDaST_SU_EUlST_E0_NS1_11comp_targetILNS1_3genE10ELNS1_11target_archE1200ELNS1_3gpuE4ELNS1_3repE0EEENS1_30default_config_static_selectorELNS0_4arch9wavefront6targetE1EEEvT1_.uses_vcc, 0
	.set _ZN7rocprim17ROCPRIM_400000_NS6detail17trampoline_kernelINS0_14default_configENS1_20scan_config_selectorIN3c104HalfEEEZZNS1_9scan_implILNS1_25lookback_scan_determinismE0ELb0ELb0ES3_PKS6_PS6_S6_ZZZN2at6native31launch_logcumsumexp_cuda_kernelERKNSD_10TensorBaseESH_lENKUlvE_clEvENKUlvE3_clEvEUlS6_S6_E_S6_EEDaPvRmT3_T4_T5_mT6_P12ihipStream_tbENKUlT_T0_E_clISt17integral_constantIbLb1EESX_IbLb0EEEEDaST_SU_EUlST_E0_NS1_11comp_targetILNS1_3genE10ELNS1_11target_archE1200ELNS1_3gpuE4ELNS1_3repE0EEENS1_30default_config_static_selectorELNS0_4arch9wavefront6targetE1EEEvT1_.uses_flat_scratch, 0
	.set _ZN7rocprim17ROCPRIM_400000_NS6detail17trampoline_kernelINS0_14default_configENS1_20scan_config_selectorIN3c104HalfEEEZZNS1_9scan_implILNS1_25lookback_scan_determinismE0ELb0ELb0ES3_PKS6_PS6_S6_ZZZN2at6native31launch_logcumsumexp_cuda_kernelERKNSD_10TensorBaseESH_lENKUlvE_clEvENKUlvE3_clEvEUlS6_S6_E_S6_EEDaPvRmT3_T4_T5_mT6_P12ihipStream_tbENKUlT_T0_E_clISt17integral_constantIbLb1EESX_IbLb0EEEEDaST_SU_EUlST_E0_NS1_11comp_targetILNS1_3genE10ELNS1_11target_archE1200ELNS1_3gpuE4ELNS1_3repE0EEENS1_30default_config_static_selectorELNS0_4arch9wavefront6targetE1EEEvT1_.has_dyn_sized_stack, 0
	.set _ZN7rocprim17ROCPRIM_400000_NS6detail17trampoline_kernelINS0_14default_configENS1_20scan_config_selectorIN3c104HalfEEEZZNS1_9scan_implILNS1_25lookback_scan_determinismE0ELb0ELb0ES3_PKS6_PS6_S6_ZZZN2at6native31launch_logcumsumexp_cuda_kernelERKNSD_10TensorBaseESH_lENKUlvE_clEvENKUlvE3_clEvEUlS6_S6_E_S6_EEDaPvRmT3_T4_T5_mT6_P12ihipStream_tbENKUlT_T0_E_clISt17integral_constantIbLb1EESX_IbLb0EEEEDaST_SU_EUlST_E0_NS1_11comp_targetILNS1_3genE10ELNS1_11target_archE1200ELNS1_3gpuE4ELNS1_3repE0EEENS1_30default_config_static_selectorELNS0_4arch9wavefront6targetE1EEEvT1_.has_recursion, 0
	.set _ZN7rocprim17ROCPRIM_400000_NS6detail17trampoline_kernelINS0_14default_configENS1_20scan_config_selectorIN3c104HalfEEEZZNS1_9scan_implILNS1_25lookback_scan_determinismE0ELb0ELb0ES3_PKS6_PS6_S6_ZZZN2at6native31launch_logcumsumexp_cuda_kernelERKNSD_10TensorBaseESH_lENKUlvE_clEvENKUlvE3_clEvEUlS6_S6_E_S6_EEDaPvRmT3_T4_T5_mT6_P12ihipStream_tbENKUlT_T0_E_clISt17integral_constantIbLb1EESX_IbLb0EEEEDaST_SU_EUlST_E0_NS1_11comp_targetILNS1_3genE10ELNS1_11target_archE1200ELNS1_3gpuE4ELNS1_3repE0EEENS1_30default_config_static_selectorELNS0_4arch9wavefront6targetE1EEEvT1_.has_indirect_call, 0
	.section	.AMDGPU.csdata,"",@progbits
; Kernel info:
; codeLenInByte = 0
; TotalNumSgprs: 4
; NumVgprs: 0
; ScratchSize: 0
; MemoryBound: 0
; FloatMode: 240
; IeeeMode: 1
; LDSByteSize: 0 bytes/workgroup (compile time only)
; SGPRBlocks: 0
; VGPRBlocks: 0
; NumSGPRsForWavesPerEU: 4
; NumVGPRsForWavesPerEU: 1
; Occupancy: 10
; WaveLimiterHint : 0
; COMPUTE_PGM_RSRC2:SCRATCH_EN: 0
; COMPUTE_PGM_RSRC2:USER_SGPR: 6
; COMPUTE_PGM_RSRC2:TRAP_HANDLER: 0
; COMPUTE_PGM_RSRC2:TGID_X_EN: 1
; COMPUTE_PGM_RSRC2:TGID_Y_EN: 0
; COMPUTE_PGM_RSRC2:TGID_Z_EN: 0
; COMPUTE_PGM_RSRC2:TIDIG_COMP_CNT: 0
	.section	.text._ZN7rocprim17ROCPRIM_400000_NS6detail17trampoline_kernelINS0_14default_configENS1_20scan_config_selectorIN3c104HalfEEEZZNS1_9scan_implILNS1_25lookback_scan_determinismE0ELb0ELb0ES3_PKS6_PS6_S6_ZZZN2at6native31launch_logcumsumexp_cuda_kernelERKNSD_10TensorBaseESH_lENKUlvE_clEvENKUlvE3_clEvEUlS6_S6_E_S6_EEDaPvRmT3_T4_T5_mT6_P12ihipStream_tbENKUlT_T0_E_clISt17integral_constantIbLb1EESX_IbLb0EEEEDaST_SU_EUlST_E0_NS1_11comp_targetILNS1_3genE9ELNS1_11target_archE1100ELNS1_3gpuE3ELNS1_3repE0EEENS1_30default_config_static_selectorELNS0_4arch9wavefront6targetE1EEEvT1_,"axG",@progbits,_ZN7rocprim17ROCPRIM_400000_NS6detail17trampoline_kernelINS0_14default_configENS1_20scan_config_selectorIN3c104HalfEEEZZNS1_9scan_implILNS1_25lookback_scan_determinismE0ELb0ELb0ES3_PKS6_PS6_S6_ZZZN2at6native31launch_logcumsumexp_cuda_kernelERKNSD_10TensorBaseESH_lENKUlvE_clEvENKUlvE3_clEvEUlS6_S6_E_S6_EEDaPvRmT3_T4_T5_mT6_P12ihipStream_tbENKUlT_T0_E_clISt17integral_constantIbLb1EESX_IbLb0EEEEDaST_SU_EUlST_E0_NS1_11comp_targetILNS1_3genE9ELNS1_11target_archE1100ELNS1_3gpuE3ELNS1_3repE0EEENS1_30default_config_static_selectorELNS0_4arch9wavefront6targetE1EEEvT1_,comdat
	.globl	_ZN7rocprim17ROCPRIM_400000_NS6detail17trampoline_kernelINS0_14default_configENS1_20scan_config_selectorIN3c104HalfEEEZZNS1_9scan_implILNS1_25lookback_scan_determinismE0ELb0ELb0ES3_PKS6_PS6_S6_ZZZN2at6native31launch_logcumsumexp_cuda_kernelERKNSD_10TensorBaseESH_lENKUlvE_clEvENKUlvE3_clEvEUlS6_S6_E_S6_EEDaPvRmT3_T4_T5_mT6_P12ihipStream_tbENKUlT_T0_E_clISt17integral_constantIbLb1EESX_IbLb0EEEEDaST_SU_EUlST_E0_NS1_11comp_targetILNS1_3genE9ELNS1_11target_archE1100ELNS1_3gpuE3ELNS1_3repE0EEENS1_30default_config_static_selectorELNS0_4arch9wavefront6targetE1EEEvT1_ ; -- Begin function _ZN7rocprim17ROCPRIM_400000_NS6detail17trampoline_kernelINS0_14default_configENS1_20scan_config_selectorIN3c104HalfEEEZZNS1_9scan_implILNS1_25lookback_scan_determinismE0ELb0ELb0ES3_PKS6_PS6_S6_ZZZN2at6native31launch_logcumsumexp_cuda_kernelERKNSD_10TensorBaseESH_lENKUlvE_clEvENKUlvE3_clEvEUlS6_S6_E_S6_EEDaPvRmT3_T4_T5_mT6_P12ihipStream_tbENKUlT_T0_E_clISt17integral_constantIbLb1EESX_IbLb0EEEEDaST_SU_EUlST_E0_NS1_11comp_targetILNS1_3genE9ELNS1_11target_archE1100ELNS1_3gpuE3ELNS1_3repE0EEENS1_30default_config_static_selectorELNS0_4arch9wavefront6targetE1EEEvT1_
	.p2align	8
	.type	_ZN7rocprim17ROCPRIM_400000_NS6detail17trampoline_kernelINS0_14default_configENS1_20scan_config_selectorIN3c104HalfEEEZZNS1_9scan_implILNS1_25lookback_scan_determinismE0ELb0ELb0ES3_PKS6_PS6_S6_ZZZN2at6native31launch_logcumsumexp_cuda_kernelERKNSD_10TensorBaseESH_lENKUlvE_clEvENKUlvE3_clEvEUlS6_S6_E_S6_EEDaPvRmT3_T4_T5_mT6_P12ihipStream_tbENKUlT_T0_E_clISt17integral_constantIbLb1EESX_IbLb0EEEEDaST_SU_EUlST_E0_NS1_11comp_targetILNS1_3genE9ELNS1_11target_archE1100ELNS1_3gpuE3ELNS1_3repE0EEENS1_30default_config_static_selectorELNS0_4arch9wavefront6targetE1EEEvT1_,@function
_ZN7rocprim17ROCPRIM_400000_NS6detail17trampoline_kernelINS0_14default_configENS1_20scan_config_selectorIN3c104HalfEEEZZNS1_9scan_implILNS1_25lookback_scan_determinismE0ELb0ELb0ES3_PKS6_PS6_S6_ZZZN2at6native31launch_logcumsumexp_cuda_kernelERKNSD_10TensorBaseESH_lENKUlvE_clEvENKUlvE3_clEvEUlS6_S6_E_S6_EEDaPvRmT3_T4_T5_mT6_P12ihipStream_tbENKUlT_T0_E_clISt17integral_constantIbLb1EESX_IbLb0EEEEDaST_SU_EUlST_E0_NS1_11comp_targetILNS1_3genE9ELNS1_11target_archE1100ELNS1_3gpuE3ELNS1_3repE0EEENS1_30default_config_static_selectorELNS0_4arch9wavefront6targetE1EEEvT1_: ; @_ZN7rocprim17ROCPRIM_400000_NS6detail17trampoline_kernelINS0_14default_configENS1_20scan_config_selectorIN3c104HalfEEEZZNS1_9scan_implILNS1_25lookback_scan_determinismE0ELb0ELb0ES3_PKS6_PS6_S6_ZZZN2at6native31launch_logcumsumexp_cuda_kernelERKNSD_10TensorBaseESH_lENKUlvE_clEvENKUlvE3_clEvEUlS6_S6_E_S6_EEDaPvRmT3_T4_T5_mT6_P12ihipStream_tbENKUlT_T0_E_clISt17integral_constantIbLb1EESX_IbLb0EEEEDaST_SU_EUlST_E0_NS1_11comp_targetILNS1_3genE9ELNS1_11target_archE1100ELNS1_3gpuE3ELNS1_3repE0EEENS1_30default_config_static_selectorELNS0_4arch9wavefront6targetE1EEEvT1_
; %bb.0:
	.section	.rodata,"a",@progbits
	.p2align	6, 0x0
	.amdhsa_kernel _ZN7rocprim17ROCPRIM_400000_NS6detail17trampoline_kernelINS0_14default_configENS1_20scan_config_selectorIN3c104HalfEEEZZNS1_9scan_implILNS1_25lookback_scan_determinismE0ELb0ELb0ES3_PKS6_PS6_S6_ZZZN2at6native31launch_logcumsumexp_cuda_kernelERKNSD_10TensorBaseESH_lENKUlvE_clEvENKUlvE3_clEvEUlS6_S6_E_S6_EEDaPvRmT3_T4_T5_mT6_P12ihipStream_tbENKUlT_T0_E_clISt17integral_constantIbLb1EESX_IbLb0EEEEDaST_SU_EUlST_E0_NS1_11comp_targetILNS1_3genE9ELNS1_11target_archE1100ELNS1_3gpuE3ELNS1_3repE0EEENS1_30default_config_static_selectorELNS0_4arch9wavefront6targetE1EEEvT1_
		.amdhsa_group_segment_fixed_size 0
		.amdhsa_private_segment_fixed_size 0
		.amdhsa_kernarg_size 32
		.amdhsa_user_sgpr_count 6
		.amdhsa_user_sgpr_private_segment_buffer 1
		.amdhsa_user_sgpr_dispatch_ptr 0
		.amdhsa_user_sgpr_queue_ptr 0
		.amdhsa_user_sgpr_kernarg_segment_ptr 1
		.amdhsa_user_sgpr_dispatch_id 0
		.amdhsa_user_sgpr_flat_scratch_init 0
		.amdhsa_user_sgpr_private_segment_size 0
		.amdhsa_uses_dynamic_stack 0
		.amdhsa_system_sgpr_private_segment_wavefront_offset 0
		.amdhsa_system_sgpr_workgroup_id_x 1
		.amdhsa_system_sgpr_workgroup_id_y 0
		.amdhsa_system_sgpr_workgroup_id_z 0
		.amdhsa_system_sgpr_workgroup_info 0
		.amdhsa_system_vgpr_workitem_id 0
		.amdhsa_next_free_vgpr 1
		.amdhsa_next_free_sgpr 0
		.amdhsa_reserve_vcc 0
		.amdhsa_reserve_flat_scratch 0
		.amdhsa_float_round_mode_32 0
		.amdhsa_float_round_mode_16_64 0
		.amdhsa_float_denorm_mode_32 3
		.amdhsa_float_denorm_mode_16_64 3
		.amdhsa_dx10_clamp 1
		.amdhsa_ieee_mode 1
		.amdhsa_fp16_overflow 0
		.amdhsa_exception_fp_ieee_invalid_op 0
		.amdhsa_exception_fp_denorm_src 0
		.amdhsa_exception_fp_ieee_div_zero 0
		.amdhsa_exception_fp_ieee_overflow 0
		.amdhsa_exception_fp_ieee_underflow 0
		.amdhsa_exception_fp_ieee_inexact 0
		.amdhsa_exception_int_div_zero 0
	.end_amdhsa_kernel
	.section	.text._ZN7rocprim17ROCPRIM_400000_NS6detail17trampoline_kernelINS0_14default_configENS1_20scan_config_selectorIN3c104HalfEEEZZNS1_9scan_implILNS1_25lookback_scan_determinismE0ELb0ELb0ES3_PKS6_PS6_S6_ZZZN2at6native31launch_logcumsumexp_cuda_kernelERKNSD_10TensorBaseESH_lENKUlvE_clEvENKUlvE3_clEvEUlS6_S6_E_S6_EEDaPvRmT3_T4_T5_mT6_P12ihipStream_tbENKUlT_T0_E_clISt17integral_constantIbLb1EESX_IbLb0EEEEDaST_SU_EUlST_E0_NS1_11comp_targetILNS1_3genE9ELNS1_11target_archE1100ELNS1_3gpuE3ELNS1_3repE0EEENS1_30default_config_static_selectorELNS0_4arch9wavefront6targetE1EEEvT1_,"axG",@progbits,_ZN7rocprim17ROCPRIM_400000_NS6detail17trampoline_kernelINS0_14default_configENS1_20scan_config_selectorIN3c104HalfEEEZZNS1_9scan_implILNS1_25lookback_scan_determinismE0ELb0ELb0ES3_PKS6_PS6_S6_ZZZN2at6native31launch_logcumsumexp_cuda_kernelERKNSD_10TensorBaseESH_lENKUlvE_clEvENKUlvE3_clEvEUlS6_S6_E_S6_EEDaPvRmT3_T4_T5_mT6_P12ihipStream_tbENKUlT_T0_E_clISt17integral_constantIbLb1EESX_IbLb0EEEEDaST_SU_EUlST_E0_NS1_11comp_targetILNS1_3genE9ELNS1_11target_archE1100ELNS1_3gpuE3ELNS1_3repE0EEENS1_30default_config_static_selectorELNS0_4arch9wavefront6targetE1EEEvT1_,comdat
.Lfunc_end413:
	.size	_ZN7rocprim17ROCPRIM_400000_NS6detail17trampoline_kernelINS0_14default_configENS1_20scan_config_selectorIN3c104HalfEEEZZNS1_9scan_implILNS1_25lookback_scan_determinismE0ELb0ELb0ES3_PKS6_PS6_S6_ZZZN2at6native31launch_logcumsumexp_cuda_kernelERKNSD_10TensorBaseESH_lENKUlvE_clEvENKUlvE3_clEvEUlS6_S6_E_S6_EEDaPvRmT3_T4_T5_mT6_P12ihipStream_tbENKUlT_T0_E_clISt17integral_constantIbLb1EESX_IbLb0EEEEDaST_SU_EUlST_E0_NS1_11comp_targetILNS1_3genE9ELNS1_11target_archE1100ELNS1_3gpuE3ELNS1_3repE0EEENS1_30default_config_static_selectorELNS0_4arch9wavefront6targetE1EEEvT1_, .Lfunc_end413-_ZN7rocprim17ROCPRIM_400000_NS6detail17trampoline_kernelINS0_14default_configENS1_20scan_config_selectorIN3c104HalfEEEZZNS1_9scan_implILNS1_25lookback_scan_determinismE0ELb0ELb0ES3_PKS6_PS6_S6_ZZZN2at6native31launch_logcumsumexp_cuda_kernelERKNSD_10TensorBaseESH_lENKUlvE_clEvENKUlvE3_clEvEUlS6_S6_E_S6_EEDaPvRmT3_T4_T5_mT6_P12ihipStream_tbENKUlT_T0_E_clISt17integral_constantIbLb1EESX_IbLb0EEEEDaST_SU_EUlST_E0_NS1_11comp_targetILNS1_3genE9ELNS1_11target_archE1100ELNS1_3gpuE3ELNS1_3repE0EEENS1_30default_config_static_selectorELNS0_4arch9wavefront6targetE1EEEvT1_
                                        ; -- End function
	.set _ZN7rocprim17ROCPRIM_400000_NS6detail17trampoline_kernelINS0_14default_configENS1_20scan_config_selectorIN3c104HalfEEEZZNS1_9scan_implILNS1_25lookback_scan_determinismE0ELb0ELb0ES3_PKS6_PS6_S6_ZZZN2at6native31launch_logcumsumexp_cuda_kernelERKNSD_10TensorBaseESH_lENKUlvE_clEvENKUlvE3_clEvEUlS6_S6_E_S6_EEDaPvRmT3_T4_T5_mT6_P12ihipStream_tbENKUlT_T0_E_clISt17integral_constantIbLb1EESX_IbLb0EEEEDaST_SU_EUlST_E0_NS1_11comp_targetILNS1_3genE9ELNS1_11target_archE1100ELNS1_3gpuE3ELNS1_3repE0EEENS1_30default_config_static_selectorELNS0_4arch9wavefront6targetE1EEEvT1_.num_vgpr, 0
	.set _ZN7rocprim17ROCPRIM_400000_NS6detail17trampoline_kernelINS0_14default_configENS1_20scan_config_selectorIN3c104HalfEEEZZNS1_9scan_implILNS1_25lookback_scan_determinismE0ELb0ELb0ES3_PKS6_PS6_S6_ZZZN2at6native31launch_logcumsumexp_cuda_kernelERKNSD_10TensorBaseESH_lENKUlvE_clEvENKUlvE3_clEvEUlS6_S6_E_S6_EEDaPvRmT3_T4_T5_mT6_P12ihipStream_tbENKUlT_T0_E_clISt17integral_constantIbLb1EESX_IbLb0EEEEDaST_SU_EUlST_E0_NS1_11comp_targetILNS1_3genE9ELNS1_11target_archE1100ELNS1_3gpuE3ELNS1_3repE0EEENS1_30default_config_static_selectorELNS0_4arch9wavefront6targetE1EEEvT1_.num_agpr, 0
	.set _ZN7rocprim17ROCPRIM_400000_NS6detail17trampoline_kernelINS0_14default_configENS1_20scan_config_selectorIN3c104HalfEEEZZNS1_9scan_implILNS1_25lookback_scan_determinismE0ELb0ELb0ES3_PKS6_PS6_S6_ZZZN2at6native31launch_logcumsumexp_cuda_kernelERKNSD_10TensorBaseESH_lENKUlvE_clEvENKUlvE3_clEvEUlS6_S6_E_S6_EEDaPvRmT3_T4_T5_mT6_P12ihipStream_tbENKUlT_T0_E_clISt17integral_constantIbLb1EESX_IbLb0EEEEDaST_SU_EUlST_E0_NS1_11comp_targetILNS1_3genE9ELNS1_11target_archE1100ELNS1_3gpuE3ELNS1_3repE0EEENS1_30default_config_static_selectorELNS0_4arch9wavefront6targetE1EEEvT1_.numbered_sgpr, 0
	.set _ZN7rocprim17ROCPRIM_400000_NS6detail17trampoline_kernelINS0_14default_configENS1_20scan_config_selectorIN3c104HalfEEEZZNS1_9scan_implILNS1_25lookback_scan_determinismE0ELb0ELb0ES3_PKS6_PS6_S6_ZZZN2at6native31launch_logcumsumexp_cuda_kernelERKNSD_10TensorBaseESH_lENKUlvE_clEvENKUlvE3_clEvEUlS6_S6_E_S6_EEDaPvRmT3_T4_T5_mT6_P12ihipStream_tbENKUlT_T0_E_clISt17integral_constantIbLb1EESX_IbLb0EEEEDaST_SU_EUlST_E0_NS1_11comp_targetILNS1_3genE9ELNS1_11target_archE1100ELNS1_3gpuE3ELNS1_3repE0EEENS1_30default_config_static_selectorELNS0_4arch9wavefront6targetE1EEEvT1_.num_named_barrier, 0
	.set _ZN7rocprim17ROCPRIM_400000_NS6detail17trampoline_kernelINS0_14default_configENS1_20scan_config_selectorIN3c104HalfEEEZZNS1_9scan_implILNS1_25lookback_scan_determinismE0ELb0ELb0ES3_PKS6_PS6_S6_ZZZN2at6native31launch_logcumsumexp_cuda_kernelERKNSD_10TensorBaseESH_lENKUlvE_clEvENKUlvE3_clEvEUlS6_S6_E_S6_EEDaPvRmT3_T4_T5_mT6_P12ihipStream_tbENKUlT_T0_E_clISt17integral_constantIbLb1EESX_IbLb0EEEEDaST_SU_EUlST_E0_NS1_11comp_targetILNS1_3genE9ELNS1_11target_archE1100ELNS1_3gpuE3ELNS1_3repE0EEENS1_30default_config_static_selectorELNS0_4arch9wavefront6targetE1EEEvT1_.private_seg_size, 0
	.set _ZN7rocprim17ROCPRIM_400000_NS6detail17trampoline_kernelINS0_14default_configENS1_20scan_config_selectorIN3c104HalfEEEZZNS1_9scan_implILNS1_25lookback_scan_determinismE0ELb0ELb0ES3_PKS6_PS6_S6_ZZZN2at6native31launch_logcumsumexp_cuda_kernelERKNSD_10TensorBaseESH_lENKUlvE_clEvENKUlvE3_clEvEUlS6_S6_E_S6_EEDaPvRmT3_T4_T5_mT6_P12ihipStream_tbENKUlT_T0_E_clISt17integral_constantIbLb1EESX_IbLb0EEEEDaST_SU_EUlST_E0_NS1_11comp_targetILNS1_3genE9ELNS1_11target_archE1100ELNS1_3gpuE3ELNS1_3repE0EEENS1_30default_config_static_selectorELNS0_4arch9wavefront6targetE1EEEvT1_.uses_vcc, 0
	.set _ZN7rocprim17ROCPRIM_400000_NS6detail17trampoline_kernelINS0_14default_configENS1_20scan_config_selectorIN3c104HalfEEEZZNS1_9scan_implILNS1_25lookback_scan_determinismE0ELb0ELb0ES3_PKS6_PS6_S6_ZZZN2at6native31launch_logcumsumexp_cuda_kernelERKNSD_10TensorBaseESH_lENKUlvE_clEvENKUlvE3_clEvEUlS6_S6_E_S6_EEDaPvRmT3_T4_T5_mT6_P12ihipStream_tbENKUlT_T0_E_clISt17integral_constantIbLb1EESX_IbLb0EEEEDaST_SU_EUlST_E0_NS1_11comp_targetILNS1_3genE9ELNS1_11target_archE1100ELNS1_3gpuE3ELNS1_3repE0EEENS1_30default_config_static_selectorELNS0_4arch9wavefront6targetE1EEEvT1_.uses_flat_scratch, 0
	.set _ZN7rocprim17ROCPRIM_400000_NS6detail17trampoline_kernelINS0_14default_configENS1_20scan_config_selectorIN3c104HalfEEEZZNS1_9scan_implILNS1_25lookback_scan_determinismE0ELb0ELb0ES3_PKS6_PS6_S6_ZZZN2at6native31launch_logcumsumexp_cuda_kernelERKNSD_10TensorBaseESH_lENKUlvE_clEvENKUlvE3_clEvEUlS6_S6_E_S6_EEDaPvRmT3_T4_T5_mT6_P12ihipStream_tbENKUlT_T0_E_clISt17integral_constantIbLb1EESX_IbLb0EEEEDaST_SU_EUlST_E0_NS1_11comp_targetILNS1_3genE9ELNS1_11target_archE1100ELNS1_3gpuE3ELNS1_3repE0EEENS1_30default_config_static_selectorELNS0_4arch9wavefront6targetE1EEEvT1_.has_dyn_sized_stack, 0
	.set _ZN7rocprim17ROCPRIM_400000_NS6detail17trampoline_kernelINS0_14default_configENS1_20scan_config_selectorIN3c104HalfEEEZZNS1_9scan_implILNS1_25lookback_scan_determinismE0ELb0ELb0ES3_PKS6_PS6_S6_ZZZN2at6native31launch_logcumsumexp_cuda_kernelERKNSD_10TensorBaseESH_lENKUlvE_clEvENKUlvE3_clEvEUlS6_S6_E_S6_EEDaPvRmT3_T4_T5_mT6_P12ihipStream_tbENKUlT_T0_E_clISt17integral_constantIbLb1EESX_IbLb0EEEEDaST_SU_EUlST_E0_NS1_11comp_targetILNS1_3genE9ELNS1_11target_archE1100ELNS1_3gpuE3ELNS1_3repE0EEENS1_30default_config_static_selectorELNS0_4arch9wavefront6targetE1EEEvT1_.has_recursion, 0
	.set _ZN7rocprim17ROCPRIM_400000_NS6detail17trampoline_kernelINS0_14default_configENS1_20scan_config_selectorIN3c104HalfEEEZZNS1_9scan_implILNS1_25lookback_scan_determinismE0ELb0ELb0ES3_PKS6_PS6_S6_ZZZN2at6native31launch_logcumsumexp_cuda_kernelERKNSD_10TensorBaseESH_lENKUlvE_clEvENKUlvE3_clEvEUlS6_S6_E_S6_EEDaPvRmT3_T4_T5_mT6_P12ihipStream_tbENKUlT_T0_E_clISt17integral_constantIbLb1EESX_IbLb0EEEEDaST_SU_EUlST_E0_NS1_11comp_targetILNS1_3genE9ELNS1_11target_archE1100ELNS1_3gpuE3ELNS1_3repE0EEENS1_30default_config_static_selectorELNS0_4arch9wavefront6targetE1EEEvT1_.has_indirect_call, 0
	.section	.AMDGPU.csdata,"",@progbits
; Kernel info:
; codeLenInByte = 0
; TotalNumSgprs: 4
; NumVgprs: 0
; ScratchSize: 0
; MemoryBound: 0
; FloatMode: 240
; IeeeMode: 1
; LDSByteSize: 0 bytes/workgroup (compile time only)
; SGPRBlocks: 0
; VGPRBlocks: 0
; NumSGPRsForWavesPerEU: 4
; NumVGPRsForWavesPerEU: 1
; Occupancy: 10
; WaveLimiterHint : 0
; COMPUTE_PGM_RSRC2:SCRATCH_EN: 0
; COMPUTE_PGM_RSRC2:USER_SGPR: 6
; COMPUTE_PGM_RSRC2:TRAP_HANDLER: 0
; COMPUTE_PGM_RSRC2:TGID_X_EN: 1
; COMPUTE_PGM_RSRC2:TGID_Y_EN: 0
; COMPUTE_PGM_RSRC2:TGID_Z_EN: 0
; COMPUTE_PGM_RSRC2:TIDIG_COMP_CNT: 0
	.section	.text._ZN7rocprim17ROCPRIM_400000_NS6detail17trampoline_kernelINS0_14default_configENS1_20scan_config_selectorIN3c104HalfEEEZZNS1_9scan_implILNS1_25lookback_scan_determinismE0ELb0ELb0ES3_PKS6_PS6_S6_ZZZN2at6native31launch_logcumsumexp_cuda_kernelERKNSD_10TensorBaseESH_lENKUlvE_clEvENKUlvE3_clEvEUlS6_S6_E_S6_EEDaPvRmT3_T4_T5_mT6_P12ihipStream_tbENKUlT_T0_E_clISt17integral_constantIbLb1EESX_IbLb0EEEEDaST_SU_EUlST_E0_NS1_11comp_targetILNS1_3genE8ELNS1_11target_archE1030ELNS1_3gpuE2ELNS1_3repE0EEENS1_30default_config_static_selectorELNS0_4arch9wavefront6targetE1EEEvT1_,"axG",@progbits,_ZN7rocprim17ROCPRIM_400000_NS6detail17trampoline_kernelINS0_14default_configENS1_20scan_config_selectorIN3c104HalfEEEZZNS1_9scan_implILNS1_25lookback_scan_determinismE0ELb0ELb0ES3_PKS6_PS6_S6_ZZZN2at6native31launch_logcumsumexp_cuda_kernelERKNSD_10TensorBaseESH_lENKUlvE_clEvENKUlvE3_clEvEUlS6_S6_E_S6_EEDaPvRmT3_T4_T5_mT6_P12ihipStream_tbENKUlT_T0_E_clISt17integral_constantIbLb1EESX_IbLb0EEEEDaST_SU_EUlST_E0_NS1_11comp_targetILNS1_3genE8ELNS1_11target_archE1030ELNS1_3gpuE2ELNS1_3repE0EEENS1_30default_config_static_selectorELNS0_4arch9wavefront6targetE1EEEvT1_,comdat
	.globl	_ZN7rocprim17ROCPRIM_400000_NS6detail17trampoline_kernelINS0_14default_configENS1_20scan_config_selectorIN3c104HalfEEEZZNS1_9scan_implILNS1_25lookback_scan_determinismE0ELb0ELb0ES3_PKS6_PS6_S6_ZZZN2at6native31launch_logcumsumexp_cuda_kernelERKNSD_10TensorBaseESH_lENKUlvE_clEvENKUlvE3_clEvEUlS6_S6_E_S6_EEDaPvRmT3_T4_T5_mT6_P12ihipStream_tbENKUlT_T0_E_clISt17integral_constantIbLb1EESX_IbLb0EEEEDaST_SU_EUlST_E0_NS1_11comp_targetILNS1_3genE8ELNS1_11target_archE1030ELNS1_3gpuE2ELNS1_3repE0EEENS1_30default_config_static_selectorELNS0_4arch9wavefront6targetE1EEEvT1_ ; -- Begin function _ZN7rocprim17ROCPRIM_400000_NS6detail17trampoline_kernelINS0_14default_configENS1_20scan_config_selectorIN3c104HalfEEEZZNS1_9scan_implILNS1_25lookback_scan_determinismE0ELb0ELb0ES3_PKS6_PS6_S6_ZZZN2at6native31launch_logcumsumexp_cuda_kernelERKNSD_10TensorBaseESH_lENKUlvE_clEvENKUlvE3_clEvEUlS6_S6_E_S6_EEDaPvRmT3_T4_T5_mT6_P12ihipStream_tbENKUlT_T0_E_clISt17integral_constantIbLb1EESX_IbLb0EEEEDaST_SU_EUlST_E0_NS1_11comp_targetILNS1_3genE8ELNS1_11target_archE1030ELNS1_3gpuE2ELNS1_3repE0EEENS1_30default_config_static_selectorELNS0_4arch9wavefront6targetE1EEEvT1_
	.p2align	8
	.type	_ZN7rocprim17ROCPRIM_400000_NS6detail17trampoline_kernelINS0_14default_configENS1_20scan_config_selectorIN3c104HalfEEEZZNS1_9scan_implILNS1_25lookback_scan_determinismE0ELb0ELb0ES3_PKS6_PS6_S6_ZZZN2at6native31launch_logcumsumexp_cuda_kernelERKNSD_10TensorBaseESH_lENKUlvE_clEvENKUlvE3_clEvEUlS6_S6_E_S6_EEDaPvRmT3_T4_T5_mT6_P12ihipStream_tbENKUlT_T0_E_clISt17integral_constantIbLb1EESX_IbLb0EEEEDaST_SU_EUlST_E0_NS1_11comp_targetILNS1_3genE8ELNS1_11target_archE1030ELNS1_3gpuE2ELNS1_3repE0EEENS1_30default_config_static_selectorELNS0_4arch9wavefront6targetE1EEEvT1_,@function
_ZN7rocprim17ROCPRIM_400000_NS6detail17trampoline_kernelINS0_14default_configENS1_20scan_config_selectorIN3c104HalfEEEZZNS1_9scan_implILNS1_25lookback_scan_determinismE0ELb0ELb0ES3_PKS6_PS6_S6_ZZZN2at6native31launch_logcumsumexp_cuda_kernelERKNSD_10TensorBaseESH_lENKUlvE_clEvENKUlvE3_clEvEUlS6_S6_E_S6_EEDaPvRmT3_T4_T5_mT6_P12ihipStream_tbENKUlT_T0_E_clISt17integral_constantIbLb1EESX_IbLb0EEEEDaST_SU_EUlST_E0_NS1_11comp_targetILNS1_3genE8ELNS1_11target_archE1030ELNS1_3gpuE2ELNS1_3repE0EEENS1_30default_config_static_selectorELNS0_4arch9wavefront6targetE1EEEvT1_: ; @_ZN7rocprim17ROCPRIM_400000_NS6detail17trampoline_kernelINS0_14default_configENS1_20scan_config_selectorIN3c104HalfEEEZZNS1_9scan_implILNS1_25lookback_scan_determinismE0ELb0ELb0ES3_PKS6_PS6_S6_ZZZN2at6native31launch_logcumsumexp_cuda_kernelERKNSD_10TensorBaseESH_lENKUlvE_clEvENKUlvE3_clEvEUlS6_S6_E_S6_EEDaPvRmT3_T4_T5_mT6_P12ihipStream_tbENKUlT_T0_E_clISt17integral_constantIbLb1EESX_IbLb0EEEEDaST_SU_EUlST_E0_NS1_11comp_targetILNS1_3genE8ELNS1_11target_archE1030ELNS1_3gpuE2ELNS1_3repE0EEENS1_30default_config_static_selectorELNS0_4arch9wavefront6targetE1EEEvT1_
; %bb.0:
	.section	.rodata,"a",@progbits
	.p2align	6, 0x0
	.amdhsa_kernel _ZN7rocprim17ROCPRIM_400000_NS6detail17trampoline_kernelINS0_14default_configENS1_20scan_config_selectorIN3c104HalfEEEZZNS1_9scan_implILNS1_25lookback_scan_determinismE0ELb0ELb0ES3_PKS6_PS6_S6_ZZZN2at6native31launch_logcumsumexp_cuda_kernelERKNSD_10TensorBaseESH_lENKUlvE_clEvENKUlvE3_clEvEUlS6_S6_E_S6_EEDaPvRmT3_T4_T5_mT6_P12ihipStream_tbENKUlT_T0_E_clISt17integral_constantIbLb1EESX_IbLb0EEEEDaST_SU_EUlST_E0_NS1_11comp_targetILNS1_3genE8ELNS1_11target_archE1030ELNS1_3gpuE2ELNS1_3repE0EEENS1_30default_config_static_selectorELNS0_4arch9wavefront6targetE1EEEvT1_
		.amdhsa_group_segment_fixed_size 0
		.amdhsa_private_segment_fixed_size 0
		.amdhsa_kernarg_size 32
		.amdhsa_user_sgpr_count 6
		.amdhsa_user_sgpr_private_segment_buffer 1
		.amdhsa_user_sgpr_dispatch_ptr 0
		.amdhsa_user_sgpr_queue_ptr 0
		.amdhsa_user_sgpr_kernarg_segment_ptr 1
		.amdhsa_user_sgpr_dispatch_id 0
		.amdhsa_user_sgpr_flat_scratch_init 0
		.amdhsa_user_sgpr_private_segment_size 0
		.amdhsa_uses_dynamic_stack 0
		.amdhsa_system_sgpr_private_segment_wavefront_offset 0
		.amdhsa_system_sgpr_workgroup_id_x 1
		.amdhsa_system_sgpr_workgroup_id_y 0
		.amdhsa_system_sgpr_workgroup_id_z 0
		.amdhsa_system_sgpr_workgroup_info 0
		.amdhsa_system_vgpr_workitem_id 0
		.amdhsa_next_free_vgpr 1
		.amdhsa_next_free_sgpr 0
		.amdhsa_reserve_vcc 0
		.amdhsa_reserve_flat_scratch 0
		.amdhsa_float_round_mode_32 0
		.amdhsa_float_round_mode_16_64 0
		.amdhsa_float_denorm_mode_32 3
		.amdhsa_float_denorm_mode_16_64 3
		.amdhsa_dx10_clamp 1
		.amdhsa_ieee_mode 1
		.amdhsa_fp16_overflow 0
		.amdhsa_exception_fp_ieee_invalid_op 0
		.amdhsa_exception_fp_denorm_src 0
		.amdhsa_exception_fp_ieee_div_zero 0
		.amdhsa_exception_fp_ieee_overflow 0
		.amdhsa_exception_fp_ieee_underflow 0
		.amdhsa_exception_fp_ieee_inexact 0
		.amdhsa_exception_int_div_zero 0
	.end_amdhsa_kernel
	.section	.text._ZN7rocprim17ROCPRIM_400000_NS6detail17trampoline_kernelINS0_14default_configENS1_20scan_config_selectorIN3c104HalfEEEZZNS1_9scan_implILNS1_25lookback_scan_determinismE0ELb0ELb0ES3_PKS6_PS6_S6_ZZZN2at6native31launch_logcumsumexp_cuda_kernelERKNSD_10TensorBaseESH_lENKUlvE_clEvENKUlvE3_clEvEUlS6_S6_E_S6_EEDaPvRmT3_T4_T5_mT6_P12ihipStream_tbENKUlT_T0_E_clISt17integral_constantIbLb1EESX_IbLb0EEEEDaST_SU_EUlST_E0_NS1_11comp_targetILNS1_3genE8ELNS1_11target_archE1030ELNS1_3gpuE2ELNS1_3repE0EEENS1_30default_config_static_selectorELNS0_4arch9wavefront6targetE1EEEvT1_,"axG",@progbits,_ZN7rocprim17ROCPRIM_400000_NS6detail17trampoline_kernelINS0_14default_configENS1_20scan_config_selectorIN3c104HalfEEEZZNS1_9scan_implILNS1_25lookback_scan_determinismE0ELb0ELb0ES3_PKS6_PS6_S6_ZZZN2at6native31launch_logcumsumexp_cuda_kernelERKNSD_10TensorBaseESH_lENKUlvE_clEvENKUlvE3_clEvEUlS6_S6_E_S6_EEDaPvRmT3_T4_T5_mT6_P12ihipStream_tbENKUlT_T0_E_clISt17integral_constantIbLb1EESX_IbLb0EEEEDaST_SU_EUlST_E0_NS1_11comp_targetILNS1_3genE8ELNS1_11target_archE1030ELNS1_3gpuE2ELNS1_3repE0EEENS1_30default_config_static_selectorELNS0_4arch9wavefront6targetE1EEEvT1_,comdat
.Lfunc_end414:
	.size	_ZN7rocprim17ROCPRIM_400000_NS6detail17trampoline_kernelINS0_14default_configENS1_20scan_config_selectorIN3c104HalfEEEZZNS1_9scan_implILNS1_25lookback_scan_determinismE0ELb0ELb0ES3_PKS6_PS6_S6_ZZZN2at6native31launch_logcumsumexp_cuda_kernelERKNSD_10TensorBaseESH_lENKUlvE_clEvENKUlvE3_clEvEUlS6_S6_E_S6_EEDaPvRmT3_T4_T5_mT6_P12ihipStream_tbENKUlT_T0_E_clISt17integral_constantIbLb1EESX_IbLb0EEEEDaST_SU_EUlST_E0_NS1_11comp_targetILNS1_3genE8ELNS1_11target_archE1030ELNS1_3gpuE2ELNS1_3repE0EEENS1_30default_config_static_selectorELNS0_4arch9wavefront6targetE1EEEvT1_, .Lfunc_end414-_ZN7rocprim17ROCPRIM_400000_NS6detail17trampoline_kernelINS0_14default_configENS1_20scan_config_selectorIN3c104HalfEEEZZNS1_9scan_implILNS1_25lookback_scan_determinismE0ELb0ELb0ES3_PKS6_PS6_S6_ZZZN2at6native31launch_logcumsumexp_cuda_kernelERKNSD_10TensorBaseESH_lENKUlvE_clEvENKUlvE3_clEvEUlS6_S6_E_S6_EEDaPvRmT3_T4_T5_mT6_P12ihipStream_tbENKUlT_T0_E_clISt17integral_constantIbLb1EESX_IbLb0EEEEDaST_SU_EUlST_E0_NS1_11comp_targetILNS1_3genE8ELNS1_11target_archE1030ELNS1_3gpuE2ELNS1_3repE0EEENS1_30default_config_static_selectorELNS0_4arch9wavefront6targetE1EEEvT1_
                                        ; -- End function
	.set _ZN7rocprim17ROCPRIM_400000_NS6detail17trampoline_kernelINS0_14default_configENS1_20scan_config_selectorIN3c104HalfEEEZZNS1_9scan_implILNS1_25lookback_scan_determinismE0ELb0ELb0ES3_PKS6_PS6_S6_ZZZN2at6native31launch_logcumsumexp_cuda_kernelERKNSD_10TensorBaseESH_lENKUlvE_clEvENKUlvE3_clEvEUlS6_S6_E_S6_EEDaPvRmT3_T4_T5_mT6_P12ihipStream_tbENKUlT_T0_E_clISt17integral_constantIbLb1EESX_IbLb0EEEEDaST_SU_EUlST_E0_NS1_11comp_targetILNS1_3genE8ELNS1_11target_archE1030ELNS1_3gpuE2ELNS1_3repE0EEENS1_30default_config_static_selectorELNS0_4arch9wavefront6targetE1EEEvT1_.num_vgpr, 0
	.set _ZN7rocprim17ROCPRIM_400000_NS6detail17trampoline_kernelINS0_14default_configENS1_20scan_config_selectorIN3c104HalfEEEZZNS1_9scan_implILNS1_25lookback_scan_determinismE0ELb0ELb0ES3_PKS6_PS6_S6_ZZZN2at6native31launch_logcumsumexp_cuda_kernelERKNSD_10TensorBaseESH_lENKUlvE_clEvENKUlvE3_clEvEUlS6_S6_E_S6_EEDaPvRmT3_T4_T5_mT6_P12ihipStream_tbENKUlT_T0_E_clISt17integral_constantIbLb1EESX_IbLb0EEEEDaST_SU_EUlST_E0_NS1_11comp_targetILNS1_3genE8ELNS1_11target_archE1030ELNS1_3gpuE2ELNS1_3repE0EEENS1_30default_config_static_selectorELNS0_4arch9wavefront6targetE1EEEvT1_.num_agpr, 0
	.set _ZN7rocprim17ROCPRIM_400000_NS6detail17trampoline_kernelINS0_14default_configENS1_20scan_config_selectorIN3c104HalfEEEZZNS1_9scan_implILNS1_25lookback_scan_determinismE0ELb0ELb0ES3_PKS6_PS6_S6_ZZZN2at6native31launch_logcumsumexp_cuda_kernelERKNSD_10TensorBaseESH_lENKUlvE_clEvENKUlvE3_clEvEUlS6_S6_E_S6_EEDaPvRmT3_T4_T5_mT6_P12ihipStream_tbENKUlT_T0_E_clISt17integral_constantIbLb1EESX_IbLb0EEEEDaST_SU_EUlST_E0_NS1_11comp_targetILNS1_3genE8ELNS1_11target_archE1030ELNS1_3gpuE2ELNS1_3repE0EEENS1_30default_config_static_selectorELNS0_4arch9wavefront6targetE1EEEvT1_.numbered_sgpr, 0
	.set _ZN7rocprim17ROCPRIM_400000_NS6detail17trampoline_kernelINS0_14default_configENS1_20scan_config_selectorIN3c104HalfEEEZZNS1_9scan_implILNS1_25lookback_scan_determinismE0ELb0ELb0ES3_PKS6_PS6_S6_ZZZN2at6native31launch_logcumsumexp_cuda_kernelERKNSD_10TensorBaseESH_lENKUlvE_clEvENKUlvE3_clEvEUlS6_S6_E_S6_EEDaPvRmT3_T4_T5_mT6_P12ihipStream_tbENKUlT_T0_E_clISt17integral_constantIbLb1EESX_IbLb0EEEEDaST_SU_EUlST_E0_NS1_11comp_targetILNS1_3genE8ELNS1_11target_archE1030ELNS1_3gpuE2ELNS1_3repE0EEENS1_30default_config_static_selectorELNS0_4arch9wavefront6targetE1EEEvT1_.num_named_barrier, 0
	.set _ZN7rocprim17ROCPRIM_400000_NS6detail17trampoline_kernelINS0_14default_configENS1_20scan_config_selectorIN3c104HalfEEEZZNS1_9scan_implILNS1_25lookback_scan_determinismE0ELb0ELb0ES3_PKS6_PS6_S6_ZZZN2at6native31launch_logcumsumexp_cuda_kernelERKNSD_10TensorBaseESH_lENKUlvE_clEvENKUlvE3_clEvEUlS6_S6_E_S6_EEDaPvRmT3_T4_T5_mT6_P12ihipStream_tbENKUlT_T0_E_clISt17integral_constantIbLb1EESX_IbLb0EEEEDaST_SU_EUlST_E0_NS1_11comp_targetILNS1_3genE8ELNS1_11target_archE1030ELNS1_3gpuE2ELNS1_3repE0EEENS1_30default_config_static_selectorELNS0_4arch9wavefront6targetE1EEEvT1_.private_seg_size, 0
	.set _ZN7rocprim17ROCPRIM_400000_NS6detail17trampoline_kernelINS0_14default_configENS1_20scan_config_selectorIN3c104HalfEEEZZNS1_9scan_implILNS1_25lookback_scan_determinismE0ELb0ELb0ES3_PKS6_PS6_S6_ZZZN2at6native31launch_logcumsumexp_cuda_kernelERKNSD_10TensorBaseESH_lENKUlvE_clEvENKUlvE3_clEvEUlS6_S6_E_S6_EEDaPvRmT3_T4_T5_mT6_P12ihipStream_tbENKUlT_T0_E_clISt17integral_constantIbLb1EESX_IbLb0EEEEDaST_SU_EUlST_E0_NS1_11comp_targetILNS1_3genE8ELNS1_11target_archE1030ELNS1_3gpuE2ELNS1_3repE0EEENS1_30default_config_static_selectorELNS0_4arch9wavefront6targetE1EEEvT1_.uses_vcc, 0
	.set _ZN7rocprim17ROCPRIM_400000_NS6detail17trampoline_kernelINS0_14default_configENS1_20scan_config_selectorIN3c104HalfEEEZZNS1_9scan_implILNS1_25lookback_scan_determinismE0ELb0ELb0ES3_PKS6_PS6_S6_ZZZN2at6native31launch_logcumsumexp_cuda_kernelERKNSD_10TensorBaseESH_lENKUlvE_clEvENKUlvE3_clEvEUlS6_S6_E_S6_EEDaPvRmT3_T4_T5_mT6_P12ihipStream_tbENKUlT_T0_E_clISt17integral_constantIbLb1EESX_IbLb0EEEEDaST_SU_EUlST_E0_NS1_11comp_targetILNS1_3genE8ELNS1_11target_archE1030ELNS1_3gpuE2ELNS1_3repE0EEENS1_30default_config_static_selectorELNS0_4arch9wavefront6targetE1EEEvT1_.uses_flat_scratch, 0
	.set _ZN7rocprim17ROCPRIM_400000_NS6detail17trampoline_kernelINS0_14default_configENS1_20scan_config_selectorIN3c104HalfEEEZZNS1_9scan_implILNS1_25lookback_scan_determinismE0ELb0ELb0ES3_PKS6_PS6_S6_ZZZN2at6native31launch_logcumsumexp_cuda_kernelERKNSD_10TensorBaseESH_lENKUlvE_clEvENKUlvE3_clEvEUlS6_S6_E_S6_EEDaPvRmT3_T4_T5_mT6_P12ihipStream_tbENKUlT_T0_E_clISt17integral_constantIbLb1EESX_IbLb0EEEEDaST_SU_EUlST_E0_NS1_11comp_targetILNS1_3genE8ELNS1_11target_archE1030ELNS1_3gpuE2ELNS1_3repE0EEENS1_30default_config_static_selectorELNS0_4arch9wavefront6targetE1EEEvT1_.has_dyn_sized_stack, 0
	.set _ZN7rocprim17ROCPRIM_400000_NS6detail17trampoline_kernelINS0_14default_configENS1_20scan_config_selectorIN3c104HalfEEEZZNS1_9scan_implILNS1_25lookback_scan_determinismE0ELb0ELb0ES3_PKS6_PS6_S6_ZZZN2at6native31launch_logcumsumexp_cuda_kernelERKNSD_10TensorBaseESH_lENKUlvE_clEvENKUlvE3_clEvEUlS6_S6_E_S6_EEDaPvRmT3_T4_T5_mT6_P12ihipStream_tbENKUlT_T0_E_clISt17integral_constantIbLb1EESX_IbLb0EEEEDaST_SU_EUlST_E0_NS1_11comp_targetILNS1_3genE8ELNS1_11target_archE1030ELNS1_3gpuE2ELNS1_3repE0EEENS1_30default_config_static_selectorELNS0_4arch9wavefront6targetE1EEEvT1_.has_recursion, 0
	.set _ZN7rocprim17ROCPRIM_400000_NS6detail17trampoline_kernelINS0_14default_configENS1_20scan_config_selectorIN3c104HalfEEEZZNS1_9scan_implILNS1_25lookback_scan_determinismE0ELb0ELb0ES3_PKS6_PS6_S6_ZZZN2at6native31launch_logcumsumexp_cuda_kernelERKNSD_10TensorBaseESH_lENKUlvE_clEvENKUlvE3_clEvEUlS6_S6_E_S6_EEDaPvRmT3_T4_T5_mT6_P12ihipStream_tbENKUlT_T0_E_clISt17integral_constantIbLb1EESX_IbLb0EEEEDaST_SU_EUlST_E0_NS1_11comp_targetILNS1_3genE8ELNS1_11target_archE1030ELNS1_3gpuE2ELNS1_3repE0EEENS1_30default_config_static_selectorELNS0_4arch9wavefront6targetE1EEEvT1_.has_indirect_call, 0
	.section	.AMDGPU.csdata,"",@progbits
; Kernel info:
; codeLenInByte = 0
; TotalNumSgprs: 4
; NumVgprs: 0
; ScratchSize: 0
; MemoryBound: 0
; FloatMode: 240
; IeeeMode: 1
; LDSByteSize: 0 bytes/workgroup (compile time only)
; SGPRBlocks: 0
; VGPRBlocks: 0
; NumSGPRsForWavesPerEU: 4
; NumVGPRsForWavesPerEU: 1
; Occupancy: 10
; WaveLimiterHint : 0
; COMPUTE_PGM_RSRC2:SCRATCH_EN: 0
; COMPUTE_PGM_RSRC2:USER_SGPR: 6
; COMPUTE_PGM_RSRC2:TRAP_HANDLER: 0
; COMPUTE_PGM_RSRC2:TGID_X_EN: 1
; COMPUTE_PGM_RSRC2:TGID_Y_EN: 0
; COMPUTE_PGM_RSRC2:TGID_Z_EN: 0
; COMPUTE_PGM_RSRC2:TIDIG_COMP_CNT: 0
	.section	.text._ZN7rocprim17ROCPRIM_400000_NS6detail31init_lookback_scan_state_kernelINS1_19lookback_scan_stateIN3c104HalfELb0ELb1EEENS1_16block_id_wrapperIjLb1EEEEEvT_jT0_jPNS9_10value_typeE,"axG",@progbits,_ZN7rocprim17ROCPRIM_400000_NS6detail31init_lookback_scan_state_kernelINS1_19lookback_scan_stateIN3c104HalfELb0ELb1EEENS1_16block_id_wrapperIjLb1EEEEEvT_jT0_jPNS9_10value_typeE,comdat
	.protected	_ZN7rocprim17ROCPRIM_400000_NS6detail31init_lookback_scan_state_kernelINS1_19lookback_scan_stateIN3c104HalfELb0ELb1EEENS1_16block_id_wrapperIjLb1EEEEEvT_jT0_jPNS9_10value_typeE ; -- Begin function _ZN7rocprim17ROCPRIM_400000_NS6detail31init_lookback_scan_state_kernelINS1_19lookback_scan_stateIN3c104HalfELb0ELb1EEENS1_16block_id_wrapperIjLb1EEEEEvT_jT0_jPNS9_10value_typeE
	.globl	_ZN7rocprim17ROCPRIM_400000_NS6detail31init_lookback_scan_state_kernelINS1_19lookback_scan_stateIN3c104HalfELb0ELb1EEENS1_16block_id_wrapperIjLb1EEEEEvT_jT0_jPNS9_10value_typeE
	.p2align	8
	.type	_ZN7rocprim17ROCPRIM_400000_NS6detail31init_lookback_scan_state_kernelINS1_19lookback_scan_stateIN3c104HalfELb0ELb1EEENS1_16block_id_wrapperIjLb1EEEEEvT_jT0_jPNS9_10value_typeE,@function
_ZN7rocprim17ROCPRIM_400000_NS6detail31init_lookback_scan_state_kernelINS1_19lookback_scan_stateIN3c104HalfELb0ELb1EEENS1_16block_id_wrapperIjLb1EEEEEvT_jT0_jPNS9_10value_typeE: ; @_ZN7rocprim17ROCPRIM_400000_NS6detail31init_lookback_scan_state_kernelINS1_19lookback_scan_stateIN3c104HalfELb0ELb1EEENS1_16block_id_wrapperIjLb1EEEEEvT_jT0_jPNS9_10value_typeE
; %bb.0:
	s_load_dword s7, s[4:5], 0x34
	s_load_dwordx2 s[2:3], s[4:5], 0x20
	s_load_dwordx2 s[0:1], s[4:5], 0x0
	s_load_dword s10, s[4:5], 0x8
	s_waitcnt lgkmcnt(0)
	s_and_b32 s7, s7, 0xffff
	s_mul_i32 s6, s6, s7
	s_cmp_eq_u64 s[2:3], 0
	v_add_u32_e32 v0, s6, v0
	s_cbranch_scc1 .LBB415_6
; %bb.1:
	s_load_dword s8, s[4:5], 0x18
	s_mov_b32 s9, 0
	s_waitcnt lgkmcnt(0)
	s_cmp_lt_u32 s8, s10
	s_cselect_b32 s6, s8, 0
	v_cmp_eq_u32_e32 vcc, s6, v0
	s_and_saveexec_b64 s[6:7], vcc
	s_cbranch_execz .LBB415_5
; %bb.2:
	s_add_i32 s8, s8, 64
	s_lshl_b64 s[8:9], s[8:9], 2
	s_add_u32 s8, s0, s8
	s_addc_u32 s9, s1, s9
	v_mov_b32_e32 v2, 0
	global_load_dword v1, v2, s[8:9] glc
	s_waitcnt vmcnt(0)
	v_and_b32_e32 v3, 0xff0000, v1
	v_cmp_ne_u32_e32 vcc, 0, v3
	s_cbranch_vccnz .LBB415_4
.LBB415_3:                              ; =>This Inner Loop Header: Depth=1
	global_load_dword v1, v2, s[8:9] glc
	s_waitcnt vmcnt(0)
	v_and_b32_e32 v3, 0xff0000, v1
	v_cmp_eq_u32_e32 vcc, 0, v3
	s_cbranch_vccnz .LBB415_3
.LBB415_4:
	v_mov_b32_e32 v2, 0
	global_store_short v2, v1, s[2:3]
.LBB415_5:
	s_or_b64 exec, exec, s[6:7]
.LBB415_6:
	v_cmp_eq_u32_e32 vcc, 0, v0
	s_and_saveexec_b64 s[2:3], vcc
	s_cbranch_execnz .LBB415_10
; %bb.7:
	s_or_b64 exec, exec, s[2:3]
	v_cmp_gt_u32_e32 vcc, s10, v0
	s_and_saveexec_b64 s[2:3], vcc
	s_cbranch_execnz .LBB415_11
.LBB415_8:
	s_or_b64 exec, exec, s[2:3]
	v_cmp_gt_u32_e32 vcc, 64, v0
	s_and_saveexec_b64 s[2:3], vcc
	s_cbranch_execnz .LBB415_12
.LBB415_9:
	s_endpgm
.LBB415_10:
	s_load_dwordx2 s[4:5], s[4:5], 0x10
	v_mov_b32_e32 v1, 0
	s_waitcnt lgkmcnt(0)
	global_store_dword v1, v1, s[4:5]
	s_or_b64 exec, exec, s[2:3]
	v_cmp_gt_u32_e32 vcc, s10, v0
	s_and_saveexec_b64 s[2:3], vcc
	s_cbranch_execz .LBB415_8
.LBB415_11:
	v_add_u32_e32 v1, 64, v0
	v_mov_b32_e32 v2, 0
	v_lshlrev_b64 v[3:4], 2, v[1:2]
	v_mov_b32_e32 v1, s1
	v_add_co_u32_e32 v3, vcc, s0, v3
	v_addc_co_u32_e32 v4, vcc, v1, v4, vcc
	global_store_dword v[3:4], v2, off
	s_or_b64 exec, exec, s[2:3]
	v_cmp_gt_u32_e32 vcc, 64, v0
	s_and_saveexec_b64 s[2:3], vcc
	s_cbranch_execz .LBB415_9
.LBB415_12:
	v_mov_b32_e32 v1, 0
	v_lshlrev_b64 v[0:1], 2, v[0:1]
	v_mov_b32_e32 v2, s1
	v_add_co_u32_e32 v0, vcc, s0, v0
	v_addc_co_u32_e32 v1, vcc, v2, v1, vcc
	v_mov_b32_e32 v2, 0xff0000
	global_store_dword v[0:1], v2, off
	s_endpgm
	.section	.rodata,"a",@progbits
	.p2align	6, 0x0
	.amdhsa_kernel _ZN7rocprim17ROCPRIM_400000_NS6detail31init_lookback_scan_state_kernelINS1_19lookback_scan_stateIN3c104HalfELb0ELb1EEENS1_16block_id_wrapperIjLb1EEEEEvT_jT0_jPNS9_10value_typeE
		.amdhsa_group_segment_fixed_size 0
		.amdhsa_private_segment_fixed_size 0
		.amdhsa_kernarg_size 296
		.amdhsa_user_sgpr_count 6
		.amdhsa_user_sgpr_private_segment_buffer 1
		.amdhsa_user_sgpr_dispatch_ptr 0
		.amdhsa_user_sgpr_queue_ptr 0
		.amdhsa_user_sgpr_kernarg_segment_ptr 1
		.amdhsa_user_sgpr_dispatch_id 0
		.amdhsa_user_sgpr_flat_scratch_init 0
		.amdhsa_user_sgpr_private_segment_size 0
		.amdhsa_uses_dynamic_stack 0
		.amdhsa_system_sgpr_private_segment_wavefront_offset 0
		.amdhsa_system_sgpr_workgroup_id_x 1
		.amdhsa_system_sgpr_workgroup_id_y 0
		.amdhsa_system_sgpr_workgroup_id_z 0
		.amdhsa_system_sgpr_workgroup_info 0
		.amdhsa_system_vgpr_workitem_id 0
		.amdhsa_next_free_vgpr 5
		.amdhsa_next_free_sgpr 11
		.amdhsa_reserve_vcc 1
		.amdhsa_reserve_flat_scratch 0
		.amdhsa_float_round_mode_32 0
		.amdhsa_float_round_mode_16_64 0
		.amdhsa_float_denorm_mode_32 3
		.amdhsa_float_denorm_mode_16_64 3
		.amdhsa_dx10_clamp 1
		.amdhsa_ieee_mode 1
		.amdhsa_fp16_overflow 0
		.amdhsa_exception_fp_ieee_invalid_op 0
		.amdhsa_exception_fp_denorm_src 0
		.amdhsa_exception_fp_ieee_div_zero 0
		.amdhsa_exception_fp_ieee_overflow 0
		.amdhsa_exception_fp_ieee_underflow 0
		.amdhsa_exception_fp_ieee_inexact 0
		.amdhsa_exception_int_div_zero 0
	.end_amdhsa_kernel
	.section	.text._ZN7rocprim17ROCPRIM_400000_NS6detail31init_lookback_scan_state_kernelINS1_19lookback_scan_stateIN3c104HalfELb0ELb1EEENS1_16block_id_wrapperIjLb1EEEEEvT_jT0_jPNS9_10value_typeE,"axG",@progbits,_ZN7rocprim17ROCPRIM_400000_NS6detail31init_lookback_scan_state_kernelINS1_19lookback_scan_stateIN3c104HalfELb0ELb1EEENS1_16block_id_wrapperIjLb1EEEEEvT_jT0_jPNS9_10value_typeE,comdat
.Lfunc_end415:
	.size	_ZN7rocprim17ROCPRIM_400000_NS6detail31init_lookback_scan_state_kernelINS1_19lookback_scan_stateIN3c104HalfELb0ELb1EEENS1_16block_id_wrapperIjLb1EEEEEvT_jT0_jPNS9_10value_typeE, .Lfunc_end415-_ZN7rocprim17ROCPRIM_400000_NS6detail31init_lookback_scan_state_kernelINS1_19lookback_scan_stateIN3c104HalfELb0ELb1EEENS1_16block_id_wrapperIjLb1EEEEEvT_jT0_jPNS9_10value_typeE
                                        ; -- End function
	.set _ZN7rocprim17ROCPRIM_400000_NS6detail31init_lookback_scan_state_kernelINS1_19lookback_scan_stateIN3c104HalfELb0ELb1EEENS1_16block_id_wrapperIjLb1EEEEEvT_jT0_jPNS9_10value_typeE.num_vgpr, 5
	.set _ZN7rocprim17ROCPRIM_400000_NS6detail31init_lookback_scan_state_kernelINS1_19lookback_scan_stateIN3c104HalfELb0ELb1EEENS1_16block_id_wrapperIjLb1EEEEEvT_jT0_jPNS9_10value_typeE.num_agpr, 0
	.set _ZN7rocprim17ROCPRIM_400000_NS6detail31init_lookback_scan_state_kernelINS1_19lookback_scan_stateIN3c104HalfELb0ELb1EEENS1_16block_id_wrapperIjLb1EEEEEvT_jT0_jPNS9_10value_typeE.numbered_sgpr, 11
	.set _ZN7rocprim17ROCPRIM_400000_NS6detail31init_lookback_scan_state_kernelINS1_19lookback_scan_stateIN3c104HalfELb0ELb1EEENS1_16block_id_wrapperIjLb1EEEEEvT_jT0_jPNS9_10value_typeE.num_named_barrier, 0
	.set _ZN7rocprim17ROCPRIM_400000_NS6detail31init_lookback_scan_state_kernelINS1_19lookback_scan_stateIN3c104HalfELb0ELb1EEENS1_16block_id_wrapperIjLb1EEEEEvT_jT0_jPNS9_10value_typeE.private_seg_size, 0
	.set _ZN7rocprim17ROCPRIM_400000_NS6detail31init_lookback_scan_state_kernelINS1_19lookback_scan_stateIN3c104HalfELb0ELb1EEENS1_16block_id_wrapperIjLb1EEEEEvT_jT0_jPNS9_10value_typeE.uses_vcc, 1
	.set _ZN7rocprim17ROCPRIM_400000_NS6detail31init_lookback_scan_state_kernelINS1_19lookback_scan_stateIN3c104HalfELb0ELb1EEENS1_16block_id_wrapperIjLb1EEEEEvT_jT0_jPNS9_10value_typeE.uses_flat_scratch, 0
	.set _ZN7rocprim17ROCPRIM_400000_NS6detail31init_lookback_scan_state_kernelINS1_19lookback_scan_stateIN3c104HalfELb0ELb1EEENS1_16block_id_wrapperIjLb1EEEEEvT_jT0_jPNS9_10value_typeE.has_dyn_sized_stack, 0
	.set _ZN7rocprim17ROCPRIM_400000_NS6detail31init_lookback_scan_state_kernelINS1_19lookback_scan_stateIN3c104HalfELb0ELb1EEENS1_16block_id_wrapperIjLb1EEEEEvT_jT0_jPNS9_10value_typeE.has_recursion, 0
	.set _ZN7rocprim17ROCPRIM_400000_NS6detail31init_lookback_scan_state_kernelINS1_19lookback_scan_stateIN3c104HalfELb0ELb1EEENS1_16block_id_wrapperIjLb1EEEEEvT_jT0_jPNS9_10value_typeE.has_indirect_call, 0
	.section	.AMDGPU.csdata,"",@progbits
; Kernel info:
; codeLenInByte = 372
; TotalNumSgprs: 15
; NumVgprs: 5
; ScratchSize: 0
; MemoryBound: 0
; FloatMode: 240
; IeeeMode: 1
; LDSByteSize: 0 bytes/workgroup (compile time only)
; SGPRBlocks: 1
; VGPRBlocks: 1
; NumSGPRsForWavesPerEU: 15
; NumVGPRsForWavesPerEU: 5
; Occupancy: 10
; WaveLimiterHint : 0
; COMPUTE_PGM_RSRC2:SCRATCH_EN: 0
; COMPUTE_PGM_RSRC2:USER_SGPR: 6
; COMPUTE_PGM_RSRC2:TRAP_HANDLER: 0
; COMPUTE_PGM_RSRC2:TGID_X_EN: 1
; COMPUTE_PGM_RSRC2:TGID_Y_EN: 0
; COMPUTE_PGM_RSRC2:TGID_Z_EN: 0
; COMPUTE_PGM_RSRC2:TIDIG_COMP_CNT: 0
	.section	.text._ZN7rocprim17ROCPRIM_400000_NS6detail17trampoline_kernelINS0_14default_configENS1_20scan_config_selectorIN3c104HalfEEEZZNS1_9scan_implILNS1_25lookback_scan_determinismE0ELb0ELb0ES3_PKS6_PS6_S6_ZZZN2at6native31launch_logcumsumexp_cuda_kernelERKNSD_10TensorBaseESH_lENKUlvE_clEvENKUlvE3_clEvEUlS6_S6_E_S6_EEDaPvRmT3_T4_T5_mT6_P12ihipStream_tbENKUlT_T0_E_clISt17integral_constantIbLb0EESX_IbLb1EEEEDaST_SU_EUlST_E_NS1_11comp_targetILNS1_3genE0ELNS1_11target_archE4294967295ELNS1_3gpuE0ELNS1_3repE0EEENS1_30default_config_static_selectorELNS0_4arch9wavefront6targetE1EEEvT1_,"axG",@progbits,_ZN7rocprim17ROCPRIM_400000_NS6detail17trampoline_kernelINS0_14default_configENS1_20scan_config_selectorIN3c104HalfEEEZZNS1_9scan_implILNS1_25lookback_scan_determinismE0ELb0ELb0ES3_PKS6_PS6_S6_ZZZN2at6native31launch_logcumsumexp_cuda_kernelERKNSD_10TensorBaseESH_lENKUlvE_clEvENKUlvE3_clEvEUlS6_S6_E_S6_EEDaPvRmT3_T4_T5_mT6_P12ihipStream_tbENKUlT_T0_E_clISt17integral_constantIbLb0EESX_IbLb1EEEEDaST_SU_EUlST_E_NS1_11comp_targetILNS1_3genE0ELNS1_11target_archE4294967295ELNS1_3gpuE0ELNS1_3repE0EEENS1_30default_config_static_selectorELNS0_4arch9wavefront6targetE1EEEvT1_,comdat
	.globl	_ZN7rocprim17ROCPRIM_400000_NS6detail17trampoline_kernelINS0_14default_configENS1_20scan_config_selectorIN3c104HalfEEEZZNS1_9scan_implILNS1_25lookback_scan_determinismE0ELb0ELb0ES3_PKS6_PS6_S6_ZZZN2at6native31launch_logcumsumexp_cuda_kernelERKNSD_10TensorBaseESH_lENKUlvE_clEvENKUlvE3_clEvEUlS6_S6_E_S6_EEDaPvRmT3_T4_T5_mT6_P12ihipStream_tbENKUlT_T0_E_clISt17integral_constantIbLb0EESX_IbLb1EEEEDaST_SU_EUlST_E_NS1_11comp_targetILNS1_3genE0ELNS1_11target_archE4294967295ELNS1_3gpuE0ELNS1_3repE0EEENS1_30default_config_static_selectorELNS0_4arch9wavefront6targetE1EEEvT1_ ; -- Begin function _ZN7rocprim17ROCPRIM_400000_NS6detail17trampoline_kernelINS0_14default_configENS1_20scan_config_selectorIN3c104HalfEEEZZNS1_9scan_implILNS1_25lookback_scan_determinismE0ELb0ELb0ES3_PKS6_PS6_S6_ZZZN2at6native31launch_logcumsumexp_cuda_kernelERKNSD_10TensorBaseESH_lENKUlvE_clEvENKUlvE3_clEvEUlS6_S6_E_S6_EEDaPvRmT3_T4_T5_mT6_P12ihipStream_tbENKUlT_T0_E_clISt17integral_constantIbLb0EESX_IbLb1EEEEDaST_SU_EUlST_E_NS1_11comp_targetILNS1_3genE0ELNS1_11target_archE4294967295ELNS1_3gpuE0ELNS1_3repE0EEENS1_30default_config_static_selectorELNS0_4arch9wavefront6targetE1EEEvT1_
	.p2align	8
	.type	_ZN7rocprim17ROCPRIM_400000_NS6detail17trampoline_kernelINS0_14default_configENS1_20scan_config_selectorIN3c104HalfEEEZZNS1_9scan_implILNS1_25lookback_scan_determinismE0ELb0ELb0ES3_PKS6_PS6_S6_ZZZN2at6native31launch_logcumsumexp_cuda_kernelERKNSD_10TensorBaseESH_lENKUlvE_clEvENKUlvE3_clEvEUlS6_S6_E_S6_EEDaPvRmT3_T4_T5_mT6_P12ihipStream_tbENKUlT_T0_E_clISt17integral_constantIbLb0EESX_IbLb1EEEEDaST_SU_EUlST_E_NS1_11comp_targetILNS1_3genE0ELNS1_11target_archE4294967295ELNS1_3gpuE0ELNS1_3repE0EEENS1_30default_config_static_selectorELNS0_4arch9wavefront6targetE1EEEvT1_,@function
_ZN7rocprim17ROCPRIM_400000_NS6detail17trampoline_kernelINS0_14default_configENS1_20scan_config_selectorIN3c104HalfEEEZZNS1_9scan_implILNS1_25lookback_scan_determinismE0ELb0ELb0ES3_PKS6_PS6_S6_ZZZN2at6native31launch_logcumsumexp_cuda_kernelERKNSD_10TensorBaseESH_lENKUlvE_clEvENKUlvE3_clEvEUlS6_S6_E_S6_EEDaPvRmT3_T4_T5_mT6_P12ihipStream_tbENKUlT_T0_E_clISt17integral_constantIbLb0EESX_IbLb1EEEEDaST_SU_EUlST_E_NS1_11comp_targetILNS1_3genE0ELNS1_11target_archE4294967295ELNS1_3gpuE0ELNS1_3repE0EEENS1_30default_config_static_selectorELNS0_4arch9wavefront6targetE1EEEvT1_: ; @_ZN7rocprim17ROCPRIM_400000_NS6detail17trampoline_kernelINS0_14default_configENS1_20scan_config_selectorIN3c104HalfEEEZZNS1_9scan_implILNS1_25lookback_scan_determinismE0ELb0ELb0ES3_PKS6_PS6_S6_ZZZN2at6native31launch_logcumsumexp_cuda_kernelERKNSD_10TensorBaseESH_lENKUlvE_clEvENKUlvE3_clEvEUlS6_S6_E_S6_EEDaPvRmT3_T4_T5_mT6_P12ihipStream_tbENKUlT_T0_E_clISt17integral_constantIbLb0EESX_IbLb1EEEEDaST_SU_EUlST_E_NS1_11comp_targetILNS1_3genE0ELNS1_11target_archE4294967295ELNS1_3gpuE0ELNS1_3repE0EEENS1_30default_config_static_selectorELNS0_4arch9wavefront6targetE1EEEvT1_
; %bb.0:
	.section	.rodata,"a",@progbits
	.p2align	6, 0x0
	.amdhsa_kernel _ZN7rocprim17ROCPRIM_400000_NS6detail17trampoline_kernelINS0_14default_configENS1_20scan_config_selectorIN3c104HalfEEEZZNS1_9scan_implILNS1_25lookback_scan_determinismE0ELb0ELb0ES3_PKS6_PS6_S6_ZZZN2at6native31launch_logcumsumexp_cuda_kernelERKNSD_10TensorBaseESH_lENKUlvE_clEvENKUlvE3_clEvEUlS6_S6_E_S6_EEDaPvRmT3_T4_T5_mT6_P12ihipStream_tbENKUlT_T0_E_clISt17integral_constantIbLb0EESX_IbLb1EEEEDaST_SU_EUlST_E_NS1_11comp_targetILNS1_3genE0ELNS1_11target_archE4294967295ELNS1_3gpuE0ELNS1_3repE0EEENS1_30default_config_static_selectorELNS0_4arch9wavefront6targetE1EEEvT1_
		.amdhsa_group_segment_fixed_size 0
		.amdhsa_private_segment_fixed_size 0
		.amdhsa_kernarg_size 96
		.amdhsa_user_sgpr_count 6
		.amdhsa_user_sgpr_private_segment_buffer 1
		.amdhsa_user_sgpr_dispatch_ptr 0
		.amdhsa_user_sgpr_queue_ptr 0
		.amdhsa_user_sgpr_kernarg_segment_ptr 1
		.amdhsa_user_sgpr_dispatch_id 0
		.amdhsa_user_sgpr_flat_scratch_init 0
		.amdhsa_user_sgpr_private_segment_size 0
		.amdhsa_uses_dynamic_stack 0
		.amdhsa_system_sgpr_private_segment_wavefront_offset 0
		.amdhsa_system_sgpr_workgroup_id_x 1
		.amdhsa_system_sgpr_workgroup_id_y 0
		.amdhsa_system_sgpr_workgroup_id_z 0
		.amdhsa_system_sgpr_workgroup_info 0
		.amdhsa_system_vgpr_workitem_id 0
		.amdhsa_next_free_vgpr 1
		.amdhsa_next_free_sgpr 0
		.amdhsa_reserve_vcc 0
		.amdhsa_reserve_flat_scratch 0
		.amdhsa_float_round_mode_32 0
		.amdhsa_float_round_mode_16_64 0
		.amdhsa_float_denorm_mode_32 3
		.amdhsa_float_denorm_mode_16_64 3
		.amdhsa_dx10_clamp 1
		.amdhsa_ieee_mode 1
		.amdhsa_fp16_overflow 0
		.amdhsa_exception_fp_ieee_invalid_op 0
		.amdhsa_exception_fp_denorm_src 0
		.amdhsa_exception_fp_ieee_div_zero 0
		.amdhsa_exception_fp_ieee_overflow 0
		.amdhsa_exception_fp_ieee_underflow 0
		.amdhsa_exception_fp_ieee_inexact 0
		.amdhsa_exception_int_div_zero 0
	.end_amdhsa_kernel
	.section	.text._ZN7rocprim17ROCPRIM_400000_NS6detail17trampoline_kernelINS0_14default_configENS1_20scan_config_selectorIN3c104HalfEEEZZNS1_9scan_implILNS1_25lookback_scan_determinismE0ELb0ELb0ES3_PKS6_PS6_S6_ZZZN2at6native31launch_logcumsumexp_cuda_kernelERKNSD_10TensorBaseESH_lENKUlvE_clEvENKUlvE3_clEvEUlS6_S6_E_S6_EEDaPvRmT3_T4_T5_mT6_P12ihipStream_tbENKUlT_T0_E_clISt17integral_constantIbLb0EESX_IbLb1EEEEDaST_SU_EUlST_E_NS1_11comp_targetILNS1_3genE0ELNS1_11target_archE4294967295ELNS1_3gpuE0ELNS1_3repE0EEENS1_30default_config_static_selectorELNS0_4arch9wavefront6targetE1EEEvT1_,"axG",@progbits,_ZN7rocprim17ROCPRIM_400000_NS6detail17trampoline_kernelINS0_14default_configENS1_20scan_config_selectorIN3c104HalfEEEZZNS1_9scan_implILNS1_25lookback_scan_determinismE0ELb0ELb0ES3_PKS6_PS6_S6_ZZZN2at6native31launch_logcumsumexp_cuda_kernelERKNSD_10TensorBaseESH_lENKUlvE_clEvENKUlvE3_clEvEUlS6_S6_E_S6_EEDaPvRmT3_T4_T5_mT6_P12ihipStream_tbENKUlT_T0_E_clISt17integral_constantIbLb0EESX_IbLb1EEEEDaST_SU_EUlST_E_NS1_11comp_targetILNS1_3genE0ELNS1_11target_archE4294967295ELNS1_3gpuE0ELNS1_3repE0EEENS1_30default_config_static_selectorELNS0_4arch9wavefront6targetE1EEEvT1_,comdat
.Lfunc_end416:
	.size	_ZN7rocprim17ROCPRIM_400000_NS6detail17trampoline_kernelINS0_14default_configENS1_20scan_config_selectorIN3c104HalfEEEZZNS1_9scan_implILNS1_25lookback_scan_determinismE0ELb0ELb0ES3_PKS6_PS6_S6_ZZZN2at6native31launch_logcumsumexp_cuda_kernelERKNSD_10TensorBaseESH_lENKUlvE_clEvENKUlvE3_clEvEUlS6_S6_E_S6_EEDaPvRmT3_T4_T5_mT6_P12ihipStream_tbENKUlT_T0_E_clISt17integral_constantIbLb0EESX_IbLb1EEEEDaST_SU_EUlST_E_NS1_11comp_targetILNS1_3genE0ELNS1_11target_archE4294967295ELNS1_3gpuE0ELNS1_3repE0EEENS1_30default_config_static_selectorELNS0_4arch9wavefront6targetE1EEEvT1_, .Lfunc_end416-_ZN7rocprim17ROCPRIM_400000_NS6detail17trampoline_kernelINS0_14default_configENS1_20scan_config_selectorIN3c104HalfEEEZZNS1_9scan_implILNS1_25lookback_scan_determinismE0ELb0ELb0ES3_PKS6_PS6_S6_ZZZN2at6native31launch_logcumsumexp_cuda_kernelERKNSD_10TensorBaseESH_lENKUlvE_clEvENKUlvE3_clEvEUlS6_S6_E_S6_EEDaPvRmT3_T4_T5_mT6_P12ihipStream_tbENKUlT_T0_E_clISt17integral_constantIbLb0EESX_IbLb1EEEEDaST_SU_EUlST_E_NS1_11comp_targetILNS1_3genE0ELNS1_11target_archE4294967295ELNS1_3gpuE0ELNS1_3repE0EEENS1_30default_config_static_selectorELNS0_4arch9wavefront6targetE1EEEvT1_
                                        ; -- End function
	.set _ZN7rocprim17ROCPRIM_400000_NS6detail17trampoline_kernelINS0_14default_configENS1_20scan_config_selectorIN3c104HalfEEEZZNS1_9scan_implILNS1_25lookback_scan_determinismE0ELb0ELb0ES3_PKS6_PS6_S6_ZZZN2at6native31launch_logcumsumexp_cuda_kernelERKNSD_10TensorBaseESH_lENKUlvE_clEvENKUlvE3_clEvEUlS6_S6_E_S6_EEDaPvRmT3_T4_T5_mT6_P12ihipStream_tbENKUlT_T0_E_clISt17integral_constantIbLb0EESX_IbLb1EEEEDaST_SU_EUlST_E_NS1_11comp_targetILNS1_3genE0ELNS1_11target_archE4294967295ELNS1_3gpuE0ELNS1_3repE0EEENS1_30default_config_static_selectorELNS0_4arch9wavefront6targetE1EEEvT1_.num_vgpr, 0
	.set _ZN7rocprim17ROCPRIM_400000_NS6detail17trampoline_kernelINS0_14default_configENS1_20scan_config_selectorIN3c104HalfEEEZZNS1_9scan_implILNS1_25lookback_scan_determinismE0ELb0ELb0ES3_PKS6_PS6_S6_ZZZN2at6native31launch_logcumsumexp_cuda_kernelERKNSD_10TensorBaseESH_lENKUlvE_clEvENKUlvE3_clEvEUlS6_S6_E_S6_EEDaPvRmT3_T4_T5_mT6_P12ihipStream_tbENKUlT_T0_E_clISt17integral_constantIbLb0EESX_IbLb1EEEEDaST_SU_EUlST_E_NS1_11comp_targetILNS1_3genE0ELNS1_11target_archE4294967295ELNS1_3gpuE0ELNS1_3repE0EEENS1_30default_config_static_selectorELNS0_4arch9wavefront6targetE1EEEvT1_.num_agpr, 0
	.set _ZN7rocprim17ROCPRIM_400000_NS6detail17trampoline_kernelINS0_14default_configENS1_20scan_config_selectorIN3c104HalfEEEZZNS1_9scan_implILNS1_25lookback_scan_determinismE0ELb0ELb0ES3_PKS6_PS6_S6_ZZZN2at6native31launch_logcumsumexp_cuda_kernelERKNSD_10TensorBaseESH_lENKUlvE_clEvENKUlvE3_clEvEUlS6_S6_E_S6_EEDaPvRmT3_T4_T5_mT6_P12ihipStream_tbENKUlT_T0_E_clISt17integral_constantIbLb0EESX_IbLb1EEEEDaST_SU_EUlST_E_NS1_11comp_targetILNS1_3genE0ELNS1_11target_archE4294967295ELNS1_3gpuE0ELNS1_3repE0EEENS1_30default_config_static_selectorELNS0_4arch9wavefront6targetE1EEEvT1_.numbered_sgpr, 0
	.set _ZN7rocprim17ROCPRIM_400000_NS6detail17trampoline_kernelINS0_14default_configENS1_20scan_config_selectorIN3c104HalfEEEZZNS1_9scan_implILNS1_25lookback_scan_determinismE0ELb0ELb0ES3_PKS6_PS6_S6_ZZZN2at6native31launch_logcumsumexp_cuda_kernelERKNSD_10TensorBaseESH_lENKUlvE_clEvENKUlvE3_clEvEUlS6_S6_E_S6_EEDaPvRmT3_T4_T5_mT6_P12ihipStream_tbENKUlT_T0_E_clISt17integral_constantIbLb0EESX_IbLb1EEEEDaST_SU_EUlST_E_NS1_11comp_targetILNS1_3genE0ELNS1_11target_archE4294967295ELNS1_3gpuE0ELNS1_3repE0EEENS1_30default_config_static_selectorELNS0_4arch9wavefront6targetE1EEEvT1_.num_named_barrier, 0
	.set _ZN7rocprim17ROCPRIM_400000_NS6detail17trampoline_kernelINS0_14default_configENS1_20scan_config_selectorIN3c104HalfEEEZZNS1_9scan_implILNS1_25lookback_scan_determinismE0ELb0ELb0ES3_PKS6_PS6_S6_ZZZN2at6native31launch_logcumsumexp_cuda_kernelERKNSD_10TensorBaseESH_lENKUlvE_clEvENKUlvE3_clEvEUlS6_S6_E_S6_EEDaPvRmT3_T4_T5_mT6_P12ihipStream_tbENKUlT_T0_E_clISt17integral_constantIbLb0EESX_IbLb1EEEEDaST_SU_EUlST_E_NS1_11comp_targetILNS1_3genE0ELNS1_11target_archE4294967295ELNS1_3gpuE0ELNS1_3repE0EEENS1_30default_config_static_selectorELNS0_4arch9wavefront6targetE1EEEvT1_.private_seg_size, 0
	.set _ZN7rocprim17ROCPRIM_400000_NS6detail17trampoline_kernelINS0_14default_configENS1_20scan_config_selectorIN3c104HalfEEEZZNS1_9scan_implILNS1_25lookback_scan_determinismE0ELb0ELb0ES3_PKS6_PS6_S6_ZZZN2at6native31launch_logcumsumexp_cuda_kernelERKNSD_10TensorBaseESH_lENKUlvE_clEvENKUlvE3_clEvEUlS6_S6_E_S6_EEDaPvRmT3_T4_T5_mT6_P12ihipStream_tbENKUlT_T0_E_clISt17integral_constantIbLb0EESX_IbLb1EEEEDaST_SU_EUlST_E_NS1_11comp_targetILNS1_3genE0ELNS1_11target_archE4294967295ELNS1_3gpuE0ELNS1_3repE0EEENS1_30default_config_static_selectorELNS0_4arch9wavefront6targetE1EEEvT1_.uses_vcc, 0
	.set _ZN7rocprim17ROCPRIM_400000_NS6detail17trampoline_kernelINS0_14default_configENS1_20scan_config_selectorIN3c104HalfEEEZZNS1_9scan_implILNS1_25lookback_scan_determinismE0ELb0ELb0ES3_PKS6_PS6_S6_ZZZN2at6native31launch_logcumsumexp_cuda_kernelERKNSD_10TensorBaseESH_lENKUlvE_clEvENKUlvE3_clEvEUlS6_S6_E_S6_EEDaPvRmT3_T4_T5_mT6_P12ihipStream_tbENKUlT_T0_E_clISt17integral_constantIbLb0EESX_IbLb1EEEEDaST_SU_EUlST_E_NS1_11comp_targetILNS1_3genE0ELNS1_11target_archE4294967295ELNS1_3gpuE0ELNS1_3repE0EEENS1_30default_config_static_selectorELNS0_4arch9wavefront6targetE1EEEvT1_.uses_flat_scratch, 0
	.set _ZN7rocprim17ROCPRIM_400000_NS6detail17trampoline_kernelINS0_14default_configENS1_20scan_config_selectorIN3c104HalfEEEZZNS1_9scan_implILNS1_25lookback_scan_determinismE0ELb0ELb0ES3_PKS6_PS6_S6_ZZZN2at6native31launch_logcumsumexp_cuda_kernelERKNSD_10TensorBaseESH_lENKUlvE_clEvENKUlvE3_clEvEUlS6_S6_E_S6_EEDaPvRmT3_T4_T5_mT6_P12ihipStream_tbENKUlT_T0_E_clISt17integral_constantIbLb0EESX_IbLb1EEEEDaST_SU_EUlST_E_NS1_11comp_targetILNS1_3genE0ELNS1_11target_archE4294967295ELNS1_3gpuE0ELNS1_3repE0EEENS1_30default_config_static_selectorELNS0_4arch9wavefront6targetE1EEEvT1_.has_dyn_sized_stack, 0
	.set _ZN7rocprim17ROCPRIM_400000_NS6detail17trampoline_kernelINS0_14default_configENS1_20scan_config_selectorIN3c104HalfEEEZZNS1_9scan_implILNS1_25lookback_scan_determinismE0ELb0ELb0ES3_PKS6_PS6_S6_ZZZN2at6native31launch_logcumsumexp_cuda_kernelERKNSD_10TensorBaseESH_lENKUlvE_clEvENKUlvE3_clEvEUlS6_S6_E_S6_EEDaPvRmT3_T4_T5_mT6_P12ihipStream_tbENKUlT_T0_E_clISt17integral_constantIbLb0EESX_IbLb1EEEEDaST_SU_EUlST_E_NS1_11comp_targetILNS1_3genE0ELNS1_11target_archE4294967295ELNS1_3gpuE0ELNS1_3repE0EEENS1_30default_config_static_selectorELNS0_4arch9wavefront6targetE1EEEvT1_.has_recursion, 0
	.set _ZN7rocprim17ROCPRIM_400000_NS6detail17trampoline_kernelINS0_14default_configENS1_20scan_config_selectorIN3c104HalfEEEZZNS1_9scan_implILNS1_25lookback_scan_determinismE0ELb0ELb0ES3_PKS6_PS6_S6_ZZZN2at6native31launch_logcumsumexp_cuda_kernelERKNSD_10TensorBaseESH_lENKUlvE_clEvENKUlvE3_clEvEUlS6_S6_E_S6_EEDaPvRmT3_T4_T5_mT6_P12ihipStream_tbENKUlT_T0_E_clISt17integral_constantIbLb0EESX_IbLb1EEEEDaST_SU_EUlST_E_NS1_11comp_targetILNS1_3genE0ELNS1_11target_archE4294967295ELNS1_3gpuE0ELNS1_3repE0EEENS1_30default_config_static_selectorELNS0_4arch9wavefront6targetE1EEEvT1_.has_indirect_call, 0
	.section	.AMDGPU.csdata,"",@progbits
; Kernel info:
; codeLenInByte = 0
; TotalNumSgprs: 4
; NumVgprs: 0
; ScratchSize: 0
; MemoryBound: 0
; FloatMode: 240
; IeeeMode: 1
; LDSByteSize: 0 bytes/workgroup (compile time only)
; SGPRBlocks: 0
; VGPRBlocks: 0
; NumSGPRsForWavesPerEU: 4
; NumVGPRsForWavesPerEU: 1
; Occupancy: 10
; WaveLimiterHint : 0
; COMPUTE_PGM_RSRC2:SCRATCH_EN: 0
; COMPUTE_PGM_RSRC2:USER_SGPR: 6
; COMPUTE_PGM_RSRC2:TRAP_HANDLER: 0
; COMPUTE_PGM_RSRC2:TGID_X_EN: 1
; COMPUTE_PGM_RSRC2:TGID_Y_EN: 0
; COMPUTE_PGM_RSRC2:TGID_Z_EN: 0
; COMPUTE_PGM_RSRC2:TIDIG_COMP_CNT: 0
	.section	.text._ZN7rocprim17ROCPRIM_400000_NS6detail17trampoline_kernelINS0_14default_configENS1_20scan_config_selectorIN3c104HalfEEEZZNS1_9scan_implILNS1_25lookback_scan_determinismE0ELb0ELb0ES3_PKS6_PS6_S6_ZZZN2at6native31launch_logcumsumexp_cuda_kernelERKNSD_10TensorBaseESH_lENKUlvE_clEvENKUlvE3_clEvEUlS6_S6_E_S6_EEDaPvRmT3_T4_T5_mT6_P12ihipStream_tbENKUlT_T0_E_clISt17integral_constantIbLb0EESX_IbLb1EEEEDaST_SU_EUlST_E_NS1_11comp_targetILNS1_3genE5ELNS1_11target_archE942ELNS1_3gpuE9ELNS1_3repE0EEENS1_30default_config_static_selectorELNS0_4arch9wavefront6targetE1EEEvT1_,"axG",@progbits,_ZN7rocprim17ROCPRIM_400000_NS6detail17trampoline_kernelINS0_14default_configENS1_20scan_config_selectorIN3c104HalfEEEZZNS1_9scan_implILNS1_25lookback_scan_determinismE0ELb0ELb0ES3_PKS6_PS6_S6_ZZZN2at6native31launch_logcumsumexp_cuda_kernelERKNSD_10TensorBaseESH_lENKUlvE_clEvENKUlvE3_clEvEUlS6_S6_E_S6_EEDaPvRmT3_T4_T5_mT6_P12ihipStream_tbENKUlT_T0_E_clISt17integral_constantIbLb0EESX_IbLb1EEEEDaST_SU_EUlST_E_NS1_11comp_targetILNS1_3genE5ELNS1_11target_archE942ELNS1_3gpuE9ELNS1_3repE0EEENS1_30default_config_static_selectorELNS0_4arch9wavefront6targetE1EEEvT1_,comdat
	.globl	_ZN7rocprim17ROCPRIM_400000_NS6detail17trampoline_kernelINS0_14default_configENS1_20scan_config_selectorIN3c104HalfEEEZZNS1_9scan_implILNS1_25lookback_scan_determinismE0ELb0ELb0ES3_PKS6_PS6_S6_ZZZN2at6native31launch_logcumsumexp_cuda_kernelERKNSD_10TensorBaseESH_lENKUlvE_clEvENKUlvE3_clEvEUlS6_S6_E_S6_EEDaPvRmT3_T4_T5_mT6_P12ihipStream_tbENKUlT_T0_E_clISt17integral_constantIbLb0EESX_IbLb1EEEEDaST_SU_EUlST_E_NS1_11comp_targetILNS1_3genE5ELNS1_11target_archE942ELNS1_3gpuE9ELNS1_3repE0EEENS1_30default_config_static_selectorELNS0_4arch9wavefront6targetE1EEEvT1_ ; -- Begin function _ZN7rocprim17ROCPRIM_400000_NS6detail17trampoline_kernelINS0_14default_configENS1_20scan_config_selectorIN3c104HalfEEEZZNS1_9scan_implILNS1_25lookback_scan_determinismE0ELb0ELb0ES3_PKS6_PS6_S6_ZZZN2at6native31launch_logcumsumexp_cuda_kernelERKNSD_10TensorBaseESH_lENKUlvE_clEvENKUlvE3_clEvEUlS6_S6_E_S6_EEDaPvRmT3_T4_T5_mT6_P12ihipStream_tbENKUlT_T0_E_clISt17integral_constantIbLb0EESX_IbLb1EEEEDaST_SU_EUlST_E_NS1_11comp_targetILNS1_3genE5ELNS1_11target_archE942ELNS1_3gpuE9ELNS1_3repE0EEENS1_30default_config_static_selectorELNS0_4arch9wavefront6targetE1EEEvT1_
	.p2align	8
	.type	_ZN7rocprim17ROCPRIM_400000_NS6detail17trampoline_kernelINS0_14default_configENS1_20scan_config_selectorIN3c104HalfEEEZZNS1_9scan_implILNS1_25lookback_scan_determinismE0ELb0ELb0ES3_PKS6_PS6_S6_ZZZN2at6native31launch_logcumsumexp_cuda_kernelERKNSD_10TensorBaseESH_lENKUlvE_clEvENKUlvE3_clEvEUlS6_S6_E_S6_EEDaPvRmT3_T4_T5_mT6_P12ihipStream_tbENKUlT_T0_E_clISt17integral_constantIbLb0EESX_IbLb1EEEEDaST_SU_EUlST_E_NS1_11comp_targetILNS1_3genE5ELNS1_11target_archE942ELNS1_3gpuE9ELNS1_3repE0EEENS1_30default_config_static_selectorELNS0_4arch9wavefront6targetE1EEEvT1_,@function
_ZN7rocprim17ROCPRIM_400000_NS6detail17trampoline_kernelINS0_14default_configENS1_20scan_config_selectorIN3c104HalfEEEZZNS1_9scan_implILNS1_25lookback_scan_determinismE0ELb0ELb0ES3_PKS6_PS6_S6_ZZZN2at6native31launch_logcumsumexp_cuda_kernelERKNSD_10TensorBaseESH_lENKUlvE_clEvENKUlvE3_clEvEUlS6_S6_E_S6_EEDaPvRmT3_T4_T5_mT6_P12ihipStream_tbENKUlT_T0_E_clISt17integral_constantIbLb0EESX_IbLb1EEEEDaST_SU_EUlST_E_NS1_11comp_targetILNS1_3genE5ELNS1_11target_archE942ELNS1_3gpuE9ELNS1_3repE0EEENS1_30default_config_static_selectorELNS0_4arch9wavefront6targetE1EEEvT1_: ; @_ZN7rocprim17ROCPRIM_400000_NS6detail17trampoline_kernelINS0_14default_configENS1_20scan_config_selectorIN3c104HalfEEEZZNS1_9scan_implILNS1_25lookback_scan_determinismE0ELb0ELb0ES3_PKS6_PS6_S6_ZZZN2at6native31launch_logcumsumexp_cuda_kernelERKNSD_10TensorBaseESH_lENKUlvE_clEvENKUlvE3_clEvEUlS6_S6_E_S6_EEDaPvRmT3_T4_T5_mT6_P12ihipStream_tbENKUlT_T0_E_clISt17integral_constantIbLb0EESX_IbLb1EEEEDaST_SU_EUlST_E_NS1_11comp_targetILNS1_3genE5ELNS1_11target_archE942ELNS1_3gpuE9ELNS1_3repE0EEENS1_30default_config_static_selectorELNS0_4arch9wavefront6targetE1EEEvT1_
; %bb.0:
	.section	.rodata,"a",@progbits
	.p2align	6, 0x0
	.amdhsa_kernel _ZN7rocprim17ROCPRIM_400000_NS6detail17trampoline_kernelINS0_14default_configENS1_20scan_config_selectorIN3c104HalfEEEZZNS1_9scan_implILNS1_25lookback_scan_determinismE0ELb0ELb0ES3_PKS6_PS6_S6_ZZZN2at6native31launch_logcumsumexp_cuda_kernelERKNSD_10TensorBaseESH_lENKUlvE_clEvENKUlvE3_clEvEUlS6_S6_E_S6_EEDaPvRmT3_T4_T5_mT6_P12ihipStream_tbENKUlT_T0_E_clISt17integral_constantIbLb0EESX_IbLb1EEEEDaST_SU_EUlST_E_NS1_11comp_targetILNS1_3genE5ELNS1_11target_archE942ELNS1_3gpuE9ELNS1_3repE0EEENS1_30default_config_static_selectorELNS0_4arch9wavefront6targetE1EEEvT1_
		.amdhsa_group_segment_fixed_size 0
		.amdhsa_private_segment_fixed_size 0
		.amdhsa_kernarg_size 96
		.amdhsa_user_sgpr_count 6
		.amdhsa_user_sgpr_private_segment_buffer 1
		.amdhsa_user_sgpr_dispatch_ptr 0
		.amdhsa_user_sgpr_queue_ptr 0
		.amdhsa_user_sgpr_kernarg_segment_ptr 1
		.amdhsa_user_sgpr_dispatch_id 0
		.amdhsa_user_sgpr_flat_scratch_init 0
		.amdhsa_user_sgpr_private_segment_size 0
		.amdhsa_uses_dynamic_stack 0
		.amdhsa_system_sgpr_private_segment_wavefront_offset 0
		.amdhsa_system_sgpr_workgroup_id_x 1
		.amdhsa_system_sgpr_workgroup_id_y 0
		.amdhsa_system_sgpr_workgroup_id_z 0
		.amdhsa_system_sgpr_workgroup_info 0
		.amdhsa_system_vgpr_workitem_id 0
		.amdhsa_next_free_vgpr 1
		.amdhsa_next_free_sgpr 0
		.amdhsa_reserve_vcc 0
		.amdhsa_reserve_flat_scratch 0
		.amdhsa_float_round_mode_32 0
		.amdhsa_float_round_mode_16_64 0
		.amdhsa_float_denorm_mode_32 3
		.amdhsa_float_denorm_mode_16_64 3
		.amdhsa_dx10_clamp 1
		.amdhsa_ieee_mode 1
		.amdhsa_fp16_overflow 0
		.amdhsa_exception_fp_ieee_invalid_op 0
		.amdhsa_exception_fp_denorm_src 0
		.amdhsa_exception_fp_ieee_div_zero 0
		.amdhsa_exception_fp_ieee_overflow 0
		.amdhsa_exception_fp_ieee_underflow 0
		.amdhsa_exception_fp_ieee_inexact 0
		.amdhsa_exception_int_div_zero 0
	.end_amdhsa_kernel
	.section	.text._ZN7rocprim17ROCPRIM_400000_NS6detail17trampoline_kernelINS0_14default_configENS1_20scan_config_selectorIN3c104HalfEEEZZNS1_9scan_implILNS1_25lookback_scan_determinismE0ELb0ELb0ES3_PKS6_PS6_S6_ZZZN2at6native31launch_logcumsumexp_cuda_kernelERKNSD_10TensorBaseESH_lENKUlvE_clEvENKUlvE3_clEvEUlS6_S6_E_S6_EEDaPvRmT3_T4_T5_mT6_P12ihipStream_tbENKUlT_T0_E_clISt17integral_constantIbLb0EESX_IbLb1EEEEDaST_SU_EUlST_E_NS1_11comp_targetILNS1_3genE5ELNS1_11target_archE942ELNS1_3gpuE9ELNS1_3repE0EEENS1_30default_config_static_selectorELNS0_4arch9wavefront6targetE1EEEvT1_,"axG",@progbits,_ZN7rocprim17ROCPRIM_400000_NS6detail17trampoline_kernelINS0_14default_configENS1_20scan_config_selectorIN3c104HalfEEEZZNS1_9scan_implILNS1_25lookback_scan_determinismE0ELb0ELb0ES3_PKS6_PS6_S6_ZZZN2at6native31launch_logcumsumexp_cuda_kernelERKNSD_10TensorBaseESH_lENKUlvE_clEvENKUlvE3_clEvEUlS6_S6_E_S6_EEDaPvRmT3_T4_T5_mT6_P12ihipStream_tbENKUlT_T0_E_clISt17integral_constantIbLb0EESX_IbLb1EEEEDaST_SU_EUlST_E_NS1_11comp_targetILNS1_3genE5ELNS1_11target_archE942ELNS1_3gpuE9ELNS1_3repE0EEENS1_30default_config_static_selectorELNS0_4arch9wavefront6targetE1EEEvT1_,comdat
.Lfunc_end417:
	.size	_ZN7rocprim17ROCPRIM_400000_NS6detail17trampoline_kernelINS0_14default_configENS1_20scan_config_selectorIN3c104HalfEEEZZNS1_9scan_implILNS1_25lookback_scan_determinismE0ELb0ELb0ES3_PKS6_PS6_S6_ZZZN2at6native31launch_logcumsumexp_cuda_kernelERKNSD_10TensorBaseESH_lENKUlvE_clEvENKUlvE3_clEvEUlS6_S6_E_S6_EEDaPvRmT3_T4_T5_mT6_P12ihipStream_tbENKUlT_T0_E_clISt17integral_constantIbLb0EESX_IbLb1EEEEDaST_SU_EUlST_E_NS1_11comp_targetILNS1_3genE5ELNS1_11target_archE942ELNS1_3gpuE9ELNS1_3repE0EEENS1_30default_config_static_selectorELNS0_4arch9wavefront6targetE1EEEvT1_, .Lfunc_end417-_ZN7rocprim17ROCPRIM_400000_NS6detail17trampoline_kernelINS0_14default_configENS1_20scan_config_selectorIN3c104HalfEEEZZNS1_9scan_implILNS1_25lookback_scan_determinismE0ELb0ELb0ES3_PKS6_PS6_S6_ZZZN2at6native31launch_logcumsumexp_cuda_kernelERKNSD_10TensorBaseESH_lENKUlvE_clEvENKUlvE3_clEvEUlS6_S6_E_S6_EEDaPvRmT3_T4_T5_mT6_P12ihipStream_tbENKUlT_T0_E_clISt17integral_constantIbLb0EESX_IbLb1EEEEDaST_SU_EUlST_E_NS1_11comp_targetILNS1_3genE5ELNS1_11target_archE942ELNS1_3gpuE9ELNS1_3repE0EEENS1_30default_config_static_selectorELNS0_4arch9wavefront6targetE1EEEvT1_
                                        ; -- End function
	.set _ZN7rocprim17ROCPRIM_400000_NS6detail17trampoline_kernelINS0_14default_configENS1_20scan_config_selectorIN3c104HalfEEEZZNS1_9scan_implILNS1_25lookback_scan_determinismE0ELb0ELb0ES3_PKS6_PS6_S6_ZZZN2at6native31launch_logcumsumexp_cuda_kernelERKNSD_10TensorBaseESH_lENKUlvE_clEvENKUlvE3_clEvEUlS6_S6_E_S6_EEDaPvRmT3_T4_T5_mT6_P12ihipStream_tbENKUlT_T0_E_clISt17integral_constantIbLb0EESX_IbLb1EEEEDaST_SU_EUlST_E_NS1_11comp_targetILNS1_3genE5ELNS1_11target_archE942ELNS1_3gpuE9ELNS1_3repE0EEENS1_30default_config_static_selectorELNS0_4arch9wavefront6targetE1EEEvT1_.num_vgpr, 0
	.set _ZN7rocprim17ROCPRIM_400000_NS6detail17trampoline_kernelINS0_14default_configENS1_20scan_config_selectorIN3c104HalfEEEZZNS1_9scan_implILNS1_25lookback_scan_determinismE0ELb0ELb0ES3_PKS6_PS6_S6_ZZZN2at6native31launch_logcumsumexp_cuda_kernelERKNSD_10TensorBaseESH_lENKUlvE_clEvENKUlvE3_clEvEUlS6_S6_E_S6_EEDaPvRmT3_T4_T5_mT6_P12ihipStream_tbENKUlT_T0_E_clISt17integral_constantIbLb0EESX_IbLb1EEEEDaST_SU_EUlST_E_NS1_11comp_targetILNS1_3genE5ELNS1_11target_archE942ELNS1_3gpuE9ELNS1_3repE0EEENS1_30default_config_static_selectorELNS0_4arch9wavefront6targetE1EEEvT1_.num_agpr, 0
	.set _ZN7rocprim17ROCPRIM_400000_NS6detail17trampoline_kernelINS0_14default_configENS1_20scan_config_selectorIN3c104HalfEEEZZNS1_9scan_implILNS1_25lookback_scan_determinismE0ELb0ELb0ES3_PKS6_PS6_S6_ZZZN2at6native31launch_logcumsumexp_cuda_kernelERKNSD_10TensorBaseESH_lENKUlvE_clEvENKUlvE3_clEvEUlS6_S6_E_S6_EEDaPvRmT3_T4_T5_mT6_P12ihipStream_tbENKUlT_T0_E_clISt17integral_constantIbLb0EESX_IbLb1EEEEDaST_SU_EUlST_E_NS1_11comp_targetILNS1_3genE5ELNS1_11target_archE942ELNS1_3gpuE9ELNS1_3repE0EEENS1_30default_config_static_selectorELNS0_4arch9wavefront6targetE1EEEvT1_.numbered_sgpr, 0
	.set _ZN7rocprim17ROCPRIM_400000_NS6detail17trampoline_kernelINS0_14default_configENS1_20scan_config_selectorIN3c104HalfEEEZZNS1_9scan_implILNS1_25lookback_scan_determinismE0ELb0ELb0ES3_PKS6_PS6_S6_ZZZN2at6native31launch_logcumsumexp_cuda_kernelERKNSD_10TensorBaseESH_lENKUlvE_clEvENKUlvE3_clEvEUlS6_S6_E_S6_EEDaPvRmT3_T4_T5_mT6_P12ihipStream_tbENKUlT_T0_E_clISt17integral_constantIbLb0EESX_IbLb1EEEEDaST_SU_EUlST_E_NS1_11comp_targetILNS1_3genE5ELNS1_11target_archE942ELNS1_3gpuE9ELNS1_3repE0EEENS1_30default_config_static_selectorELNS0_4arch9wavefront6targetE1EEEvT1_.num_named_barrier, 0
	.set _ZN7rocprim17ROCPRIM_400000_NS6detail17trampoline_kernelINS0_14default_configENS1_20scan_config_selectorIN3c104HalfEEEZZNS1_9scan_implILNS1_25lookback_scan_determinismE0ELb0ELb0ES3_PKS6_PS6_S6_ZZZN2at6native31launch_logcumsumexp_cuda_kernelERKNSD_10TensorBaseESH_lENKUlvE_clEvENKUlvE3_clEvEUlS6_S6_E_S6_EEDaPvRmT3_T4_T5_mT6_P12ihipStream_tbENKUlT_T0_E_clISt17integral_constantIbLb0EESX_IbLb1EEEEDaST_SU_EUlST_E_NS1_11comp_targetILNS1_3genE5ELNS1_11target_archE942ELNS1_3gpuE9ELNS1_3repE0EEENS1_30default_config_static_selectorELNS0_4arch9wavefront6targetE1EEEvT1_.private_seg_size, 0
	.set _ZN7rocprim17ROCPRIM_400000_NS6detail17trampoline_kernelINS0_14default_configENS1_20scan_config_selectorIN3c104HalfEEEZZNS1_9scan_implILNS1_25lookback_scan_determinismE0ELb0ELb0ES3_PKS6_PS6_S6_ZZZN2at6native31launch_logcumsumexp_cuda_kernelERKNSD_10TensorBaseESH_lENKUlvE_clEvENKUlvE3_clEvEUlS6_S6_E_S6_EEDaPvRmT3_T4_T5_mT6_P12ihipStream_tbENKUlT_T0_E_clISt17integral_constantIbLb0EESX_IbLb1EEEEDaST_SU_EUlST_E_NS1_11comp_targetILNS1_3genE5ELNS1_11target_archE942ELNS1_3gpuE9ELNS1_3repE0EEENS1_30default_config_static_selectorELNS0_4arch9wavefront6targetE1EEEvT1_.uses_vcc, 0
	.set _ZN7rocprim17ROCPRIM_400000_NS6detail17trampoline_kernelINS0_14default_configENS1_20scan_config_selectorIN3c104HalfEEEZZNS1_9scan_implILNS1_25lookback_scan_determinismE0ELb0ELb0ES3_PKS6_PS6_S6_ZZZN2at6native31launch_logcumsumexp_cuda_kernelERKNSD_10TensorBaseESH_lENKUlvE_clEvENKUlvE3_clEvEUlS6_S6_E_S6_EEDaPvRmT3_T4_T5_mT6_P12ihipStream_tbENKUlT_T0_E_clISt17integral_constantIbLb0EESX_IbLb1EEEEDaST_SU_EUlST_E_NS1_11comp_targetILNS1_3genE5ELNS1_11target_archE942ELNS1_3gpuE9ELNS1_3repE0EEENS1_30default_config_static_selectorELNS0_4arch9wavefront6targetE1EEEvT1_.uses_flat_scratch, 0
	.set _ZN7rocprim17ROCPRIM_400000_NS6detail17trampoline_kernelINS0_14default_configENS1_20scan_config_selectorIN3c104HalfEEEZZNS1_9scan_implILNS1_25lookback_scan_determinismE0ELb0ELb0ES3_PKS6_PS6_S6_ZZZN2at6native31launch_logcumsumexp_cuda_kernelERKNSD_10TensorBaseESH_lENKUlvE_clEvENKUlvE3_clEvEUlS6_S6_E_S6_EEDaPvRmT3_T4_T5_mT6_P12ihipStream_tbENKUlT_T0_E_clISt17integral_constantIbLb0EESX_IbLb1EEEEDaST_SU_EUlST_E_NS1_11comp_targetILNS1_3genE5ELNS1_11target_archE942ELNS1_3gpuE9ELNS1_3repE0EEENS1_30default_config_static_selectorELNS0_4arch9wavefront6targetE1EEEvT1_.has_dyn_sized_stack, 0
	.set _ZN7rocprim17ROCPRIM_400000_NS6detail17trampoline_kernelINS0_14default_configENS1_20scan_config_selectorIN3c104HalfEEEZZNS1_9scan_implILNS1_25lookback_scan_determinismE0ELb0ELb0ES3_PKS6_PS6_S6_ZZZN2at6native31launch_logcumsumexp_cuda_kernelERKNSD_10TensorBaseESH_lENKUlvE_clEvENKUlvE3_clEvEUlS6_S6_E_S6_EEDaPvRmT3_T4_T5_mT6_P12ihipStream_tbENKUlT_T0_E_clISt17integral_constantIbLb0EESX_IbLb1EEEEDaST_SU_EUlST_E_NS1_11comp_targetILNS1_3genE5ELNS1_11target_archE942ELNS1_3gpuE9ELNS1_3repE0EEENS1_30default_config_static_selectorELNS0_4arch9wavefront6targetE1EEEvT1_.has_recursion, 0
	.set _ZN7rocprim17ROCPRIM_400000_NS6detail17trampoline_kernelINS0_14default_configENS1_20scan_config_selectorIN3c104HalfEEEZZNS1_9scan_implILNS1_25lookback_scan_determinismE0ELb0ELb0ES3_PKS6_PS6_S6_ZZZN2at6native31launch_logcumsumexp_cuda_kernelERKNSD_10TensorBaseESH_lENKUlvE_clEvENKUlvE3_clEvEUlS6_S6_E_S6_EEDaPvRmT3_T4_T5_mT6_P12ihipStream_tbENKUlT_T0_E_clISt17integral_constantIbLb0EESX_IbLb1EEEEDaST_SU_EUlST_E_NS1_11comp_targetILNS1_3genE5ELNS1_11target_archE942ELNS1_3gpuE9ELNS1_3repE0EEENS1_30default_config_static_selectorELNS0_4arch9wavefront6targetE1EEEvT1_.has_indirect_call, 0
	.section	.AMDGPU.csdata,"",@progbits
; Kernel info:
; codeLenInByte = 0
; TotalNumSgprs: 4
; NumVgprs: 0
; ScratchSize: 0
; MemoryBound: 0
; FloatMode: 240
; IeeeMode: 1
; LDSByteSize: 0 bytes/workgroup (compile time only)
; SGPRBlocks: 0
; VGPRBlocks: 0
; NumSGPRsForWavesPerEU: 4
; NumVGPRsForWavesPerEU: 1
; Occupancy: 10
; WaveLimiterHint : 0
; COMPUTE_PGM_RSRC2:SCRATCH_EN: 0
; COMPUTE_PGM_RSRC2:USER_SGPR: 6
; COMPUTE_PGM_RSRC2:TRAP_HANDLER: 0
; COMPUTE_PGM_RSRC2:TGID_X_EN: 1
; COMPUTE_PGM_RSRC2:TGID_Y_EN: 0
; COMPUTE_PGM_RSRC2:TGID_Z_EN: 0
; COMPUTE_PGM_RSRC2:TIDIG_COMP_CNT: 0
	.section	.text._ZN7rocprim17ROCPRIM_400000_NS6detail17trampoline_kernelINS0_14default_configENS1_20scan_config_selectorIN3c104HalfEEEZZNS1_9scan_implILNS1_25lookback_scan_determinismE0ELb0ELb0ES3_PKS6_PS6_S6_ZZZN2at6native31launch_logcumsumexp_cuda_kernelERKNSD_10TensorBaseESH_lENKUlvE_clEvENKUlvE3_clEvEUlS6_S6_E_S6_EEDaPvRmT3_T4_T5_mT6_P12ihipStream_tbENKUlT_T0_E_clISt17integral_constantIbLb0EESX_IbLb1EEEEDaST_SU_EUlST_E_NS1_11comp_targetILNS1_3genE4ELNS1_11target_archE910ELNS1_3gpuE8ELNS1_3repE0EEENS1_30default_config_static_selectorELNS0_4arch9wavefront6targetE1EEEvT1_,"axG",@progbits,_ZN7rocprim17ROCPRIM_400000_NS6detail17trampoline_kernelINS0_14default_configENS1_20scan_config_selectorIN3c104HalfEEEZZNS1_9scan_implILNS1_25lookback_scan_determinismE0ELb0ELb0ES3_PKS6_PS6_S6_ZZZN2at6native31launch_logcumsumexp_cuda_kernelERKNSD_10TensorBaseESH_lENKUlvE_clEvENKUlvE3_clEvEUlS6_S6_E_S6_EEDaPvRmT3_T4_T5_mT6_P12ihipStream_tbENKUlT_T0_E_clISt17integral_constantIbLb0EESX_IbLb1EEEEDaST_SU_EUlST_E_NS1_11comp_targetILNS1_3genE4ELNS1_11target_archE910ELNS1_3gpuE8ELNS1_3repE0EEENS1_30default_config_static_selectorELNS0_4arch9wavefront6targetE1EEEvT1_,comdat
	.globl	_ZN7rocprim17ROCPRIM_400000_NS6detail17trampoline_kernelINS0_14default_configENS1_20scan_config_selectorIN3c104HalfEEEZZNS1_9scan_implILNS1_25lookback_scan_determinismE0ELb0ELb0ES3_PKS6_PS6_S6_ZZZN2at6native31launch_logcumsumexp_cuda_kernelERKNSD_10TensorBaseESH_lENKUlvE_clEvENKUlvE3_clEvEUlS6_S6_E_S6_EEDaPvRmT3_T4_T5_mT6_P12ihipStream_tbENKUlT_T0_E_clISt17integral_constantIbLb0EESX_IbLb1EEEEDaST_SU_EUlST_E_NS1_11comp_targetILNS1_3genE4ELNS1_11target_archE910ELNS1_3gpuE8ELNS1_3repE0EEENS1_30default_config_static_selectorELNS0_4arch9wavefront6targetE1EEEvT1_ ; -- Begin function _ZN7rocprim17ROCPRIM_400000_NS6detail17trampoline_kernelINS0_14default_configENS1_20scan_config_selectorIN3c104HalfEEEZZNS1_9scan_implILNS1_25lookback_scan_determinismE0ELb0ELb0ES3_PKS6_PS6_S6_ZZZN2at6native31launch_logcumsumexp_cuda_kernelERKNSD_10TensorBaseESH_lENKUlvE_clEvENKUlvE3_clEvEUlS6_S6_E_S6_EEDaPvRmT3_T4_T5_mT6_P12ihipStream_tbENKUlT_T0_E_clISt17integral_constantIbLb0EESX_IbLb1EEEEDaST_SU_EUlST_E_NS1_11comp_targetILNS1_3genE4ELNS1_11target_archE910ELNS1_3gpuE8ELNS1_3repE0EEENS1_30default_config_static_selectorELNS0_4arch9wavefront6targetE1EEEvT1_
	.p2align	8
	.type	_ZN7rocprim17ROCPRIM_400000_NS6detail17trampoline_kernelINS0_14default_configENS1_20scan_config_selectorIN3c104HalfEEEZZNS1_9scan_implILNS1_25lookback_scan_determinismE0ELb0ELb0ES3_PKS6_PS6_S6_ZZZN2at6native31launch_logcumsumexp_cuda_kernelERKNSD_10TensorBaseESH_lENKUlvE_clEvENKUlvE3_clEvEUlS6_S6_E_S6_EEDaPvRmT3_T4_T5_mT6_P12ihipStream_tbENKUlT_T0_E_clISt17integral_constantIbLb0EESX_IbLb1EEEEDaST_SU_EUlST_E_NS1_11comp_targetILNS1_3genE4ELNS1_11target_archE910ELNS1_3gpuE8ELNS1_3repE0EEENS1_30default_config_static_selectorELNS0_4arch9wavefront6targetE1EEEvT1_,@function
_ZN7rocprim17ROCPRIM_400000_NS6detail17trampoline_kernelINS0_14default_configENS1_20scan_config_selectorIN3c104HalfEEEZZNS1_9scan_implILNS1_25lookback_scan_determinismE0ELb0ELb0ES3_PKS6_PS6_S6_ZZZN2at6native31launch_logcumsumexp_cuda_kernelERKNSD_10TensorBaseESH_lENKUlvE_clEvENKUlvE3_clEvEUlS6_S6_E_S6_EEDaPvRmT3_T4_T5_mT6_P12ihipStream_tbENKUlT_T0_E_clISt17integral_constantIbLb0EESX_IbLb1EEEEDaST_SU_EUlST_E_NS1_11comp_targetILNS1_3genE4ELNS1_11target_archE910ELNS1_3gpuE8ELNS1_3repE0EEENS1_30default_config_static_selectorELNS0_4arch9wavefront6targetE1EEEvT1_: ; @_ZN7rocprim17ROCPRIM_400000_NS6detail17trampoline_kernelINS0_14default_configENS1_20scan_config_selectorIN3c104HalfEEEZZNS1_9scan_implILNS1_25lookback_scan_determinismE0ELb0ELb0ES3_PKS6_PS6_S6_ZZZN2at6native31launch_logcumsumexp_cuda_kernelERKNSD_10TensorBaseESH_lENKUlvE_clEvENKUlvE3_clEvEUlS6_S6_E_S6_EEDaPvRmT3_T4_T5_mT6_P12ihipStream_tbENKUlT_T0_E_clISt17integral_constantIbLb0EESX_IbLb1EEEEDaST_SU_EUlST_E_NS1_11comp_targetILNS1_3genE4ELNS1_11target_archE910ELNS1_3gpuE8ELNS1_3repE0EEENS1_30default_config_static_selectorELNS0_4arch9wavefront6targetE1EEEvT1_
; %bb.0:
	.section	.rodata,"a",@progbits
	.p2align	6, 0x0
	.amdhsa_kernel _ZN7rocprim17ROCPRIM_400000_NS6detail17trampoline_kernelINS0_14default_configENS1_20scan_config_selectorIN3c104HalfEEEZZNS1_9scan_implILNS1_25lookback_scan_determinismE0ELb0ELb0ES3_PKS6_PS6_S6_ZZZN2at6native31launch_logcumsumexp_cuda_kernelERKNSD_10TensorBaseESH_lENKUlvE_clEvENKUlvE3_clEvEUlS6_S6_E_S6_EEDaPvRmT3_T4_T5_mT6_P12ihipStream_tbENKUlT_T0_E_clISt17integral_constantIbLb0EESX_IbLb1EEEEDaST_SU_EUlST_E_NS1_11comp_targetILNS1_3genE4ELNS1_11target_archE910ELNS1_3gpuE8ELNS1_3repE0EEENS1_30default_config_static_selectorELNS0_4arch9wavefront6targetE1EEEvT1_
		.amdhsa_group_segment_fixed_size 0
		.amdhsa_private_segment_fixed_size 0
		.amdhsa_kernarg_size 96
		.amdhsa_user_sgpr_count 6
		.amdhsa_user_sgpr_private_segment_buffer 1
		.amdhsa_user_sgpr_dispatch_ptr 0
		.amdhsa_user_sgpr_queue_ptr 0
		.amdhsa_user_sgpr_kernarg_segment_ptr 1
		.amdhsa_user_sgpr_dispatch_id 0
		.amdhsa_user_sgpr_flat_scratch_init 0
		.amdhsa_user_sgpr_private_segment_size 0
		.amdhsa_uses_dynamic_stack 0
		.amdhsa_system_sgpr_private_segment_wavefront_offset 0
		.amdhsa_system_sgpr_workgroup_id_x 1
		.amdhsa_system_sgpr_workgroup_id_y 0
		.amdhsa_system_sgpr_workgroup_id_z 0
		.amdhsa_system_sgpr_workgroup_info 0
		.amdhsa_system_vgpr_workitem_id 0
		.amdhsa_next_free_vgpr 1
		.amdhsa_next_free_sgpr 0
		.amdhsa_reserve_vcc 0
		.amdhsa_reserve_flat_scratch 0
		.amdhsa_float_round_mode_32 0
		.amdhsa_float_round_mode_16_64 0
		.amdhsa_float_denorm_mode_32 3
		.amdhsa_float_denorm_mode_16_64 3
		.amdhsa_dx10_clamp 1
		.amdhsa_ieee_mode 1
		.amdhsa_fp16_overflow 0
		.amdhsa_exception_fp_ieee_invalid_op 0
		.amdhsa_exception_fp_denorm_src 0
		.amdhsa_exception_fp_ieee_div_zero 0
		.amdhsa_exception_fp_ieee_overflow 0
		.amdhsa_exception_fp_ieee_underflow 0
		.amdhsa_exception_fp_ieee_inexact 0
		.amdhsa_exception_int_div_zero 0
	.end_amdhsa_kernel
	.section	.text._ZN7rocprim17ROCPRIM_400000_NS6detail17trampoline_kernelINS0_14default_configENS1_20scan_config_selectorIN3c104HalfEEEZZNS1_9scan_implILNS1_25lookback_scan_determinismE0ELb0ELb0ES3_PKS6_PS6_S6_ZZZN2at6native31launch_logcumsumexp_cuda_kernelERKNSD_10TensorBaseESH_lENKUlvE_clEvENKUlvE3_clEvEUlS6_S6_E_S6_EEDaPvRmT3_T4_T5_mT6_P12ihipStream_tbENKUlT_T0_E_clISt17integral_constantIbLb0EESX_IbLb1EEEEDaST_SU_EUlST_E_NS1_11comp_targetILNS1_3genE4ELNS1_11target_archE910ELNS1_3gpuE8ELNS1_3repE0EEENS1_30default_config_static_selectorELNS0_4arch9wavefront6targetE1EEEvT1_,"axG",@progbits,_ZN7rocprim17ROCPRIM_400000_NS6detail17trampoline_kernelINS0_14default_configENS1_20scan_config_selectorIN3c104HalfEEEZZNS1_9scan_implILNS1_25lookback_scan_determinismE0ELb0ELb0ES3_PKS6_PS6_S6_ZZZN2at6native31launch_logcumsumexp_cuda_kernelERKNSD_10TensorBaseESH_lENKUlvE_clEvENKUlvE3_clEvEUlS6_S6_E_S6_EEDaPvRmT3_T4_T5_mT6_P12ihipStream_tbENKUlT_T0_E_clISt17integral_constantIbLb0EESX_IbLb1EEEEDaST_SU_EUlST_E_NS1_11comp_targetILNS1_3genE4ELNS1_11target_archE910ELNS1_3gpuE8ELNS1_3repE0EEENS1_30default_config_static_selectorELNS0_4arch9wavefront6targetE1EEEvT1_,comdat
.Lfunc_end418:
	.size	_ZN7rocprim17ROCPRIM_400000_NS6detail17trampoline_kernelINS0_14default_configENS1_20scan_config_selectorIN3c104HalfEEEZZNS1_9scan_implILNS1_25lookback_scan_determinismE0ELb0ELb0ES3_PKS6_PS6_S6_ZZZN2at6native31launch_logcumsumexp_cuda_kernelERKNSD_10TensorBaseESH_lENKUlvE_clEvENKUlvE3_clEvEUlS6_S6_E_S6_EEDaPvRmT3_T4_T5_mT6_P12ihipStream_tbENKUlT_T0_E_clISt17integral_constantIbLb0EESX_IbLb1EEEEDaST_SU_EUlST_E_NS1_11comp_targetILNS1_3genE4ELNS1_11target_archE910ELNS1_3gpuE8ELNS1_3repE0EEENS1_30default_config_static_selectorELNS0_4arch9wavefront6targetE1EEEvT1_, .Lfunc_end418-_ZN7rocprim17ROCPRIM_400000_NS6detail17trampoline_kernelINS0_14default_configENS1_20scan_config_selectorIN3c104HalfEEEZZNS1_9scan_implILNS1_25lookback_scan_determinismE0ELb0ELb0ES3_PKS6_PS6_S6_ZZZN2at6native31launch_logcumsumexp_cuda_kernelERKNSD_10TensorBaseESH_lENKUlvE_clEvENKUlvE3_clEvEUlS6_S6_E_S6_EEDaPvRmT3_T4_T5_mT6_P12ihipStream_tbENKUlT_T0_E_clISt17integral_constantIbLb0EESX_IbLb1EEEEDaST_SU_EUlST_E_NS1_11comp_targetILNS1_3genE4ELNS1_11target_archE910ELNS1_3gpuE8ELNS1_3repE0EEENS1_30default_config_static_selectorELNS0_4arch9wavefront6targetE1EEEvT1_
                                        ; -- End function
	.set _ZN7rocprim17ROCPRIM_400000_NS6detail17trampoline_kernelINS0_14default_configENS1_20scan_config_selectorIN3c104HalfEEEZZNS1_9scan_implILNS1_25lookback_scan_determinismE0ELb0ELb0ES3_PKS6_PS6_S6_ZZZN2at6native31launch_logcumsumexp_cuda_kernelERKNSD_10TensorBaseESH_lENKUlvE_clEvENKUlvE3_clEvEUlS6_S6_E_S6_EEDaPvRmT3_T4_T5_mT6_P12ihipStream_tbENKUlT_T0_E_clISt17integral_constantIbLb0EESX_IbLb1EEEEDaST_SU_EUlST_E_NS1_11comp_targetILNS1_3genE4ELNS1_11target_archE910ELNS1_3gpuE8ELNS1_3repE0EEENS1_30default_config_static_selectorELNS0_4arch9wavefront6targetE1EEEvT1_.num_vgpr, 0
	.set _ZN7rocprim17ROCPRIM_400000_NS6detail17trampoline_kernelINS0_14default_configENS1_20scan_config_selectorIN3c104HalfEEEZZNS1_9scan_implILNS1_25lookback_scan_determinismE0ELb0ELb0ES3_PKS6_PS6_S6_ZZZN2at6native31launch_logcumsumexp_cuda_kernelERKNSD_10TensorBaseESH_lENKUlvE_clEvENKUlvE3_clEvEUlS6_S6_E_S6_EEDaPvRmT3_T4_T5_mT6_P12ihipStream_tbENKUlT_T0_E_clISt17integral_constantIbLb0EESX_IbLb1EEEEDaST_SU_EUlST_E_NS1_11comp_targetILNS1_3genE4ELNS1_11target_archE910ELNS1_3gpuE8ELNS1_3repE0EEENS1_30default_config_static_selectorELNS0_4arch9wavefront6targetE1EEEvT1_.num_agpr, 0
	.set _ZN7rocprim17ROCPRIM_400000_NS6detail17trampoline_kernelINS0_14default_configENS1_20scan_config_selectorIN3c104HalfEEEZZNS1_9scan_implILNS1_25lookback_scan_determinismE0ELb0ELb0ES3_PKS6_PS6_S6_ZZZN2at6native31launch_logcumsumexp_cuda_kernelERKNSD_10TensorBaseESH_lENKUlvE_clEvENKUlvE3_clEvEUlS6_S6_E_S6_EEDaPvRmT3_T4_T5_mT6_P12ihipStream_tbENKUlT_T0_E_clISt17integral_constantIbLb0EESX_IbLb1EEEEDaST_SU_EUlST_E_NS1_11comp_targetILNS1_3genE4ELNS1_11target_archE910ELNS1_3gpuE8ELNS1_3repE0EEENS1_30default_config_static_selectorELNS0_4arch9wavefront6targetE1EEEvT1_.numbered_sgpr, 0
	.set _ZN7rocprim17ROCPRIM_400000_NS6detail17trampoline_kernelINS0_14default_configENS1_20scan_config_selectorIN3c104HalfEEEZZNS1_9scan_implILNS1_25lookback_scan_determinismE0ELb0ELb0ES3_PKS6_PS6_S6_ZZZN2at6native31launch_logcumsumexp_cuda_kernelERKNSD_10TensorBaseESH_lENKUlvE_clEvENKUlvE3_clEvEUlS6_S6_E_S6_EEDaPvRmT3_T4_T5_mT6_P12ihipStream_tbENKUlT_T0_E_clISt17integral_constantIbLb0EESX_IbLb1EEEEDaST_SU_EUlST_E_NS1_11comp_targetILNS1_3genE4ELNS1_11target_archE910ELNS1_3gpuE8ELNS1_3repE0EEENS1_30default_config_static_selectorELNS0_4arch9wavefront6targetE1EEEvT1_.num_named_barrier, 0
	.set _ZN7rocprim17ROCPRIM_400000_NS6detail17trampoline_kernelINS0_14default_configENS1_20scan_config_selectorIN3c104HalfEEEZZNS1_9scan_implILNS1_25lookback_scan_determinismE0ELb0ELb0ES3_PKS6_PS6_S6_ZZZN2at6native31launch_logcumsumexp_cuda_kernelERKNSD_10TensorBaseESH_lENKUlvE_clEvENKUlvE3_clEvEUlS6_S6_E_S6_EEDaPvRmT3_T4_T5_mT6_P12ihipStream_tbENKUlT_T0_E_clISt17integral_constantIbLb0EESX_IbLb1EEEEDaST_SU_EUlST_E_NS1_11comp_targetILNS1_3genE4ELNS1_11target_archE910ELNS1_3gpuE8ELNS1_3repE0EEENS1_30default_config_static_selectorELNS0_4arch9wavefront6targetE1EEEvT1_.private_seg_size, 0
	.set _ZN7rocprim17ROCPRIM_400000_NS6detail17trampoline_kernelINS0_14default_configENS1_20scan_config_selectorIN3c104HalfEEEZZNS1_9scan_implILNS1_25lookback_scan_determinismE0ELb0ELb0ES3_PKS6_PS6_S6_ZZZN2at6native31launch_logcumsumexp_cuda_kernelERKNSD_10TensorBaseESH_lENKUlvE_clEvENKUlvE3_clEvEUlS6_S6_E_S6_EEDaPvRmT3_T4_T5_mT6_P12ihipStream_tbENKUlT_T0_E_clISt17integral_constantIbLb0EESX_IbLb1EEEEDaST_SU_EUlST_E_NS1_11comp_targetILNS1_3genE4ELNS1_11target_archE910ELNS1_3gpuE8ELNS1_3repE0EEENS1_30default_config_static_selectorELNS0_4arch9wavefront6targetE1EEEvT1_.uses_vcc, 0
	.set _ZN7rocprim17ROCPRIM_400000_NS6detail17trampoline_kernelINS0_14default_configENS1_20scan_config_selectorIN3c104HalfEEEZZNS1_9scan_implILNS1_25lookback_scan_determinismE0ELb0ELb0ES3_PKS6_PS6_S6_ZZZN2at6native31launch_logcumsumexp_cuda_kernelERKNSD_10TensorBaseESH_lENKUlvE_clEvENKUlvE3_clEvEUlS6_S6_E_S6_EEDaPvRmT3_T4_T5_mT6_P12ihipStream_tbENKUlT_T0_E_clISt17integral_constantIbLb0EESX_IbLb1EEEEDaST_SU_EUlST_E_NS1_11comp_targetILNS1_3genE4ELNS1_11target_archE910ELNS1_3gpuE8ELNS1_3repE0EEENS1_30default_config_static_selectorELNS0_4arch9wavefront6targetE1EEEvT1_.uses_flat_scratch, 0
	.set _ZN7rocprim17ROCPRIM_400000_NS6detail17trampoline_kernelINS0_14default_configENS1_20scan_config_selectorIN3c104HalfEEEZZNS1_9scan_implILNS1_25lookback_scan_determinismE0ELb0ELb0ES3_PKS6_PS6_S6_ZZZN2at6native31launch_logcumsumexp_cuda_kernelERKNSD_10TensorBaseESH_lENKUlvE_clEvENKUlvE3_clEvEUlS6_S6_E_S6_EEDaPvRmT3_T4_T5_mT6_P12ihipStream_tbENKUlT_T0_E_clISt17integral_constantIbLb0EESX_IbLb1EEEEDaST_SU_EUlST_E_NS1_11comp_targetILNS1_3genE4ELNS1_11target_archE910ELNS1_3gpuE8ELNS1_3repE0EEENS1_30default_config_static_selectorELNS0_4arch9wavefront6targetE1EEEvT1_.has_dyn_sized_stack, 0
	.set _ZN7rocprim17ROCPRIM_400000_NS6detail17trampoline_kernelINS0_14default_configENS1_20scan_config_selectorIN3c104HalfEEEZZNS1_9scan_implILNS1_25lookback_scan_determinismE0ELb0ELb0ES3_PKS6_PS6_S6_ZZZN2at6native31launch_logcumsumexp_cuda_kernelERKNSD_10TensorBaseESH_lENKUlvE_clEvENKUlvE3_clEvEUlS6_S6_E_S6_EEDaPvRmT3_T4_T5_mT6_P12ihipStream_tbENKUlT_T0_E_clISt17integral_constantIbLb0EESX_IbLb1EEEEDaST_SU_EUlST_E_NS1_11comp_targetILNS1_3genE4ELNS1_11target_archE910ELNS1_3gpuE8ELNS1_3repE0EEENS1_30default_config_static_selectorELNS0_4arch9wavefront6targetE1EEEvT1_.has_recursion, 0
	.set _ZN7rocprim17ROCPRIM_400000_NS6detail17trampoline_kernelINS0_14default_configENS1_20scan_config_selectorIN3c104HalfEEEZZNS1_9scan_implILNS1_25lookback_scan_determinismE0ELb0ELb0ES3_PKS6_PS6_S6_ZZZN2at6native31launch_logcumsumexp_cuda_kernelERKNSD_10TensorBaseESH_lENKUlvE_clEvENKUlvE3_clEvEUlS6_S6_E_S6_EEDaPvRmT3_T4_T5_mT6_P12ihipStream_tbENKUlT_T0_E_clISt17integral_constantIbLb0EESX_IbLb1EEEEDaST_SU_EUlST_E_NS1_11comp_targetILNS1_3genE4ELNS1_11target_archE910ELNS1_3gpuE8ELNS1_3repE0EEENS1_30default_config_static_selectorELNS0_4arch9wavefront6targetE1EEEvT1_.has_indirect_call, 0
	.section	.AMDGPU.csdata,"",@progbits
; Kernel info:
; codeLenInByte = 0
; TotalNumSgprs: 4
; NumVgprs: 0
; ScratchSize: 0
; MemoryBound: 0
; FloatMode: 240
; IeeeMode: 1
; LDSByteSize: 0 bytes/workgroup (compile time only)
; SGPRBlocks: 0
; VGPRBlocks: 0
; NumSGPRsForWavesPerEU: 4
; NumVGPRsForWavesPerEU: 1
; Occupancy: 10
; WaveLimiterHint : 0
; COMPUTE_PGM_RSRC2:SCRATCH_EN: 0
; COMPUTE_PGM_RSRC2:USER_SGPR: 6
; COMPUTE_PGM_RSRC2:TRAP_HANDLER: 0
; COMPUTE_PGM_RSRC2:TGID_X_EN: 1
; COMPUTE_PGM_RSRC2:TGID_Y_EN: 0
; COMPUTE_PGM_RSRC2:TGID_Z_EN: 0
; COMPUTE_PGM_RSRC2:TIDIG_COMP_CNT: 0
	.section	.text._ZN7rocprim17ROCPRIM_400000_NS6detail17trampoline_kernelINS0_14default_configENS1_20scan_config_selectorIN3c104HalfEEEZZNS1_9scan_implILNS1_25lookback_scan_determinismE0ELb0ELb0ES3_PKS6_PS6_S6_ZZZN2at6native31launch_logcumsumexp_cuda_kernelERKNSD_10TensorBaseESH_lENKUlvE_clEvENKUlvE3_clEvEUlS6_S6_E_S6_EEDaPvRmT3_T4_T5_mT6_P12ihipStream_tbENKUlT_T0_E_clISt17integral_constantIbLb0EESX_IbLb1EEEEDaST_SU_EUlST_E_NS1_11comp_targetILNS1_3genE3ELNS1_11target_archE908ELNS1_3gpuE7ELNS1_3repE0EEENS1_30default_config_static_selectorELNS0_4arch9wavefront6targetE1EEEvT1_,"axG",@progbits,_ZN7rocprim17ROCPRIM_400000_NS6detail17trampoline_kernelINS0_14default_configENS1_20scan_config_selectorIN3c104HalfEEEZZNS1_9scan_implILNS1_25lookback_scan_determinismE0ELb0ELb0ES3_PKS6_PS6_S6_ZZZN2at6native31launch_logcumsumexp_cuda_kernelERKNSD_10TensorBaseESH_lENKUlvE_clEvENKUlvE3_clEvEUlS6_S6_E_S6_EEDaPvRmT3_T4_T5_mT6_P12ihipStream_tbENKUlT_T0_E_clISt17integral_constantIbLb0EESX_IbLb1EEEEDaST_SU_EUlST_E_NS1_11comp_targetILNS1_3genE3ELNS1_11target_archE908ELNS1_3gpuE7ELNS1_3repE0EEENS1_30default_config_static_selectorELNS0_4arch9wavefront6targetE1EEEvT1_,comdat
	.globl	_ZN7rocprim17ROCPRIM_400000_NS6detail17trampoline_kernelINS0_14default_configENS1_20scan_config_selectorIN3c104HalfEEEZZNS1_9scan_implILNS1_25lookback_scan_determinismE0ELb0ELb0ES3_PKS6_PS6_S6_ZZZN2at6native31launch_logcumsumexp_cuda_kernelERKNSD_10TensorBaseESH_lENKUlvE_clEvENKUlvE3_clEvEUlS6_S6_E_S6_EEDaPvRmT3_T4_T5_mT6_P12ihipStream_tbENKUlT_T0_E_clISt17integral_constantIbLb0EESX_IbLb1EEEEDaST_SU_EUlST_E_NS1_11comp_targetILNS1_3genE3ELNS1_11target_archE908ELNS1_3gpuE7ELNS1_3repE0EEENS1_30default_config_static_selectorELNS0_4arch9wavefront6targetE1EEEvT1_ ; -- Begin function _ZN7rocprim17ROCPRIM_400000_NS6detail17trampoline_kernelINS0_14default_configENS1_20scan_config_selectorIN3c104HalfEEEZZNS1_9scan_implILNS1_25lookback_scan_determinismE0ELb0ELb0ES3_PKS6_PS6_S6_ZZZN2at6native31launch_logcumsumexp_cuda_kernelERKNSD_10TensorBaseESH_lENKUlvE_clEvENKUlvE3_clEvEUlS6_S6_E_S6_EEDaPvRmT3_T4_T5_mT6_P12ihipStream_tbENKUlT_T0_E_clISt17integral_constantIbLb0EESX_IbLb1EEEEDaST_SU_EUlST_E_NS1_11comp_targetILNS1_3genE3ELNS1_11target_archE908ELNS1_3gpuE7ELNS1_3repE0EEENS1_30default_config_static_selectorELNS0_4arch9wavefront6targetE1EEEvT1_
	.p2align	8
	.type	_ZN7rocprim17ROCPRIM_400000_NS6detail17trampoline_kernelINS0_14default_configENS1_20scan_config_selectorIN3c104HalfEEEZZNS1_9scan_implILNS1_25lookback_scan_determinismE0ELb0ELb0ES3_PKS6_PS6_S6_ZZZN2at6native31launch_logcumsumexp_cuda_kernelERKNSD_10TensorBaseESH_lENKUlvE_clEvENKUlvE3_clEvEUlS6_S6_E_S6_EEDaPvRmT3_T4_T5_mT6_P12ihipStream_tbENKUlT_T0_E_clISt17integral_constantIbLb0EESX_IbLb1EEEEDaST_SU_EUlST_E_NS1_11comp_targetILNS1_3genE3ELNS1_11target_archE908ELNS1_3gpuE7ELNS1_3repE0EEENS1_30default_config_static_selectorELNS0_4arch9wavefront6targetE1EEEvT1_,@function
_ZN7rocprim17ROCPRIM_400000_NS6detail17trampoline_kernelINS0_14default_configENS1_20scan_config_selectorIN3c104HalfEEEZZNS1_9scan_implILNS1_25lookback_scan_determinismE0ELb0ELb0ES3_PKS6_PS6_S6_ZZZN2at6native31launch_logcumsumexp_cuda_kernelERKNSD_10TensorBaseESH_lENKUlvE_clEvENKUlvE3_clEvEUlS6_S6_E_S6_EEDaPvRmT3_T4_T5_mT6_P12ihipStream_tbENKUlT_T0_E_clISt17integral_constantIbLb0EESX_IbLb1EEEEDaST_SU_EUlST_E_NS1_11comp_targetILNS1_3genE3ELNS1_11target_archE908ELNS1_3gpuE7ELNS1_3repE0EEENS1_30default_config_static_selectorELNS0_4arch9wavefront6targetE1EEEvT1_: ; @_ZN7rocprim17ROCPRIM_400000_NS6detail17trampoline_kernelINS0_14default_configENS1_20scan_config_selectorIN3c104HalfEEEZZNS1_9scan_implILNS1_25lookback_scan_determinismE0ELb0ELb0ES3_PKS6_PS6_S6_ZZZN2at6native31launch_logcumsumexp_cuda_kernelERKNSD_10TensorBaseESH_lENKUlvE_clEvENKUlvE3_clEvEUlS6_S6_E_S6_EEDaPvRmT3_T4_T5_mT6_P12ihipStream_tbENKUlT_T0_E_clISt17integral_constantIbLb0EESX_IbLb1EEEEDaST_SU_EUlST_E_NS1_11comp_targetILNS1_3genE3ELNS1_11target_archE908ELNS1_3gpuE7ELNS1_3repE0EEENS1_30default_config_static_selectorELNS0_4arch9wavefront6targetE1EEEvT1_
; %bb.0:
	.section	.rodata,"a",@progbits
	.p2align	6, 0x0
	.amdhsa_kernel _ZN7rocprim17ROCPRIM_400000_NS6detail17trampoline_kernelINS0_14default_configENS1_20scan_config_selectorIN3c104HalfEEEZZNS1_9scan_implILNS1_25lookback_scan_determinismE0ELb0ELb0ES3_PKS6_PS6_S6_ZZZN2at6native31launch_logcumsumexp_cuda_kernelERKNSD_10TensorBaseESH_lENKUlvE_clEvENKUlvE3_clEvEUlS6_S6_E_S6_EEDaPvRmT3_T4_T5_mT6_P12ihipStream_tbENKUlT_T0_E_clISt17integral_constantIbLb0EESX_IbLb1EEEEDaST_SU_EUlST_E_NS1_11comp_targetILNS1_3genE3ELNS1_11target_archE908ELNS1_3gpuE7ELNS1_3repE0EEENS1_30default_config_static_selectorELNS0_4arch9wavefront6targetE1EEEvT1_
		.amdhsa_group_segment_fixed_size 0
		.amdhsa_private_segment_fixed_size 0
		.amdhsa_kernarg_size 96
		.amdhsa_user_sgpr_count 6
		.amdhsa_user_sgpr_private_segment_buffer 1
		.amdhsa_user_sgpr_dispatch_ptr 0
		.amdhsa_user_sgpr_queue_ptr 0
		.amdhsa_user_sgpr_kernarg_segment_ptr 1
		.amdhsa_user_sgpr_dispatch_id 0
		.amdhsa_user_sgpr_flat_scratch_init 0
		.amdhsa_user_sgpr_private_segment_size 0
		.amdhsa_uses_dynamic_stack 0
		.amdhsa_system_sgpr_private_segment_wavefront_offset 0
		.amdhsa_system_sgpr_workgroup_id_x 1
		.amdhsa_system_sgpr_workgroup_id_y 0
		.amdhsa_system_sgpr_workgroup_id_z 0
		.amdhsa_system_sgpr_workgroup_info 0
		.amdhsa_system_vgpr_workitem_id 0
		.amdhsa_next_free_vgpr 1
		.amdhsa_next_free_sgpr 0
		.amdhsa_reserve_vcc 0
		.amdhsa_reserve_flat_scratch 0
		.amdhsa_float_round_mode_32 0
		.amdhsa_float_round_mode_16_64 0
		.amdhsa_float_denorm_mode_32 3
		.amdhsa_float_denorm_mode_16_64 3
		.amdhsa_dx10_clamp 1
		.amdhsa_ieee_mode 1
		.amdhsa_fp16_overflow 0
		.amdhsa_exception_fp_ieee_invalid_op 0
		.amdhsa_exception_fp_denorm_src 0
		.amdhsa_exception_fp_ieee_div_zero 0
		.amdhsa_exception_fp_ieee_overflow 0
		.amdhsa_exception_fp_ieee_underflow 0
		.amdhsa_exception_fp_ieee_inexact 0
		.amdhsa_exception_int_div_zero 0
	.end_amdhsa_kernel
	.section	.text._ZN7rocprim17ROCPRIM_400000_NS6detail17trampoline_kernelINS0_14default_configENS1_20scan_config_selectorIN3c104HalfEEEZZNS1_9scan_implILNS1_25lookback_scan_determinismE0ELb0ELb0ES3_PKS6_PS6_S6_ZZZN2at6native31launch_logcumsumexp_cuda_kernelERKNSD_10TensorBaseESH_lENKUlvE_clEvENKUlvE3_clEvEUlS6_S6_E_S6_EEDaPvRmT3_T4_T5_mT6_P12ihipStream_tbENKUlT_T0_E_clISt17integral_constantIbLb0EESX_IbLb1EEEEDaST_SU_EUlST_E_NS1_11comp_targetILNS1_3genE3ELNS1_11target_archE908ELNS1_3gpuE7ELNS1_3repE0EEENS1_30default_config_static_selectorELNS0_4arch9wavefront6targetE1EEEvT1_,"axG",@progbits,_ZN7rocprim17ROCPRIM_400000_NS6detail17trampoline_kernelINS0_14default_configENS1_20scan_config_selectorIN3c104HalfEEEZZNS1_9scan_implILNS1_25lookback_scan_determinismE0ELb0ELb0ES3_PKS6_PS6_S6_ZZZN2at6native31launch_logcumsumexp_cuda_kernelERKNSD_10TensorBaseESH_lENKUlvE_clEvENKUlvE3_clEvEUlS6_S6_E_S6_EEDaPvRmT3_T4_T5_mT6_P12ihipStream_tbENKUlT_T0_E_clISt17integral_constantIbLb0EESX_IbLb1EEEEDaST_SU_EUlST_E_NS1_11comp_targetILNS1_3genE3ELNS1_11target_archE908ELNS1_3gpuE7ELNS1_3repE0EEENS1_30default_config_static_selectorELNS0_4arch9wavefront6targetE1EEEvT1_,comdat
.Lfunc_end419:
	.size	_ZN7rocprim17ROCPRIM_400000_NS6detail17trampoline_kernelINS0_14default_configENS1_20scan_config_selectorIN3c104HalfEEEZZNS1_9scan_implILNS1_25lookback_scan_determinismE0ELb0ELb0ES3_PKS6_PS6_S6_ZZZN2at6native31launch_logcumsumexp_cuda_kernelERKNSD_10TensorBaseESH_lENKUlvE_clEvENKUlvE3_clEvEUlS6_S6_E_S6_EEDaPvRmT3_T4_T5_mT6_P12ihipStream_tbENKUlT_T0_E_clISt17integral_constantIbLb0EESX_IbLb1EEEEDaST_SU_EUlST_E_NS1_11comp_targetILNS1_3genE3ELNS1_11target_archE908ELNS1_3gpuE7ELNS1_3repE0EEENS1_30default_config_static_selectorELNS0_4arch9wavefront6targetE1EEEvT1_, .Lfunc_end419-_ZN7rocprim17ROCPRIM_400000_NS6detail17trampoline_kernelINS0_14default_configENS1_20scan_config_selectorIN3c104HalfEEEZZNS1_9scan_implILNS1_25lookback_scan_determinismE0ELb0ELb0ES3_PKS6_PS6_S6_ZZZN2at6native31launch_logcumsumexp_cuda_kernelERKNSD_10TensorBaseESH_lENKUlvE_clEvENKUlvE3_clEvEUlS6_S6_E_S6_EEDaPvRmT3_T4_T5_mT6_P12ihipStream_tbENKUlT_T0_E_clISt17integral_constantIbLb0EESX_IbLb1EEEEDaST_SU_EUlST_E_NS1_11comp_targetILNS1_3genE3ELNS1_11target_archE908ELNS1_3gpuE7ELNS1_3repE0EEENS1_30default_config_static_selectorELNS0_4arch9wavefront6targetE1EEEvT1_
                                        ; -- End function
	.set _ZN7rocprim17ROCPRIM_400000_NS6detail17trampoline_kernelINS0_14default_configENS1_20scan_config_selectorIN3c104HalfEEEZZNS1_9scan_implILNS1_25lookback_scan_determinismE0ELb0ELb0ES3_PKS6_PS6_S6_ZZZN2at6native31launch_logcumsumexp_cuda_kernelERKNSD_10TensorBaseESH_lENKUlvE_clEvENKUlvE3_clEvEUlS6_S6_E_S6_EEDaPvRmT3_T4_T5_mT6_P12ihipStream_tbENKUlT_T0_E_clISt17integral_constantIbLb0EESX_IbLb1EEEEDaST_SU_EUlST_E_NS1_11comp_targetILNS1_3genE3ELNS1_11target_archE908ELNS1_3gpuE7ELNS1_3repE0EEENS1_30default_config_static_selectorELNS0_4arch9wavefront6targetE1EEEvT1_.num_vgpr, 0
	.set _ZN7rocprim17ROCPRIM_400000_NS6detail17trampoline_kernelINS0_14default_configENS1_20scan_config_selectorIN3c104HalfEEEZZNS1_9scan_implILNS1_25lookback_scan_determinismE0ELb0ELb0ES3_PKS6_PS6_S6_ZZZN2at6native31launch_logcumsumexp_cuda_kernelERKNSD_10TensorBaseESH_lENKUlvE_clEvENKUlvE3_clEvEUlS6_S6_E_S6_EEDaPvRmT3_T4_T5_mT6_P12ihipStream_tbENKUlT_T0_E_clISt17integral_constantIbLb0EESX_IbLb1EEEEDaST_SU_EUlST_E_NS1_11comp_targetILNS1_3genE3ELNS1_11target_archE908ELNS1_3gpuE7ELNS1_3repE0EEENS1_30default_config_static_selectorELNS0_4arch9wavefront6targetE1EEEvT1_.num_agpr, 0
	.set _ZN7rocprim17ROCPRIM_400000_NS6detail17trampoline_kernelINS0_14default_configENS1_20scan_config_selectorIN3c104HalfEEEZZNS1_9scan_implILNS1_25lookback_scan_determinismE0ELb0ELb0ES3_PKS6_PS6_S6_ZZZN2at6native31launch_logcumsumexp_cuda_kernelERKNSD_10TensorBaseESH_lENKUlvE_clEvENKUlvE3_clEvEUlS6_S6_E_S6_EEDaPvRmT3_T4_T5_mT6_P12ihipStream_tbENKUlT_T0_E_clISt17integral_constantIbLb0EESX_IbLb1EEEEDaST_SU_EUlST_E_NS1_11comp_targetILNS1_3genE3ELNS1_11target_archE908ELNS1_3gpuE7ELNS1_3repE0EEENS1_30default_config_static_selectorELNS0_4arch9wavefront6targetE1EEEvT1_.numbered_sgpr, 0
	.set _ZN7rocprim17ROCPRIM_400000_NS6detail17trampoline_kernelINS0_14default_configENS1_20scan_config_selectorIN3c104HalfEEEZZNS1_9scan_implILNS1_25lookback_scan_determinismE0ELb0ELb0ES3_PKS6_PS6_S6_ZZZN2at6native31launch_logcumsumexp_cuda_kernelERKNSD_10TensorBaseESH_lENKUlvE_clEvENKUlvE3_clEvEUlS6_S6_E_S6_EEDaPvRmT3_T4_T5_mT6_P12ihipStream_tbENKUlT_T0_E_clISt17integral_constantIbLb0EESX_IbLb1EEEEDaST_SU_EUlST_E_NS1_11comp_targetILNS1_3genE3ELNS1_11target_archE908ELNS1_3gpuE7ELNS1_3repE0EEENS1_30default_config_static_selectorELNS0_4arch9wavefront6targetE1EEEvT1_.num_named_barrier, 0
	.set _ZN7rocprim17ROCPRIM_400000_NS6detail17trampoline_kernelINS0_14default_configENS1_20scan_config_selectorIN3c104HalfEEEZZNS1_9scan_implILNS1_25lookback_scan_determinismE0ELb0ELb0ES3_PKS6_PS6_S6_ZZZN2at6native31launch_logcumsumexp_cuda_kernelERKNSD_10TensorBaseESH_lENKUlvE_clEvENKUlvE3_clEvEUlS6_S6_E_S6_EEDaPvRmT3_T4_T5_mT6_P12ihipStream_tbENKUlT_T0_E_clISt17integral_constantIbLb0EESX_IbLb1EEEEDaST_SU_EUlST_E_NS1_11comp_targetILNS1_3genE3ELNS1_11target_archE908ELNS1_3gpuE7ELNS1_3repE0EEENS1_30default_config_static_selectorELNS0_4arch9wavefront6targetE1EEEvT1_.private_seg_size, 0
	.set _ZN7rocprim17ROCPRIM_400000_NS6detail17trampoline_kernelINS0_14default_configENS1_20scan_config_selectorIN3c104HalfEEEZZNS1_9scan_implILNS1_25lookback_scan_determinismE0ELb0ELb0ES3_PKS6_PS6_S6_ZZZN2at6native31launch_logcumsumexp_cuda_kernelERKNSD_10TensorBaseESH_lENKUlvE_clEvENKUlvE3_clEvEUlS6_S6_E_S6_EEDaPvRmT3_T4_T5_mT6_P12ihipStream_tbENKUlT_T0_E_clISt17integral_constantIbLb0EESX_IbLb1EEEEDaST_SU_EUlST_E_NS1_11comp_targetILNS1_3genE3ELNS1_11target_archE908ELNS1_3gpuE7ELNS1_3repE0EEENS1_30default_config_static_selectorELNS0_4arch9wavefront6targetE1EEEvT1_.uses_vcc, 0
	.set _ZN7rocprim17ROCPRIM_400000_NS6detail17trampoline_kernelINS0_14default_configENS1_20scan_config_selectorIN3c104HalfEEEZZNS1_9scan_implILNS1_25lookback_scan_determinismE0ELb0ELb0ES3_PKS6_PS6_S6_ZZZN2at6native31launch_logcumsumexp_cuda_kernelERKNSD_10TensorBaseESH_lENKUlvE_clEvENKUlvE3_clEvEUlS6_S6_E_S6_EEDaPvRmT3_T4_T5_mT6_P12ihipStream_tbENKUlT_T0_E_clISt17integral_constantIbLb0EESX_IbLb1EEEEDaST_SU_EUlST_E_NS1_11comp_targetILNS1_3genE3ELNS1_11target_archE908ELNS1_3gpuE7ELNS1_3repE0EEENS1_30default_config_static_selectorELNS0_4arch9wavefront6targetE1EEEvT1_.uses_flat_scratch, 0
	.set _ZN7rocprim17ROCPRIM_400000_NS6detail17trampoline_kernelINS0_14default_configENS1_20scan_config_selectorIN3c104HalfEEEZZNS1_9scan_implILNS1_25lookback_scan_determinismE0ELb0ELb0ES3_PKS6_PS6_S6_ZZZN2at6native31launch_logcumsumexp_cuda_kernelERKNSD_10TensorBaseESH_lENKUlvE_clEvENKUlvE3_clEvEUlS6_S6_E_S6_EEDaPvRmT3_T4_T5_mT6_P12ihipStream_tbENKUlT_T0_E_clISt17integral_constantIbLb0EESX_IbLb1EEEEDaST_SU_EUlST_E_NS1_11comp_targetILNS1_3genE3ELNS1_11target_archE908ELNS1_3gpuE7ELNS1_3repE0EEENS1_30default_config_static_selectorELNS0_4arch9wavefront6targetE1EEEvT1_.has_dyn_sized_stack, 0
	.set _ZN7rocprim17ROCPRIM_400000_NS6detail17trampoline_kernelINS0_14default_configENS1_20scan_config_selectorIN3c104HalfEEEZZNS1_9scan_implILNS1_25lookback_scan_determinismE0ELb0ELb0ES3_PKS6_PS6_S6_ZZZN2at6native31launch_logcumsumexp_cuda_kernelERKNSD_10TensorBaseESH_lENKUlvE_clEvENKUlvE3_clEvEUlS6_S6_E_S6_EEDaPvRmT3_T4_T5_mT6_P12ihipStream_tbENKUlT_T0_E_clISt17integral_constantIbLb0EESX_IbLb1EEEEDaST_SU_EUlST_E_NS1_11comp_targetILNS1_3genE3ELNS1_11target_archE908ELNS1_3gpuE7ELNS1_3repE0EEENS1_30default_config_static_selectorELNS0_4arch9wavefront6targetE1EEEvT1_.has_recursion, 0
	.set _ZN7rocprim17ROCPRIM_400000_NS6detail17trampoline_kernelINS0_14default_configENS1_20scan_config_selectorIN3c104HalfEEEZZNS1_9scan_implILNS1_25lookback_scan_determinismE0ELb0ELb0ES3_PKS6_PS6_S6_ZZZN2at6native31launch_logcumsumexp_cuda_kernelERKNSD_10TensorBaseESH_lENKUlvE_clEvENKUlvE3_clEvEUlS6_S6_E_S6_EEDaPvRmT3_T4_T5_mT6_P12ihipStream_tbENKUlT_T0_E_clISt17integral_constantIbLb0EESX_IbLb1EEEEDaST_SU_EUlST_E_NS1_11comp_targetILNS1_3genE3ELNS1_11target_archE908ELNS1_3gpuE7ELNS1_3repE0EEENS1_30default_config_static_selectorELNS0_4arch9wavefront6targetE1EEEvT1_.has_indirect_call, 0
	.section	.AMDGPU.csdata,"",@progbits
; Kernel info:
; codeLenInByte = 0
; TotalNumSgprs: 4
; NumVgprs: 0
; ScratchSize: 0
; MemoryBound: 0
; FloatMode: 240
; IeeeMode: 1
; LDSByteSize: 0 bytes/workgroup (compile time only)
; SGPRBlocks: 0
; VGPRBlocks: 0
; NumSGPRsForWavesPerEU: 4
; NumVGPRsForWavesPerEU: 1
; Occupancy: 10
; WaveLimiterHint : 0
; COMPUTE_PGM_RSRC2:SCRATCH_EN: 0
; COMPUTE_PGM_RSRC2:USER_SGPR: 6
; COMPUTE_PGM_RSRC2:TRAP_HANDLER: 0
; COMPUTE_PGM_RSRC2:TGID_X_EN: 1
; COMPUTE_PGM_RSRC2:TGID_Y_EN: 0
; COMPUTE_PGM_RSRC2:TGID_Z_EN: 0
; COMPUTE_PGM_RSRC2:TIDIG_COMP_CNT: 0
	.section	.text._ZN7rocprim17ROCPRIM_400000_NS6detail17trampoline_kernelINS0_14default_configENS1_20scan_config_selectorIN3c104HalfEEEZZNS1_9scan_implILNS1_25lookback_scan_determinismE0ELb0ELb0ES3_PKS6_PS6_S6_ZZZN2at6native31launch_logcumsumexp_cuda_kernelERKNSD_10TensorBaseESH_lENKUlvE_clEvENKUlvE3_clEvEUlS6_S6_E_S6_EEDaPvRmT3_T4_T5_mT6_P12ihipStream_tbENKUlT_T0_E_clISt17integral_constantIbLb0EESX_IbLb1EEEEDaST_SU_EUlST_E_NS1_11comp_targetILNS1_3genE2ELNS1_11target_archE906ELNS1_3gpuE6ELNS1_3repE0EEENS1_30default_config_static_selectorELNS0_4arch9wavefront6targetE1EEEvT1_,"axG",@progbits,_ZN7rocprim17ROCPRIM_400000_NS6detail17trampoline_kernelINS0_14default_configENS1_20scan_config_selectorIN3c104HalfEEEZZNS1_9scan_implILNS1_25lookback_scan_determinismE0ELb0ELb0ES3_PKS6_PS6_S6_ZZZN2at6native31launch_logcumsumexp_cuda_kernelERKNSD_10TensorBaseESH_lENKUlvE_clEvENKUlvE3_clEvEUlS6_S6_E_S6_EEDaPvRmT3_T4_T5_mT6_P12ihipStream_tbENKUlT_T0_E_clISt17integral_constantIbLb0EESX_IbLb1EEEEDaST_SU_EUlST_E_NS1_11comp_targetILNS1_3genE2ELNS1_11target_archE906ELNS1_3gpuE6ELNS1_3repE0EEENS1_30default_config_static_selectorELNS0_4arch9wavefront6targetE1EEEvT1_,comdat
	.globl	_ZN7rocprim17ROCPRIM_400000_NS6detail17trampoline_kernelINS0_14default_configENS1_20scan_config_selectorIN3c104HalfEEEZZNS1_9scan_implILNS1_25lookback_scan_determinismE0ELb0ELb0ES3_PKS6_PS6_S6_ZZZN2at6native31launch_logcumsumexp_cuda_kernelERKNSD_10TensorBaseESH_lENKUlvE_clEvENKUlvE3_clEvEUlS6_S6_E_S6_EEDaPvRmT3_T4_T5_mT6_P12ihipStream_tbENKUlT_T0_E_clISt17integral_constantIbLb0EESX_IbLb1EEEEDaST_SU_EUlST_E_NS1_11comp_targetILNS1_3genE2ELNS1_11target_archE906ELNS1_3gpuE6ELNS1_3repE0EEENS1_30default_config_static_selectorELNS0_4arch9wavefront6targetE1EEEvT1_ ; -- Begin function _ZN7rocprim17ROCPRIM_400000_NS6detail17trampoline_kernelINS0_14default_configENS1_20scan_config_selectorIN3c104HalfEEEZZNS1_9scan_implILNS1_25lookback_scan_determinismE0ELb0ELb0ES3_PKS6_PS6_S6_ZZZN2at6native31launch_logcumsumexp_cuda_kernelERKNSD_10TensorBaseESH_lENKUlvE_clEvENKUlvE3_clEvEUlS6_S6_E_S6_EEDaPvRmT3_T4_T5_mT6_P12ihipStream_tbENKUlT_T0_E_clISt17integral_constantIbLb0EESX_IbLb1EEEEDaST_SU_EUlST_E_NS1_11comp_targetILNS1_3genE2ELNS1_11target_archE906ELNS1_3gpuE6ELNS1_3repE0EEENS1_30default_config_static_selectorELNS0_4arch9wavefront6targetE1EEEvT1_
	.p2align	8
	.type	_ZN7rocprim17ROCPRIM_400000_NS6detail17trampoline_kernelINS0_14default_configENS1_20scan_config_selectorIN3c104HalfEEEZZNS1_9scan_implILNS1_25lookback_scan_determinismE0ELb0ELb0ES3_PKS6_PS6_S6_ZZZN2at6native31launch_logcumsumexp_cuda_kernelERKNSD_10TensorBaseESH_lENKUlvE_clEvENKUlvE3_clEvEUlS6_S6_E_S6_EEDaPvRmT3_T4_T5_mT6_P12ihipStream_tbENKUlT_T0_E_clISt17integral_constantIbLb0EESX_IbLb1EEEEDaST_SU_EUlST_E_NS1_11comp_targetILNS1_3genE2ELNS1_11target_archE906ELNS1_3gpuE6ELNS1_3repE0EEENS1_30default_config_static_selectorELNS0_4arch9wavefront6targetE1EEEvT1_,@function
_ZN7rocprim17ROCPRIM_400000_NS6detail17trampoline_kernelINS0_14default_configENS1_20scan_config_selectorIN3c104HalfEEEZZNS1_9scan_implILNS1_25lookback_scan_determinismE0ELb0ELb0ES3_PKS6_PS6_S6_ZZZN2at6native31launch_logcumsumexp_cuda_kernelERKNSD_10TensorBaseESH_lENKUlvE_clEvENKUlvE3_clEvEUlS6_S6_E_S6_EEDaPvRmT3_T4_T5_mT6_P12ihipStream_tbENKUlT_T0_E_clISt17integral_constantIbLb0EESX_IbLb1EEEEDaST_SU_EUlST_E_NS1_11comp_targetILNS1_3genE2ELNS1_11target_archE906ELNS1_3gpuE6ELNS1_3repE0EEENS1_30default_config_static_selectorELNS0_4arch9wavefront6targetE1EEEvT1_: ; @_ZN7rocprim17ROCPRIM_400000_NS6detail17trampoline_kernelINS0_14default_configENS1_20scan_config_selectorIN3c104HalfEEEZZNS1_9scan_implILNS1_25lookback_scan_determinismE0ELb0ELb0ES3_PKS6_PS6_S6_ZZZN2at6native31launch_logcumsumexp_cuda_kernelERKNSD_10TensorBaseESH_lENKUlvE_clEvENKUlvE3_clEvEUlS6_S6_E_S6_EEDaPvRmT3_T4_T5_mT6_P12ihipStream_tbENKUlT_T0_E_clISt17integral_constantIbLb0EESX_IbLb1EEEEDaST_SU_EUlST_E_NS1_11comp_targetILNS1_3genE2ELNS1_11target_archE906ELNS1_3gpuE6ELNS1_3repE0EEENS1_30default_config_static_selectorELNS0_4arch9wavefront6targetE1EEEvT1_
; %bb.0:
	s_load_dwordx2 s[80:81], s[4:5], 0x28
	v_cmp_ne_u32_e64 s[2:3], 0, v0
	v_cmp_eq_u32_e64 s[58:59], 0, v0
	s_and_saveexec_b64 s[0:1], s[58:59]
	s_cbranch_execz .LBB420_4
; %bb.1:
	s_mov_b64 s[8:9], exec
	v_mbcnt_lo_u32_b32 v1, s8, 0
	v_mbcnt_hi_u32_b32 v1, s9, v1
	v_cmp_eq_u32_e32 vcc, 0, v1
                                        ; implicit-def: $vgpr2
	s_and_saveexec_b64 s[6:7], vcc
	s_cbranch_execz .LBB420_3
; %bb.2:
	s_load_dwordx2 s[10:11], s[4:5], 0x58
	s_bcnt1_i32_b64 s8, s[8:9]
	v_mov_b32_e32 v2, 0
	v_mov_b32_e32 v3, s8
	s_waitcnt lgkmcnt(0)
	global_atomic_add v2, v2, v3, s[10:11] glc
.LBB420_3:
	s_or_b64 exec, exec, s[6:7]
	s_waitcnt vmcnt(0)
	v_readfirstlane_b32 s6, v2
	v_add_u32_e32 v1, s6, v1
	v_mov_b32_e32 v2, 0
	ds_write_b32 v2, v1
.LBB420_4:
	s_or_b64 exec, exec, s[0:1]
	s_load_dwordx8 s[72:79], s[4:5], 0x0
	s_load_dword s0, s[4:5], 0x30
	s_load_dwordx8 s[64:71], s[4:5], 0x38
	v_mov_b32_e32 v1, 0
	s_waitcnt lgkmcnt(0)
	s_barrier
	ds_read_b32 v1, v1
	s_lshl_b64 s[62:63], s[74:75], 1
	s_add_u32 s6, s72, s62
	s_addc_u32 s7, s73, s63
	s_add_i32 s0, s0, -1
	s_waitcnt lgkmcnt(0)
	v_readfirstlane_b32 s83, v1
	s_mul_i32 s1, s0, 0x1800
	s_mul_i32 s4, s83, 0x1800
	s_mov_b32 s5, 0
	s_sub_u32 s33, s78, s1
	s_subb_u32 s82, s79, 0
	s_lshl_b64 s[72:73], s[4:5], 1
	v_cmp_ne_u32_e64 s[0:1], s0, v1
	s_add_u32 s6, s6, s72
	s_addc_u32 s7, s7, s73
	s_mov_b64 s[4:5], -1
	s_and_b64 vcc, exec, s[0:1]
	v_lshlrev_b32_e32 v19, 1, v0
	s_barrier
	s_cbranch_vccz .LBB420_6
; %bb.5:
	v_mov_b32_e32 v1, s7
	v_add_co_u32_e32 v3, vcc, s6, v19
	v_addc_co_u32_e32 v4, vcc, 0, v1, vcc
	v_add_co_u32_e32 v1, vcc, 0x1000, v3
	v_addc_co_u32_e32 v2, vcc, 0, v4, vcc
	global_load_ushort v5, v19, s[6:7]
	global_load_ushort v6, v19, s[6:7] offset:512
	global_load_ushort v7, v19, s[6:7] offset:1024
	;; [unrolled: 1-line block ×7, first 2 shown]
	global_load_ushort v13, v[1:2], off
	global_load_ushort v14, v[1:2], off offset:512
	global_load_ushort v15, v[1:2], off offset:1024
	;; [unrolled: 1-line block ×7, first 2 shown]
	v_add_co_u32_e32 v1, vcc, 0x2000, v3
	v_addc_co_u32_e32 v2, vcc, 0, v4, vcc
	global_load_ushort v3, v[1:2], off
	global_load_ushort v4, v[1:2], off offset:512
	global_load_ushort v22, v[1:2], off offset:1024
	;; [unrolled: 1-line block ×7, first 2 shown]
	s_mov_b64 s[4:5], 0
	s_waitcnt vmcnt(23)
	ds_write_b16 v19, v5
	s_waitcnt vmcnt(22)
	ds_write_b16 v19, v6 offset:512
	s_waitcnt vmcnt(21)
	ds_write_b16 v19, v7 offset:1024
	;; [unrolled: 2-line block ×23, first 2 shown]
	s_waitcnt lgkmcnt(0)
	s_barrier
.LBB420_6:
	s_andn2_b64 vcc, exec, s[4:5]
	v_cmp_gt_u32_e64 s[4:5], s33, v0
	s_cbranch_vccnz .LBB420_56
; %bb.7:
	v_mov_b32_e32 v1, 0
	global_load_ushort v1, v1, s[6:7]
	s_waitcnt vmcnt(0)
	v_mov_b32_e32 v2, v1
	s_and_saveexec_b64 s[8:9], s[4:5]
	s_cbranch_execz .LBB420_9
; %bb.8:
	global_load_ushort v2, v19, s[6:7]
.LBB420_9:
	s_or_b64 exec, exec, s[8:9]
	v_or_b32_e32 v3, 0x100, v0
	v_cmp_gt_u32_e32 vcc, s33, v3
	v_mov_b32_e32 v3, v1
	s_and_saveexec_b64 s[4:5], vcc
	s_cbranch_execz .LBB420_11
; %bb.10:
	global_load_ushort v3, v19, s[6:7] offset:512
.LBB420_11:
	s_or_b64 exec, exec, s[4:5]
	v_or_b32_e32 v4, 0x200, v0
	v_cmp_gt_u32_e32 vcc, s33, v4
	v_mov_b32_e32 v4, v1
	s_and_saveexec_b64 s[4:5], vcc
	s_cbranch_execz .LBB420_13
; %bb.12:
	global_load_ushort v4, v19, s[6:7] offset:1024
.LBB420_13:
	;; [unrolled: 9-line block ×7, first 2 shown]
	s_or_b64 exec, exec, s[4:5]
	v_or_b32_e32 v11, 0x800, v0
	v_cmp_gt_u32_e32 vcc, s33, v11
	v_mov_b32_e32 v10, v1
	s_and_saveexec_b64 s[4:5], vcc
	s_cbranch_execz .LBB420_25
; %bb.24:
	v_lshlrev_b32_e32 v10, 1, v11
	global_load_ushort v10, v10, s[6:7]
.LBB420_25:
	s_or_b64 exec, exec, s[4:5]
	v_or_b32_e32 v12, 0x900, v0
	v_cmp_gt_u32_e32 vcc, s33, v12
	v_mov_b32_e32 v11, v1
	s_and_saveexec_b64 s[4:5], vcc
	s_cbranch_execz .LBB420_27
; %bb.26:
	v_lshlrev_b32_e32 v11, 1, v12
	global_load_ushort v11, v11, s[6:7]
.LBB420_27:
	;; [unrolled: 10-line block ×15, first 2 shown]
	s_or_b64 exec, exec, s[4:5]
	v_or_b32_e32 v26, 0x1700, v0
	v_cmp_gt_u32_e32 vcc, s33, v26
	s_and_saveexec_b64 s[4:5], vcc
	s_cbranch_execz .LBB420_55
; %bb.54:
	v_lshlrev_b32_e32 v1, 1, v26
	global_load_ushort v1, v1, s[6:7]
.LBB420_55:
	s_or_b64 exec, exec, s[4:5]
	s_waitcnt vmcnt(0)
	ds_write_b16 v19, v2
	ds_write_b16 v19, v3 offset:512
	ds_write_b16 v19, v4 offset:1024
	;; [unrolled: 1-line block ×23, first 2 shown]
	s_waitcnt lgkmcnt(0)
	s_barrier
.LBB420_56:
	v_mul_u32_u24_e32 v20, 48, v0
	ds_read_b128 v[9:12], v20
	ds_read_b128 v[5:8], v20 offset:16
	ds_read_b128 v[1:4], v20 offset:32
	s_cmp_lg_u32 s83, 0
	s_waitcnt lgkmcnt(0)
	v_cvt_f32_f16_sdwa v21, v9 dst_sel:DWORD dst_unused:UNUSED_PAD src0_sel:WORD_1
	v_cmp_u_f16_sdwa s[6:7], v9, v9 src0_sel:WORD_1 src1_sel:WORD_1
	s_barrier
	s_cbranch_scc0 .LBB420_210
; %bb.57:
	v_cvt_f32_f16_e32 v44, v9
	v_cmp_u_f16_e64 s[54:55], v9, v9
	s_movk_i32 s10, 0x1f8
	v_mov_b32_e32 v45, v9
	v_min_f32_e32 v13, v44, v21
	v_max_f32_e32 v14, v44, v21
	v_cndmask_b32_e64 v13, v13, v44, s[54:55]
	v_cndmask_b32_e64 v14, v14, v44, s[54:55]
	;; [unrolled: 1-line block ×4, first 2 shown]
	v_cmp_neq_f32_e32 vcc, v16, v15
	v_cmp_class_f32_e64 s[4:5], v16, s10
	s_or_b64 s[8:9], vcc, s[4:5]
	v_mov_b32_e32 v14, v44
	v_mov_b32_e32 v13, v9
	s_and_saveexec_b64 s[4:5], s[8:9]
	s_cbranch_execz .LBB420_59
; %bb.58:
	v_sub_f32_e32 v13, v16, v15
	s_mov_b32 s8, 0x3fb8aa3b
	v_mul_f32_e32 v14, 0x3fb8aa3b, v13
	v_fma_f32 v16, v13, s8, -v14
	v_rndne_f32_e32 v17, v14
	v_fmac_f32_e32 v16, 0x32a5705f, v13
	v_sub_f32_e32 v14, v14, v17
	v_add_f32_e32 v14, v14, v16
	v_exp_f32_e32 v14, v14
	v_cvt_i32_f32_e32 v16, v17
	s_mov_b32 s8, 0xc2ce8ed0
	v_cmp_ngt_f32_e32 vcc, s8, v13
	s_mov_b32 s8, 0x42b17218
	v_ldexp_f32 v14, v14, v16
	v_cndmask_b32_e32 v14, 0, v14, vcc
	v_mov_b32_e32 v16, 0x7f800000
	v_cmp_nlt_f32_e32 vcc, s8, v13
	v_cndmask_b32_e32 v17, v16, v14, vcc
	v_add_f32_e32 v18, 1.0, v17
	v_cvt_f64_f32_e32 v[13:14], v18
	v_add_f32_e32 v22, -1.0, v18
	v_sub_f32_e32 v23, v22, v18
	v_sub_f32_e32 v22, v17, v22
	v_frexp_exp_i32_f64_e32 v13, v[13:14]
	v_add_f32_e32 v14, 1.0, v23
	v_add_f32_e32 v14, v22, v14
	v_frexp_mant_f32_e32 v22, v18
	s_mov_b32 s9, 0x3f2aaaab
	v_cmp_gt_f32_e32 vcc, s9, v22
	s_mov_b32 s9, 0x3f317218
	s_mov_b32 s8, 0x7f800000
	v_subbrev_co_u32_e32 v13, vcc, 0, v13, vcc
	v_sub_u32_e32 v22, 0, v13
	v_ldexp_f32 v18, v18, v22
	v_ldexp_f32 v14, v14, v22
	v_add_f32_e32 v22, -1.0, v18
	v_add_f32_e32 v25, 1.0, v18
	v_add_f32_e32 v23, 1.0, v22
	v_add_f32_e32 v26, -1.0, v25
	v_sub_f32_e32 v23, v18, v23
	v_sub_f32_e32 v18, v18, v26
	v_add_f32_e32 v23, v14, v23
	v_add_f32_e32 v14, v14, v18
	;; [unrolled: 1-line block ×3, first 2 shown]
	v_rcp_f32_e32 v26, v18
	v_add_f32_e32 v24, v22, v23
	v_sub_f32_e32 v22, v22, v24
	v_add_f32_e32 v22, v23, v22
	v_sub_f32_e32 v23, v25, v18
	v_add_f32_e32 v14, v14, v23
	v_mul_f32_e32 v23, v24, v26
	v_mul_f32_e32 v25, v18, v23
	v_fma_f32 v27, v23, v18, -v25
	v_fmac_f32_e32 v27, v23, v14
	v_add_f32_e32 v28, v25, v27
	v_sub_f32_e32 v29, v24, v28
	v_sub_f32_e32 v24, v24, v29
	;; [unrolled: 1-line block ×4, first 2 shown]
	v_add_f32_e32 v22, v22, v24
	v_sub_f32_e32 v24, v25, v27
	v_add_f32_e32 v22, v24, v22
	v_add_f32_e32 v24, v29, v22
	v_mul_f32_e32 v25, v26, v24
	v_mul_f32_e32 v27, v18, v25
	v_fma_f32 v18, v25, v18, -v27
	v_fmac_f32_e32 v18, v25, v14
	v_sub_f32_e32 v14, v29, v24
	v_add_f32_e32 v14, v22, v14
	v_add_f32_e32 v22, v27, v18
	v_sub_f32_e32 v28, v24, v22
	v_sub_f32_e32 v24, v24, v28
	v_sub_f32_e32 v27, v22, v27
	v_sub_f32_e32 v22, v24, v22
	v_add_f32_e32 v14, v14, v22
	v_sub_f32_e32 v18, v27, v18
	v_add_f32_e32 v14, v18, v14
	v_add_f32_e32 v18, v23, v25
	;; [unrolled: 1-line block ×3, first 2 shown]
	v_sub_f32_e32 v22, v18, v23
	v_mul_f32_e32 v14, v26, v14
	v_sub_f32_e32 v22, v25, v22
	v_add_f32_e32 v14, v22, v14
	v_cvt_f32_i32_e32 v13, v13
	v_add_f32_e32 v22, v18, v14
	v_mul_f32_e32 v23, v22, v22
	v_mov_b32_e32 v24, 0x3ecc95a3
	v_fmac_f32_e32 v24, 0x3e9b6dac, v23
	v_mov_b32_e32 v25, 0x3f2aaada
	v_fmac_f32_e32 v25, v23, v24
	v_mul_f32_e32 v24, 0x3f317218, v13
	v_fma_f32 v26, v13, s9, -v24
	v_fmac_f32_e32 v26, 0xb102e308, v13
	v_sub_f32_e32 v13, v22, v18
	v_sub_f32_e32 v13, v14, v13
	v_add_f32_e32 v14, v24, v26
	v_sub_f32_e32 v18, v14, v24
	v_ldexp_f32 v24, v22, 1
	v_mul_f32_e32 v22, v22, v23
	v_mul_f32_e32 v22, v22, v25
	v_add_f32_e32 v23, v24, v22
	v_sub_f32_e32 v24, v23, v24
	v_ldexp_f32 v13, v13, 1
	v_sub_f32_e32 v22, v22, v24
	v_add_f32_e32 v13, v13, v22
	v_add_f32_e32 v22, v23, v13
	v_sub_f32_e32 v23, v22, v23
	v_sub_f32_e32 v13, v13, v23
	v_add_f32_e32 v23, v14, v22
	v_sub_f32_e32 v24, v23, v14
	v_sub_f32_e32 v25, v23, v24
	;; [unrolled: 1-line block ×5, first 2 shown]
	v_add_f32_e32 v14, v22, v14
	v_add_f32_e32 v22, v18, v13
	v_sub_f32_e32 v24, v22, v18
	v_sub_f32_e32 v25, v22, v24
	;; [unrolled: 1-line block ×4, first 2 shown]
	v_add_f32_e32 v14, v22, v14
	v_add_f32_e32 v13, v13, v18
	v_add_f32_e32 v18, v23, v14
	v_sub_f32_e32 v22, v18, v23
	v_sub_f32_e32 v14, v14, v22
	v_add_f32_e32 v13, v13, v14
	v_add_f32_e32 v13, v18, v13
	v_cmp_neq_f32_e32 vcc, s8, v17
	s_mov_b32 s8, 0x33800000
	v_cndmask_b32_e32 v13, v16, v13, vcc
	v_cmp_lt_f32_e64 vcc, |v17|, s8
	v_cndmask_b32_e32 v13, v13, v17, vcc
	v_add_f32_e32 v13, v15, v13
	v_cvt_f16_f32_e32 v13, v13
	v_cvt_f32_f16_e32 v14, v13
	v_mov_b32_e32 v45, v13
.LBB420_59:
	s_or_b64 exec, exec, s[4:5]
	v_cvt_f32_f16_e32 v22, v10
	v_max_f32_e32 v15, v14, v14
	v_cmp_u_f16_e32 vcc, v13, v13
	v_cmp_u_f16_e64 s[8:9], v10, v10
	v_min_f32_e32 v16, v15, v22
	v_max_f32_e32 v15, v15, v22
	v_cndmask_b32_e32 v16, v16, v14, vcc
	v_cndmask_b32_e32 v15, v15, v14, vcc
	v_cndmask_b32_e64 v16, v16, v22, s[8:9]
	v_cndmask_b32_e64 v15, v15, v22, s[8:9]
	v_cmp_neq_f32_e32 vcc, v16, v15
	v_cmp_class_f32_e64 s[4:5], v16, s10
	s_or_b64 s[10:11], vcc, s[4:5]
	s_and_saveexec_b64 s[4:5], s[10:11]
	s_cbranch_execz .LBB420_61
; %bb.60:
	v_sub_f32_e32 v13, v16, v15
	s_mov_b32 s10, 0x3fb8aa3b
	v_mul_f32_e32 v14, 0x3fb8aa3b, v13
	v_fma_f32 v16, v13, s10, -v14
	v_rndne_f32_e32 v17, v14
	v_fmac_f32_e32 v16, 0x32a5705f, v13
	v_sub_f32_e32 v14, v14, v17
	v_add_f32_e32 v14, v14, v16
	v_exp_f32_e32 v14, v14
	v_cvt_i32_f32_e32 v16, v17
	s_mov_b32 s10, 0xc2ce8ed0
	v_cmp_ngt_f32_e32 vcc, s10, v13
	s_mov_b32 s10, 0x42b17218
	v_ldexp_f32 v14, v14, v16
	v_cndmask_b32_e32 v14, 0, v14, vcc
	v_mov_b32_e32 v16, 0x7f800000
	v_cmp_nlt_f32_e32 vcc, s10, v13
	v_cndmask_b32_e32 v17, v16, v14, vcc
	v_add_f32_e32 v18, 1.0, v17
	v_cvt_f64_f32_e32 v[13:14], v18
	v_add_f32_e32 v23, -1.0, v18
	v_sub_f32_e32 v24, v23, v18
	v_sub_f32_e32 v23, v17, v23
	v_frexp_exp_i32_f64_e32 v13, v[13:14]
	v_add_f32_e32 v14, 1.0, v24
	v_add_f32_e32 v14, v23, v14
	v_frexp_mant_f32_e32 v23, v18
	s_mov_b32 s11, 0x3f2aaaab
	v_cmp_gt_f32_e32 vcc, s11, v23
	s_mov_b32 s11, 0x3f317218
	s_mov_b32 s10, 0x7f800000
	v_subbrev_co_u32_e32 v13, vcc, 0, v13, vcc
	v_sub_u32_e32 v23, 0, v13
	v_ldexp_f32 v18, v18, v23
	v_ldexp_f32 v14, v14, v23
	v_add_f32_e32 v23, -1.0, v18
	v_add_f32_e32 v26, 1.0, v18
	v_add_f32_e32 v24, 1.0, v23
	v_add_f32_e32 v27, -1.0, v26
	v_sub_f32_e32 v24, v18, v24
	v_sub_f32_e32 v18, v18, v27
	v_add_f32_e32 v24, v14, v24
	v_add_f32_e32 v14, v14, v18
	;; [unrolled: 1-line block ×3, first 2 shown]
	v_rcp_f32_e32 v27, v18
	v_add_f32_e32 v25, v23, v24
	v_sub_f32_e32 v23, v23, v25
	v_add_f32_e32 v23, v24, v23
	v_sub_f32_e32 v24, v26, v18
	v_add_f32_e32 v14, v14, v24
	v_mul_f32_e32 v24, v25, v27
	v_mul_f32_e32 v26, v18, v24
	v_fma_f32 v28, v24, v18, -v26
	v_fmac_f32_e32 v28, v24, v14
	v_add_f32_e32 v29, v26, v28
	v_sub_f32_e32 v30, v25, v29
	v_sub_f32_e32 v25, v25, v30
	;; [unrolled: 1-line block ×4, first 2 shown]
	v_add_f32_e32 v23, v23, v25
	v_sub_f32_e32 v25, v26, v28
	v_add_f32_e32 v23, v25, v23
	v_add_f32_e32 v25, v30, v23
	v_mul_f32_e32 v26, v27, v25
	v_mul_f32_e32 v28, v18, v26
	v_fma_f32 v18, v26, v18, -v28
	v_fmac_f32_e32 v18, v26, v14
	v_sub_f32_e32 v14, v30, v25
	v_add_f32_e32 v14, v23, v14
	v_add_f32_e32 v23, v28, v18
	v_sub_f32_e32 v29, v25, v23
	v_sub_f32_e32 v25, v25, v29
	v_sub_f32_e32 v28, v23, v28
	v_sub_f32_e32 v23, v25, v23
	v_add_f32_e32 v14, v14, v23
	v_sub_f32_e32 v18, v28, v18
	v_add_f32_e32 v14, v18, v14
	v_add_f32_e32 v18, v24, v26
	;; [unrolled: 1-line block ×3, first 2 shown]
	v_sub_f32_e32 v23, v18, v24
	v_mul_f32_e32 v14, v27, v14
	v_sub_f32_e32 v23, v26, v23
	v_add_f32_e32 v14, v23, v14
	v_cvt_f32_i32_e32 v13, v13
	v_add_f32_e32 v23, v18, v14
	v_mul_f32_e32 v24, v23, v23
	v_mov_b32_e32 v25, 0x3ecc95a3
	v_fmac_f32_e32 v25, 0x3e9b6dac, v24
	v_mov_b32_e32 v26, 0x3f2aaada
	v_fmac_f32_e32 v26, v24, v25
	v_mul_f32_e32 v25, 0x3f317218, v13
	v_fma_f32 v27, v13, s11, -v25
	v_fmac_f32_e32 v27, 0xb102e308, v13
	v_sub_f32_e32 v13, v23, v18
	v_sub_f32_e32 v13, v14, v13
	v_add_f32_e32 v14, v25, v27
	v_sub_f32_e32 v18, v14, v25
	v_ldexp_f32 v25, v23, 1
	v_mul_f32_e32 v23, v23, v24
	v_mul_f32_e32 v23, v23, v26
	v_add_f32_e32 v24, v25, v23
	v_sub_f32_e32 v25, v24, v25
	v_ldexp_f32 v13, v13, 1
	v_sub_f32_e32 v23, v23, v25
	v_add_f32_e32 v13, v13, v23
	v_add_f32_e32 v23, v24, v13
	v_sub_f32_e32 v24, v23, v24
	v_sub_f32_e32 v13, v13, v24
	v_add_f32_e32 v24, v14, v23
	v_sub_f32_e32 v25, v24, v14
	v_sub_f32_e32 v26, v24, v25
	;; [unrolled: 1-line block ×5, first 2 shown]
	v_add_f32_e32 v14, v23, v14
	v_add_f32_e32 v23, v18, v13
	v_sub_f32_e32 v25, v23, v18
	v_sub_f32_e32 v26, v23, v25
	;; [unrolled: 1-line block ×4, first 2 shown]
	v_add_f32_e32 v14, v23, v14
	v_add_f32_e32 v13, v13, v18
	;; [unrolled: 1-line block ×3, first 2 shown]
	v_sub_f32_e32 v23, v18, v24
	v_sub_f32_e32 v14, v14, v23
	v_add_f32_e32 v13, v13, v14
	v_add_f32_e32 v13, v18, v13
	v_cmp_neq_f32_e32 vcc, s10, v17
	s_mov_b32 s10, 0x33800000
	v_cndmask_b32_e32 v13, v16, v13, vcc
	v_cmp_lt_f32_e64 vcc, |v17|, s10
	v_cndmask_b32_e32 v13, v13, v17, vcc
	v_add_f32_e32 v13, v15, v13
	v_cvt_f16_f32_e32 v13, v13
	v_cvt_f32_f16_e32 v14, v13
	v_mov_b32_e32 v45, v13
.LBB420_61:
	s_or_b64 exec, exec, s[4:5]
	v_cvt_f32_f16_sdwa v23, v10 dst_sel:DWORD dst_unused:UNUSED_PAD src0_sel:WORD_1
	v_max_f32_e32 v15, v14, v14
	v_cmp_u_f16_e32 vcc, v13, v13
	v_cmp_u_f16_sdwa s[10:11], v10, v10 src0_sel:WORD_1 src1_sel:WORD_1
	v_min_f32_e32 v16, v15, v23
	v_max_f32_e32 v15, v15, v23
	v_cndmask_b32_e32 v16, v16, v14, vcc
	v_cndmask_b32_e32 v15, v15, v14, vcc
	v_cndmask_b32_e64 v16, v16, v23, s[10:11]
	v_cndmask_b32_e64 v15, v15, v23, s[10:11]
	s_movk_i32 s14, 0x1f8
	v_cmp_neq_f32_e32 vcc, v16, v15
	v_cmp_class_f32_e64 s[4:5], v16, s14
	s_or_b64 s[12:13], vcc, s[4:5]
	s_and_saveexec_b64 s[4:5], s[12:13]
	s_cbranch_execz .LBB420_63
; %bb.62:
	v_sub_f32_e32 v13, v16, v15
	s_mov_b32 s12, 0x3fb8aa3b
	v_mul_f32_e32 v14, 0x3fb8aa3b, v13
	v_fma_f32 v16, v13, s12, -v14
	v_rndne_f32_e32 v17, v14
	v_fmac_f32_e32 v16, 0x32a5705f, v13
	v_sub_f32_e32 v14, v14, v17
	v_add_f32_e32 v14, v14, v16
	v_exp_f32_e32 v14, v14
	v_cvt_i32_f32_e32 v16, v17
	s_mov_b32 s12, 0xc2ce8ed0
	v_cmp_ngt_f32_e32 vcc, s12, v13
	s_mov_b32 s12, 0x42b17218
	v_ldexp_f32 v14, v14, v16
	v_cndmask_b32_e32 v14, 0, v14, vcc
	v_mov_b32_e32 v16, 0x7f800000
	v_cmp_nlt_f32_e32 vcc, s12, v13
	v_cndmask_b32_e32 v17, v16, v14, vcc
	v_add_f32_e32 v18, 1.0, v17
	v_cvt_f64_f32_e32 v[13:14], v18
	v_add_f32_e32 v24, -1.0, v18
	v_sub_f32_e32 v25, v24, v18
	v_sub_f32_e32 v24, v17, v24
	v_frexp_exp_i32_f64_e32 v13, v[13:14]
	v_add_f32_e32 v14, 1.0, v25
	v_add_f32_e32 v14, v24, v14
	v_frexp_mant_f32_e32 v24, v18
	s_mov_b32 s13, 0x3f2aaaab
	v_cmp_gt_f32_e32 vcc, s13, v24
	s_mov_b32 s13, 0x3f317218
	s_mov_b32 s12, 0x7f800000
	v_subbrev_co_u32_e32 v13, vcc, 0, v13, vcc
	v_sub_u32_e32 v24, 0, v13
	v_ldexp_f32 v18, v18, v24
	v_ldexp_f32 v14, v14, v24
	v_add_f32_e32 v24, -1.0, v18
	v_add_f32_e32 v27, 1.0, v18
	v_add_f32_e32 v25, 1.0, v24
	v_add_f32_e32 v28, -1.0, v27
	v_sub_f32_e32 v25, v18, v25
	v_sub_f32_e32 v18, v18, v28
	v_add_f32_e32 v25, v14, v25
	v_add_f32_e32 v14, v14, v18
	;; [unrolled: 1-line block ×3, first 2 shown]
	v_rcp_f32_e32 v28, v18
	v_add_f32_e32 v26, v24, v25
	v_sub_f32_e32 v24, v24, v26
	v_add_f32_e32 v24, v25, v24
	v_sub_f32_e32 v25, v27, v18
	v_add_f32_e32 v14, v14, v25
	v_mul_f32_e32 v25, v26, v28
	v_mul_f32_e32 v27, v18, v25
	v_fma_f32 v29, v25, v18, -v27
	v_fmac_f32_e32 v29, v25, v14
	v_add_f32_e32 v30, v27, v29
	v_sub_f32_e32 v31, v26, v30
	v_sub_f32_e32 v26, v26, v31
	;; [unrolled: 1-line block ×4, first 2 shown]
	v_add_f32_e32 v24, v24, v26
	v_sub_f32_e32 v26, v27, v29
	v_add_f32_e32 v24, v26, v24
	v_add_f32_e32 v26, v31, v24
	v_mul_f32_e32 v27, v28, v26
	v_mul_f32_e32 v29, v18, v27
	v_fma_f32 v18, v27, v18, -v29
	v_fmac_f32_e32 v18, v27, v14
	v_sub_f32_e32 v14, v31, v26
	v_add_f32_e32 v14, v24, v14
	v_add_f32_e32 v24, v29, v18
	v_sub_f32_e32 v30, v26, v24
	v_sub_f32_e32 v26, v26, v30
	;; [unrolled: 1-line block ×4, first 2 shown]
	v_add_f32_e32 v14, v14, v24
	v_sub_f32_e32 v18, v29, v18
	v_add_f32_e32 v14, v18, v14
	v_add_f32_e32 v18, v25, v27
	;; [unrolled: 1-line block ×3, first 2 shown]
	v_sub_f32_e32 v24, v18, v25
	v_mul_f32_e32 v14, v28, v14
	v_sub_f32_e32 v24, v27, v24
	v_add_f32_e32 v14, v24, v14
	v_cvt_f32_i32_e32 v13, v13
	v_add_f32_e32 v24, v18, v14
	v_mul_f32_e32 v25, v24, v24
	v_mov_b32_e32 v26, 0x3ecc95a3
	v_fmac_f32_e32 v26, 0x3e9b6dac, v25
	v_mov_b32_e32 v27, 0x3f2aaada
	v_fmac_f32_e32 v27, v25, v26
	v_mul_f32_e32 v26, 0x3f317218, v13
	v_fma_f32 v28, v13, s13, -v26
	v_fmac_f32_e32 v28, 0xb102e308, v13
	v_sub_f32_e32 v13, v24, v18
	v_sub_f32_e32 v13, v14, v13
	v_add_f32_e32 v14, v26, v28
	v_sub_f32_e32 v18, v14, v26
	v_ldexp_f32 v26, v24, 1
	v_mul_f32_e32 v24, v24, v25
	v_mul_f32_e32 v24, v24, v27
	v_add_f32_e32 v25, v26, v24
	v_sub_f32_e32 v26, v25, v26
	v_ldexp_f32 v13, v13, 1
	v_sub_f32_e32 v24, v24, v26
	v_add_f32_e32 v13, v13, v24
	v_add_f32_e32 v24, v25, v13
	v_sub_f32_e32 v25, v24, v25
	v_sub_f32_e32 v13, v13, v25
	v_add_f32_e32 v25, v14, v24
	v_sub_f32_e32 v26, v25, v14
	v_sub_f32_e32 v27, v25, v26
	;; [unrolled: 1-line block ×5, first 2 shown]
	v_add_f32_e32 v14, v24, v14
	v_add_f32_e32 v24, v18, v13
	v_sub_f32_e32 v26, v24, v18
	v_sub_f32_e32 v27, v24, v26
	;; [unrolled: 1-line block ×4, first 2 shown]
	v_add_f32_e32 v14, v24, v14
	v_add_f32_e32 v13, v13, v18
	;; [unrolled: 1-line block ×3, first 2 shown]
	v_sub_f32_e32 v24, v18, v25
	v_sub_f32_e32 v14, v14, v24
	v_add_f32_e32 v13, v13, v14
	v_add_f32_e32 v13, v18, v13
	v_cmp_neq_f32_e32 vcc, s12, v17
	s_mov_b32 s12, 0x33800000
	v_cndmask_b32_e32 v13, v16, v13, vcc
	v_cmp_lt_f32_e64 vcc, |v17|, s12
	v_cndmask_b32_e32 v13, v13, v17, vcc
	v_add_f32_e32 v13, v15, v13
	v_cvt_f16_f32_e32 v13, v13
	v_cvt_f32_f16_e32 v14, v13
	v_mov_b32_e32 v45, v13
.LBB420_63:
	s_or_b64 exec, exec, s[4:5]
	v_cvt_f32_f16_e32 v24, v11
	v_max_f32_e32 v15, v14, v14
	v_cmp_u_f16_e32 vcc, v13, v13
	v_cmp_u_f16_e64 s[12:13], v11, v11
	v_min_f32_e32 v16, v15, v24
	v_max_f32_e32 v15, v15, v24
	v_cndmask_b32_e32 v16, v16, v14, vcc
	v_cndmask_b32_e32 v15, v15, v14, vcc
	v_cndmask_b32_e64 v16, v16, v24, s[12:13]
	v_cndmask_b32_e64 v15, v15, v24, s[12:13]
	v_cmp_neq_f32_e32 vcc, v16, v15
	v_cmp_class_f32_e64 s[4:5], v16, s14
	s_or_b64 s[14:15], vcc, s[4:5]
	s_and_saveexec_b64 s[4:5], s[14:15]
	s_cbranch_execz .LBB420_65
; %bb.64:
	v_sub_f32_e32 v13, v16, v15
	s_mov_b32 s14, 0x3fb8aa3b
	v_mul_f32_e32 v14, 0x3fb8aa3b, v13
	v_fma_f32 v16, v13, s14, -v14
	v_rndne_f32_e32 v17, v14
	v_fmac_f32_e32 v16, 0x32a5705f, v13
	v_sub_f32_e32 v14, v14, v17
	v_add_f32_e32 v14, v14, v16
	v_exp_f32_e32 v14, v14
	v_cvt_i32_f32_e32 v16, v17
	s_mov_b32 s14, 0xc2ce8ed0
	v_cmp_ngt_f32_e32 vcc, s14, v13
	s_mov_b32 s14, 0x42b17218
	v_ldexp_f32 v14, v14, v16
	v_cndmask_b32_e32 v14, 0, v14, vcc
	v_mov_b32_e32 v16, 0x7f800000
	v_cmp_nlt_f32_e32 vcc, s14, v13
	v_cndmask_b32_e32 v17, v16, v14, vcc
	v_add_f32_e32 v18, 1.0, v17
	v_cvt_f64_f32_e32 v[13:14], v18
	v_add_f32_e32 v25, -1.0, v18
	v_sub_f32_e32 v26, v25, v18
	v_sub_f32_e32 v25, v17, v25
	v_frexp_exp_i32_f64_e32 v13, v[13:14]
	v_add_f32_e32 v14, 1.0, v26
	v_add_f32_e32 v14, v25, v14
	v_frexp_mant_f32_e32 v25, v18
	s_mov_b32 s15, 0x3f2aaaab
	v_cmp_gt_f32_e32 vcc, s15, v25
	s_mov_b32 s15, 0x3f317218
	s_mov_b32 s14, 0x7f800000
	v_subbrev_co_u32_e32 v13, vcc, 0, v13, vcc
	v_sub_u32_e32 v25, 0, v13
	v_ldexp_f32 v18, v18, v25
	v_ldexp_f32 v14, v14, v25
	v_add_f32_e32 v25, -1.0, v18
	v_add_f32_e32 v28, 1.0, v18
	v_add_f32_e32 v26, 1.0, v25
	v_add_f32_e32 v29, -1.0, v28
	v_sub_f32_e32 v26, v18, v26
	v_sub_f32_e32 v18, v18, v29
	v_add_f32_e32 v26, v14, v26
	v_add_f32_e32 v14, v14, v18
	;; [unrolled: 1-line block ×3, first 2 shown]
	v_rcp_f32_e32 v29, v18
	v_add_f32_e32 v27, v25, v26
	v_sub_f32_e32 v25, v25, v27
	v_add_f32_e32 v25, v26, v25
	v_sub_f32_e32 v26, v28, v18
	v_add_f32_e32 v14, v14, v26
	v_mul_f32_e32 v26, v27, v29
	v_mul_f32_e32 v28, v18, v26
	v_fma_f32 v30, v26, v18, -v28
	v_fmac_f32_e32 v30, v26, v14
	v_add_f32_e32 v31, v28, v30
	v_sub_f32_e32 v32, v27, v31
	v_sub_f32_e32 v27, v27, v32
	;; [unrolled: 1-line block ×4, first 2 shown]
	v_add_f32_e32 v25, v25, v27
	v_sub_f32_e32 v27, v28, v30
	v_add_f32_e32 v25, v27, v25
	v_add_f32_e32 v27, v32, v25
	v_mul_f32_e32 v28, v29, v27
	v_mul_f32_e32 v30, v18, v28
	v_fma_f32 v18, v28, v18, -v30
	v_fmac_f32_e32 v18, v28, v14
	v_sub_f32_e32 v14, v32, v27
	v_add_f32_e32 v14, v25, v14
	v_add_f32_e32 v25, v30, v18
	v_sub_f32_e32 v31, v27, v25
	v_sub_f32_e32 v27, v27, v31
	;; [unrolled: 1-line block ×4, first 2 shown]
	v_add_f32_e32 v14, v14, v25
	v_sub_f32_e32 v18, v30, v18
	v_add_f32_e32 v14, v18, v14
	v_add_f32_e32 v18, v26, v28
	;; [unrolled: 1-line block ×3, first 2 shown]
	v_sub_f32_e32 v25, v18, v26
	v_mul_f32_e32 v14, v29, v14
	v_sub_f32_e32 v25, v28, v25
	v_add_f32_e32 v14, v25, v14
	v_cvt_f32_i32_e32 v13, v13
	v_add_f32_e32 v25, v18, v14
	v_mul_f32_e32 v26, v25, v25
	v_mov_b32_e32 v27, 0x3ecc95a3
	v_fmac_f32_e32 v27, 0x3e9b6dac, v26
	v_mov_b32_e32 v28, 0x3f2aaada
	v_fmac_f32_e32 v28, v26, v27
	v_mul_f32_e32 v27, 0x3f317218, v13
	v_fma_f32 v29, v13, s15, -v27
	v_fmac_f32_e32 v29, 0xb102e308, v13
	v_sub_f32_e32 v13, v25, v18
	v_sub_f32_e32 v13, v14, v13
	v_add_f32_e32 v14, v27, v29
	v_sub_f32_e32 v18, v14, v27
	v_ldexp_f32 v27, v25, 1
	v_mul_f32_e32 v25, v25, v26
	v_mul_f32_e32 v25, v25, v28
	v_add_f32_e32 v26, v27, v25
	v_sub_f32_e32 v27, v26, v27
	v_ldexp_f32 v13, v13, 1
	v_sub_f32_e32 v25, v25, v27
	v_add_f32_e32 v13, v13, v25
	v_add_f32_e32 v25, v26, v13
	v_sub_f32_e32 v26, v25, v26
	v_sub_f32_e32 v13, v13, v26
	v_add_f32_e32 v26, v14, v25
	v_sub_f32_e32 v27, v26, v14
	v_sub_f32_e32 v28, v26, v27
	;; [unrolled: 1-line block ×5, first 2 shown]
	v_add_f32_e32 v14, v25, v14
	v_add_f32_e32 v25, v18, v13
	v_sub_f32_e32 v27, v25, v18
	v_sub_f32_e32 v28, v25, v27
	v_sub_f32_e32 v18, v18, v28
	v_sub_f32_e32 v13, v13, v27
	v_add_f32_e32 v14, v25, v14
	v_add_f32_e32 v13, v13, v18
	;; [unrolled: 1-line block ×3, first 2 shown]
	v_sub_f32_e32 v25, v18, v26
	v_sub_f32_e32 v14, v14, v25
	v_add_f32_e32 v13, v13, v14
	v_add_f32_e32 v13, v18, v13
	v_cmp_neq_f32_e32 vcc, s14, v17
	s_mov_b32 s14, 0x33800000
	v_cndmask_b32_e32 v13, v16, v13, vcc
	v_cmp_lt_f32_e64 vcc, |v17|, s14
	v_cndmask_b32_e32 v13, v13, v17, vcc
	v_add_f32_e32 v13, v15, v13
	v_cvt_f16_f32_e32 v13, v13
	v_cvt_f32_f16_e32 v14, v13
	v_mov_b32_e32 v45, v13
.LBB420_65:
	s_or_b64 exec, exec, s[4:5]
	v_cvt_f32_f16_sdwa v25, v11 dst_sel:DWORD dst_unused:UNUSED_PAD src0_sel:WORD_1
	v_max_f32_e32 v15, v14, v14
	v_cmp_u_f16_e32 vcc, v13, v13
	v_cmp_u_f16_sdwa s[14:15], v11, v11 src0_sel:WORD_1 src1_sel:WORD_1
	v_min_f32_e32 v16, v15, v25
	v_max_f32_e32 v15, v15, v25
	v_cndmask_b32_e32 v16, v16, v14, vcc
	v_cndmask_b32_e32 v15, v15, v14, vcc
	v_cndmask_b32_e64 v16, v16, v25, s[14:15]
	v_cndmask_b32_e64 v15, v15, v25, s[14:15]
	s_movk_i32 s18, 0x1f8
	v_cmp_neq_f32_e32 vcc, v16, v15
	v_cmp_class_f32_e64 s[4:5], v16, s18
	s_or_b64 s[16:17], vcc, s[4:5]
	s_and_saveexec_b64 s[4:5], s[16:17]
	s_cbranch_execz .LBB420_67
; %bb.66:
	v_sub_f32_e32 v13, v16, v15
	s_mov_b32 s16, 0x3fb8aa3b
	v_mul_f32_e32 v14, 0x3fb8aa3b, v13
	v_fma_f32 v16, v13, s16, -v14
	v_rndne_f32_e32 v17, v14
	v_fmac_f32_e32 v16, 0x32a5705f, v13
	v_sub_f32_e32 v14, v14, v17
	v_add_f32_e32 v14, v14, v16
	v_exp_f32_e32 v14, v14
	v_cvt_i32_f32_e32 v16, v17
	s_mov_b32 s16, 0xc2ce8ed0
	v_cmp_ngt_f32_e32 vcc, s16, v13
	s_mov_b32 s16, 0x42b17218
	v_ldexp_f32 v14, v14, v16
	v_cndmask_b32_e32 v14, 0, v14, vcc
	v_mov_b32_e32 v16, 0x7f800000
	v_cmp_nlt_f32_e32 vcc, s16, v13
	v_cndmask_b32_e32 v17, v16, v14, vcc
	v_add_f32_e32 v18, 1.0, v17
	v_cvt_f64_f32_e32 v[13:14], v18
	v_add_f32_e32 v26, -1.0, v18
	v_sub_f32_e32 v27, v26, v18
	v_sub_f32_e32 v26, v17, v26
	v_frexp_exp_i32_f64_e32 v13, v[13:14]
	v_add_f32_e32 v14, 1.0, v27
	v_add_f32_e32 v14, v26, v14
	v_frexp_mant_f32_e32 v26, v18
	s_mov_b32 s17, 0x3f2aaaab
	v_cmp_gt_f32_e32 vcc, s17, v26
	s_mov_b32 s17, 0x3f317218
	s_mov_b32 s16, 0x7f800000
	v_subbrev_co_u32_e32 v13, vcc, 0, v13, vcc
	v_sub_u32_e32 v26, 0, v13
	v_ldexp_f32 v18, v18, v26
	v_ldexp_f32 v14, v14, v26
	v_add_f32_e32 v26, -1.0, v18
	v_add_f32_e32 v29, 1.0, v18
	v_add_f32_e32 v27, 1.0, v26
	v_add_f32_e32 v30, -1.0, v29
	v_sub_f32_e32 v27, v18, v27
	v_sub_f32_e32 v18, v18, v30
	v_add_f32_e32 v27, v14, v27
	v_add_f32_e32 v14, v14, v18
	;; [unrolled: 1-line block ×3, first 2 shown]
	v_rcp_f32_e32 v30, v18
	v_add_f32_e32 v28, v26, v27
	v_sub_f32_e32 v26, v26, v28
	v_add_f32_e32 v26, v27, v26
	v_sub_f32_e32 v27, v29, v18
	v_add_f32_e32 v14, v14, v27
	v_mul_f32_e32 v27, v28, v30
	v_mul_f32_e32 v29, v18, v27
	v_fma_f32 v31, v27, v18, -v29
	v_fmac_f32_e32 v31, v27, v14
	v_add_f32_e32 v32, v29, v31
	v_sub_f32_e32 v33, v28, v32
	v_sub_f32_e32 v28, v28, v33
	;; [unrolled: 1-line block ×4, first 2 shown]
	v_add_f32_e32 v26, v26, v28
	v_sub_f32_e32 v28, v29, v31
	v_add_f32_e32 v26, v28, v26
	v_add_f32_e32 v28, v33, v26
	v_mul_f32_e32 v29, v30, v28
	v_mul_f32_e32 v31, v18, v29
	v_fma_f32 v18, v29, v18, -v31
	v_fmac_f32_e32 v18, v29, v14
	v_sub_f32_e32 v14, v33, v28
	v_add_f32_e32 v14, v26, v14
	v_add_f32_e32 v26, v31, v18
	v_sub_f32_e32 v32, v28, v26
	v_sub_f32_e32 v28, v28, v32
	v_sub_f32_e32 v31, v26, v31
	v_sub_f32_e32 v26, v28, v26
	v_add_f32_e32 v14, v14, v26
	v_sub_f32_e32 v18, v31, v18
	v_add_f32_e32 v14, v18, v14
	v_add_f32_e32 v18, v27, v29
	;; [unrolled: 1-line block ×3, first 2 shown]
	v_sub_f32_e32 v26, v18, v27
	v_mul_f32_e32 v14, v30, v14
	v_sub_f32_e32 v26, v29, v26
	v_add_f32_e32 v14, v26, v14
	v_cvt_f32_i32_e32 v13, v13
	v_add_f32_e32 v26, v18, v14
	v_mul_f32_e32 v27, v26, v26
	v_mov_b32_e32 v28, 0x3ecc95a3
	v_fmac_f32_e32 v28, 0x3e9b6dac, v27
	v_mov_b32_e32 v29, 0x3f2aaada
	v_fmac_f32_e32 v29, v27, v28
	v_mul_f32_e32 v28, 0x3f317218, v13
	v_fma_f32 v30, v13, s17, -v28
	v_fmac_f32_e32 v30, 0xb102e308, v13
	v_sub_f32_e32 v13, v26, v18
	v_sub_f32_e32 v13, v14, v13
	v_add_f32_e32 v14, v28, v30
	v_sub_f32_e32 v18, v14, v28
	v_ldexp_f32 v28, v26, 1
	v_mul_f32_e32 v26, v26, v27
	v_mul_f32_e32 v26, v26, v29
	v_add_f32_e32 v27, v28, v26
	v_sub_f32_e32 v28, v27, v28
	v_ldexp_f32 v13, v13, 1
	v_sub_f32_e32 v26, v26, v28
	v_add_f32_e32 v13, v13, v26
	v_add_f32_e32 v26, v27, v13
	v_sub_f32_e32 v27, v26, v27
	v_sub_f32_e32 v13, v13, v27
	v_add_f32_e32 v27, v14, v26
	v_sub_f32_e32 v28, v27, v14
	v_sub_f32_e32 v29, v27, v28
	;; [unrolled: 1-line block ×5, first 2 shown]
	v_add_f32_e32 v14, v26, v14
	v_add_f32_e32 v26, v18, v13
	v_sub_f32_e32 v28, v26, v18
	v_sub_f32_e32 v29, v26, v28
	;; [unrolled: 1-line block ×4, first 2 shown]
	v_add_f32_e32 v14, v26, v14
	v_add_f32_e32 v13, v13, v18
	;; [unrolled: 1-line block ×3, first 2 shown]
	v_sub_f32_e32 v26, v18, v27
	v_sub_f32_e32 v14, v14, v26
	v_add_f32_e32 v13, v13, v14
	v_add_f32_e32 v13, v18, v13
	v_cmp_neq_f32_e32 vcc, s16, v17
	s_mov_b32 s16, 0x33800000
	v_cndmask_b32_e32 v13, v16, v13, vcc
	v_cmp_lt_f32_e64 vcc, |v17|, s16
	v_cndmask_b32_e32 v13, v13, v17, vcc
	v_add_f32_e32 v13, v15, v13
	v_cvt_f16_f32_e32 v13, v13
	v_cvt_f32_f16_e32 v14, v13
	v_mov_b32_e32 v45, v13
.LBB420_67:
	s_or_b64 exec, exec, s[4:5]
	v_cvt_f32_f16_e32 v26, v12
	v_max_f32_e32 v15, v14, v14
	v_cmp_u_f16_e32 vcc, v13, v13
	v_cmp_u_f16_e64 s[16:17], v12, v12
	v_min_f32_e32 v16, v15, v26
	v_max_f32_e32 v15, v15, v26
	v_cndmask_b32_e32 v16, v16, v14, vcc
	v_cndmask_b32_e32 v15, v15, v14, vcc
	v_cndmask_b32_e64 v16, v16, v26, s[16:17]
	v_cndmask_b32_e64 v15, v15, v26, s[16:17]
	v_cmp_neq_f32_e32 vcc, v16, v15
	v_cmp_class_f32_e64 s[4:5], v16, s18
	s_or_b64 s[18:19], vcc, s[4:5]
	s_and_saveexec_b64 s[4:5], s[18:19]
	s_cbranch_execz .LBB420_69
; %bb.68:
	v_sub_f32_e32 v13, v16, v15
	s_mov_b32 s18, 0x3fb8aa3b
	v_mul_f32_e32 v14, 0x3fb8aa3b, v13
	v_fma_f32 v16, v13, s18, -v14
	v_rndne_f32_e32 v17, v14
	v_fmac_f32_e32 v16, 0x32a5705f, v13
	v_sub_f32_e32 v14, v14, v17
	v_add_f32_e32 v14, v14, v16
	v_exp_f32_e32 v14, v14
	v_cvt_i32_f32_e32 v16, v17
	s_mov_b32 s18, 0xc2ce8ed0
	v_cmp_ngt_f32_e32 vcc, s18, v13
	s_mov_b32 s18, 0x42b17218
	v_ldexp_f32 v14, v14, v16
	v_cndmask_b32_e32 v14, 0, v14, vcc
	v_mov_b32_e32 v16, 0x7f800000
	v_cmp_nlt_f32_e32 vcc, s18, v13
	v_cndmask_b32_e32 v17, v16, v14, vcc
	v_add_f32_e32 v18, 1.0, v17
	v_cvt_f64_f32_e32 v[13:14], v18
	v_add_f32_e32 v27, -1.0, v18
	v_sub_f32_e32 v28, v27, v18
	v_sub_f32_e32 v27, v17, v27
	v_frexp_exp_i32_f64_e32 v13, v[13:14]
	v_add_f32_e32 v14, 1.0, v28
	v_add_f32_e32 v14, v27, v14
	v_frexp_mant_f32_e32 v27, v18
	s_mov_b32 s19, 0x3f2aaaab
	v_cmp_gt_f32_e32 vcc, s19, v27
	s_mov_b32 s19, 0x3f317218
	s_mov_b32 s18, 0x7f800000
	v_subbrev_co_u32_e32 v13, vcc, 0, v13, vcc
	v_sub_u32_e32 v27, 0, v13
	v_ldexp_f32 v18, v18, v27
	v_ldexp_f32 v14, v14, v27
	v_add_f32_e32 v27, -1.0, v18
	v_add_f32_e32 v30, 1.0, v18
	v_add_f32_e32 v28, 1.0, v27
	v_add_f32_e32 v31, -1.0, v30
	v_sub_f32_e32 v28, v18, v28
	v_sub_f32_e32 v18, v18, v31
	v_add_f32_e32 v28, v14, v28
	v_add_f32_e32 v14, v14, v18
	;; [unrolled: 1-line block ×3, first 2 shown]
	v_rcp_f32_e32 v31, v18
	v_add_f32_e32 v29, v27, v28
	v_sub_f32_e32 v27, v27, v29
	v_add_f32_e32 v27, v28, v27
	v_sub_f32_e32 v28, v30, v18
	v_add_f32_e32 v14, v14, v28
	v_mul_f32_e32 v28, v29, v31
	v_mul_f32_e32 v30, v18, v28
	v_fma_f32 v32, v28, v18, -v30
	v_fmac_f32_e32 v32, v28, v14
	v_add_f32_e32 v33, v30, v32
	v_sub_f32_e32 v34, v29, v33
	v_sub_f32_e32 v29, v29, v34
	;; [unrolled: 1-line block ×4, first 2 shown]
	v_add_f32_e32 v27, v27, v29
	v_sub_f32_e32 v29, v30, v32
	v_add_f32_e32 v27, v29, v27
	v_add_f32_e32 v29, v34, v27
	v_mul_f32_e32 v30, v31, v29
	v_mul_f32_e32 v32, v18, v30
	v_fma_f32 v18, v30, v18, -v32
	v_fmac_f32_e32 v18, v30, v14
	v_sub_f32_e32 v14, v34, v29
	v_add_f32_e32 v14, v27, v14
	v_add_f32_e32 v27, v32, v18
	v_sub_f32_e32 v33, v29, v27
	v_sub_f32_e32 v29, v29, v33
	;; [unrolled: 1-line block ×4, first 2 shown]
	v_add_f32_e32 v14, v14, v27
	v_sub_f32_e32 v18, v32, v18
	v_add_f32_e32 v14, v18, v14
	v_add_f32_e32 v18, v28, v30
	;; [unrolled: 1-line block ×3, first 2 shown]
	v_sub_f32_e32 v27, v18, v28
	v_mul_f32_e32 v14, v31, v14
	v_sub_f32_e32 v27, v30, v27
	v_add_f32_e32 v14, v27, v14
	v_cvt_f32_i32_e32 v13, v13
	v_add_f32_e32 v27, v18, v14
	v_mul_f32_e32 v28, v27, v27
	v_mov_b32_e32 v29, 0x3ecc95a3
	v_fmac_f32_e32 v29, 0x3e9b6dac, v28
	v_mov_b32_e32 v30, 0x3f2aaada
	v_fmac_f32_e32 v30, v28, v29
	v_mul_f32_e32 v29, 0x3f317218, v13
	v_fma_f32 v31, v13, s19, -v29
	v_fmac_f32_e32 v31, 0xb102e308, v13
	v_sub_f32_e32 v13, v27, v18
	v_sub_f32_e32 v13, v14, v13
	v_add_f32_e32 v14, v29, v31
	v_sub_f32_e32 v18, v14, v29
	v_ldexp_f32 v29, v27, 1
	v_mul_f32_e32 v27, v27, v28
	v_mul_f32_e32 v27, v27, v30
	v_add_f32_e32 v28, v29, v27
	v_sub_f32_e32 v29, v28, v29
	v_ldexp_f32 v13, v13, 1
	v_sub_f32_e32 v27, v27, v29
	v_add_f32_e32 v13, v13, v27
	v_add_f32_e32 v27, v28, v13
	v_sub_f32_e32 v28, v27, v28
	v_sub_f32_e32 v13, v13, v28
	v_add_f32_e32 v28, v14, v27
	v_sub_f32_e32 v29, v28, v14
	v_sub_f32_e32 v30, v28, v29
	;; [unrolled: 1-line block ×5, first 2 shown]
	v_add_f32_e32 v14, v27, v14
	v_add_f32_e32 v27, v18, v13
	v_sub_f32_e32 v29, v27, v18
	v_sub_f32_e32 v30, v27, v29
	v_sub_f32_e32 v18, v18, v30
	v_sub_f32_e32 v13, v13, v29
	v_add_f32_e32 v14, v27, v14
	v_add_f32_e32 v13, v13, v18
	;; [unrolled: 1-line block ×3, first 2 shown]
	v_sub_f32_e32 v27, v18, v28
	v_sub_f32_e32 v14, v14, v27
	v_add_f32_e32 v13, v13, v14
	v_add_f32_e32 v13, v18, v13
	v_cmp_neq_f32_e32 vcc, s18, v17
	s_mov_b32 s18, 0x33800000
	v_cndmask_b32_e32 v13, v16, v13, vcc
	v_cmp_lt_f32_e64 vcc, |v17|, s18
	v_cndmask_b32_e32 v13, v13, v17, vcc
	v_add_f32_e32 v13, v15, v13
	v_cvt_f16_f32_e32 v13, v13
	v_cvt_f32_f16_e32 v14, v13
	v_mov_b32_e32 v45, v13
.LBB420_69:
	s_or_b64 exec, exec, s[4:5]
	v_cvt_f32_f16_sdwa v27, v12 dst_sel:DWORD dst_unused:UNUSED_PAD src0_sel:WORD_1
	v_max_f32_e32 v15, v14, v14
	v_cmp_u_f16_e32 vcc, v13, v13
	v_cmp_u_f16_sdwa s[18:19], v12, v12 src0_sel:WORD_1 src1_sel:WORD_1
	v_min_f32_e32 v16, v15, v27
	v_max_f32_e32 v15, v15, v27
	v_cndmask_b32_e32 v16, v16, v14, vcc
	v_cndmask_b32_e32 v15, v15, v14, vcc
	v_cndmask_b32_e64 v16, v16, v27, s[18:19]
	v_cndmask_b32_e64 v15, v15, v27, s[18:19]
	s_movk_i32 s22, 0x1f8
	v_cmp_neq_f32_e32 vcc, v16, v15
	v_cmp_class_f32_e64 s[4:5], v16, s22
	s_or_b64 s[20:21], vcc, s[4:5]
	s_and_saveexec_b64 s[4:5], s[20:21]
	s_cbranch_execz .LBB420_71
; %bb.70:
	v_sub_f32_e32 v13, v16, v15
	s_mov_b32 s20, 0x3fb8aa3b
	v_mul_f32_e32 v14, 0x3fb8aa3b, v13
	v_fma_f32 v16, v13, s20, -v14
	v_rndne_f32_e32 v17, v14
	v_fmac_f32_e32 v16, 0x32a5705f, v13
	v_sub_f32_e32 v14, v14, v17
	v_add_f32_e32 v14, v14, v16
	v_exp_f32_e32 v14, v14
	v_cvt_i32_f32_e32 v16, v17
	s_mov_b32 s20, 0xc2ce8ed0
	v_cmp_ngt_f32_e32 vcc, s20, v13
	s_mov_b32 s20, 0x42b17218
	v_ldexp_f32 v14, v14, v16
	v_cndmask_b32_e32 v14, 0, v14, vcc
	v_mov_b32_e32 v16, 0x7f800000
	v_cmp_nlt_f32_e32 vcc, s20, v13
	v_cndmask_b32_e32 v17, v16, v14, vcc
	v_add_f32_e32 v18, 1.0, v17
	v_cvt_f64_f32_e32 v[13:14], v18
	v_add_f32_e32 v28, -1.0, v18
	v_sub_f32_e32 v29, v28, v18
	v_sub_f32_e32 v28, v17, v28
	v_frexp_exp_i32_f64_e32 v13, v[13:14]
	v_add_f32_e32 v14, 1.0, v29
	v_add_f32_e32 v14, v28, v14
	v_frexp_mant_f32_e32 v28, v18
	s_mov_b32 s21, 0x3f2aaaab
	v_cmp_gt_f32_e32 vcc, s21, v28
	s_mov_b32 s21, 0x3f317218
	s_mov_b32 s20, 0x7f800000
	v_subbrev_co_u32_e32 v13, vcc, 0, v13, vcc
	v_sub_u32_e32 v28, 0, v13
	v_ldexp_f32 v18, v18, v28
	v_ldexp_f32 v14, v14, v28
	v_add_f32_e32 v28, -1.0, v18
	v_add_f32_e32 v31, 1.0, v18
	v_add_f32_e32 v29, 1.0, v28
	v_add_f32_e32 v32, -1.0, v31
	v_sub_f32_e32 v29, v18, v29
	v_sub_f32_e32 v18, v18, v32
	v_add_f32_e32 v29, v14, v29
	v_add_f32_e32 v14, v14, v18
	;; [unrolled: 1-line block ×3, first 2 shown]
	v_rcp_f32_e32 v32, v18
	v_add_f32_e32 v30, v28, v29
	v_sub_f32_e32 v28, v28, v30
	v_add_f32_e32 v28, v29, v28
	v_sub_f32_e32 v29, v31, v18
	v_add_f32_e32 v14, v14, v29
	v_mul_f32_e32 v29, v30, v32
	v_mul_f32_e32 v31, v18, v29
	v_fma_f32 v33, v29, v18, -v31
	v_fmac_f32_e32 v33, v29, v14
	v_add_f32_e32 v34, v31, v33
	v_sub_f32_e32 v35, v30, v34
	v_sub_f32_e32 v30, v30, v35
	;; [unrolled: 1-line block ×4, first 2 shown]
	v_add_f32_e32 v28, v28, v30
	v_sub_f32_e32 v30, v31, v33
	v_add_f32_e32 v28, v30, v28
	v_add_f32_e32 v30, v35, v28
	v_mul_f32_e32 v31, v32, v30
	v_mul_f32_e32 v33, v18, v31
	v_fma_f32 v18, v31, v18, -v33
	v_fmac_f32_e32 v18, v31, v14
	v_sub_f32_e32 v14, v35, v30
	v_add_f32_e32 v14, v28, v14
	v_add_f32_e32 v28, v33, v18
	v_sub_f32_e32 v34, v30, v28
	v_sub_f32_e32 v30, v30, v34
	;; [unrolled: 1-line block ×4, first 2 shown]
	v_add_f32_e32 v14, v14, v28
	v_sub_f32_e32 v18, v33, v18
	v_add_f32_e32 v14, v18, v14
	v_add_f32_e32 v18, v29, v31
	;; [unrolled: 1-line block ×3, first 2 shown]
	v_sub_f32_e32 v28, v18, v29
	v_mul_f32_e32 v14, v32, v14
	v_sub_f32_e32 v28, v31, v28
	v_add_f32_e32 v14, v28, v14
	v_cvt_f32_i32_e32 v13, v13
	v_add_f32_e32 v28, v18, v14
	v_mul_f32_e32 v29, v28, v28
	v_mov_b32_e32 v30, 0x3ecc95a3
	v_fmac_f32_e32 v30, 0x3e9b6dac, v29
	v_mov_b32_e32 v31, 0x3f2aaada
	v_fmac_f32_e32 v31, v29, v30
	v_mul_f32_e32 v30, 0x3f317218, v13
	v_fma_f32 v32, v13, s21, -v30
	v_fmac_f32_e32 v32, 0xb102e308, v13
	v_sub_f32_e32 v13, v28, v18
	v_sub_f32_e32 v13, v14, v13
	v_add_f32_e32 v14, v30, v32
	v_sub_f32_e32 v18, v14, v30
	v_ldexp_f32 v30, v28, 1
	v_mul_f32_e32 v28, v28, v29
	v_mul_f32_e32 v28, v28, v31
	v_add_f32_e32 v29, v30, v28
	v_sub_f32_e32 v30, v29, v30
	v_ldexp_f32 v13, v13, 1
	v_sub_f32_e32 v28, v28, v30
	v_add_f32_e32 v13, v13, v28
	v_add_f32_e32 v28, v29, v13
	v_sub_f32_e32 v29, v28, v29
	v_sub_f32_e32 v13, v13, v29
	v_add_f32_e32 v29, v14, v28
	v_sub_f32_e32 v30, v29, v14
	v_sub_f32_e32 v31, v29, v30
	;; [unrolled: 1-line block ×5, first 2 shown]
	v_add_f32_e32 v14, v28, v14
	v_add_f32_e32 v28, v18, v13
	v_sub_f32_e32 v30, v28, v18
	v_sub_f32_e32 v31, v28, v30
	;; [unrolled: 1-line block ×4, first 2 shown]
	v_add_f32_e32 v14, v28, v14
	v_add_f32_e32 v13, v13, v18
	v_add_f32_e32 v18, v29, v14
	v_sub_f32_e32 v28, v18, v29
	v_sub_f32_e32 v14, v14, v28
	v_add_f32_e32 v13, v13, v14
	v_add_f32_e32 v13, v18, v13
	v_cmp_neq_f32_e32 vcc, s20, v17
	s_mov_b32 s20, 0x33800000
	v_cndmask_b32_e32 v13, v16, v13, vcc
	v_cmp_lt_f32_e64 vcc, |v17|, s20
	v_cndmask_b32_e32 v13, v13, v17, vcc
	v_add_f32_e32 v13, v15, v13
	v_cvt_f16_f32_e32 v13, v13
	v_cvt_f32_f16_e32 v14, v13
	v_mov_b32_e32 v45, v13
.LBB420_71:
	s_or_b64 exec, exec, s[4:5]
	v_cvt_f32_f16_e32 v28, v5
	v_max_f32_e32 v15, v14, v14
	v_cmp_u_f16_e32 vcc, v13, v13
	v_cmp_u_f16_e64 s[20:21], v5, v5
	v_min_f32_e32 v16, v15, v28
	v_max_f32_e32 v15, v15, v28
	v_cndmask_b32_e32 v16, v16, v14, vcc
	v_cndmask_b32_e32 v15, v15, v14, vcc
	v_cndmask_b32_e64 v16, v16, v28, s[20:21]
	v_cndmask_b32_e64 v15, v15, v28, s[20:21]
	v_cmp_neq_f32_e32 vcc, v16, v15
	v_cmp_class_f32_e64 s[4:5], v16, s22
	s_or_b64 s[22:23], vcc, s[4:5]
	s_and_saveexec_b64 s[4:5], s[22:23]
	s_cbranch_execz .LBB420_73
; %bb.72:
	v_sub_f32_e32 v13, v16, v15
	s_mov_b32 s22, 0x3fb8aa3b
	v_mul_f32_e32 v14, 0x3fb8aa3b, v13
	v_fma_f32 v16, v13, s22, -v14
	v_rndne_f32_e32 v17, v14
	v_fmac_f32_e32 v16, 0x32a5705f, v13
	v_sub_f32_e32 v14, v14, v17
	v_add_f32_e32 v14, v14, v16
	v_exp_f32_e32 v14, v14
	v_cvt_i32_f32_e32 v16, v17
	s_mov_b32 s22, 0xc2ce8ed0
	v_cmp_ngt_f32_e32 vcc, s22, v13
	s_mov_b32 s22, 0x42b17218
	v_ldexp_f32 v14, v14, v16
	v_cndmask_b32_e32 v14, 0, v14, vcc
	v_mov_b32_e32 v16, 0x7f800000
	v_cmp_nlt_f32_e32 vcc, s22, v13
	v_cndmask_b32_e32 v17, v16, v14, vcc
	v_add_f32_e32 v18, 1.0, v17
	v_cvt_f64_f32_e32 v[13:14], v18
	v_add_f32_e32 v29, -1.0, v18
	v_sub_f32_e32 v30, v29, v18
	v_sub_f32_e32 v29, v17, v29
	v_frexp_exp_i32_f64_e32 v13, v[13:14]
	v_add_f32_e32 v14, 1.0, v30
	v_add_f32_e32 v14, v29, v14
	v_frexp_mant_f32_e32 v29, v18
	s_mov_b32 s23, 0x3f2aaaab
	v_cmp_gt_f32_e32 vcc, s23, v29
	s_mov_b32 s23, 0x3f317218
	s_mov_b32 s22, 0x7f800000
	v_subbrev_co_u32_e32 v13, vcc, 0, v13, vcc
	v_sub_u32_e32 v29, 0, v13
	v_ldexp_f32 v18, v18, v29
	v_ldexp_f32 v14, v14, v29
	v_add_f32_e32 v29, -1.0, v18
	v_add_f32_e32 v32, 1.0, v18
	v_add_f32_e32 v30, 1.0, v29
	v_add_f32_e32 v33, -1.0, v32
	v_sub_f32_e32 v30, v18, v30
	v_sub_f32_e32 v18, v18, v33
	v_add_f32_e32 v30, v14, v30
	v_add_f32_e32 v14, v14, v18
	;; [unrolled: 1-line block ×3, first 2 shown]
	v_rcp_f32_e32 v33, v18
	v_add_f32_e32 v31, v29, v30
	v_sub_f32_e32 v29, v29, v31
	v_add_f32_e32 v29, v30, v29
	v_sub_f32_e32 v30, v32, v18
	v_add_f32_e32 v14, v14, v30
	v_mul_f32_e32 v30, v31, v33
	v_mul_f32_e32 v32, v18, v30
	v_fma_f32 v34, v30, v18, -v32
	v_fmac_f32_e32 v34, v30, v14
	v_add_f32_e32 v35, v32, v34
	v_sub_f32_e32 v36, v31, v35
	v_sub_f32_e32 v31, v31, v36
	;; [unrolled: 1-line block ×4, first 2 shown]
	v_add_f32_e32 v29, v29, v31
	v_sub_f32_e32 v31, v32, v34
	v_add_f32_e32 v29, v31, v29
	v_add_f32_e32 v31, v36, v29
	v_mul_f32_e32 v32, v33, v31
	v_mul_f32_e32 v34, v18, v32
	v_fma_f32 v18, v32, v18, -v34
	v_fmac_f32_e32 v18, v32, v14
	v_sub_f32_e32 v14, v36, v31
	v_add_f32_e32 v14, v29, v14
	v_add_f32_e32 v29, v34, v18
	v_sub_f32_e32 v35, v31, v29
	v_sub_f32_e32 v31, v31, v35
	;; [unrolled: 1-line block ×4, first 2 shown]
	v_add_f32_e32 v14, v14, v29
	v_sub_f32_e32 v18, v34, v18
	v_add_f32_e32 v14, v18, v14
	v_add_f32_e32 v18, v30, v32
	;; [unrolled: 1-line block ×3, first 2 shown]
	v_sub_f32_e32 v29, v18, v30
	v_mul_f32_e32 v14, v33, v14
	v_sub_f32_e32 v29, v32, v29
	v_add_f32_e32 v14, v29, v14
	v_cvt_f32_i32_e32 v13, v13
	v_add_f32_e32 v29, v18, v14
	v_mul_f32_e32 v30, v29, v29
	v_mov_b32_e32 v31, 0x3ecc95a3
	v_fmac_f32_e32 v31, 0x3e9b6dac, v30
	v_mov_b32_e32 v32, 0x3f2aaada
	v_fmac_f32_e32 v32, v30, v31
	v_mul_f32_e32 v31, 0x3f317218, v13
	v_fma_f32 v33, v13, s23, -v31
	v_fmac_f32_e32 v33, 0xb102e308, v13
	v_sub_f32_e32 v13, v29, v18
	v_sub_f32_e32 v13, v14, v13
	v_add_f32_e32 v14, v31, v33
	v_sub_f32_e32 v18, v14, v31
	v_ldexp_f32 v31, v29, 1
	v_mul_f32_e32 v29, v29, v30
	v_mul_f32_e32 v29, v29, v32
	v_add_f32_e32 v30, v31, v29
	v_sub_f32_e32 v31, v30, v31
	v_ldexp_f32 v13, v13, 1
	v_sub_f32_e32 v29, v29, v31
	v_add_f32_e32 v13, v13, v29
	v_add_f32_e32 v29, v30, v13
	v_sub_f32_e32 v30, v29, v30
	v_sub_f32_e32 v13, v13, v30
	v_add_f32_e32 v30, v14, v29
	v_sub_f32_e32 v31, v30, v14
	v_sub_f32_e32 v32, v30, v31
	;; [unrolled: 1-line block ×5, first 2 shown]
	v_add_f32_e32 v14, v29, v14
	v_add_f32_e32 v29, v18, v13
	v_sub_f32_e32 v31, v29, v18
	v_sub_f32_e32 v32, v29, v31
	;; [unrolled: 1-line block ×4, first 2 shown]
	v_add_f32_e32 v14, v29, v14
	v_add_f32_e32 v13, v13, v18
	;; [unrolled: 1-line block ×3, first 2 shown]
	v_sub_f32_e32 v29, v18, v30
	v_sub_f32_e32 v14, v14, v29
	v_add_f32_e32 v13, v13, v14
	v_add_f32_e32 v13, v18, v13
	v_cmp_neq_f32_e32 vcc, s22, v17
	s_mov_b32 s22, 0x33800000
	v_cndmask_b32_e32 v13, v16, v13, vcc
	v_cmp_lt_f32_e64 vcc, |v17|, s22
	v_cndmask_b32_e32 v13, v13, v17, vcc
	v_add_f32_e32 v13, v15, v13
	v_cvt_f16_f32_e32 v13, v13
	v_cvt_f32_f16_e32 v14, v13
	v_mov_b32_e32 v45, v13
.LBB420_73:
	s_or_b64 exec, exec, s[4:5]
	v_cvt_f32_f16_sdwa v29, v5 dst_sel:DWORD dst_unused:UNUSED_PAD src0_sel:WORD_1
	v_max_f32_e32 v15, v14, v14
	v_cmp_u_f16_e32 vcc, v13, v13
	v_cmp_u_f16_sdwa s[22:23], v5, v5 src0_sel:WORD_1 src1_sel:WORD_1
	v_min_f32_e32 v16, v15, v29
	v_max_f32_e32 v15, v15, v29
	v_cndmask_b32_e32 v16, v16, v14, vcc
	v_cndmask_b32_e32 v15, v15, v14, vcc
	v_cndmask_b32_e64 v16, v16, v29, s[22:23]
	v_cndmask_b32_e64 v15, v15, v29, s[22:23]
	s_movk_i32 s26, 0x1f8
	v_cmp_neq_f32_e32 vcc, v16, v15
	v_cmp_class_f32_e64 s[4:5], v16, s26
	s_or_b64 s[24:25], vcc, s[4:5]
	s_and_saveexec_b64 s[4:5], s[24:25]
	s_cbranch_execz .LBB420_75
; %bb.74:
	v_sub_f32_e32 v13, v16, v15
	s_mov_b32 s24, 0x3fb8aa3b
	v_mul_f32_e32 v14, 0x3fb8aa3b, v13
	v_fma_f32 v16, v13, s24, -v14
	v_rndne_f32_e32 v17, v14
	v_fmac_f32_e32 v16, 0x32a5705f, v13
	v_sub_f32_e32 v14, v14, v17
	v_add_f32_e32 v14, v14, v16
	v_exp_f32_e32 v14, v14
	v_cvt_i32_f32_e32 v16, v17
	s_mov_b32 s24, 0xc2ce8ed0
	v_cmp_ngt_f32_e32 vcc, s24, v13
	s_mov_b32 s24, 0x42b17218
	v_ldexp_f32 v14, v14, v16
	v_cndmask_b32_e32 v14, 0, v14, vcc
	v_mov_b32_e32 v16, 0x7f800000
	v_cmp_nlt_f32_e32 vcc, s24, v13
	v_cndmask_b32_e32 v17, v16, v14, vcc
	v_add_f32_e32 v18, 1.0, v17
	v_cvt_f64_f32_e32 v[13:14], v18
	v_add_f32_e32 v30, -1.0, v18
	v_sub_f32_e32 v31, v30, v18
	v_sub_f32_e32 v30, v17, v30
	v_frexp_exp_i32_f64_e32 v13, v[13:14]
	v_add_f32_e32 v14, 1.0, v31
	v_add_f32_e32 v14, v30, v14
	v_frexp_mant_f32_e32 v30, v18
	s_mov_b32 s25, 0x3f2aaaab
	v_cmp_gt_f32_e32 vcc, s25, v30
	s_mov_b32 s25, 0x3f317218
	s_mov_b32 s24, 0x7f800000
	v_subbrev_co_u32_e32 v13, vcc, 0, v13, vcc
	v_sub_u32_e32 v30, 0, v13
	v_ldexp_f32 v18, v18, v30
	v_ldexp_f32 v14, v14, v30
	v_add_f32_e32 v30, -1.0, v18
	v_add_f32_e32 v33, 1.0, v18
	v_add_f32_e32 v31, 1.0, v30
	v_add_f32_e32 v34, -1.0, v33
	v_sub_f32_e32 v31, v18, v31
	v_sub_f32_e32 v18, v18, v34
	v_add_f32_e32 v31, v14, v31
	v_add_f32_e32 v14, v14, v18
	;; [unrolled: 1-line block ×3, first 2 shown]
	v_rcp_f32_e32 v34, v18
	v_add_f32_e32 v32, v30, v31
	v_sub_f32_e32 v30, v30, v32
	v_add_f32_e32 v30, v31, v30
	v_sub_f32_e32 v31, v33, v18
	v_add_f32_e32 v14, v14, v31
	v_mul_f32_e32 v31, v32, v34
	v_mul_f32_e32 v33, v18, v31
	v_fma_f32 v35, v31, v18, -v33
	v_fmac_f32_e32 v35, v31, v14
	v_add_f32_e32 v36, v33, v35
	v_sub_f32_e32 v37, v32, v36
	v_sub_f32_e32 v32, v32, v37
	v_sub_f32_e32 v33, v36, v33
	v_sub_f32_e32 v32, v32, v36
	v_add_f32_e32 v30, v30, v32
	v_sub_f32_e32 v32, v33, v35
	v_add_f32_e32 v30, v32, v30
	v_add_f32_e32 v32, v37, v30
	v_mul_f32_e32 v33, v34, v32
	v_mul_f32_e32 v35, v18, v33
	v_fma_f32 v18, v33, v18, -v35
	v_fmac_f32_e32 v18, v33, v14
	v_sub_f32_e32 v14, v37, v32
	v_add_f32_e32 v14, v30, v14
	v_add_f32_e32 v30, v35, v18
	v_sub_f32_e32 v36, v32, v30
	v_sub_f32_e32 v32, v32, v36
	;; [unrolled: 1-line block ×4, first 2 shown]
	v_add_f32_e32 v14, v14, v30
	v_sub_f32_e32 v18, v35, v18
	v_add_f32_e32 v14, v18, v14
	v_add_f32_e32 v18, v31, v33
	;; [unrolled: 1-line block ×3, first 2 shown]
	v_sub_f32_e32 v30, v18, v31
	v_mul_f32_e32 v14, v34, v14
	v_sub_f32_e32 v30, v33, v30
	v_add_f32_e32 v14, v30, v14
	v_cvt_f32_i32_e32 v13, v13
	v_add_f32_e32 v30, v18, v14
	v_mul_f32_e32 v31, v30, v30
	v_mov_b32_e32 v32, 0x3ecc95a3
	v_fmac_f32_e32 v32, 0x3e9b6dac, v31
	v_mov_b32_e32 v33, 0x3f2aaada
	v_fmac_f32_e32 v33, v31, v32
	v_mul_f32_e32 v32, 0x3f317218, v13
	v_fma_f32 v34, v13, s25, -v32
	v_fmac_f32_e32 v34, 0xb102e308, v13
	v_sub_f32_e32 v13, v30, v18
	v_sub_f32_e32 v13, v14, v13
	v_add_f32_e32 v14, v32, v34
	v_sub_f32_e32 v18, v14, v32
	v_ldexp_f32 v32, v30, 1
	v_mul_f32_e32 v30, v30, v31
	v_mul_f32_e32 v30, v30, v33
	v_add_f32_e32 v31, v32, v30
	v_sub_f32_e32 v32, v31, v32
	v_ldexp_f32 v13, v13, 1
	v_sub_f32_e32 v30, v30, v32
	v_add_f32_e32 v13, v13, v30
	v_add_f32_e32 v30, v31, v13
	v_sub_f32_e32 v31, v30, v31
	v_sub_f32_e32 v13, v13, v31
	v_add_f32_e32 v31, v14, v30
	v_sub_f32_e32 v32, v31, v14
	v_sub_f32_e32 v33, v31, v32
	;; [unrolled: 1-line block ×5, first 2 shown]
	v_add_f32_e32 v14, v30, v14
	v_add_f32_e32 v30, v18, v13
	v_sub_f32_e32 v32, v30, v18
	v_sub_f32_e32 v33, v30, v32
	;; [unrolled: 1-line block ×4, first 2 shown]
	v_add_f32_e32 v14, v30, v14
	v_add_f32_e32 v13, v13, v18
	v_add_f32_e32 v18, v31, v14
	v_sub_f32_e32 v30, v18, v31
	v_sub_f32_e32 v14, v14, v30
	v_add_f32_e32 v13, v13, v14
	v_add_f32_e32 v13, v18, v13
	v_cmp_neq_f32_e32 vcc, s24, v17
	s_mov_b32 s24, 0x33800000
	v_cndmask_b32_e32 v13, v16, v13, vcc
	v_cmp_lt_f32_e64 vcc, |v17|, s24
	v_cndmask_b32_e32 v13, v13, v17, vcc
	v_add_f32_e32 v13, v15, v13
	v_cvt_f16_f32_e32 v13, v13
	v_cvt_f32_f16_e32 v14, v13
	v_mov_b32_e32 v45, v13
.LBB420_75:
	s_or_b64 exec, exec, s[4:5]
	v_cvt_f32_f16_e32 v30, v6
	v_max_f32_e32 v15, v14, v14
	v_cmp_u_f16_e32 vcc, v13, v13
	v_cmp_u_f16_e64 s[24:25], v6, v6
	v_min_f32_e32 v16, v15, v30
	v_max_f32_e32 v15, v15, v30
	v_cndmask_b32_e32 v16, v16, v14, vcc
	v_cndmask_b32_e32 v15, v15, v14, vcc
	v_cndmask_b32_e64 v16, v16, v30, s[24:25]
	v_cndmask_b32_e64 v15, v15, v30, s[24:25]
	v_cmp_neq_f32_e32 vcc, v16, v15
	v_cmp_class_f32_e64 s[4:5], v16, s26
	s_or_b64 s[26:27], vcc, s[4:5]
	s_and_saveexec_b64 s[4:5], s[26:27]
	s_cbranch_execz .LBB420_77
; %bb.76:
	v_sub_f32_e32 v13, v16, v15
	s_mov_b32 s26, 0x3fb8aa3b
	v_mul_f32_e32 v14, 0x3fb8aa3b, v13
	v_fma_f32 v16, v13, s26, -v14
	v_rndne_f32_e32 v17, v14
	v_fmac_f32_e32 v16, 0x32a5705f, v13
	v_sub_f32_e32 v14, v14, v17
	v_add_f32_e32 v14, v14, v16
	v_exp_f32_e32 v14, v14
	v_cvt_i32_f32_e32 v16, v17
	s_mov_b32 s26, 0xc2ce8ed0
	v_cmp_ngt_f32_e32 vcc, s26, v13
	s_mov_b32 s26, 0x42b17218
	v_ldexp_f32 v14, v14, v16
	v_cndmask_b32_e32 v14, 0, v14, vcc
	v_mov_b32_e32 v16, 0x7f800000
	v_cmp_nlt_f32_e32 vcc, s26, v13
	v_cndmask_b32_e32 v17, v16, v14, vcc
	v_add_f32_e32 v18, 1.0, v17
	v_cvt_f64_f32_e32 v[13:14], v18
	v_add_f32_e32 v31, -1.0, v18
	v_sub_f32_e32 v32, v31, v18
	v_sub_f32_e32 v31, v17, v31
	v_frexp_exp_i32_f64_e32 v13, v[13:14]
	v_add_f32_e32 v14, 1.0, v32
	v_add_f32_e32 v14, v31, v14
	v_frexp_mant_f32_e32 v31, v18
	s_mov_b32 s27, 0x3f2aaaab
	v_cmp_gt_f32_e32 vcc, s27, v31
	s_mov_b32 s27, 0x3f317218
	s_mov_b32 s26, 0x7f800000
	v_subbrev_co_u32_e32 v13, vcc, 0, v13, vcc
	v_sub_u32_e32 v31, 0, v13
	v_ldexp_f32 v18, v18, v31
	v_ldexp_f32 v14, v14, v31
	v_add_f32_e32 v31, -1.0, v18
	v_add_f32_e32 v34, 1.0, v18
	v_add_f32_e32 v32, 1.0, v31
	v_add_f32_e32 v35, -1.0, v34
	v_sub_f32_e32 v32, v18, v32
	v_sub_f32_e32 v18, v18, v35
	v_add_f32_e32 v32, v14, v32
	v_add_f32_e32 v14, v14, v18
	;; [unrolled: 1-line block ×3, first 2 shown]
	v_rcp_f32_e32 v35, v18
	v_add_f32_e32 v33, v31, v32
	v_sub_f32_e32 v31, v31, v33
	v_add_f32_e32 v31, v32, v31
	v_sub_f32_e32 v32, v34, v18
	v_add_f32_e32 v14, v14, v32
	v_mul_f32_e32 v32, v33, v35
	v_mul_f32_e32 v34, v18, v32
	v_fma_f32 v36, v32, v18, -v34
	v_fmac_f32_e32 v36, v32, v14
	v_add_f32_e32 v37, v34, v36
	v_sub_f32_e32 v38, v33, v37
	v_sub_f32_e32 v33, v33, v38
	;; [unrolled: 1-line block ×4, first 2 shown]
	v_add_f32_e32 v31, v31, v33
	v_sub_f32_e32 v33, v34, v36
	v_add_f32_e32 v31, v33, v31
	v_add_f32_e32 v33, v38, v31
	v_mul_f32_e32 v34, v35, v33
	v_mul_f32_e32 v36, v18, v34
	v_fma_f32 v18, v34, v18, -v36
	v_fmac_f32_e32 v18, v34, v14
	v_sub_f32_e32 v14, v38, v33
	v_add_f32_e32 v14, v31, v14
	v_add_f32_e32 v31, v36, v18
	v_sub_f32_e32 v37, v33, v31
	v_sub_f32_e32 v33, v33, v37
	;; [unrolled: 1-line block ×4, first 2 shown]
	v_add_f32_e32 v14, v14, v31
	v_sub_f32_e32 v18, v36, v18
	v_add_f32_e32 v14, v18, v14
	v_add_f32_e32 v18, v32, v34
	;; [unrolled: 1-line block ×3, first 2 shown]
	v_sub_f32_e32 v31, v18, v32
	v_mul_f32_e32 v14, v35, v14
	v_sub_f32_e32 v31, v34, v31
	v_add_f32_e32 v14, v31, v14
	v_cvt_f32_i32_e32 v13, v13
	v_add_f32_e32 v31, v18, v14
	v_mul_f32_e32 v32, v31, v31
	v_mov_b32_e32 v33, 0x3ecc95a3
	v_fmac_f32_e32 v33, 0x3e9b6dac, v32
	v_mov_b32_e32 v34, 0x3f2aaada
	v_fmac_f32_e32 v34, v32, v33
	v_mul_f32_e32 v33, 0x3f317218, v13
	v_fma_f32 v35, v13, s27, -v33
	v_fmac_f32_e32 v35, 0xb102e308, v13
	v_sub_f32_e32 v13, v31, v18
	v_sub_f32_e32 v13, v14, v13
	v_add_f32_e32 v14, v33, v35
	v_sub_f32_e32 v18, v14, v33
	v_ldexp_f32 v33, v31, 1
	v_mul_f32_e32 v31, v31, v32
	v_mul_f32_e32 v31, v31, v34
	v_add_f32_e32 v32, v33, v31
	v_sub_f32_e32 v33, v32, v33
	v_ldexp_f32 v13, v13, 1
	v_sub_f32_e32 v31, v31, v33
	v_add_f32_e32 v13, v13, v31
	v_add_f32_e32 v31, v32, v13
	v_sub_f32_e32 v32, v31, v32
	v_sub_f32_e32 v13, v13, v32
	v_add_f32_e32 v32, v14, v31
	v_sub_f32_e32 v33, v32, v14
	v_sub_f32_e32 v34, v32, v33
	;; [unrolled: 1-line block ×5, first 2 shown]
	v_add_f32_e32 v14, v31, v14
	v_add_f32_e32 v31, v18, v13
	v_sub_f32_e32 v33, v31, v18
	v_sub_f32_e32 v34, v31, v33
	;; [unrolled: 1-line block ×4, first 2 shown]
	v_add_f32_e32 v14, v31, v14
	v_add_f32_e32 v13, v13, v18
	;; [unrolled: 1-line block ×3, first 2 shown]
	v_sub_f32_e32 v31, v18, v32
	v_sub_f32_e32 v14, v14, v31
	v_add_f32_e32 v13, v13, v14
	v_add_f32_e32 v13, v18, v13
	v_cmp_neq_f32_e32 vcc, s26, v17
	s_mov_b32 s26, 0x33800000
	v_cndmask_b32_e32 v13, v16, v13, vcc
	v_cmp_lt_f32_e64 vcc, |v17|, s26
	v_cndmask_b32_e32 v13, v13, v17, vcc
	v_add_f32_e32 v13, v15, v13
	v_cvt_f16_f32_e32 v13, v13
	v_cvt_f32_f16_e32 v14, v13
	v_mov_b32_e32 v45, v13
.LBB420_77:
	s_or_b64 exec, exec, s[4:5]
	v_cvt_f32_f16_sdwa v31, v6 dst_sel:DWORD dst_unused:UNUSED_PAD src0_sel:WORD_1
	v_max_f32_e32 v15, v14, v14
	v_cmp_u_f16_e32 vcc, v13, v13
	v_cmp_u_f16_sdwa s[26:27], v6, v6 src0_sel:WORD_1 src1_sel:WORD_1
	v_min_f32_e32 v16, v15, v31
	v_max_f32_e32 v15, v15, v31
	v_cndmask_b32_e32 v16, v16, v14, vcc
	v_cndmask_b32_e32 v15, v15, v14, vcc
	v_cndmask_b32_e64 v16, v16, v31, s[26:27]
	v_cndmask_b32_e64 v15, v15, v31, s[26:27]
	s_movk_i32 s30, 0x1f8
	v_cmp_neq_f32_e32 vcc, v16, v15
	v_cmp_class_f32_e64 s[4:5], v16, s30
	s_or_b64 s[28:29], vcc, s[4:5]
	s_and_saveexec_b64 s[4:5], s[28:29]
	s_cbranch_execz .LBB420_79
; %bb.78:
	v_sub_f32_e32 v13, v16, v15
	s_mov_b32 s28, 0x3fb8aa3b
	v_mul_f32_e32 v14, 0x3fb8aa3b, v13
	v_fma_f32 v16, v13, s28, -v14
	v_rndne_f32_e32 v17, v14
	v_fmac_f32_e32 v16, 0x32a5705f, v13
	v_sub_f32_e32 v14, v14, v17
	v_add_f32_e32 v14, v14, v16
	v_exp_f32_e32 v14, v14
	v_cvt_i32_f32_e32 v16, v17
	s_mov_b32 s28, 0xc2ce8ed0
	v_cmp_ngt_f32_e32 vcc, s28, v13
	s_mov_b32 s28, 0x42b17218
	v_ldexp_f32 v14, v14, v16
	v_cndmask_b32_e32 v14, 0, v14, vcc
	v_mov_b32_e32 v16, 0x7f800000
	v_cmp_nlt_f32_e32 vcc, s28, v13
	v_cndmask_b32_e32 v17, v16, v14, vcc
	v_add_f32_e32 v18, 1.0, v17
	v_cvt_f64_f32_e32 v[13:14], v18
	v_add_f32_e32 v32, -1.0, v18
	v_sub_f32_e32 v33, v32, v18
	v_sub_f32_e32 v32, v17, v32
	v_frexp_exp_i32_f64_e32 v13, v[13:14]
	v_add_f32_e32 v14, 1.0, v33
	v_add_f32_e32 v14, v32, v14
	v_frexp_mant_f32_e32 v32, v18
	s_mov_b32 s29, 0x3f2aaaab
	v_cmp_gt_f32_e32 vcc, s29, v32
	s_mov_b32 s29, 0x3f317218
	s_mov_b32 s28, 0x7f800000
	v_subbrev_co_u32_e32 v13, vcc, 0, v13, vcc
	v_sub_u32_e32 v32, 0, v13
	v_ldexp_f32 v18, v18, v32
	v_ldexp_f32 v14, v14, v32
	v_add_f32_e32 v32, -1.0, v18
	v_add_f32_e32 v35, 1.0, v18
	v_add_f32_e32 v33, 1.0, v32
	v_add_f32_e32 v36, -1.0, v35
	v_sub_f32_e32 v33, v18, v33
	v_sub_f32_e32 v18, v18, v36
	v_add_f32_e32 v33, v14, v33
	v_add_f32_e32 v14, v14, v18
	;; [unrolled: 1-line block ×3, first 2 shown]
	v_rcp_f32_e32 v36, v18
	v_add_f32_e32 v34, v32, v33
	v_sub_f32_e32 v32, v32, v34
	v_add_f32_e32 v32, v33, v32
	v_sub_f32_e32 v33, v35, v18
	v_add_f32_e32 v14, v14, v33
	v_mul_f32_e32 v33, v34, v36
	v_mul_f32_e32 v35, v18, v33
	v_fma_f32 v37, v33, v18, -v35
	v_fmac_f32_e32 v37, v33, v14
	v_add_f32_e32 v38, v35, v37
	v_sub_f32_e32 v39, v34, v38
	v_sub_f32_e32 v34, v34, v39
	;; [unrolled: 1-line block ×4, first 2 shown]
	v_add_f32_e32 v32, v32, v34
	v_sub_f32_e32 v34, v35, v37
	v_add_f32_e32 v32, v34, v32
	v_add_f32_e32 v34, v39, v32
	v_mul_f32_e32 v35, v36, v34
	v_mul_f32_e32 v37, v18, v35
	v_fma_f32 v18, v35, v18, -v37
	v_fmac_f32_e32 v18, v35, v14
	v_sub_f32_e32 v14, v39, v34
	v_add_f32_e32 v14, v32, v14
	v_add_f32_e32 v32, v37, v18
	v_sub_f32_e32 v38, v34, v32
	v_sub_f32_e32 v34, v34, v38
	;; [unrolled: 1-line block ×4, first 2 shown]
	v_add_f32_e32 v14, v14, v32
	v_sub_f32_e32 v18, v37, v18
	v_add_f32_e32 v14, v18, v14
	v_add_f32_e32 v18, v33, v35
	;; [unrolled: 1-line block ×3, first 2 shown]
	v_sub_f32_e32 v32, v18, v33
	v_mul_f32_e32 v14, v36, v14
	v_sub_f32_e32 v32, v35, v32
	v_add_f32_e32 v14, v32, v14
	v_cvt_f32_i32_e32 v13, v13
	v_add_f32_e32 v32, v18, v14
	v_mul_f32_e32 v33, v32, v32
	v_mov_b32_e32 v34, 0x3ecc95a3
	v_fmac_f32_e32 v34, 0x3e9b6dac, v33
	v_mov_b32_e32 v35, 0x3f2aaada
	v_fmac_f32_e32 v35, v33, v34
	v_mul_f32_e32 v34, 0x3f317218, v13
	v_fma_f32 v36, v13, s29, -v34
	v_fmac_f32_e32 v36, 0xb102e308, v13
	v_sub_f32_e32 v13, v32, v18
	v_sub_f32_e32 v13, v14, v13
	v_add_f32_e32 v14, v34, v36
	v_sub_f32_e32 v18, v14, v34
	v_ldexp_f32 v34, v32, 1
	v_mul_f32_e32 v32, v32, v33
	v_mul_f32_e32 v32, v32, v35
	v_add_f32_e32 v33, v34, v32
	v_sub_f32_e32 v34, v33, v34
	v_ldexp_f32 v13, v13, 1
	v_sub_f32_e32 v32, v32, v34
	v_add_f32_e32 v13, v13, v32
	v_add_f32_e32 v32, v33, v13
	v_sub_f32_e32 v33, v32, v33
	v_sub_f32_e32 v13, v13, v33
	v_add_f32_e32 v33, v14, v32
	v_sub_f32_e32 v34, v33, v14
	v_sub_f32_e32 v35, v33, v34
	;; [unrolled: 1-line block ×5, first 2 shown]
	v_add_f32_e32 v14, v32, v14
	v_add_f32_e32 v32, v18, v13
	v_sub_f32_e32 v34, v32, v18
	v_sub_f32_e32 v35, v32, v34
	;; [unrolled: 1-line block ×4, first 2 shown]
	v_add_f32_e32 v14, v32, v14
	v_add_f32_e32 v13, v13, v18
	;; [unrolled: 1-line block ×3, first 2 shown]
	v_sub_f32_e32 v32, v18, v33
	v_sub_f32_e32 v14, v14, v32
	v_add_f32_e32 v13, v13, v14
	v_add_f32_e32 v13, v18, v13
	v_cmp_neq_f32_e32 vcc, s28, v17
	s_mov_b32 s28, 0x33800000
	v_cndmask_b32_e32 v13, v16, v13, vcc
	v_cmp_lt_f32_e64 vcc, |v17|, s28
	v_cndmask_b32_e32 v13, v13, v17, vcc
	v_add_f32_e32 v13, v15, v13
	v_cvt_f16_f32_e32 v13, v13
	v_cvt_f32_f16_e32 v14, v13
	v_mov_b32_e32 v45, v13
.LBB420_79:
	s_or_b64 exec, exec, s[4:5]
	v_cvt_f32_f16_e32 v32, v7
	v_max_f32_e32 v15, v14, v14
	v_cmp_u_f16_e32 vcc, v13, v13
	v_cmp_u_f16_e64 s[28:29], v7, v7
	v_min_f32_e32 v16, v15, v32
	v_max_f32_e32 v15, v15, v32
	v_cndmask_b32_e32 v16, v16, v14, vcc
	v_cndmask_b32_e32 v15, v15, v14, vcc
	v_cndmask_b32_e64 v16, v16, v32, s[28:29]
	v_cndmask_b32_e64 v15, v15, v32, s[28:29]
	v_cmp_neq_f32_e32 vcc, v16, v15
	v_cmp_class_f32_e64 s[4:5], v16, s30
	s_or_b64 s[30:31], vcc, s[4:5]
	s_and_saveexec_b64 s[4:5], s[30:31]
	s_cbranch_execz .LBB420_81
; %bb.80:
	v_sub_f32_e32 v13, v16, v15
	s_mov_b32 s30, 0x3fb8aa3b
	v_mul_f32_e32 v14, 0x3fb8aa3b, v13
	v_fma_f32 v16, v13, s30, -v14
	v_rndne_f32_e32 v17, v14
	v_fmac_f32_e32 v16, 0x32a5705f, v13
	v_sub_f32_e32 v14, v14, v17
	v_add_f32_e32 v14, v14, v16
	v_exp_f32_e32 v14, v14
	v_cvt_i32_f32_e32 v16, v17
	s_mov_b32 s30, 0xc2ce8ed0
	v_cmp_ngt_f32_e32 vcc, s30, v13
	s_mov_b32 s30, 0x42b17218
	v_ldexp_f32 v14, v14, v16
	v_cndmask_b32_e32 v14, 0, v14, vcc
	v_mov_b32_e32 v16, 0x7f800000
	v_cmp_nlt_f32_e32 vcc, s30, v13
	v_cndmask_b32_e32 v17, v16, v14, vcc
	v_add_f32_e32 v18, 1.0, v17
	v_cvt_f64_f32_e32 v[13:14], v18
	v_add_f32_e32 v33, -1.0, v18
	v_sub_f32_e32 v34, v33, v18
	v_sub_f32_e32 v33, v17, v33
	v_frexp_exp_i32_f64_e32 v13, v[13:14]
	v_add_f32_e32 v14, 1.0, v34
	v_add_f32_e32 v14, v33, v14
	v_frexp_mant_f32_e32 v33, v18
	s_mov_b32 s31, 0x3f2aaaab
	v_cmp_gt_f32_e32 vcc, s31, v33
	s_mov_b32 s31, 0x3f317218
	s_mov_b32 s30, 0x7f800000
	v_subbrev_co_u32_e32 v13, vcc, 0, v13, vcc
	v_sub_u32_e32 v33, 0, v13
	v_ldexp_f32 v18, v18, v33
	v_ldexp_f32 v14, v14, v33
	v_add_f32_e32 v33, -1.0, v18
	v_add_f32_e32 v36, 1.0, v18
	v_add_f32_e32 v34, 1.0, v33
	v_add_f32_e32 v37, -1.0, v36
	v_sub_f32_e32 v34, v18, v34
	v_sub_f32_e32 v18, v18, v37
	v_add_f32_e32 v34, v14, v34
	v_add_f32_e32 v14, v14, v18
	;; [unrolled: 1-line block ×3, first 2 shown]
	v_rcp_f32_e32 v37, v18
	v_add_f32_e32 v35, v33, v34
	v_sub_f32_e32 v33, v33, v35
	v_add_f32_e32 v33, v34, v33
	v_sub_f32_e32 v34, v36, v18
	v_add_f32_e32 v14, v14, v34
	v_mul_f32_e32 v34, v35, v37
	v_mul_f32_e32 v36, v18, v34
	v_fma_f32 v38, v34, v18, -v36
	v_fmac_f32_e32 v38, v34, v14
	v_add_f32_e32 v39, v36, v38
	v_sub_f32_e32 v40, v35, v39
	v_sub_f32_e32 v35, v35, v40
	;; [unrolled: 1-line block ×4, first 2 shown]
	v_add_f32_e32 v33, v33, v35
	v_sub_f32_e32 v35, v36, v38
	v_add_f32_e32 v33, v35, v33
	v_add_f32_e32 v35, v40, v33
	v_mul_f32_e32 v36, v37, v35
	v_mul_f32_e32 v38, v18, v36
	v_fma_f32 v18, v36, v18, -v38
	v_fmac_f32_e32 v18, v36, v14
	v_sub_f32_e32 v14, v40, v35
	v_add_f32_e32 v14, v33, v14
	v_add_f32_e32 v33, v38, v18
	v_sub_f32_e32 v39, v35, v33
	v_sub_f32_e32 v35, v35, v39
	;; [unrolled: 1-line block ×4, first 2 shown]
	v_add_f32_e32 v14, v14, v33
	v_sub_f32_e32 v18, v38, v18
	v_add_f32_e32 v14, v18, v14
	v_add_f32_e32 v18, v34, v36
	;; [unrolled: 1-line block ×3, first 2 shown]
	v_sub_f32_e32 v33, v18, v34
	v_mul_f32_e32 v14, v37, v14
	v_sub_f32_e32 v33, v36, v33
	v_add_f32_e32 v14, v33, v14
	v_cvt_f32_i32_e32 v13, v13
	v_add_f32_e32 v33, v18, v14
	v_mul_f32_e32 v34, v33, v33
	v_mov_b32_e32 v35, 0x3ecc95a3
	v_fmac_f32_e32 v35, 0x3e9b6dac, v34
	v_mov_b32_e32 v36, 0x3f2aaada
	v_fmac_f32_e32 v36, v34, v35
	v_mul_f32_e32 v35, 0x3f317218, v13
	v_fma_f32 v37, v13, s31, -v35
	v_fmac_f32_e32 v37, 0xb102e308, v13
	v_sub_f32_e32 v13, v33, v18
	v_sub_f32_e32 v13, v14, v13
	v_add_f32_e32 v14, v35, v37
	v_sub_f32_e32 v18, v14, v35
	v_ldexp_f32 v35, v33, 1
	v_mul_f32_e32 v33, v33, v34
	v_mul_f32_e32 v33, v33, v36
	v_add_f32_e32 v34, v35, v33
	v_sub_f32_e32 v35, v34, v35
	v_ldexp_f32 v13, v13, 1
	v_sub_f32_e32 v33, v33, v35
	v_add_f32_e32 v13, v13, v33
	v_add_f32_e32 v33, v34, v13
	v_sub_f32_e32 v34, v33, v34
	v_sub_f32_e32 v13, v13, v34
	v_add_f32_e32 v34, v14, v33
	v_sub_f32_e32 v35, v34, v14
	v_sub_f32_e32 v36, v34, v35
	;; [unrolled: 1-line block ×5, first 2 shown]
	v_add_f32_e32 v14, v33, v14
	v_add_f32_e32 v33, v18, v13
	v_sub_f32_e32 v35, v33, v18
	v_sub_f32_e32 v36, v33, v35
	;; [unrolled: 1-line block ×4, first 2 shown]
	v_add_f32_e32 v14, v33, v14
	v_add_f32_e32 v13, v13, v18
	;; [unrolled: 1-line block ×3, first 2 shown]
	v_sub_f32_e32 v33, v18, v34
	v_sub_f32_e32 v14, v14, v33
	v_add_f32_e32 v13, v13, v14
	v_add_f32_e32 v13, v18, v13
	v_cmp_neq_f32_e32 vcc, s30, v17
	s_mov_b32 s30, 0x33800000
	v_cndmask_b32_e32 v13, v16, v13, vcc
	v_cmp_lt_f32_e64 vcc, |v17|, s30
	v_cndmask_b32_e32 v13, v13, v17, vcc
	v_add_f32_e32 v13, v15, v13
	v_cvt_f16_f32_e32 v13, v13
	v_cvt_f32_f16_e32 v14, v13
	v_mov_b32_e32 v45, v13
.LBB420_81:
	s_or_b64 exec, exec, s[4:5]
	v_cvt_f32_f16_sdwa v33, v7 dst_sel:DWORD dst_unused:UNUSED_PAD src0_sel:WORD_1
	v_max_f32_e32 v15, v14, v14
	v_cmp_u_f16_e32 vcc, v13, v13
	v_cmp_u_f16_sdwa s[30:31], v7, v7 src0_sel:WORD_1 src1_sel:WORD_1
	v_min_f32_e32 v16, v15, v33
	v_max_f32_e32 v15, v15, v33
	v_cndmask_b32_e32 v16, v16, v14, vcc
	v_cndmask_b32_e32 v15, v15, v14, vcc
	v_cndmask_b32_e64 v16, v16, v33, s[30:31]
	v_cndmask_b32_e64 v15, v15, v33, s[30:31]
	s_movk_i32 s36, 0x1f8
	v_cmp_neq_f32_e32 vcc, v16, v15
	v_cmp_class_f32_e64 s[4:5], v16, s36
	s_or_b64 s[34:35], vcc, s[4:5]
	s_and_saveexec_b64 s[4:5], s[34:35]
	s_cbranch_execz .LBB420_83
; %bb.82:
	v_sub_f32_e32 v13, v16, v15
	s_mov_b32 s34, 0x3fb8aa3b
	v_mul_f32_e32 v14, 0x3fb8aa3b, v13
	v_fma_f32 v16, v13, s34, -v14
	v_rndne_f32_e32 v17, v14
	v_fmac_f32_e32 v16, 0x32a5705f, v13
	v_sub_f32_e32 v14, v14, v17
	v_add_f32_e32 v14, v14, v16
	v_exp_f32_e32 v14, v14
	v_cvt_i32_f32_e32 v16, v17
	s_mov_b32 s34, 0xc2ce8ed0
	v_cmp_ngt_f32_e32 vcc, s34, v13
	s_mov_b32 s34, 0x42b17218
	v_ldexp_f32 v14, v14, v16
	v_cndmask_b32_e32 v14, 0, v14, vcc
	v_mov_b32_e32 v16, 0x7f800000
	v_cmp_nlt_f32_e32 vcc, s34, v13
	v_cndmask_b32_e32 v17, v16, v14, vcc
	v_add_f32_e32 v18, 1.0, v17
	v_cvt_f64_f32_e32 v[13:14], v18
	v_add_f32_e32 v34, -1.0, v18
	v_sub_f32_e32 v35, v34, v18
	v_sub_f32_e32 v34, v17, v34
	v_frexp_exp_i32_f64_e32 v13, v[13:14]
	v_add_f32_e32 v14, 1.0, v35
	v_add_f32_e32 v14, v34, v14
	v_frexp_mant_f32_e32 v34, v18
	s_mov_b32 s35, 0x3f2aaaab
	v_cmp_gt_f32_e32 vcc, s35, v34
	s_mov_b32 s35, 0x3f317218
	s_mov_b32 s34, 0x7f800000
	v_subbrev_co_u32_e32 v13, vcc, 0, v13, vcc
	v_sub_u32_e32 v34, 0, v13
	v_ldexp_f32 v18, v18, v34
	v_ldexp_f32 v14, v14, v34
	v_add_f32_e32 v34, -1.0, v18
	v_add_f32_e32 v37, 1.0, v18
	v_add_f32_e32 v35, 1.0, v34
	v_add_f32_e32 v38, -1.0, v37
	v_sub_f32_e32 v35, v18, v35
	v_sub_f32_e32 v18, v18, v38
	v_add_f32_e32 v35, v14, v35
	v_add_f32_e32 v14, v14, v18
	;; [unrolled: 1-line block ×3, first 2 shown]
	v_rcp_f32_e32 v38, v18
	v_add_f32_e32 v36, v34, v35
	v_sub_f32_e32 v34, v34, v36
	v_add_f32_e32 v34, v35, v34
	v_sub_f32_e32 v35, v37, v18
	v_add_f32_e32 v14, v14, v35
	v_mul_f32_e32 v35, v36, v38
	v_mul_f32_e32 v37, v18, v35
	v_fma_f32 v39, v35, v18, -v37
	v_fmac_f32_e32 v39, v35, v14
	v_add_f32_e32 v40, v37, v39
	v_sub_f32_e32 v41, v36, v40
	v_sub_f32_e32 v36, v36, v41
	;; [unrolled: 1-line block ×4, first 2 shown]
	v_add_f32_e32 v34, v34, v36
	v_sub_f32_e32 v36, v37, v39
	v_add_f32_e32 v34, v36, v34
	v_add_f32_e32 v36, v41, v34
	v_mul_f32_e32 v37, v38, v36
	v_mul_f32_e32 v39, v18, v37
	v_fma_f32 v18, v37, v18, -v39
	v_fmac_f32_e32 v18, v37, v14
	v_sub_f32_e32 v14, v41, v36
	v_add_f32_e32 v14, v34, v14
	v_add_f32_e32 v34, v39, v18
	v_sub_f32_e32 v40, v36, v34
	v_sub_f32_e32 v36, v36, v40
	;; [unrolled: 1-line block ×4, first 2 shown]
	v_add_f32_e32 v14, v14, v34
	v_sub_f32_e32 v18, v39, v18
	v_add_f32_e32 v14, v18, v14
	v_add_f32_e32 v18, v35, v37
	;; [unrolled: 1-line block ×3, first 2 shown]
	v_sub_f32_e32 v34, v18, v35
	v_mul_f32_e32 v14, v38, v14
	v_sub_f32_e32 v34, v37, v34
	v_add_f32_e32 v14, v34, v14
	v_cvt_f32_i32_e32 v13, v13
	v_add_f32_e32 v34, v18, v14
	v_mul_f32_e32 v35, v34, v34
	v_mov_b32_e32 v36, 0x3ecc95a3
	v_fmac_f32_e32 v36, 0x3e9b6dac, v35
	v_mov_b32_e32 v37, 0x3f2aaada
	v_fmac_f32_e32 v37, v35, v36
	v_mul_f32_e32 v36, 0x3f317218, v13
	v_fma_f32 v38, v13, s35, -v36
	v_fmac_f32_e32 v38, 0xb102e308, v13
	v_sub_f32_e32 v13, v34, v18
	v_sub_f32_e32 v13, v14, v13
	v_add_f32_e32 v14, v36, v38
	v_sub_f32_e32 v18, v14, v36
	v_ldexp_f32 v36, v34, 1
	v_mul_f32_e32 v34, v34, v35
	v_mul_f32_e32 v34, v34, v37
	v_add_f32_e32 v35, v36, v34
	v_sub_f32_e32 v36, v35, v36
	v_ldexp_f32 v13, v13, 1
	v_sub_f32_e32 v34, v34, v36
	v_add_f32_e32 v13, v13, v34
	v_add_f32_e32 v34, v35, v13
	v_sub_f32_e32 v35, v34, v35
	v_sub_f32_e32 v13, v13, v35
	v_add_f32_e32 v35, v14, v34
	v_sub_f32_e32 v36, v35, v14
	v_sub_f32_e32 v37, v35, v36
	;; [unrolled: 1-line block ×5, first 2 shown]
	v_add_f32_e32 v14, v34, v14
	v_add_f32_e32 v34, v18, v13
	v_sub_f32_e32 v36, v34, v18
	v_sub_f32_e32 v37, v34, v36
	;; [unrolled: 1-line block ×4, first 2 shown]
	v_add_f32_e32 v14, v34, v14
	v_add_f32_e32 v13, v13, v18
	;; [unrolled: 1-line block ×3, first 2 shown]
	v_sub_f32_e32 v34, v18, v35
	v_sub_f32_e32 v14, v14, v34
	v_add_f32_e32 v13, v13, v14
	v_add_f32_e32 v13, v18, v13
	v_cmp_neq_f32_e32 vcc, s34, v17
	s_mov_b32 s34, 0x33800000
	v_cndmask_b32_e32 v13, v16, v13, vcc
	v_cmp_lt_f32_e64 vcc, |v17|, s34
	v_cndmask_b32_e32 v13, v13, v17, vcc
	v_add_f32_e32 v13, v15, v13
	v_cvt_f16_f32_e32 v13, v13
	v_cvt_f32_f16_e32 v14, v13
	v_mov_b32_e32 v45, v13
.LBB420_83:
	s_or_b64 exec, exec, s[4:5]
	v_cvt_f32_f16_e32 v34, v8
	v_max_f32_e32 v15, v14, v14
	v_cmp_u_f16_e32 vcc, v13, v13
	v_cmp_u_f16_e64 s[34:35], v8, v8
	v_min_f32_e32 v16, v15, v34
	v_max_f32_e32 v15, v15, v34
	v_cndmask_b32_e32 v16, v16, v14, vcc
	v_cndmask_b32_e32 v15, v15, v14, vcc
	v_cndmask_b32_e64 v16, v16, v34, s[34:35]
	v_cndmask_b32_e64 v15, v15, v34, s[34:35]
	v_cmp_neq_f32_e32 vcc, v16, v15
	v_cmp_class_f32_e64 s[4:5], v16, s36
	s_or_b64 s[36:37], vcc, s[4:5]
	s_and_saveexec_b64 s[4:5], s[36:37]
	s_cbranch_execz .LBB420_85
; %bb.84:
	v_sub_f32_e32 v13, v16, v15
	s_mov_b32 s36, 0x3fb8aa3b
	v_mul_f32_e32 v14, 0x3fb8aa3b, v13
	v_fma_f32 v16, v13, s36, -v14
	v_rndne_f32_e32 v17, v14
	v_fmac_f32_e32 v16, 0x32a5705f, v13
	v_sub_f32_e32 v14, v14, v17
	v_add_f32_e32 v14, v14, v16
	v_exp_f32_e32 v14, v14
	v_cvt_i32_f32_e32 v16, v17
	s_mov_b32 s36, 0xc2ce8ed0
	v_cmp_ngt_f32_e32 vcc, s36, v13
	s_mov_b32 s36, 0x42b17218
	v_ldexp_f32 v14, v14, v16
	v_cndmask_b32_e32 v14, 0, v14, vcc
	v_mov_b32_e32 v16, 0x7f800000
	v_cmp_nlt_f32_e32 vcc, s36, v13
	v_cndmask_b32_e32 v17, v16, v14, vcc
	v_add_f32_e32 v18, 1.0, v17
	v_cvt_f64_f32_e32 v[13:14], v18
	v_add_f32_e32 v35, -1.0, v18
	v_sub_f32_e32 v36, v35, v18
	v_sub_f32_e32 v35, v17, v35
	v_frexp_exp_i32_f64_e32 v13, v[13:14]
	v_add_f32_e32 v14, 1.0, v36
	v_add_f32_e32 v14, v35, v14
	v_frexp_mant_f32_e32 v35, v18
	s_mov_b32 s37, 0x3f2aaaab
	v_cmp_gt_f32_e32 vcc, s37, v35
	s_mov_b32 s37, 0x3f317218
	s_mov_b32 s36, 0x7f800000
	v_subbrev_co_u32_e32 v13, vcc, 0, v13, vcc
	v_sub_u32_e32 v35, 0, v13
	v_ldexp_f32 v18, v18, v35
	v_ldexp_f32 v14, v14, v35
	v_add_f32_e32 v35, -1.0, v18
	v_add_f32_e32 v38, 1.0, v18
	v_add_f32_e32 v36, 1.0, v35
	v_add_f32_e32 v39, -1.0, v38
	v_sub_f32_e32 v36, v18, v36
	v_sub_f32_e32 v18, v18, v39
	v_add_f32_e32 v36, v14, v36
	v_add_f32_e32 v14, v14, v18
	;; [unrolled: 1-line block ×3, first 2 shown]
	v_rcp_f32_e32 v39, v18
	v_add_f32_e32 v37, v35, v36
	v_sub_f32_e32 v35, v35, v37
	v_add_f32_e32 v35, v36, v35
	v_sub_f32_e32 v36, v38, v18
	v_add_f32_e32 v14, v14, v36
	v_mul_f32_e32 v36, v37, v39
	v_mul_f32_e32 v38, v18, v36
	v_fma_f32 v40, v36, v18, -v38
	v_fmac_f32_e32 v40, v36, v14
	v_add_f32_e32 v41, v38, v40
	v_sub_f32_e32 v42, v37, v41
	v_sub_f32_e32 v37, v37, v42
	;; [unrolled: 1-line block ×4, first 2 shown]
	v_add_f32_e32 v35, v35, v37
	v_sub_f32_e32 v37, v38, v40
	v_add_f32_e32 v35, v37, v35
	v_add_f32_e32 v37, v42, v35
	v_mul_f32_e32 v38, v39, v37
	v_mul_f32_e32 v40, v18, v38
	v_fma_f32 v18, v38, v18, -v40
	v_fmac_f32_e32 v18, v38, v14
	v_sub_f32_e32 v14, v42, v37
	v_add_f32_e32 v14, v35, v14
	v_add_f32_e32 v35, v40, v18
	v_sub_f32_e32 v41, v37, v35
	v_sub_f32_e32 v37, v37, v41
	;; [unrolled: 1-line block ×4, first 2 shown]
	v_add_f32_e32 v14, v14, v35
	v_sub_f32_e32 v18, v40, v18
	v_add_f32_e32 v14, v18, v14
	v_add_f32_e32 v18, v36, v38
	;; [unrolled: 1-line block ×3, first 2 shown]
	v_sub_f32_e32 v35, v18, v36
	v_mul_f32_e32 v14, v39, v14
	v_sub_f32_e32 v35, v38, v35
	v_add_f32_e32 v14, v35, v14
	v_cvt_f32_i32_e32 v13, v13
	v_add_f32_e32 v35, v18, v14
	v_mul_f32_e32 v36, v35, v35
	v_mov_b32_e32 v37, 0x3ecc95a3
	v_fmac_f32_e32 v37, 0x3e9b6dac, v36
	v_mov_b32_e32 v38, 0x3f2aaada
	v_fmac_f32_e32 v38, v36, v37
	v_mul_f32_e32 v37, 0x3f317218, v13
	v_fma_f32 v39, v13, s37, -v37
	v_fmac_f32_e32 v39, 0xb102e308, v13
	v_sub_f32_e32 v13, v35, v18
	v_sub_f32_e32 v13, v14, v13
	v_add_f32_e32 v14, v37, v39
	v_sub_f32_e32 v18, v14, v37
	v_ldexp_f32 v37, v35, 1
	v_mul_f32_e32 v35, v35, v36
	v_mul_f32_e32 v35, v35, v38
	v_add_f32_e32 v36, v37, v35
	v_sub_f32_e32 v37, v36, v37
	v_ldexp_f32 v13, v13, 1
	v_sub_f32_e32 v35, v35, v37
	v_add_f32_e32 v13, v13, v35
	v_add_f32_e32 v35, v36, v13
	v_sub_f32_e32 v36, v35, v36
	v_sub_f32_e32 v13, v13, v36
	v_add_f32_e32 v36, v14, v35
	v_sub_f32_e32 v37, v36, v14
	v_sub_f32_e32 v38, v36, v37
	;; [unrolled: 1-line block ×5, first 2 shown]
	v_add_f32_e32 v14, v35, v14
	v_add_f32_e32 v35, v18, v13
	v_sub_f32_e32 v37, v35, v18
	v_sub_f32_e32 v38, v35, v37
	;; [unrolled: 1-line block ×4, first 2 shown]
	v_add_f32_e32 v14, v35, v14
	v_add_f32_e32 v13, v13, v18
	;; [unrolled: 1-line block ×3, first 2 shown]
	v_sub_f32_e32 v35, v18, v36
	v_sub_f32_e32 v14, v14, v35
	v_add_f32_e32 v13, v13, v14
	v_add_f32_e32 v13, v18, v13
	v_cmp_neq_f32_e32 vcc, s36, v17
	s_mov_b32 s36, 0x33800000
	v_cndmask_b32_e32 v13, v16, v13, vcc
	v_cmp_lt_f32_e64 vcc, |v17|, s36
	v_cndmask_b32_e32 v13, v13, v17, vcc
	v_add_f32_e32 v13, v15, v13
	v_cvt_f16_f32_e32 v13, v13
	v_cvt_f32_f16_e32 v14, v13
	v_mov_b32_e32 v45, v13
.LBB420_85:
	s_or_b64 exec, exec, s[4:5]
	v_cvt_f32_f16_sdwa v35, v8 dst_sel:DWORD dst_unused:UNUSED_PAD src0_sel:WORD_1
	v_max_f32_e32 v15, v14, v14
	v_cmp_u_f16_e32 vcc, v13, v13
	v_cmp_u_f16_sdwa s[36:37], v8, v8 src0_sel:WORD_1 src1_sel:WORD_1
	v_min_f32_e32 v16, v15, v35
	v_max_f32_e32 v15, v15, v35
	v_cndmask_b32_e32 v16, v16, v14, vcc
	v_cndmask_b32_e32 v15, v15, v14, vcc
	v_cndmask_b32_e64 v16, v16, v35, s[36:37]
	v_cndmask_b32_e64 v15, v15, v35, s[36:37]
	s_movk_i32 s40, 0x1f8
	v_cmp_neq_f32_e32 vcc, v16, v15
	v_cmp_class_f32_e64 s[4:5], v16, s40
	s_or_b64 s[38:39], vcc, s[4:5]
	s_and_saveexec_b64 s[4:5], s[38:39]
	s_cbranch_execz .LBB420_87
; %bb.86:
	v_sub_f32_e32 v13, v16, v15
	s_mov_b32 s38, 0x3fb8aa3b
	v_mul_f32_e32 v14, 0x3fb8aa3b, v13
	v_fma_f32 v16, v13, s38, -v14
	v_rndne_f32_e32 v17, v14
	v_fmac_f32_e32 v16, 0x32a5705f, v13
	v_sub_f32_e32 v14, v14, v17
	v_add_f32_e32 v14, v14, v16
	v_exp_f32_e32 v14, v14
	v_cvt_i32_f32_e32 v16, v17
	s_mov_b32 s38, 0xc2ce8ed0
	v_cmp_ngt_f32_e32 vcc, s38, v13
	s_mov_b32 s38, 0x42b17218
	v_ldexp_f32 v14, v14, v16
	v_cndmask_b32_e32 v14, 0, v14, vcc
	v_mov_b32_e32 v16, 0x7f800000
	v_cmp_nlt_f32_e32 vcc, s38, v13
	v_cndmask_b32_e32 v17, v16, v14, vcc
	v_add_f32_e32 v18, 1.0, v17
	v_cvt_f64_f32_e32 v[13:14], v18
	v_add_f32_e32 v36, -1.0, v18
	v_sub_f32_e32 v37, v36, v18
	v_sub_f32_e32 v36, v17, v36
	v_frexp_exp_i32_f64_e32 v13, v[13:14]
	v_add_f32_e32 v14, 1.0, v37
	v_add_f32_e32 v14, v36, v14
	v_frexp_mant_f32_e32 v36, v18
	s_mov_b32 s39, 0x3f2aaaab
	v_cmp_gt_f32_e32 vcc, s39, v36
	s_mov_b32 s39, 0x3f317218
	s_mov_b32 s38, 0x7f800000
	v_subbrev_co_u32_e32 v13, vcc, 0, v13, vcc
	v_sub_u32_e32 v36, 0, v13
	v_ldexp_f32 v18, v18, v36
	v_ldexp_f32 v14, v14, v36
	v_add_f32_e32 v36, -1.0, v18
	v_add_f32_e32 v39, 1.0, v18
	v_add_f32_e32 v37, 1.0, v36
	v_add_f32_e32 v40, -1.0, v39
	v_sub_f32_e32 v37, v18, v37
	v_sub_f32_e32 v18, v18, v40
	v_add_f32_e32 v37, v14, v37
	v_add_f32_e32 v14, v14, v18
	;; [unrolled: 1-line block ×3, first 2 shown]
	v_rcp_f32_e32 v40, v18
	v_add_f32_e32 v38, v36, v37
	v_sub_f32_e32 v36, v36, v38
	v_add_f32_e32 v36, v37, v36
	v_sub_f32_e32 v37, v39, v18
	v_add_f32_e32 v14, v14, v37
	v_mul_f32_e32 v37, v38, v40
	v_mul_f32_e32 v39, v18, v37
	v_fma_f32 v41, v37, v18, -v39
	v_fmac_f32_e32 v41, v37, v14
	v_add_f32_e32 v42, v39, v41
	v_sub_f32_e32 v43, v38, v42
	v_sub_f32_e32 v38, v38, v43
	;; [unrolled: 1-line block ×4, first 2 shown]
	v_add_f32_e32 v36, v36, v38
	v_sub_f32_e32 v38, v39, v41
	v_add_f32_e32 v36, v38, v36
	v_add_f32_e32 v38, v43, v36
	v_mul_f32_e32 v39, v40, v38
	v_mul_f32_e32 v41, v18, v39
	v_fma_f32 v18, v39, v18, -v41
	v_fmac_f32_e32 v18, v39, v14
	v_sub_f32_e32 v14, v43, v38
	v_add_f32_e32 v14, v36, v14
	v_add_f32_e32 v36, v41, v18
	v_sub_f32_e32 v42, v38, v36
	v_sub_f32_e32 v38, v38, v42
	;; [unrolled: 1-line block ×4, first 2 shown]
	v_add_f32_e32 v14, v14, v36
	v_sub_f32_e32 v18, v41, v18
	v_add_f32_e32 v14, v18, v14
	v_add_f32_e32 v18, v37, v39
	;; [unrolled: 1-line block ×3, first 2 shown]
	v_sub_f32_e32 v36, v18, v37
	v_mul_f32_e32 v14, v40, v14
	v_sub_f32_e32 v36, v39, v36
	v_add_f32_e32 v14, v36, v14
	v_cvt_f32_i32_e32 v13, v13
	v_add_f32_e32 v36, v18, v14
	v_mul_f32_e32 v37, v36, v36
	v_mov_b32_e32 v38, 0x3ecc95a3
	v_fmac_f32_e32 v38, 0x3e9b6dac, v37
	v_mov_b32_e32 v39, 0x3f2aaada
	v_fmac_f32_e32 v39, v37, v38
	v_mul_f32_e32 v38, 0x3f317218, v13
	v_fma_f32 v40, v13, s39, -v38
	v_fmac_f32_e32 v40, 0xb102e308, v13
	v_sub_f32_e32 v13, v36, v18
	v_sub_f32_e32 v13, v14, v13
	v_add_f32_e32 v14, v38, v40
	v_sub_f32_e32 v18, v14, v38
	v_ldexp_f32 v38, v36, 1
	v_mul_f32_e32 v36, v36, v37
	v_mul_f32_e32 v36, v36, v39
	v_add_f32_e32 v37, v38, v36
	v_sub_f32_e32 v38, v37, v38
	v_ldexp_f32 v13, v13, 1
	v_sub_f32_e32 v36, v36, v38
	v_add_f32_e32 v13, v13, v36
	v_add_f32_e32 v36, v37, v13
	v_sub_f32_e32 v37, v36, v37
	v_sub_f32_e32 v13, v13, v37
	v_add_f32_e32 v37, v14, v36
	v_sub_f32_e32 v38, v37, v14
	v_sub_f32_e32 v39, v37, v38
	;; [unrolled: 1-line block ×5, first 2 shown]
	v_add_f32_e32 v14, v36, v14
	v_add_f32_e32 v36, v18, v13
	v_sub_f32_e32 v38, v36, v18
	v_sub_f32_e32 v39, v36, v38
	v_sub_f32_e32 v18, v18, v39
	v_sub_f32_e32 v13, v13, v38
	v_add_f32_e32 v14, v36, v14
	v_add_f32_e32 v13, v13, v18
	;; [unrolled: 1-line block ×3, first 2 shown]
	v_sub_f32_e32 v36, v18, v37
	v_sub_f32_e32 v14, v14, v36
	v_add_f32_e32 v13, v13, v14
	v_add_f32_e32 v13, v18, v13
	v_cmp_neq_f32_e32 vcc, s38, v17
	s_mov_b32 s38, 0x33800000
	v_cndmask_b32_e32 v13, v16, v13, vcc
	v_cmp_lt_f32_e64 vcc, |v17|, s38
	v_cndmask_b32_e32 v13, v13, v17, vcc
	v_add_f32_e32 v13, v15, v13
	v_cvt_f16_f32_e32 v13, v13
	v_cvt_f32_f16_e32 v14, v13
	v_mov_b32_e32 v45, v13
.LBB420_87:
	s_or_b64 exec, exec, s[4:5]
	v_cvt_f32_f16_e32 v36, v1
	v_max_f32_e32 v15, v14, v14
	v_cmp_u_f16_e32 vcc, v13, v13
	v_cmp_u_f16_e64 s[38:39], v1, v1
	v_min_f32_e32 v16, v15, v36
	v_max_f32_e32 v15, v15, v36
	v_cndmask_b32_e32 v16, v16, v14, vcc
	v_cndmask_b32_e32 v15, v15, v14, vcc
	v_cndmask_b32_e64 v16, v16, v36, s[38:39]
	v_cndmask_b32_e64 v15, v15, v36, s[38:39]
	v_cmp_neq_f32_e32 vcc, v16, v15
	v_cmp_class_f32_e64 s[4:5], v16, s40
	s_or_b64 s[40:41], vcc, s[4:5]
	s_and_saveexec_b64 s[4:5], s[40:41]
	s_cbranch_execz .LBB420_89
; %bb.88:
	v_sub_f32_e32 v13, v16, v15
	s_mov_b32 s40, 0x3fb8aa3b
	v_mul_f32_e32 v14, 0x3fb8aa3b, v13
	v_fma_f32 v16, v13, s40, -v14
	v_rndne_f32_e32 v17, v14
	v_fmac_f32_e32 v16, 0x32a5705f, v13
	v_sub_f32_e32 v14, v14, v17
	v_add_f32_e32 v14, v14, v16
	v_exp_f32_e32 v14, v14
	v_cvt_i32_f32_e32 v16, v17
	s_mov_b32 s40, 0xc2ce8ed0
	v_cmp_ngt_f32_e32 vcc, s40, v13
	s_mov_b32 s40, 0x42b17218
	v_ldexp_f32 v14, v14, v16
	v_cndmask_b32_e32 v14, 0, v14, vcc
	v_mov_b32_e32 v16, 0x7f800000
	v_cmp_nlt_f32_e32 vcc, s40, v13
	v_cndmask_b32_e32 v17, v16, v14, vcc
	v_add_f32_e32 v18, 1.0, v17
	v_cvt_f64_f32_e32 v[13:14], v18
	v_add_f32_e32 v37, -1.0, v18
	v_sub_f32_e32 v38, v37, v18
	v_sub_f32_e32 v37, v17, v37
	v_frexp_exp_i32_f64_e32 v13, v[13:14]
	v_add_f32_e32 v14, 1.0, v38
	v_add_f32_e32 v14, v37, v14
	v_frexp_mant_f32_e32 v37, v18
	s_mov_b32 s41, 0x3f2aaaab
	v_cmp_gt_f32_e32 vcc, s41, v37
	s_mov_b32 s41, 0x3f317218
	s_mov_b32 s40, 0x7f800000
	v_subbrev_co_u32_e32 v13, vcc, 0, v13, vcc
	v_sub_u32_e32 v37, 0, v13
	v_ldexp_f32 v18, v18, v37
	v_ldexp_f32 v14, v14, v37
	v_add_f32_e32 v37, -1.0, v18
	v_add_f32_e32 v40, 1.0, v18
	v_add_f32_e32 v38, 1.0, v37
	v_add_f32_e32 v41, -1.0, v40
	v_sub_f32_e32 v38, v18, v38
	v_sub_f32_e32 v18, v18, v41
	v_add_f32_e32 v38, v14, v38
	v_add_f32_e32 v14, v14, v18
	;; [unrolled: 1-line block ×3, first 2 shown]
	v_rcp_f32_e32 v41, v18
	v_add_f32_e32 v39, v37, v38
	v_sub_f32_e32 v37, v37, v39
	v_add_f32_e32 v37, v38, v37
	v_sub_f32_e32 v38, v40, v18
	v_add_f32_e32 v14, v14, v38
	v_mul_f32_e32 v38, v39, v41
	v_mul_f32_e32 v40, v18, v38
	v_fma_f32 v42, v38, v18, -v40
	v_fmac_f32_e32 v42, v38, v14
	v_add_f32_e32 v43, v40, v42
	v_sub_f32_e32 v45, v39, v43
	v_sub_f32_e32 v39, v39, v45
	;; [unrolled: 1-line block ×4, first 2 shown]
	v_add_f32_e32 v37, v37, v39
	v_sub_f32_e32 v39, v40, v42
	v_add_f32_e32 v37, v39, v37
	v_add_f32_e32 v39, v45, v37
	v_mul_f32_e32 v40, v41, v39
	v_mul_f32_e32 v42, v18, v40
	v_fma_f32 v18, v40, v18, -v42
	v_fmac_f32_e32 v18, v40, v14
	v_sub_f32_e32 v14, v45, v39
	v_add_f32_e32 v14, v37, v14
	v_add_f32_e32 v37, v42, v18
	v_sub_f32_e32 v43, v39, v37
	v_sub_f32_e32 v39, v39, v43
	;; [unrolled: 1-line block ×4, first 2 shown]
	v_add_f32_e32 v14, v14, v37
	v_sub_f32_e32 v18, v42, v18
	v_add_f32_e32 v14, v18, v14
	v_add_f32_e32 v18, v38, v40
	;; [unrolled: 1-line block ×3, first 2 shown]
	v_sub_f32_e32 v37, v18, v38
	v_mul_f32_e32 v14, v41, v14
	v_sub_f32_e32 v37, v40, v37
	v_add_f32_e32 v14, v37, v14
	v_cvt_f32_i32_e32 v13, v13
	v_add_f32_e32 v37, v18, v14
	v_mul_f32_e32 v38, v37, v37
	v_mov_b32_e32 v39, 0x3ecc95a3
	v_fmac_f32_e32 v39, 0x3e9b6dac, v38
	v_mov_b32_e32 v40, 0x3f2aaada
	v_fmac_f32_e32 v40, v38, v39
	v_mul_f32_e32 v39, 0x3f317218, v13
	v_fma_f32 v41, v13, s41, -v39
	v_fmac_f32_e32 v41, 0xb102e308, v13
	v_sub_f32_e32 v13, v37, v18
	v_sub_f32_e32 v13, v14, v13
	v_add_f32_e32 v14, v39, v41
	v_sub_f32_e32 v18, v14, v39
	v_ldexp_f32 v39, v37, 1
	v_mul_f32_e32 v37, v37, v38
	v_mul_f32_e32 v37, v37, v40
	v_add_f32_e32 v38, v39, v37
	v_sub_f32_e32 v39, v38, v39
	v_ldexp_f32 v13, v13, 1
	v_sub_f32_e32 v37, v37, v39
	v_add_f32_e32 v13, v13, v37
	v_add_f32_e32 v37, v38, v13
	v_sub_f32_e32 v38, v37, v38
	v_sub_f32_e32 v13, v13, v38
	v_add_f32_e32 v38, v14, v37
	v_sub_f32_e32 v39, v38, v14
	v_sub_f32_e32 v40, v38, v39
	;; [unrolled: 1-line block ×5, first 2 shown]
	v_add_f32_e32 v14, v37, v14
	v_add_f32_e32 v37, v18, v13
	v_sub_f32_e32 v39, v37, v18
	v_sub_f32_e32 v40, v37, v39
	;; [unrolled: 1-line block ×4, first 2 shown]
	v_add_f32_e32 v14, v37, v14
	v_add_f32_e32 v13, v13, v18
	;; [unrolled: 1-line block ×3, first 2 shown]
	v_sub_f32_e32 v37, v18, v38
	v_sub_f32_e32 v14, v14, v37
	v_add_f32_e32 v13, v13, v14
	v_add_f32_e32 v13, v18, v13
	v_cmp_neq_f32_e32 vcc, s40, v17
	s_mov_b32 s40, 0x33800000
	v_cndmask_b32_e32 v13, v16, v13, vcc
	v_cmp_lt_f32_e64 vcc, |v17|, s40
	v_cndmask_b32_e32 v13, v13, v17, vcc
	v_add_f32_e32 v13, v15, v13
	v_cvt_f16_f32_e32 v13, v13
	v_cvt_f32_f16_e32 v14, v13
	v_mov_b32_e32 v45, v13
.LBB420_89:
	s_or_b64 exec, exec, s[4:5]
	v_cvt_f32_f16_sdwa v37, v1 dst_sel:DWORD dst_unused:UNUSED_PAD src0_sel:WORD_1
	v_max_f32_e32 v15, v14, v14
	v_cmp_u_f16_e32 vcc, v13, v13
	v_cmp_u_f16_sdwa s[40:41], v1, v1 src0_sel:WORD_1 src1_sel:WORD_1
	v_min_f32_e32 v16, v15, v37
	v_max_f32_e32 v15, v15, v37
	v_cndmask_b32_e32 v16, v16, v14, vcc
	v_cndmask_b32_e32 v15, v15, v14, vcc
	v_cndmask_b32_e64 v16, v16, v37, s[40:41]
	v_cndmask_b32_e64 v15, v15, v37, s[40:41]
	s_movk_i32 s44, 0x1f8
	v_cmp_neq_f32_e32 vcc, v16, v15
	v_cmp_class_f32_e64 s[4:5], v16, s44
	s_or_b64 s[42:43], vcc, s[4:5]
	s_and_saveexec_b64 s[4:5], s[42:43]
	s_cbranch_execz .LBB420_91
; %bb.90:
	v_sub_f32_e32 v13, v16, v15
	s_mov_b32 s42, 0x3fb8aa3b
	v_mul_f32_e32 v14, 0x3fb8aa3b, v13
	v_fma_f32 v16, v13, s42, -v14
	v_rndne_f32_e32 v17, v14
	v_fmac_f32_e32 v16, 0x32a5705f, v13
	v_sub_f32_e32 v14, v14, v17
	v_add_f32_e32 v14, v14, v16
	v_exp_f32_e32 v14, v14
	v_cvt_i32_f32_e32 v16, v17
	s_mov_b32 s42, 0xc2ce8ed0
	v_cmp_ngt_f32_e32 vcc, s42, v13
	s_mov_b32 s42, 0x42b17218
	v_ldexp_f32 v14, v14, v16
	v_cndmask_b32_e32 v14, 0, v14, vcc
	v_mov_b32_e32 v16, 0x7f800000
	v_cmp_nlt_f32_e32 vcc, s42, v13
	v_cndmask_b32_e32 v17, v16, v14, vcc
	v_add_f32_e32 v18, 1.0, v17
	v_cvt_f64_f32_e32 v[13:14], v18
	v_add_f32_e32 v38, -1.0, v18
	v_sub_f32_e32 v39, v38, v18
	v_sub_f32_e32 v38, v17, v38
	v_frexp_exp_i32_f64_e32 v13, v[13:14]
	v_add_f32_e32 v14, 1.0, v39
	v_add_f32_e32 v14, v38, v14
	v_frexp_mant_f32_e32 v38, v18
	s_mov_b32 s43, 0x3f2aaaab
	v_cmp_gt_f32_e32 vcc, s43, v38
	s_mov_b32 s43, 0x3f317218
	s_mov_b32 s42, 0x7f800000
	v_subbrev_co_u32_e32 v13, vcc, 0, v13, vcc
	v_sub_u32_e32 v38, 0, v13
	v_ldexp_f32 v18, v18, v38
	v_ldexp_f32 v14, v14, v38
	v_add_f32_e32 v38, -1.0, v18
	v_add_f32_e32 v41, 1.0, v18
	v_add_f32_e32 v39, 1.0, v38
	v_add_f32_e32 v42, -1.0, v41
	v_sub_f32_e32 v39, v18, v39
	v_sub_f32_e32 v18, v18, v42
	v_add_f32_e32 v39, v14, v39
	v_add_f32_e32 v14, v14, v18
	;; [unrolled: 1-line block ×3, first 2 shown]
	v_rcp_f32_e32 v42, v18
	v_add_f32_e32 v40, v38, v39
	v_sub_f32_e32 v38, v38, v40
	v_add_f32_e32 v38, v39, v38
	v_sub_f32_e32 v39, v41, v18
	v_add_f32_e32 v14, v14, v39
	v_mul_f32_e32 v39, v40, v42
	v_mul_f32_e32 v41, v18, v39
	v_fma_f32 v43, v39, v18, -v41
	v_fmac_f32_e32 v43, v39, v14
	v_add_f32_e32 v45, v41, v43
	v_sub_f32_e32 v46, v40, v45
	v_sub_f32_e32 v40, v40, v46
	;; [unrolled: 1-line block ×4, first 2 shown]
	v_add_f32_e32 v38, v38, v40
	v_sub_f32_e32 v40, v41, v43
	v_add_f32_e32 v38, v40, v38
	v_add_f32_e32 v40, v46, v38
	v_mul_f32_e32 v41, v42, v40
	v_mul_f32_e32 v43, v18, v41
	v_fma_f32 v18, v41, v18, -v43
	v_fmac_f32_e32 v18, v41, v14
	v_sub_f32_e32 v14, v46, v40
	v_add_f32_e32 v14, v38, v14
	v_add_f32_e32 v38, v43, v18
	v_sub_f32_e32 v45, v40, v38
	v_sub_f32_e32 v40, v40, v45
	v_sub_f32_e32 v43, v38, v43
	v_sub_f32_e32 v38, v40, v38
	v_add_f32_e32 v14, v14, v38
	v_sub_f32_e32 v18, v43, v18
	v_add_f32_e32 v14, v18, v14
	v_add_f32_e32 v18, v39, v41
	;; [unrolled: 1-line block ×3, first 2 shown]
	v_sub_f32_e32 v38, v18, v39
	v_mul_f32_e32 v14, v42, v14
	v_sub_f32_e32 v38, v41, v38
	v_add_f32_e32 v14, v38, v14
	v_cvt_f32_i32_e32 v13, v13
	v_add_f32_e32 v38, v18, v14
	v_mul_f32_e32 v39, v38, v38
	v_mov_b32_e32 v40, 0x3ecc95a3
	v_fmac_f32_e32 v40, 0x3e9b6dac, v39
	v_mov_b32_e32 v41, 0x3f2aaada
	v_fmac_f32_e32 v41, v39, v40
	v_mul_f32_e32 v40, 0x3f317218, v13
	v_fma_f32 v42, v13, s43, -v40
	v_fmac_f32_e32 v42, 0xb102e308, v13
	v_sub_f32_e32 v13, v38, v18
	v_sub_f32_e32 v13, v14, v13
	v_add_f32_e32 v14, v40, v42
	v_sub_f32_e32 v18, v14, v40
	v_ldexp_f32 v40, v38, 1
	v_mul_f32_e32 v38, v38, v39
	v_mul_f32_e32 v38, v38, v41
	v_add_f32_e32 v39, v40, v38
	v_sub_f32_e32 v40, v39, v40
	v_ldexp_f32 v13, v13, 1
	v_sub_f32_e32 v38, v38, v40
	v_add_f32_e32 v13, v13, v38
	v_add_f32_e32 v38, v39, v13
	v_sub_f32_e32 v39, v38, v39
	v_sub_f32_e32 v13, v13, v39
	v_add_f32_e32 v39, v14, v38
	v_sub_f32_e32 v40, v39, v14
	v_sub_f32_e32 v41, v39, v40
	;; [unrolled: 1-line block ×5, first 2 shown]
	v_add_f32_e32 v14, v38, v14
	v_add_f32_e32 v38, v18, v13
	v_sub_f32_e32 v40, v38, v18
	v_sub_f32_e32 v41, v38, v40
	;; [unrolled: 1-line block ×4, first 2 shown]
	v_add_f32_e32 v14, v38, v14
	v_add_f32_e32 v13, v13, v18
	;; [unrolled: 1-line block ×3, first 2 shown]
	v_sub_f32_e32 v38, v18, v39
	v_sub_f32_e32 v14, v14, v38
	v_add_f32_e32 v13, v13, v14
	v_add_f32_e32 v13, v18, v13
	v_cmp_neq_f32_e32 vcc, s42, v17
	s_mov_b32 s42, 0x33800000
	v_cndmask_b32_e32 v13, v16, v13, vcc
	v_cmp_lt_f32_e64 vcc, |v17|, s42
	v_cndmask_b32_e32 v13, v13, v17, vcc
	v_add_f32_e32 v13, v15, v13
	v_cvt_f16_f32_e32 v13, v13
	v_cvt_f32_f16_e32 v14, v13
	v_mov_b32_e32 v45, v13
.LBB420_91:
	s_or_b64 exec, exec, s[4:5]
	v_cvt_f32_f16_e32 v38, v2
	v_max_f32_e32 v15, v14, v14
	v_cmp_u_f16_e32 vcc, v13, v13
	v_cmp_u_f16_e64 s[42:43], v2, v2
	v_min_f32_e32 v16, v15, v38
	v_max_f32_e32 v15, v15, v38
	v_cndmask_b32_e32 v16, v16, v14, vcc
	v_cndmask_b32_e32 v15, v15, v14, vcc
	v_cndmask_b32_e64 v16, v16, v38, s[42:43]
	v_cndmask_b32_e64 v15, v15, v38, s[42:43]
	v_cmp_neq_f32_e32 vcc, v16, v15
	v_cmp_class_f32_e64 s[4:5], v16, s44
	s_or_b64 s[44:45], vcc, s[4:5]
	s_and_saveexec_b64 s[4:5], s[44:45]
	s_cbranch_execz .LBB420_93
; %bb.92:
	v_sub_f32_e32 v13, v16, v15
	s_mov_b32 s44, 0x3fb8aa3b
	v_mul_f32_e32 v14, 0x3fb8aa3b, v13
	v_fma_f32 v16, v13, s44, -v14
	v_rndne_f32_e32 v17, v14
	v_fmac_f32_e32 v16, 0x32a5705f, v13
	v_sub_f32_e32 v14, v14, v17
	v_add_f32_e32 v14, v14, v16
	v_exp_f32_e32 v14, v14
	v_cvt_i32_f32_e32 v16, v17
	s_mov_b32 s44, 0xc2ce8ed0
	v_cmp_ngt_f32_e32 vcc, s44, v13
	s_mov_b32 s44, 0x42b17218
	v_ldexp_f32 v14, v14, v16
	v_cndmask_b32_e32 v14, 0, v14, vcc
	v_mov_b32_e32 v16, 0x7f800000
	v_cmp_nlt_f32_e32 vcc, s44, v13
	v_cndmask_b32_e32 v17, v16, v14, vcc
	v_add_f32_e32 v18, 1.0, v17
	v_cvt_f64_f32_e32 v[13:14], v18
	v_add_f32_e32 v39, -1.0, v18
	v_sub_f32_e32 v40, v39, v18
	v_sub_f32_e32 v39, v17, v39
	v_frexp_exp_i32_f64_e32 v13, v[13:14]
	v_add_f32_e32 v14, 1.0, v40
	v_add_f32_e32 v14, v39, v14
	v_frexp_mant_f32_e32 v39, v18
	s_mov_b32 s45, 0x3f2aaaab
	v_cmp_gt_f32_e32 vcc, s45, v39
	s_mov_b32 s45, 0x3f317218
	s_mov_b32 s44, 0x7f800000
	v_subbrev_co_u32_e32 v13, vcc, 0, v13, vcc
	v_sub_u32_e32 v39, 0, v13
	v_ldexp_f32 v18, v18, v39
	v_ldexp_f32 v14, v14, v39
	v_add_f32_e32 v39, -1.0, v18
	v_add_f32_e32 v42, 1.0, v18
	v_add_f32_e32 v40, 1.0, v39
	v_add_f32_e32 v43, -1.0, v42
	v_sub_f32_e32 v40, v18, v40
	v_sub_f32_e32 v18, v18, v43
	v_add_f32_e32 v40, v14, v40
	v_add_f32_e32 v14, v14, v18
	;; [unrolled: 1-line block ×3, first 2 shown]
	v_rcp_f32_e32 v43, v18
	v_add_f32_e32 v41, v39, v40
	v_sub_f32_e32 v39, v39, v41
	v_add_f32_e32 v39, v40, v39
	v_sub_f32_e32 v40, v42, v18
	v_add_f32_e32 v14, v14, v40
	v_mul_f32_e32 v40, v41, v43
	v_mul_f32_e32 v42, v18, v40
	v_fma_f32 v45, v40, v18, -v42
	v_fmac_f32_e32 v45, v40, v14
	v_add_f32_e32 v46, v42, v45
	v_sub_f32_e32 v47, v41, v46
	v_sub_f32_e32 v41, v41, v47
	v_sub_f32_e32 v42, v46, v42
	v_sub_f32_e32 v41, v41, v46
	v_add_f32_e32 v39, v39, v41
	v_sub_f32_e32 v41, v42, v45
	v_add_f32_e32 v39, v41, v39
	v_add_f32_e32 v41, v47, v39
	v_mul_f32_e32 v42, v43, v41
	v_mul_f32_e32 v45, v18, v42
	v_fma_f32 v18, v42, v18, -v45
	v_fmac_f32_e32 v18, v42, v14
	v_sub_f32_e32 v14, v47, v41
	v_add_f32_e32 v14, v39, v14
	v_add_f32_e32 v39, v45, v18
	v_sub_f32_e32 v46, v41, v39
	v_sub_f32_e32 v41, v41, v46
	;; [unrolled: 1-line block ×4, first 2 shown]
	v_add_f32_e32 v14, v14, v39
	v_sub_f32_e32 v18, v45, v18
	v_add_f32_e32 v14, v18, v14
	v_add_f32_e32 v18, v40, v42
	;; [unrolled: 1-line block ×3, first 2 shown]
	v_sub_f32_e32 v39, v18, v40
	v_mul_f32_e32 v14, v43, v14
	v_sub_f32_e32 v39, v42, v39
	v_add_f32_e32 v14, v39, v14
	v_cvt_f32_i32_e32 v13, v13
	v_add_f32_e32 v39, v18, v14
	v_mul_f32_e32 v40, v39, v39
	v_mov_b32_e32 v41, 0x3ecc95a3
	v_fmac_f32_e32 v41, 0x3e9b6dac, v40
	v_mov_b32_e32 v42, 0x3f2aaada
	v_fmac_f32_e32 v42, v40, v41
	v_mul_f32_e32 v41, 0x3f317218, v13
	v_fma_f32 v43, v13, s45, -v41
	v_fmac_f32_e32 v43, 0xb102e308, v13
	v_sub_f32_e32 v13, v39, v18
	v_sub_f32_e32 v13, v14, v13
	v_add_f32_e32 v14, v41, v43
	v_sub_f32_e32 v18, v14, v41
	v_ldexp_f32 v41, v39, 1
	v_mul_f32_e32 v39, v39, v40
	v_mul_f32_e32 v39, v39, v42
	v_add_f32_e32 v40, v41, v39
	v_sub_f32_e32 v41, v40, v41
	v_ldexp_f32 v13, v13, 1
	v_sub_f32_e32 v39, v39, v41
	v_add_f32_e32 v13, v13, v39
	v_add_f32_e32 v39, v40, v13
	v_sub_f32_e32 v40, v39, v40
	v_sub_f32_e32 v13, v13, v40
	v_add_f32_e32 v40, v14, v39
	v_sub_f32_e32 v41, v40, v14
	v_sub_f32_e32 v42, v40, v41
	;; [unrolled: 1-line block ×5, first 2 shown]
	v_add_f32_e32 v14, v39, v14
	v_add_f32_e32 v39, v18, v13
	v_sub_f32_e32 v41, v39, v18
	v_sub_f32_e32 v42, v39, v41
	;; [unrolled: 1-line block ×4, first 2 shown]
	v_add_f32_e32 v14, v39, v14
	v_add_f32_e32 v13, v13, v18
	;; [unrolled: 1-line block ×3, first 2 shown]
	v_sub_f32_e32 v39, v18, v40
	v_sub_f32_e32 v14, v14, v39
	v_add_f32_e32 v13, v13, v14
	v_add_f32_e32 v13, v18, v13
	v_cmp_neq_f32_e32 vcc, s44, v17
	s_mov_b32 s44, 0x33800000
	v_cndmask_b32_e32 v13, v16, v13, vcc
	v_cmp_lt_f32_e64 vcc, |v17|, s44
	v_cndmask_b32_e32 v13, v13, v17, vcc
	v_add_f32_e32 v13, v15, v13
	v_cvt_f16_f32_e32 v13, v13
	v_cvt_f32_f16_e32 v14, v13
	v_mov_b32_e32 v45, v13
.LBB420_93:
	s_or_b64 exec, exec, s[4:5]
	v_cvt_f32_f16_sdwa v39, v2 dst_sel:DWORD dst_unused:UNUSED_PAD src0_sel:WORD_1
	v_max_f32_e32 v15, v14, v14
	v_cmp_u_f16_e32 vcc, v13, v13
	v_cmp_u_f16_sdwa s[44:45], v2, v2 src0_sel:WORD_1 src1_sel:WORD_1
	v_min_f32_e32 v16, v15, v39
	v_max_f32_e32 v15, v15, v39
	v_cndmask_b32_e32 v16, v16, v14, vcc
	v_cndmask_b32_e32 v15, v15, v14, vcc
	v_cndmask_b32_e64 v16, v16, v39, s[44:45]
	v_cndmask_b32_e64 v15, v15, v39, s[44:45]
	s_movk_i32 s48, 0x1f8
	v_cmp_neq_f32_e32 vcc, v16, v15
	v_cmp_class_f32_e64 s[4:5], v16, s48
	s_or_b64 s[46:47], vcc, s[4:5]
	s_and_saveexec_b64 s[4:5], s[46:47]
	s_cbranch_execz .LBB420_95
; %bb.94:
	v_sub_f32_e32 v13, v16, v15
	s_mov_b32 s46, 0x3fb8aa3b
	v_mul_f32_e32 v14, 0x3fb8aa3b, v13
	v_fma_f32 v16, v13, s46, -v14
	v_rndne_f32_e32 v17, v14
	v_fmac_f32_e32 v16, 0x32a5705f, v13
	v_sub_f32_e32 v14, v14, v17
	v_add_f32_e32 v14, v14, v16
	v_exp_f32_e32 v14, v14
	v_cvt_i32_f32_e32 v16, v17
	s_mov_b32 s46, 0xc2ce8ed0
	v_cmp_ngt_f32_e32 vcc, s46, v13
	s_mov_b32 s46, 0x42b17218
	v_ldexp_f32 v14, v14, v16
	v_cndmask_b32_e32 v14, 0, v14, vcc
	v_mov_b32_e32 v16, 0x7f800000
	v_cmp_nlt_f32_e32 vcc, s46, v13
	v_cndmask_b32_e32 v17, v16, v14, vcc
	v_add_f32_e32 v18, 1.0, v17
	v_cvt_f64_f32_e32 v[13:14], v18
	v_add_f32_e32 v40, -1.0, v18
	v_sub_f32_e32 v41, v40, v18
	v_sub_f32_e32 v40, v17, v40
	v_frexp_exp_i32_f64_e32 v13, v[13:14]
	v_add_f32_e32 v14, 1.0, v41
	v_add_f32_e32 v14, v40, v14
	v_frexp_mant_f32_e32 v40, v18
	s_mov_b32 s47, 0x3f2aaaab
	v_cmp_gt_f32_e32 vcc, s47, v40
	s_mov_b32 s47, 0x3f317218
	s_mov_b32 s46, 0x7f800000
	v_subbrev_co_u32_e32 v13, vcc, 0, v13, vcc
	v_sub_u32_e32 v40, 0, v13
	v_ldexp_f32 v18, v18, v40
	v_ldexp_f32 v14, v14, v40
	v_add_f32_e32 v40, -1.0, v18
	v_add_f32_e32 v43, 1.0, v18
	v_add_f32_e32 v41, 1.0, v40
	v_add_f32_e32 v45, -1.0, v43
	v_sub_f32_e32 v41, v18, v41
	v_sub_f32_e32 v18, v18, v45
	v_add_f32_e32 v41, v14, v41
	v_add_f32_e32 v14, v14, v18
	;; [unrolled: 1-line block ×3, first 2 shown]
	v_rcp_f32_e32 v45, v18
	v_add_f32_e32 v42, v40, v41
	v_sub_f32_e32 v40, v40, v42
	v_add_f32_e32 v40, v41, v40
	v_sub_f32_e32 v41, v43, v18
	v_add_f32_e32 v14, v14, v41
	v_mul_f32_e32 v41, v42, v45
	v_mul_f32_e32 v43, v18, v41
	v_fma_f32 v46, v41, v18, -v43
	v_fmac_f32_e32 v46, v41, v14
	v_add_f32_e32 v47, v43, v46
	v_sub_f32_e32 v48, v42, v47
	v_sub_f32_e32 v42, v42, v48
	;; [unrolled: 1-line block ×4, first 2 shown]
	v_add_f32_e32 v40, v40, v42
	v_sub_f32_e32 v42, v43, v46
	v_add_f32_e32 v40, v42, v40
	v_add_f32_e32 v42, v48, v40
	v_mul_f32_e32 v43, v45, v42
	v_mul_f32_e32 v46, v18, v43
	v_fma_f32 v18, v43, v18, -v46
	v_fmac_f32_e32 v18, v43, v14
	v_sub_f32_e32 v14, v48, v42
	v_add_f32_e32 v14, v40, v14
	v_add_f32_e32 v40, v46, v18
	v_sub_f32_e32 v47, v42, v40
	v_sub_f32_e32 v42, v42, v47
	;; [unrolled: 1-line block ×4, first 2 shown]
	v_add_f32_e32 v14, v14, v40
	v_sub_f32_e32 v18, v46, v18
	v_add_f32_e32 v14, v18, v14
	v_add_f32_e32 v18, v41, v43
	v_add_f32_e32 v14, v47, v14
	v_sub_f32_e32 v40, v18, v41
	v_mul_f32_e32 v14, v45, v14
	v_sub_f32_e32 v40, v43, v40
	v_add_f32_e32 v14, v40, v14
	v_cvt_f32_i32_e32 v13, v13
	v_add_f32_e32 v40, v18, v14
	v_mul_f32_e32 v41, v40, v40
	v_mov_b32_e32 v42, 0x3ecc95a3
	v_fmac_f32_e32 v42, 0x3e9b6dac, v41
	v_mov_b32_e32 v43, 0x3f2aaada
	v_fmac_f32_e32 v43, v41, v42
	v_mul_f32_e32 v42, 0x3f317218, v13
	v_fma_f32 v45, v13, s47, -v42
	v_fmac_f32_e32 v45, 0xb102e308, v13
	v_sub_f32_e32 v13, v40, v18
	v_sub_f32_e32 v13, v14, v13
	v_add_f32_e32 v14, v42, v45
	v_sub_f32_e32 v18, v14, v42
	v_ldexp_f32 v42, v40, 1
	v_mul_f32_e32 v40, v40, v41
	v_mul_f32_e32 v40, v40, v43
	v_add_f32_e32 v41, v42, v40
	v_sub_f32_e32 v42, v41, v42
	v_ldexp_f32 v13, v13, 1
	v_sub_f32_e32 v40, v40, v42
	v_add_f32_e32 v13, v13, v40
	v_add_f32_e32 v40, v41, v13
	v_sub_f32_e32 v41, v40, v41
	v_sub_f32_e32 v13, v13, v41
	v_add_f32_e32 v41, v14, v40
	v_sub_f32_e32 v42, v41, v14
	v_sub_f32_e32 v43, v41, v42
	;; [unrolled: 1-line block ×5, first 2 shown]
	v_add_f32_e32 v14, v40, v14
	v_add_f32_e32 v40, v18, v13
	v_sub_f32_e32 v42, v40, v18
	v_sub_f32_e32 v43, v40, v42
	;; [unrolled: 1-line block ×4, first 2 shown]
	v_add_f32_e32 v14, v40, v14
	v_add_f32_e32 v13, v13, v18
	;; [unrolled: 1-line block ×3, first 2 shown]
	v_sub_f32_e32 v40, v18, v41
	v_sub_f32_e32 v14, v14, v40
	v_add_f32_e32 v13, v13, v14
	v_add_f32_e32 v13, v18, v13
	v_cmp_neq_f32_e32 vcc, s46, v17
	s_mov_b32 s46, 0x33800000
	v_cndmask_b32_e32 v13, v16, v13, vcc
	v_cmp_lt_f32_e64 vcc, |v17|, s46
	v_cndmask_b32_e32 v13, v13, v17, vcc
	v_add_f32_e32 v13, v15, v13
	v_cvt_f16_f32_e32 v13, v13
	v_cvt_f32_f16_e32 v14, v13
	v_mov_b32_e32 v45, v13
.LBB420_95:
	s_or_b64 exec, exec, s[4:5]
	v_cvt_f32_f16_e32 v40, v3
	v_max_f32_e32 v15, v14, v14
	v_cmp_u_f16_e32 vcc, v13, v13
	v_cmp_u_f16_e64 s[46:47], v3, v3
	v_min_f32_e32 v16, v15, v40
	v_max_f32_e32 v15, v15, v40
	v_cndmask_b32_e32 v16, v16, v14, vcc
	v_cndmask_b32_e32 v15, v15, v14, vcc
	v_cndmask_b32_e64 v16, v16, v40, s[46:47]
	v_cndmask_b32_e64 v15, v15, v40, s[46:47]
	v_cmp_neq_f32_e32 vcc, v16, v15
	v_cmp_class_f32_e64 s[4:5], v16, s48
	s_or_b64 s[48:49], vcc, s[4:5]
	s_and_saveexec_b64 s[4:5], s[48:49]
	s_cbranch_execz .LBB420_97
; %bb.96:
	v_sub_f32_e32 v13, v16, v15
	s_mov_b32 s48, 0x3fb8aa3b
	v_mul_f32_e32 v14, 0x3fb8aa3b, v13
	v_fma_f32 v16, v13, s48, -v14
	v_rndne_f32_e32 v17, v14
	v_fmac_f32_e32 v16, 0x32a5705f, v13
	v_sub_f32_e32 v14, v14, v17
	v_add_f32_e32 v14, v14, v16
	v_exp_f32_e32 v14, v14
	v_cvt_i32_f32_e32 v16, v17
	s_mov_b32 s48, 0xc2ce8ed0
	v_cmp_ngt_f32_e32 vcc, s48, v13
	s_mov_b32 s48, 0x42b17218
	v_ldexp_f32 v14, v14, v16
	v_cndmask_b32_e32 v14, 0, v14, vcc
	v_mov_b32_e32 v16, 0x7f800000
	v_cmp_nlt_f32_e32 vcc, s48, v13
	v_cndmask_b32_e32 v17, v16, v14, vcc
	v_add_f32_e32 v18, 1.0, v17
	v_cvt_f64_f32_e32 v[13:14], v18
	v_add_f32_e32 v41, -1.0, v18
	v_sub_f32_e32 v42, v41, v18
	v_sub_f32_e32 v41, v17, v41
	v_frexp_exp_i32_f64_e32 v13, v[13:14]
	v_add_f32_e32 v14, 1.0, v42
	v_add_f32_e32 v14, v41, v14
	v_frexp_mant_f32_e32 v41, v18
	s_mov_b32 s49, 0x3f2aaaab
	v_cmp_gt_f32_e32 vcc, s49, v41
	s_mov_b32 s49, 0x3f317218
	s_mov_b32 s48, 0x7f800000
	v_subbrev_co_u32_e32 v13, vcc, 0, v13, vcc
	v_sub_u32_e32 v41, 0, v13
	v_ldexp_f32 v18, v18, v41
	v_ldexp_f32 v14, v14, v41
	v_add_f32_e32 v41, -1.0, v18
	v_add_f32_e32 v45, 1.0, v18
	v_add_f32_e32 v42, 1.0, v41
	v_add_f32_e32 v46, -1.0, v45
	v_sub_f32_e32 v42, v18, v42
	v_sub_f32_e32 v18, v18, v46
	v_add_f32_e32 v42, v14, v42
	v_add_f32_e32 v14, v14, v18
	;; [unrolled: 1-line block ×3, first 2 shown]
	v_rcp_f32_e32 v46, v18
	v_add_f32_e32 v43, v41, v42
	v_sub_f32_e32 v41, v41, v43
	v_add_f32_e32 v41, v42, v41
	v_sub_f32_e32 v42, v45, v18
	v_add_f32_e32 v14, v14, v42
	v_mul_f32_e32 v42, v43, v46
	v_mul_f32_e32 v45, v18, v42
	v_fma_f32 v47, v42, v18, -v45
	v_fmac_f32_e32 v47, v42, v14
	v_add_f32_e32 v48, v45, v47
	v_sub_f32_e32 v49, v43, v48
	v_sub_f32_e32 v43, v43, v49
	;; [unrolled: 1-line block ×4, first 2 shown]
	v_add_f32_e32 v41, v41, v43
	v_sub_f32_e32 v43, v45, v47
	v_add_f32_e32 v41, v43, v41
	v_add_f32_e32 v43, v49, v41
	v_mul_f32_e32 v45, v46, v43
	v_mul_f32_e32 v47, v18, v45
	v_fma_f32 v18, v45, v18, -v47
	v_fmac_f32_e32 v18, v45, v14
	v_sub_f32_e32 v14, v49, v43
	v_add_f32_e32 v14, v41, v14
	v_add_f32_e32 v41, v47, v18
	v_sub_f32_e32 v48, v43, v41
	v_sub_f32_e32 v43, v43, v48
	;; [unrolled: 1-line block ×4, first 2 shown]
	v_add_f32_e32 v14, v14, v41
	v_sub_f32_e32 v18, v47, v18
	v_add_f32_e32 v14, v18, v14
	v_add_f32_e32 v18, v42, v45
	;; [unrolled: 1-line block ×3, first 2 shown]
	v_sub_f32_e32 v41, v18, v42
	v_mul_f32_e32 v14, v46, v14
	v_sub_f32_e32 v41, v45, v41
	v_add_f32_e32 v14, v41, v14
	v_cvt_f32_i32_e32 v13, v13
	v_add_f32_e32 v41, v18, v14
	v_mul_f32_e32 v42, v41, v41
	v_mov_b32_e32 v43, 0x3ecc95a3
	v_fmac_f32_e32 v43, 0x3e9b6dac, v42
	v_mov_b32_e32 v45, 0x3f2aaada
	v_fmac_f32_e32 v45, v42, v43
	v_mul_f32_e32 v43, 0x3f317218, v13
	v_fma_f32 v46, v13, s49, -v43
	v_fmac_f32_e32 v46, 0xb102e308, v13
	v_sub_f32_e32 v13, v41, v18
	v_sub_f32_e32 v13, v14, v13
	v_add_f32_e32 v14, v43, v46
	v_sub_f32_e32 v18, v14, v43
	v_ldexp_f32 v43, v41, 1
	v_mul_f32_e32 v41, v41, v42
	v_mul_f32_e32 v41, v41, v45
	v_add_f32_e32 v42, v43, v41
	v_sub_f32_e32 v43, v42, v43
	v_ldexp_f32 v13, v13, 1
	v_sub_f32_e32 v41, v41, v43
	v_add_f32_e32 v13, v13, v41
	v_add_f32_e32 v41, v42, v13
	v_sub_f32_e32 v42, v41, v42
	v_sub_f32_e32 v13, v13, v42
	v_add_f32_e32 v42, v14, v41
	v_sub_f32_e32 v43, v42, v14
	v_sub_f32_e32 v45, v42, v43
	;; [unrolled: 1-line block ×5, first 2 shown]
	v_add_f32_e32 v14, v41, v14
	v_add_f32_e32 v41, v18, v13
	v_sub_f32_e32 v43, v41, v18
	v_sub_f32_e32 v45, v41, v43
	;; [unrolled: 1-line block ×4, first 2 shown]
	v_add_f32_e32 v14, v41, v14
	v_add_f32_e32 v13, v13, v18
	v_add_f32_e32 v18, v42, v14
	v_sub_f32_e32 v41, v18, v42
	v_sub_f32_e32 v14, v14, v41
	v_add_f32_e32 v13, v13, v14
	v_add_f32_e32 v13, v18, v13
	v_cmp_neq_f32_e32 vcc, s48, v17
	s_mov_b32 s48, 0x33800000
	v_cndmask_b32_e32 v13, v16, v13, vcc
	v_cmp_lt_f32_e64 vcc, |v17|, s48
	v_cndmask_b32_e32 v13, v13, v17, vcc
	v_add_f32_e32 v13, v15, v13
	v_cvt_f16_f32_e32 v13, v13
	v_cvt_f32_f16_e32 v14, v13
	v_mov_b32_e32 v45, v13
.LBB420_97:
	s_or_b64 exec, exec, s[4:5]
	v_cvt_f32_f16_sdwa v41, v3 dst_sel:DWORD dst_unused:UNUSED_PAD src0_sel:WORD_1
	v_max_f32_e32 v15, v14, v14
	v_cmp_u_f16_e32 vcc, v13, v13
	v_cmp_u_f16_sdwa s[48:49], v3, v3 src0_sel:WORD_1 src1_sel:WORD_1
	v_min_f32_e32 v16, v15, v41
	v_max_f32_e32 v15, v15, v41
	v_cndmask_b32_e32 v16, v16, v14, vcc
	v_cndmask_b32_e32 v15, v15, v14, vcc
	v_cndmask_b32_e64 v16, v16, v41, s[48:49]
	v_cndmask_b32_e64 v15, v15, v41, s[48:49]
	s_movk_i32 s52, 0x1f8
	v_cmp_neq_f32_e32 vcc, v16, v15
	v_cmp_class_f32_e64 s[4:5], v16, s52
	s_or_b64 s[50:51], vcc, s[4:5]
	s_and_saveexec_b64 s[4:5], s[50:51]
	s_cbranch_execz .LBB420_99
; %bb.98:
	v_sub_f32_e32 v13, v16, v15
	s_mov_b32 s50, 0x3fb8aa3b
	v_mul_f32_e32 v14, 0x3fb8aa3b, v13
	v_fma_f32 v16, v13, s50, -v14
	v_rndne_f32_e32 v17, v14
	v_fmac_f32_e32 v16, 0x32a5705f, v13
	v_sub_f32_e32 v14, v14, v17
	v_add_f32_e32 v14, v14, v16
	v_exp_f32_e32 v14, v14
	v_cvt_i32_f32_e32 v16, v17
	s_mov_b32 s50, 0xc2ce8ed0
	v_cmp_ngt_f32_e32 vcc, s50, v13
	s_mov_b32 s50, 0x42b17218
	v_ldexp_f32 v14, v14, v16
	v_cndmask_b32_e32 v14, 0, v14, vcc
	v_mov_b32_e32 v16, 0x7f800000
	v_cmp_nlt_f32_e32 vcc, s50, v13
	v_cndmask_b32_e32 v17, v16, v14, vcc
	v_add_f32_e32 v18, 1.0, v17
	v_cvt_f64_f32_e32 v[13:14], v18
	v_add_f32_e32 v42, -1.0, v18
	v_sub_f32_e32 v43, v42, v18
	v_sub_f32_e32 v42, v17, v42
	v_frexp_exp_i32_f64_e32 v13, v[13:14]
	v_add_f32_e32 v14, 1.0, v43
	v_add_f32_e32 v14, v42, v14
	v_frexp_mant_f32_e32 v42, v18
	s_mov_b32 s51, 0x3f2aaaab
	v_cmp_gt_f32_e32 vcc, s51, v42
	s_mov_b32 s51, 0x3f317218
	s_mov_b32 s50, 0x7f800000
	v_subbrev_co_u32_e32 v13, vcc, 0, v13, vcc
	v_sub_u32_e32 v42, 0, v13
	v_ldexp_f32 v18, v18, v42
	v_ldexp_f32 v14, v14, v42
	v_add_f32_e32 v42, -1.0, v18
	v_add_f32_e32 v46, 1.0, v18
	v_add_f32_e32 v43, 1.0, v42
	v_add_f32_e32 v47, -1.0, v46
	v_sub_f32_e32 v43, v18, v43
	v_sub_f32_e32 v18, v18, v47
	v_add_f32_e32 v43, v14, v43
	v_add_f32_e32 v14, v14, v18
	;; [unrolled: 1-line block ×3, first 2 shown]
	v_rcp_f32_e32 v47, v18
	v_add_f32_e32 v45, v42, v43
	v_sub_f32_e32 v42, v42, v45
	v_add_f32_e32 v42, v43, v42
	v_sub_f32_e32 v43, v46, v18
	v_add_f32_e32 v14, v14, v43
	v_mul_f32_e32 v43, v45, v47
	v_mul_f32_e32 v46, v18, v43
	v_fma_f32 v48, v43, v18, -v46
	v_fmac_f32_e32 v48, v43, v14
	v_add_f32_e32 v49, v46, v48
	v_sub_f32_e32 v50, v45, v49
	v_sub_f32_e32 v45, v45, v50
	;; [unrolled: 1-line block ×4, first 2 shown]
	v_add_f32_e32 v42, v42, v45
	v_sub_f32_e32 v45, v46, v48
	v_add_f32_e32 v42, v45, v42
	v_add_f32_e32 v45, v50, v42
	v_mul_f32_e32 v46, v47, v45
	v_mul_f32_e32 v48, v18, v46
	v_fma_f32 v18, v46, v18, -v48
	v_fmac_f32_e32 v18, v46, v14
	v_sub_f32_e32 v14, v50, v45
	v_add_f32_e32 v14, v42, v14
	v_add_f32_e32 v42, v48, v18
	v_sub_f32_e32 v49, v45, v42
	v_sub_f32_e32 v45, v45, v49
	;; [unrolled: 1-line block ×4, first 2 shown]
	v_add_f32_e32 v14, v14, v42
	v_sub_f32_e32 v18, v48, v18
	v_add_f32_e32 v14, v18, v14
	v_add_f32_e32 v18, v43, v46
	;; [unrolled: 1-line block ×3, first 2 shown]
	v_sub_f32_e32 v42, v18, v43
	v_mul_f32_e32 v14, v47, v14
	v_sub_f32_e32 v42, v46, v42
	v_add_f32_e32 v14, v42, v14
	v_cvt_f32_i32_e32 v13, v13
	v_add_f32_e32 v42, v18, v14
	v_mul_f32_e32 v43, v42, v42
	v_mov_b32_e32 v45, 0x3ecc95a3
	v_fmac_f32_e32 v45, 0x3e9b6dac, v43
	v_mov_b32_e32 v46, 0x3f2aaada
	v_fmac_f32_e32 v46, v43, v45
	v_mul_f32_e32 v45, 0x3f317218, v13
	v_fma_f32 v47, v13, s51, -v45
	v_fmac_f32_e32 v47, 0xb102e308, v13
	v_sub_f32_e32 v13, v42, v18
	v_sub_f32_e32 v13, v14, v13
	v_add_f32_e32 v14, v45, v47
	v_sub_f32_e32 v18, v14, v45
	v_ldexp_f32 v45, v42, 1
	v_mul_f32_e32 v42, v42, v43
	v_mul_f32_e32 v42, v42, v46
	v_add_f32_e32 v43, v45, v42
	v_sub_f32_e32 v45, v43, v45
	v_ldexp_f32 v13, v13, 1
	v_sub_f32_e32 v42, v42, v45
	v_add_f32_e32 v13, v13, v42
	v_add_f32_e32 v42, v43, v13
	v_sub_f32_e32 v43, v42, v43
	v_sub_f32_e32 v13, v13, v43
	v_add_f32_e32 v43, v14, v42
	v_sub_f32_e32 v45, v43, v14
	v_sub_f32_e32 v46, v43, v45
	;; [unrolled: 1-line block ×5, first 2 shown]
	v_add_f32_e32 v14, v42, v14
	v_add_f32_e32 v42, v18, v13
	v_sub_f32_e32 v45, v42, v18
	v_sub_f32_e32 v46, v42, v45
	;; [unrolled: 1-line block ×4, first 2 shown]
	v_add_f32_e32 v14, v42, v14
	v_add_f32_e32 v13, v13, v18
	;; [unrolled: 1-line block ×3, first 2 shown]
	v_sub_f32_e32 v42, v18, v43
	v_sub_f32_e32 v14, v14, v42
	v_add_f32_e32 v13, v13, v14
	v_add_f32_e32 v13, v18, v13
	v_cmp_neq_f32_e32 vcc, s50, v17
	s_mov_b32 s50, 0x33800000
	v_cndmask_b32_e32 v13, v16, v13, vcc
	v_cmp_lt_f32_e64 vcc, |v17|, s50
	v_cndmask_b32_e32 v13, v13, v17, vcc
	v_add_f32_e32 v13, v15, v13
	v_cvt_f16_f32_e32 v13, v13
	v_cvt_f32_f16_e32 v14, v13
	v_mov_b32_e32 v45, v13
.LBB420_99:
	s_or_b64 exec, exec, s[4:5]
	v_cvt_f32_f16_e32 v42, v4
	v_max_f32_e32 v15, v14, v14
	v_cmp_u_f16_e32 vcc, v13, v13
	v_cmp_u_f16_e64 s[50:51], v4, v4
	v_min_f32_e32 v16, v15, v42
	v_max_f32_e32 v15, v15, v42
	v_cndmask_b32_e32 v16, v16, v14, vcc
	v_cndmask_b32_e32 v15, v15, v14, vcc
	v_cndmask_b32_e64 v16, v16, v42, s[50:51]
	v_cndmask_b32_e64 v15, v15, v42, s[50:51]
	v_cmp_neq_f32_e32 vcc, v16, v15
	v_cmp_class_f32_e64 s[4:5], v16, s52
	s_or_b64 s[52:53], vcc, s[4:5]
	s_and_saveexec_b64 s[4:5], s[52:53]
	s_cbranch_execz .LBB420_101
; %bb.100:
	v_sub_f32_e32 v13, v16, v15
	s_mov_b32 s52, 0x3fb8aa3b
	v_mul_f32_e32 v14, 0x3fb8aa3b, v13
	v_fma_f32 v16, v13, s52, -v14
	v_rndne_f32_e32 v17, v14
	v_fmac_f32_e32 v16, 0x32a5705f, v13
	v_sub_f32_e32 v14, v14, v17
	v_add_f32_e32 v14, v14, v16
	v_exp_f32_e32 v14, v14
	v_cvt_i32_f32_e32 v16, v17
	s_mov_b32 s52, 0xc2ce8ed0
	v_cmp_ngt_f32_e32 vcc, s52, v13
	s_mov_b32 s52, 0x42b17218
	v_ldexp_f32 v14, v14, v16
	v_cndmask_b32_e32 v14, 0, v14, vcc
	v_mov_b32_e32 v16, 0x7f800000
	v_cmp_nlt_f32_e32 vcc, s52, v13
	v_cndmask_b32_e32 v17, v16, v14, vcc
	v_add_f32_e32 v18, 1.0, v17
	v_cvt_f64_f32_e32 v[13:14], v18
	v_add_f32_e32 v43, -1.0, v18
	v_sub_f32_e32 v45, v43, v18
	v_sub_f32_e32 v43, v17, v43
	v_frexp_exp_i32_f64_e32 v13, v[13:14]
	v_add_f32_e32 v14, 1.0, v45
	v_add_f32_e32 v14, v43, v14
	v_frexp_mant_f32_e32 v43, v18
	s_mov_b32 s53, 0x3f2aaaab
	v_cmp_gt_f32_e32 vcc, s53, v43
	s_mov_b32 s53, 0x3f317218
	s_mov_b32 s52, 0x7f800000
	v_subbrev_co_u32_e32 v13, vcc, 0, v13, vcc
	v_sub_u32_e32 v43, 0, v13
	v_ldexp_f32 v18, v18, v43
	v_ldexp_f32 v14, v14, v43
	v_add_f32_e32 v43, -1.0, v18
	v_add_f32_e32 v47, 1.0, v18
	v_add_f32_e32 v45, 1.0, v43
	v_add_f32_e32 v48, -1.0, v47
	v_sub_f32_e32 v45, v18, v45
	v_sub_f32_e32 v18, v18, v48
	v_add_f32_e32 v45, v14, v45
	v_add_f32_e32 v14, v14, v18
	;; [unrolled: 1-line block ×3, first 2 shown]
	v_rcp_f32_e32 v48, v18
	v_add_f32_e32 v46, v43, v45
	v_sub_f32_e32 v43, v43, v46
	v_add_f32_e32 v43, v45, v43
	v_sub_f32_e32 v45, v47, v18
	v_add_f32_e32 v14, v14, v45
	v_mul_f32_e32 v45, v46, v48
	v_mul_f32_e32 v47, v18, v45
	v_fma_f32 v49, v45, v18, -v47
	v_fmac_f32_e32 v49, v45, v14
	v_add_f32_e32 v50, v47, v49
	v_sub_f32_e32 v51, v46, v50
	v_sub_f32_e32 v46, v46, v51
	;; [unrolled: 1-line block ×4, first 2 shown]
	v_add_f32_e32 v43, v43, v46
	v_sub_f32_e32 v46, v47, v49
	v_add_f32_e32 v43, v46, v43
	v_add_f32_e32 v46, v51, v43
	v_mul_f32_e32 v47, v48, v46
	v_mul_f32_e32 v49, v18, v47
	v_fma_f32 v18, v47, v18, -v49
	v_fmac_f32_e32 v18, v47, v14
	v_sub_f32_e32 v14, v51, v46
	v_add_f32_e32 v14, v43, v14
	v_add_f32_e32 v43, v49, v18
	v_sub_f32_e32 v50, v46, v43
	v_sub_f32_e32 v46, v46, v50
	;; [unrolled: 1-line block ×4, first 2 shown]
	v_add_f32_e32 v14, v14, v43
	v_sub_f32_e32 v18, v49, v18
	v_add_f32_e32 v14, v18, v14
	v_add_f32_e32 v18, v45, v47
	;; [unrolled: 1-line block ×3, first 2 shown]
	v_sub_f32_e32 v43, v18, v45
	v_mul_f32_e32 v14, v48, v14
	v_sub_f32_e32 v43, v47, v43
	v_add_f32_e32 v14, v43, v14
	v_cvt_f32_i32_e32 v13, v13
	v_add_f32_e32 v43, v18, v14
	v_mul_f32_e32 v45, v43, v43
	v_mov_b32_e32 v46, 0x3ecc95a3
	v_fmac_f32_e32 v46, 0x3e9b6dac, v45
	v_mov_b32_e32 v47, 0x3f2aaada
	v_fmac_f32_e32 v47, v45, v46
	v_mul_f32_e32 v46, 0x3f317218, v13
	v_fma_f32 v48, v13, s53, -v46
	v_fmac_f32_e32 v48, 0xb102e308, v13
	v_sub_f32_e32 v13, v43, v18
	v_sub_f32_e32 v13, v14, v13
	v_add_f32_e32 v14, v46, v48
	v_sub_f32_e32 v18, v14, v46
	v_ldexp_f32 v46, v43, 1
	v_mul_f32_e32 v43, v43, v45
	v_mul_f32_e32 v43, v43, v47
	v_add_f32_e32 v45, v46, v43
	v_sub_f32_e32 v46, v45, v46
	v_ldexp_f32 v13, v13, 1
	v_sub_f32_e32 v43, v43, v46
	v_add_f32_e32 v13, v13, v43
	v_add_f32_e32 v43, v45, v13
	v_sub_f32_e32 v45, v43, v45
	v_sub_f32_e32 v13, v13, v45
	v_add_f32_e32 v45, v14, v43
	v_sub_f32_e32 v46, v45, v14
	v_sub_f32_e32 v47, v45, v46
	;; [unrolled: 1-line block ×5, first 2 shown]
	v_add_f32_e32 v14, v43, v14
	v_add_f32_e32 v43, v18, v13
	v_sub_f32_e32 v46, v43, v18
	v_sub_f32_e32 v47, v43, v46
	;; [unrolled: 1-line block ×4, first 2 shown]
	v_add_f32_e32 v14, v43, v14
	v_add_f32_e32 v13, v13, v18
	;; [unrolled: 1-line block ×3, first 2 shown]
	v_sub_f32_e32 v43, v18, v45
	v_sub_f32_e32 v14, v14, v43
	v_add_f32_e32 v13, v13, v14
	v_add_f32_e32 v13, v18, v13
	v_cmp_neq_f32_e32 vcc, s52, v17
	s_mov_b32 s52, 0x33800000
	v_cndmask_b32_e32 v13, v16, v13, vcc
	v_cmp_lt_f32_e64 vcc, |v17|, s52
	v_cndmask_b32_e32 v13, v13, v17, vcc
	v_add_f32_e32 v13, v15, v13
	v_cvt_f16_f32_e32 v13, v13
	v_cvt_f32_f16_e32 v14, v13
	v_mov_b32_e32 v45, v13
.LBB420_101:
	s_or_b64 exec, exec, s[4:5]
	v_cvt_f32_f16_sdwa v43, v4 dst_sel:DWORD dst_unused:UNUSED_PAD src0_sel:WORD_1
	v_max_f32_e32 v16, v14, v14
	v_cmp_u_f16_e32 vcc, v13, v13
	v_cmp_u_f16_sdwa s[52:53], v4, v4 src0_sel:WORD_1 src1_sel:WORD_1
	v_min_f32_e32 v15, v16, v43
	v_cndmask_b32_e32 v13, v15, v14, vcc
	v_cndmask_b32_e64 v15, v13, v43, s[52:53]
	v_max_f32_e32 v13, v16, v43
	v_cndmask_b32_e32 v13, v13, v14, vcc
	v_cndmask_b32_e64 v13, v13, v43, s[52:53]
	s_movk_i32 s4, 0x1f8
	v_cmp_neq_f32_e32 vcc, v15, v13
	v_cmp_class_f32_e64 s[4:5], v15, s4
	s_or_b64 s[56:57], vcc, s[4:5]
	s_and_saveexec_b64 s[4:5], s[56:57]
	s_cbranch_execz .LBB420_103
; %bb.102:
	v_sub_f32_e32 v14, v15, v13
	s_mov_b32 s56, 0x3fb8aa3b
	v_mul_f32_e32 v15, 0x3fb8aa3b, v14
	v_fma_f32 v16, v14, s56, -v15
	v_rndne_f32_e32 v17, v15
	v_fmac_f32_e32 v16, 0x32a5705f, v14
	v_sub_f32_e32 v15, v15, v17
	v_add_f32_e32 v15, v15, v16
	v_exp_f32_e32 v15, v15
	v_cvt_i32_f32_e32 v16, v17
	s_mov_b32 s56, 0xc2ce8ed0
	v_cmp_ngt_f32_e32 vcc, s56, v14
	s_mov_b32 s56, 0x42b17218
	v_ldexp_f32 v15, v15, v16
	v_cndmask_b32_e32 v15, 0, v15, vcc
	v_mov_b32_e32 v16, 0x7f800000
	v_cmp_nlt_f32_e32 vcc, s56, v14
	v_cndmask_b32_e32 v17, v16, v15, vcc
	v_add_f32_e32 v18, 1.0, v17
	v_cvt_f64_f32_e32 v[14:15], v18
	v_add_f32_e32 v45, -1.0, v18
	v_sub_f32_e32 v46, v45, v18
	v_sub_f32_e32 v45, v17, v45
	v_frexp_exp_i32_f64_e32 v14, v[14:15]
	v_add_f32_e32 v15, 1.0, v46
	v_add_f32_e32 v15, v45, v15
	v_frexp_mant_f32_e32 v45, v18
	s_mov_b32 s57, 0x3f2aaaab
	v_cmp_gt_f32_e32 vcc, s57, v45
	s_mov_b32 s57, 0x3f317218
	s_mov_b32 s56, 0x7f800000
	v_subbrev_co_u32_e32 v14, vcc, 0, v14, vcc
	v_sub_u32_e32 v45, 0, v14
	v_ldexp_f32 v18, v18, v45
	v_ldexp_f32 v15, v15, v45
	v_add_f32_e32 v45, -1.0, v18
	v_add_f32_e32 v48, 1.0, v18
	v_add_f32_e32 v46, 1.0, v45
	v_add_f32_e32 v49, -1.0, v48
	v_sub_f32_e32 v46, v18, v46
	v_sub_f32_e32 v18, v18, v49
	v_add_f32_e32 v46, v15, v46
	v_add_f32_e32 v15, v15, v18
	;; [unrolled: 1-line block ×3, first 2 shown]
	v_rcp_f32_e32 v49, v18
	v_add_f32_e32 v47, v45, v46
	v_sub_f32_e32 v45, v45, v47
	v_add_f32_e32 v45, v46, v45
	v_sub_f32_e32 v46, v48, v18
	v_add_f32_e32 v15, v15, v46
	v_mul_f32_e32 v46, v47, v49
	v_mul_f32_e32 v48, v18, v46
	v_fma_f32 v50, v46, v18, -v48
	v_fmac_f32_e32 v50, v46, v15
	v_add_f32_e32 v51, v48, v50
	v_sub_f32_e32 v52, v47, v51
	v_sub_f32_e32 v47, v47, v52
	;; [unrolled: 1-line block ×4, first 2 shown]
	v_add_f32_e32 v45, v45, v47
	v_sub_f32_e32 v47, v48, v50
	v_add_f32_e32 v45, v47, v45
	v_add_f32_e32 v47, v52, v45
	v_mul_f32_e32 v48, v49, v47
	v_mul_f32_e32 v50, v18, v48
	v_fma_f32 v18, v48, v18, -v50
	v_fmac_f32_e32 v18, v48, v15
	v_sub_f32_e32 v15, v52, v47
	v_add_f32_e32 v15, v45, v15
	v_add_f32_e32 v45, v50, v18
	v_sub_f32_e32 v51, v47, v45
	v_sub_f32_e32 v47, v47, v51
	;; [unrolled: 1-line block ×4, first 2 shown]
	v_add_f32_e32 v15, v15, v45
	v_sub_f32_e32 v18, v50, v18
	v_add_f32_e32 v15, v18, v15
	v_add_f32_e32 v18, v46, v48
	;; [unrolled: 1-line block ×3, first 2 shown]
	v_sub_f32_e32 v45, v18, v46
	v_mul_f32_e32 v15, v49, v15
	v_sub_f32_e32 v45, v48, v45
	v_add_f32_e32 v15, v45, v15
	v_cvt_f32_i32_e32 v14, v14
	v_add_f32_e32 v45, v18, v15
	v_mul_f32_e32 v46, v45, v45
	v_mov_b32_e32 v47, 0x3ecc95a3
	v_fmac_f32_e32 v47, 0x3e9b6dac, v46
	v_mov_b32_e32 v48, 0x3f2aaada
	v_fmac_f32_e32 v48, v46, v47
	v_mul_f32_e32 v47, 0x3f317218, v14
	v_fma_f32 v49, v14, s57, -v47
	v_fmac_f32_e32 v49, 0xb102e308, v14
	v_sub_f32_e32 v14, v45, v18
	v_sub_f32_e32 v14, v15, v14
	v_add_f32_e32 v15, v47, v49
	v_sub_f32_e32 v18, v15, v47
	v_ldexp_f32 v47, v45, 1
	v_mul_f32_e32 v45, v45, v46
	v_mul_f32_e32 v45, v45, v48
	v_add_f32_e32 v46, v47, v45
	v_sub_f32_e32 v47, v46, v47
	v_ldexp_f32 v14, v14, 1
	v_sub_f32_e32 v45, v45, v47
	v_add_f32_e32 v14, v14, v45
	v_add_f32_e32 v45, v46, v14
	v_sub_f32_e32 v46, v45, v46
	v_sub_f32_e32 v14, v14, v46
	v_add_f32_e32 v46, v15, v45
	v_sub_f32_e32 v47, v46, v15
	v_sub_f32_e32 v48, v46, v47
	v_sub_f32_e32 v18, v49, v18
	v_sub_f32_e32 v15, v15, v48
	v_sub_f32_e32 v45, v45, v47
	v_add_f32_e32 v15, v45, v15
	v_add_f32_e32 v45, v18, v14
	v_sub_f32_e32 v47, v45, v18
	v_sub_f32_e32 v48, v45, v47
	;; [unrolled: 1-line block ×4, first 2 shown]
	v_add_f32_e32 v15, v45, v15
	v_add_f32_e32 v14, v14, v18
	;; [unrolled: 1-line block ×3, first 2 shown]
	v_sub_f32_e32 v45, v18, v46
	v_sub_f32_e32 v15, v15, v45
	v_add_f32_e32 v14, v14, v15
	v_add_f32_e32 v14, v18, v14
	v_cmp_neq_f32_e32 vcc, s56, v17
	s_mov_b32 s56, 0x33800000
	v_cndmask_b32_e32 v14, v16, v14, vcc
	v_cmp_lt_f32_e64 vcc, |v17|, s56
	v_cndmask_b32_e32 v14, v14, v17, vcc
	v_add_f32_e32 v13, v13, v14
	v_cvt_f16_f32_e32 v45, v13
.LBB420_103:
	s_or_b64 exec, exec, s[4:5]
	v_lshrrev_b32_e32 v13, 4, v0
	v_and_b32_e32 v13, 14, v13
	v_lshl_add_u32 v13, v0, 1, v13
	v_cmp_gt_u32_e32 vcc, 64, v0
	ds_write_b16 v13, v45
	s_waitcnt lgkmcnt(0)
	s_barrier
	s_and_saveexec_b64 s[74:75], vcc
	s_cbranch_execz .LBB420_143
; %bb.104:
	v_lshrrev_b32_e32 v13, 2, v0
	v_and_b32_e32 v13, 62, v13
	v_lshlrev_b32_e32 v14, 3, v0
	v_add_u32_e32 v13, v13, v14
	ds_read_u16 v17, v13
	ds_read_u16 v15, v13 offset:2
	s_movk_i32 s78, 0x1f8
	s_waitcnt lgkmcnt(1)
	v_cvt_f32_f16_e32 v14, v17
	s_waitcnt lgkmcnt(0)
	v_cvt_f32_f16_e32 v16, v15
	v_cmp_u_f16_e64 s[56:57], v17, v17
	v_cmp_u_f16_e64 s[4:5], v15, v15
	v_min_f32_e32 v18, v14, v16
	v_max_f32_e32 v46, v14, v16
	v_cndmask_b32_e64 v18, v18, v14, s[56:57]
	v_cndmask_b32_e64 v46, v46, v14, s[56:57]
	;; [unrolled: 1-line block ×4, first 2 shown]
	v_cmp_neq_f32_e64 s[4:5], v18, v15
	v_cmp_class_f32_e64 s[60:61], v18, s78
	s_or_b64 s[4:5], s[4:5], s[60:61]
	v_mov_b32_e32 v16, v14
	s_and_saveexec_b64 s[60:61], s[4:5]
	s_cbranch_execz .LBB420_106
; %bb.105:
	v_sub_f32_e32 v16, v18, v15
	s_mov_b32 s4, 0x3fb8aa3b
	v_mul_f32_e32 v17, 0x3fb8aa3b, v16
	v_fma_f32 v18, v16, s4, -v17
	v_rndne_f32_e32 v46, v17
	v_fmac_f32_e32 v18, 0x32a5705f, v16
	v_sub_f32_e32 v17, v17, v46
	v_add_f32_e32 v17, v17, v18
	v_exp_f32_e32 v17, v17
	v_cvt_i32_f32_e32 v18, v46
	s_mov_b32 s4, 0xc2ce8ed0
	v_cmp_ngt_f32_e64 s[4:5], s4, v16
	s_mov_b32 s79, 0x7f800000
	v_ldexp_f32 v17, v17, v18
	v_cndmask_b32_e64 v17, 0, v17, s[4:5]
	s_mov_b32 s4, 0x42b17218
	v_mov_b32_e32 v18, 0x7f800000
	v_cmp_nlt_f32_e64 s[4:5], s4, v16
	v_cndmask_b32_e64 v46, v18, v17, s[4:5]
	v_add_f32_e32 v47, 1.0, v46
	v_cvt_f64_f32_e32 v[16:17], v47
	v_add_f32_e32 v48, -1.0, v47
	v_sub_f32_e32 v49, v48, v47
	v_sub_f32_e32 v48, v46, v48
	v_frexp_exp_i32_f64_e32 v16, v[16:17]
	v_add_f32_e32 v17, 1.0, v49
	v_add_f32_e32 v17, v48, v17
	v_frexp_mant_f32_e32 v48, v47
	s_mov_b32 s4, 0x3f2aaaab
	v_cmp_gt_f32_e64 s[4:5], s4, v48
	v_subbrev_co_u32_e64 v16, s[4:5], 0, v16, s[4:5]
	v_sub_u32_e32 v48, 0, v16
	v_ldexp_f32 v47, v47, v48
	v_ldexp_f32 v17, v17, v48
	v_add_f32_e32 v48, -1.0, v47
	v_add_f32_e32 v51, 1.0, v47
	v_add_f32_e32 v49, 1.0, v48
	v_add_f32_e32 v52, -1.0, v51
	v_sub_f32_e32 v49, v47, v49
	v_sub_f32_e32 v47, v47, v52
	v_add_f32_e32 v49, v17, v49
	v_add_f32_e32 v17, v17, v47
	;; [unrolled: 1-line block ×3, first 2 shown]
	v_rcp_f32_e32 v52, v47
	v_add_f32_e32 v50, v48, v49
	v_sub_f32_e32 v48, v48, v50
	v_add_f32_e32 v48, v49, v48
	v_sub_f32_e32 v49, v51, v47
	v_add_f32_e32 v17, v17, v49
	v_mul_f32_e32 v49, v50, v52
	v_mul_f32_e32 v51, v47, v49
	v_fma_f32 v53, v49, v47, -v51
	v_fmac_f32_e32 v53, v49, v17
	v_add_f32_e32 v54, v51, v53
	v_sub_f32_e32 v55, v50, v54
	v_sub_f32_e32 v50, v50, v55
	;; [unrolled: 1-line block ×4, first 2 shown]
	v_add_f32_e32 v48, v48, v50
	v_sub_f32_e32 v50, v51, v53
	v_add_f32_e32 v48, v50, v48
	v_add_f32_e32 v50, v55, v48
	v_mul_f32_e32 v51, v52, v50
	v_mul_f32_e32 v53, v47, v51
	v_fma_f32 v47, v51, v47, -v53
	v_fmac_f32_e32 v47, v51, v17
	v_sub_f32_e32 v17, v55, v50
	v_add_f32_e32 v17, v48, v17
	v_add_f32_e32 v48, v53, v47
	v_sub_f32_e32 v54, v50, v48
	v_sub_f32_e32 v50, v50, v54
	;; [unrolled: 1-line block ×4, first 2 shown]
	v_add_f32_e32 v17, v17, v48
	v_sub_f32_e32 v47, v53, v47
	v_add_f32_e32 v17, v47, v17
	v_add_f32_e32 v47, v49, v51
	;; [unrolled: 1-line block ×3, first 2 shown]
	v_sub_f32_e32 v48, v47, v49
	v_mul_f32_e32 v17, v52, v17
	v_sub_f32_e32 v48, v51, v48
	v_add_f32_e32 v17, v48, v17
	v_cvt_f32_i32_e32 v16, v16
	v_add_f32_e32 v48, v47, v17
	v_mul_f32_e32 v49, v48, v48
	v_mov_b32_e32 v50, 0x3ecc95a3
	v_fmac_f32_e32 v50, 0x3e9b6dac, v49
	v_mov_b32_e32 v51, 0x3f2aaada
	v_fmac_f32_e32 v51, v49, v50
	s_mov_b32 s4, 0x3f317218
	v_mul_f32_e32 v50, 0x3f317218, v16
	v_fma_f32 v52, v16, s4, -v50
	v_fmac_f32_e32 v52, 0xb102e308, v16
	v_sub_f32_e32 v16, v48, v47
	v_sub_f32_e32 v16, v17, v16
	v_add_f32_e32 v17, v50, v52
	v_sub_f32_e32 v47, v17, v50
	v_ldexp_f32 v50, v48, 1
	v_mul_f32_e32 v48, v48, v49
	v_mul_f32_e32 v48, v48, v51
	v_add_f32_e32 v49, v50, v48
	v_sub_f32_e32 v50, v49, v50
	v_ldexp_f32 v16, v16, 1
	v_sub_f32_e32 v48, v48, v50
	v_add_f32_e32 v16, v16, v48
	v_add_f32_e32 v48, v49, v16
	v_sub_f32_e32 v49, v48, v49
	v_sub_f32_e32 v16, v16, v49
	v_add_f32_e32 v49, v17, v48
	v_sub_f32_e32 v50, v49, v17
	v_sub_f32_e32 v51, v49, v50
	;; [unrolled: 1-line block ×5, first 2 shown]
	v_add_f32_e32 v17, v48, v17
	v_add_f32_e32 v48, v47, v16
	v_sub_f32_e32 v50, v48, v47
	v_sub_f32_e32 v51, v48, v50
	;; [unrolled: 1-line block ×4, first 2 shown]
	v_add_f32_e32 v17, v48, v17
	v_add_f32_e32 v16, v16, v47
	;; [unrolled: 1-line block ×3, first 2 shown]
	v_sub_f32_e32 v48, v47, v49
	v_sub_f32_e32 v17, v17, v48
	v_add_f32_e32 v16, v16, v17
	v_add_f32_e32 v16, v47, v16
	v_cmp_neq_f32_e64 s[4:5], s79, v46
	v_cndmask_b32_e64 v16, v18, v16, s[4:5]
	s_mov_b32 s4, 0x33800000
	v_cmp_lt_f32_e64 s[4:5], |v46|, s4
	v_cndmask_b32_e64 v16, v16, v46, s[4:5]
	v_add_f32_e32 v15, v15, v16
	v_cvt_f16_f32_e32 v17, v15
	v_cvt_f32_f16_e32 v16, v17
.LBB420_106:
	s_or_b64 exec, exec, s[60:61]
	ds_read_u16 v15, v13 offset:4
	v_max_f32_e32 v18, v16, v16
	v_cmp_u_f16_e64 s[4:5], v17, v17
	s_waitcnt lgkmcnt(0)
	v_cvt_f32_f16_e32 v46, v15
	v_min_f32_e32 v47, v18, v46
	v_max_f32_e32 v18, v18, v46
	v_cndmask_b32_e64 v47, v47, v16, s[4:5]
	v_cndmask_b32_e64 v48, v18, v16, s[4:5]
	v_cmp_u_f16_e64 s[4:5], v15, v15
	v_cndmask_b32_e64 v18, v47, v46, s[4:5]
	v_cndmask_b32_e64 v15, v48, v46, s[4:5]
	v_cmp_neq_f32_e64 s[4:5], v18, v15
	v_cmp_class_f32_e64 s[60:61], v18, s78
	s_or_b64 s[4:5], s[4:5], s[60:61]
	s_and_saveexec_b64 s[60:61], s[4:5]
	s_cbranch_execz .LBB420_108
; %bb.107:
	v_sub_f32_e32 v16, v18, v15
	s_mov_b32 s4, 0x3fb8aa3b
	v_mul_f32_e32 v17, 0x3fb8aa3b, v16
	v_fma_f32 v18, v16, s4, -v17
	v_rndne_f32_e32 v46, v17
	v_fmac_f32_e32 v18, 0x32a5705f, v16
	v_sub_f32_e32 v17, v17, v46
	v_add_f32_e32 v17, v17, v18
	v_exp_f32_e32 v17, v17
	v_cvt_i32_f32_e32 v18, v46
	s_mov_b32 s4, 0xc2ce8ed0
	v_cmp_ngt_f32_e64 s[4:5], s4, v16
	s_mov_b32 s78, 0x7f800000
	v_ldexp_f32 v17, v17, v18
	v_cndmask_b32_e64 v17, 0, v17, s[4:5]
	s_mov_b32 s4, 0x42b17218
	v_mov_b32_e32 v18, 0x7f800000
	v_cmp_nlt_f32_e64 s[4:5], s4, v16
	v_cndmask_b32_e64 v46, v18, v17, s[4:5]
	v_add_f32_e32 v47, 1.0, v46
	v_cvt_f64_f32_e32 v[16:17], v47
	v_add_f32_e32 v48, -1.0, v47
	v_sub_f32_e32 v49, v48, v47
	v_sub_f32_e32 v48, v46, v48
	v_frexp_exp_i32_f64_e32 v16, v[16:17]
	v_add_f32_e32 v17, 1.0, v49
	v_add_f32_e32 v17, v48, v17
	v_frexp_mant_f32_e32 v48, v47
	s_mov_b32 s4, 0x3f2aaaab
	v_cmp_gt_f32_e64 s[4:5], s4, v48
	v_subbrev_co_u32_e64 v16, s[4:5], 0, v16, s[4:5]
	v_sub_u32_e32 v48, 0, v16
	v_ldexp_f32 v47, v47, v48
	v_ldexp_f32 v17, v17, v48
	v_add_f32_e32 v48, -1.0, v47
	v_add_f32_e32 v51, 1.0, v47
	v_add_f32_e32 v49, 1.0, v48
	v_add_f32_e32 v52, -1.0, v51
	v_sub_f32_e32 v49, v47, v49
	v_sub_f32_e32 v47, v47, v52
	v_add_f32_e32 v49, v17, v49
	v_add_f32_e32 v17, v17, v47
	;; [unrolled: 1-line block ×3, first 2 shown]
	v_rcp_f32_e32 v52, v47
	v_add_f32_e32 v50, v48, v49
	v_sub_f32_e32 v48, v48, v50
	v_add_f32_e32 v48, v49, v48
	v_sub_f32_e32 v49, v51, v47
	v_add_f32_e32 v17, v17, v49
	v_mul_f32_e32 v49, v50, v52
	v_mul_f32_e32 v51, v47, v49
	v_fma_f32 v53, v49, v47, -v51
	v_fmac_f32_e32 v53, v49, v17
	v_add_f32_e32 v54, v51, v53
	v_sub_f32_e32 v55, v50, v54
	v_sub_f32_e32 v50, v50, v55
	;; [unrolled: 1-line block ×4, first 2 shown]
	v_add_f32_e32 v48, v48, v50
	v_sub_f32_e32 v50, v51, v53
	v_add_f32_e32 v48, v50, v48
	v_add_f32_e32 v50, v55, v48
	v_mul_f32_e32 v51, v52, v50
	v_mul_f32_e32 v53, v47, v51
	v_fma_f32 v47, v51, v47, -v53
	v_fmac_f32_e32 v47, v51, v17
	v_sub_f32_e32 v17, v55, v50
	v_add_f32_e32 v17, v48, v17
	v_add_f32_e32 v48, v53, v47
	v_sub_f32_e32 v54, v50, v48
	v_sub_f32_e32 v50, v50, v54
	v_sub_f32_e32 v53, v48, v53
	v_sub_f32_e32 v48, v50, v48
	v_add_f32_e32 v17, v17, v48
	v_sub_f32_e32 v47, v53, v47
	v_add_f32_e32 v17, v47, v17
	v_add_f32_e32 v47, v49, v51
	;; [unrolled: 1-line block ×3, first 2 shown]
	v_sub_f32_e32 v48, v47, v49
	v_mul_f32_e32 v17, v52, v17
	v_sub_f32_e32 v48, v51, v48
	v_add_f32_e32 v17, v48, v17
	v_cvt_f32_i32_e32 v16, v16
	v_add_f32_e32 v48, v47, v17
	v_mul_f32_e32 v49, v48, v48
	v_mov_b32_e32 v50, 0x3ecc95a3
	v_fmac_f32_e32 v50, 0x3e9b6dac, v49
	v_mov_b32_e32 v51, 0x3f2aaada
	v_fmac_f32_e32 v51, v49, v50
	s_mov_b32 s4, 0x3f317218
	v_mul_f32_e32 v50, 0x3f317218, v16
	v_fma_f32 v52, v16, s4, -v50
	v_fmac_f32_e32 v52, 0xb102e308, v16
	v_sub_f32_e32 v16, v48, v47
	v_sub_f32_e32 v16, v17, v16
	v_add_f32_e32 v17, v50, v52
	v_sub_f32_e32 v47, v17, v50
	v_ldexp_f32 v50, v48, 1
	v_mul_f32_e32 v48, v48, v49
	v_mul_f32_e32 v48, v48, v51
	v_add_f32_e32 v49, v50, v48
	v_sub_f32_e32 v50, v49, v50
	v_ldexp_f32 v16, v16, 1
	v_sub_f32_e32 v48, v48, v50
	v_add_f32_e32 v16, v16, v48
	v_add_f32_e32 v48, v49, v16
	v_sub_f32_e32 v49, v48, v49
	v_sub_f32_e32 v16, v16, v49
	v_add_f32_e32 v49, v17, v48
	v_sub_f32_e32 v50, v49, v17
	v_sub_f32_e32 v51, v49, v50
	v_sub_f32_e32 v47, v52, v47
	v_sub_f32_e32 v17, v17, v51
	v_sub_f32_e32 v48, v48, v50
	v_add_f32_e32 v17, v48, v17
	v_add_f32_e32 v48, v47, v16
	v_sub_f32_e32 v50, v48, v47
	v_sub_f32_e32 v51, v48, v50
	;; [unrolled: 1-line block ×4, first 2 shown]
	v_add_f32_e32 v17, v48, v17
	v_add_f32_e32 v16, v16, v47
	;; [unrolled: 1-line block ×3, first 2 shown]
	v_sub_f32_e32 v48, v47, v49
	v_sub_f32_e32 v17, v17, v48
	v_add_f32_e32 v16, v16, v17
	v_add_f32_e32 v16, v47, v16
	v_cmp_neq_f32_e64 s[4:5], s78, v46
	v_cndmask_b32_e64 v16, v18, v16, s[4:5]
	s_mov_b32 s4, 0x33800000
	v_cmp_lt_f32_e64 s[4:5], |v46|, s4
	v_cndmask_b32_e64 v16, v16, v46, s[4:5]
	v_add_f32_e32 v15, v15, v16
	v_cvt_f16_f32_e32 v17, v15
	v_cvt_f32_f16_e32 v16, v17
.LBB420_108:
	s_or_b64 exec, exec, s[60:61]
	ds_read_u16 v15, v13 offset:6
	v_max_f32_e32 v46, v16, v16
	v_cmp_u_f16_e64 s[4:5], v17, v17
	s_movk_i32 s60, 0x1f8
	s_waitcnt lgkmcnt(0)
	v_cvt_f32_f16_e32 v18, v15
	v_min_f32_e32 v47, v46, v18
	v_max_f32_e32 v46, v46, v18
	v_cndmask_b32_e64 v47, v47, v16, s[4:5]
	v_cndmask_b32_e64 v46, v46, v16, s[4:5]
	v_cmp_u_f16_e64 s[4:5], v15, v15
	v_cndmask_b32_e64 v16, v47, v18, s[4:5]
	v_cndmask_b32_e64 v15, v46, v18, s[4:5]
	v_cmp_neq_f32_e64 s[4:5], v16, v15
	v_cmp_class_f32_e64 s[60:61], v16, s60
	s_or_b64 s[4:5], s[4:5], s[60:61]
	s_and_saveexec_b64 s[60:61], s[4:5]
	s_cbranch_execz .LBB420_110
; %bb.109:
	v_sub_f32_e32 v16, v16, v15
	s_mov_b32 s4, 0x3fb8aa3b
	v_mul_f32_e32 v17, 0x3fb8aa3b, v16
	v_fma_f32 v18, v16, s4, -v17
	v_rndne_f32_e32 v46, v17
	v_fmac_f32_e32 v18, 0x32a5705f, v16
	v_sub_f32_e32 v17, v17, v46
	v_add_f32_e32 v17, v17, v18
	v_exp_f32_e32 v17, v17
	v_cvt_i32_f32_e32 v18, v46
	s_mov_b32 s4, 0xc2ce8ed0
	v_cmp_ngt_f32_e64 s[4:5], s4, v16
	s_mov_b32 s78, 0x7f800000
	v_ldexp_f32 v17, v17, v18
	v_cndmask_b32_e64 v17, 0, v17, s[4:5]
	s_mov_b32 s4, 0x42b17218
	v_mov_b32_e32 v18, 0x7f800000
	v_cmp_nlt_f32_e64 s[4:5], s4, v16
	v_cndmask_b32_e64 v46, v18, v17, s[4:5]
	v_add_f32_e32 v47, 1.0, v46
	v_cvt_f64_f32_e32 v[16:17], v47
	v_add_f32_e32 v48, -1.0, v47
	v_sub_f32_e32 v49, v48, v47
	v_sub_f32_e32 v48, v46, v48
	v_frexp_exp_i32_f64_e32 v16, v[16:17]
	v_add_f32_e32 v17, 1.0, v49
	v_add_f32_e32 v17, v48, v17
	v_frexp_mant_f32_e32 v48, v47
	s_mov_b32 s4, 0x3f2aaaab
	v_cmp_gt_f32_e64 s[4:5], s4, v48
	v_subbrev_co_u32_e64 v16, s[4:5], 0, v16, s[4:5]
	v_sub_u32_e32 v48, 0, v16
	v_ldexp_f32 v47, v47, v48
	v_ldexp_f32 v17, v17, v48
	v_add_f32_e32 v48, -1.0, v47
	v_add_f32_e32 v51, 1.0, v47
	v_add_f32_e32 v49, 1.0, v48
	v_add_f32_e32 v52, -1.0, v51
	v_sub_f32_e32 v49, v47, v49
	v_sub_f32_e32 v47, v47, v52
	v_add_f32_e32 v49, v17, v49
	v_add_f32_e32 v17, v17, v47
	;; [unrolled: 1-line block ×3, first 2 shown]
	v_rcp_f32_e32 v52, v47
	v_add_f32_e32 v50, v48, v49
	v_sub_f32_e32 v48, v48, v50
	v_add_f32_e32 v48, v49, v48
	v_sub_f32_e32 v49, v51, v47
	v_add_f32_e32 v17, v17, v49
	v_mul_f32_e32 v49, v50, v52
	v_mul_f32_e32 v51, v47, v49
	v_fma_f32 v53, v49, v47, -v51
	v_fmac_f32_e32 v53, v49, v17
	v_add_f32_e32 v54, v51, v53
	v_sub_f32_e32 v55, v50, v54
	v_sub_f32_e32 v50, v50, v55
	;; [unrolled: 1-line block ×4, first 2 shown]
	v_add_f32_e32 v48, v48, v50
	v_sub_f32_e32 v50, v51, v53
	v_add_f32_e32 v48, v50, v48
	v_add_f32_e32 v50, v55, v48
	v_mul_f32_e32 v51, v52, v50
	v_mul_f32_e32 v53, v47, v51
	v_fma_f32 v47, v51, v47, -v53
	v_fmac_f32_e32 v47, v51, v17
	v_sub_f32_e32 v17, v55, v50
	v_add_f32_e32 v17, v48, v17
	v_add_f32_e32 v48, v53, v47
	v_sub_f32_e32 v54, v50, v48
	v_sub_f32_e32 v50, v50, v54
	;; [unrolled: 1-line block ×4, first 2 shown]
	v_add_f32_e32 v17, v17, v48
	v_sub_f32_e32 v47, v53, v47
	v_add_f32_e32 v17, v47, v17
	v_add_f32_e32 v47, v49, v51
	;; [unrolled: 1-line block ×3, first 2 shown]
	v_sub_f32_e32 v48, v47, v49
	v_mul_f32_e32 v17, v52, v17
	v_sub_f32_e32 v48, v51, v48
	v_add_f32_e32 v17, v48, v17
	v_cvt_f32_i32_e32 v16, v16
	v_add_f32_e32 v48, v47, v17
	v_mul_f32_e32 v49, v48, v48
	v_mov_b32_e32 v50, 0x3ecc95a3
	v_fmac_f32_e32 v50, 0x3e9b6dac, v49
	v_mov_b32_e32 v51, 0x3f2aaada
	v_fmac_f32_e32 v51, v49, v50
	s_mov_b32 s4, 0x3f317218
	v_mul_f32_e32 v50, 0x3f317218, v16
	v_fma_f32 v52, v16, s4, -v50
	v_fmac_f32_e32 v52, 0xb102e308, v16
	v_sub_f32_e32 v16, v48, v47
	v_sub_f32_e32 v16, v17, v16
	v_add_f32_e32 v17, v50, v52
	v_sub_f32_e32 v47, v17, v50
	v_ldexp_f32 v50, v48, 1
	v_mul_f32_e32 v48, v48, v49
	v_mul_f32_e32 v48, v48, v51
	v_add_f32_e32 v49, v50, v48
	v_sub_f32_e32 v50, v49, v50
	v_ldexp_f32 v16, v16, 1
	v_sub_f32_e32 v48, v48, v50
	v_add_f32_e32 v16, v16, v48
	v_add_f32_e32 v48, v49, v16
	v_sub_f32_e32 v49, v48, v49
	v_sub_f32_e32 v16, v16, v49
	v_add_f32_e32 v49, v17, v48
	v_sub_f32_e32 v50, v49, v17
	v_sub_f32_e32 v51, v49, v50
	;; [unrolled: 1-line block ×5, first 2 shown]
	v_add_f32_e32 v17, v48, v17
	v_add_f32_e32 v48, v47, v16
	v_sub_f32_e32 v50, v48, v47
	v_sub_f32_e32 v51, v48, v50
	;; [unrolled: 1-line block ×4, first 2 shown]
	v_add_f32_e32 v17, v48, v17
	v_add_f32_e32 v16, v16, v47
	v_add_f32_e32 v47, v49, v17
	v_sub_f32_e32 v48, v47, v49
	v_sub_f32_e32 v17, v17, v48
	v_add_f32_e32 v16, v16, v17
	v_add_f32_e32 v16, v47, v16
	v_cmp_neq_f32_e64 s[4:5], s78, v46
	v_cndmask_b32_e64 v16, v18, v16, s[4:5]
	s_mov_b32 s4, 0x33800000
	v_cmp_lt_f32_e64 s[4:5], |v46|, s4
	v_cndmask_b32_e64 v16, v16, v46, s[4:5]
	v_add_f32_e32 v15, v15, v16
	v_cvt_f16_f32_e32 v17, v15
.LBB420_110:
	s_or_b64 exec, exec, s[60:61]
	v_mbcnt_lo_u32_b32 v15, -1, 0
	v_mbcnt_hi_u32_b32 v15, -1, v15
	v_and_b32_e32 v16, 15, v15
	v_and_b32_e32 v18, 0xffff, v17
	v_cmp_ne_u32_e64 s[4:5], 0, v16
	s_nop 0
	v_mov_b32_dpp v46, v18 row_shr:1 row_mask:0xf bank_mask:0xf
	s_and_saveexec_b64 s[60:61], s[4:5]
	s_xor_b64 s[78:79], exec, s[60:61]
	s_cbranch_execz .LBB420_114
; %bb.111:
	v_cvt_f32_f16_e32 v47, v46
	v_cvt_f32_f16_e32 v48, v17
	v_cmp_u_f16_e64 s[4:5], v46, v46
	v_cmp_u_f16_e64 s[60:61], v17, v17
	v_min_f32_e32 v18, v47, v48
	v_max_f32_e32 v17, v47, v48
	v_cndmask_b32_e64 v18, v18, v47, s[4:5]
	v_cndmask_b32_e64 v17, v17, v47, s[4:5]
	;; [unrolled: 1-line block ×4, first 2 shown]
	s_movk_i32 s60, 0x1f8
	v_cmp_neq_f32_e64 s[4:5], v18, v17
	v_cmp_class_f32_e64 s[60:61], v18, s60
	s_or_b64 s[4:5], s[4:5], s[60:61]
	s_and_saveexec_b64 s[60:61], s[4:5]
	s_cbranch_execz .LBB420_113
; %bb.112:
	v_sub_f32_e32 v18, v18, v17
	s_mov_b32 s4, 0x3fb8aa3b
	v_mul_f32_e32 v46, 0x3fb8aa3b, v18
	v_fma_f32 v47, v18, s4, -v46
	v_rndne_f32_e32 v48, v46
	v_fmac_f32_e32 v47, 0x32a5705f, v18
	v_sub_f32_e32 v46, v46, v48
	v_add_f32_e32 v46, v46, v47
	v_exp_f32_e32 v46, v46
	v_cvt_i32_f32_e32 v47, v48
	s_mov_b32 s4, 0xc2ce8ed0
	v_cmp_ngt_f32_e64 s[4:5], s4, v18
	v_mov_b32_e32 v48, 0x7f800000
	v_ldexp_f32 v46, v46, v47
	v_cndmask_b32_e64 v46, 0, v46, s[4:5]
	s_mov_b32 s4, 0x42b17218
	v_cmp_nlt_f32_e64 s[4:5], s4, v18
	v_cndmask_b32_e64 v18, v48, v46, s[4:5]
	v_add_f32_e32 v49, 1.0, v18
	v_cvt_f64_f32_e32 v[46:47], v49
	v_add_f32_e32 v50, -1.0, v49
	v_sub_f32_e32 v51, v50, v49
	v_sub_f32_e32 v50, v18, v50
	v_frexp_exp_i32_f64_e32 v46, v[46:47]
	v_add_f32_e32 v47, 1.0, v51
	v_add_f32_e32 v47, v50, v47
	v_frexp_mant_f32_e32 v50, v49
	s_mov_b32 s4, 0x3f2aaaab
	v_cmp_gt_f32_e64 s[4:5], s4, v50
	s_mov_b32 s84, 0x7f800000
	v_subbrev_co_u32_e64 v46, s[4:5], 0, v46, s[4:5]
	v_sub_u32_e32 v50, 0, v46
	v_ldexp_f32 v49, v49, v50
	v_ldexp_f32 v47, v47, v50
	v_add_f32_e32 v50, -1.0, v49
	v_add_f32_e32 v53, 1.0, v49
	v_add_f32_e32 v51, 1.0, v50
	v_add_f32_e32 v54, -1.0, v53
	v_sub_f32_e32 v51, v49, v51
	v_sub_f32_e32 v49, v49, v54
	v_add_f32_e32 v51, v47, v51
	v_add_f32_e32 v47, v47, v49
	;; [unrolled: 1-line block ×3, first 2 shown]
	v_rcp_f32_e32 v54, v49
	v_add_f32_e32 v52, v50, v51
	v_sub_f32_e32 v50, v50, v52
	v_add_f32_e32 v50, v51, v50
	v_sub_f32_e32 v51, v53, v49
	v_add_f32_e32 v47, v47, v51
	v_mul_f32_e32 v51, v52, v54
	v_mul_f32_e32 v53, v49, v51
	v_fma_f32 v55, v51, v49, -v53
	v_fmac_f32_e32 v55, v51, v47
	v_add_f32_e32 v56, v53, v55
	v_sub_f32_e32 v57, v52, v56
	v_sub_f32_e32 v52, v52, v57
	;; [unrolled: 1-line block ×4, first 2 shown]
	v_add_f32_e32 v50, v50, v52
	v_sub_f32_e32 v52, v53, v55
	v_add_f32_e32 v50, v52, v50
	v_add_f32_e32 v52, v57, v50
	v_mul_f32_e32 v53, v54, v52
	v_mul_f32_e32 v55, v49, v53
	v_fma_f32 v49, v53, v49, -v55
	v_fmac_f32_e32 v49, v53, v47
	v_sub_f32_e32 v47, v57, v52
	v_add_f32_e32 v47, v50, v47
	v_add_f32_e32 v50, v55, v49
	v_sub_f32_e32 v56, v52, v50
	v_sub_f32_e32 v52, v52, v56
	;; [unrolled: 1-line block ×4, first 2 shown]
	v_add_f32_e32 v47, v47, v50
	v_sub_f32_e32 v49, v55, v49
	v_add_f32_e32 v47, v49, v47
	v_add_f32_e32 v49, v51, v53
	;; [unrolled: 1-line block ×3, first 2 shown]
	v_sub_f32_e32 v50, v49, v51
	v_mul_f32_e32 v47, v54, v47
	v_sub_f32_e32 v50, v53, v50
	v_add_f32_e32 v47, v50, v47
	v_cvt_f32_i32_e32 v46, v46
	v_add_f32_e32 v50, v49, v47
	v_mul_f32_e32 v51, v50, v50
	v_mov_b32_e32 v52, 0x3ecc95a3
	v_fmac_f32_e32 v52, 0x3e9b6dac, v51
	v_mov_b32_e32 v53, 0x3f2aaada
	v_fmac_f32_e32 v53, v51, v52
	s_mov_b32 s4, 0x3f317218
	v_mul_f32_e32 v52, 0x3f317218, v46
	v_fma_f32 v54, v46, s4, -v52
	v_fmac_f32_e32 v54, 0xb102e308, v46
	v_sub_f32_e32 v46, v50, v49
	v_sub_f32_e32 v46, v47, v46
	v_add_f32_e32 v47, v52, v54
	v_sub_f32_e32 v49, v47, v52
	v_ldexp_f32 v52, v50, 1
	v_mul_f32_e32 v50, v50, v51
	v_mul_f32_e32 v50, v50, v53
	v_add_f32_e32 v51, v52, v50
	v_sub_f32_e32 v52, v51, v52
	v_ldexp_f32 v46, v46, 1
	v_sub_f32_e32 v50, v50, v52
	v_add_f32_e32 v46, v46, v50
	v_add_f32_e32 v50, v51, v46
	v_sub_f32_e32 v51, v50, v51
	v_sub_f32_e32 v46, v46, v51
	v_add_f32_e32 v51, v47, v50
	v_sub_f32_e32 v52, v51, v47
	v_sub_f32_e32 v53, v51, v52
	;; [unrolled: 1-line block ×5, first 2 shown]
	v_add_f32_e32 v47, v50, v47
	v_add_f32_e32 v50, v49, v46
	v_sub_f32_e32 v52, v50, v49
	v_sub_f32_e32 v53, v50, v52
	;; [unrolled: 1-line block ×4, first 2 shown]
	v_add_f32_e32 v47, v50, v47
	v_add_f32_e32 v46, v46, v49
	;; [unrolled: 1-line block ×3, first 2 shown]
	v_sub_f32_e32 v50, v49, v51
	v_sub_f32_e32 v47, v47, v50
	v_add_f32_e32 v46, v46, v47
	v_add_f32_e32 v46, v49, v46
	v_cmp_neq_f32_e64 s[4:5], s84, v18
	v_cndmask_b32_e64 v46, v48, v46, s[4:5]
	s_mov_b32 s4, 0x33800000
	v_cmp_lt_f32_e64 s[4:5], |v18|, s4
	v_cndmask_b32_e64 v18, v46, v18, s[4:5]
	v_add_f32_e32 v17, v17, v18
	v_cvt_f16_f32_e32 v46, v17
.LBB420_113:
	s_or_b64 exec, exec, s[60:61]
	v_and_b32_e32 v18, 0xffff, v46
	v_mov_b32_e32 v17, v46
.LBB420_114:
	s_or_b64 exec, exec, s[78:79]
	v_mov_b32_dpp v46, v18 row_shr:2 row_mask:0xf bank_mask:0xf
	v_cmp_lt_u32_e64 s[4:5], 1, v16
	s_and_saveexec_b64 s[78:79], s[4:5]
	s_cbranch_execz .LBB420_118
; %bb.115:
	v_cvt_f32_f16_e32 v47, v46
	v_cvt_f32_f16_e32 v48, v17
	v_cmp_u_f16_e64 s[4:5], v46, v46
	v_cmp_u_f16_e64 s[60:61], v17, v17
	v_min_f32_e32 v18, v47, v48
	v_max_f32_e32 v17, v47, v48
	v_cndmask_b32_e64 v18, v18, v47, s[4:5]
	v_cndmask_b32_e64 v17, v17, v47, s[4:5]
	;; [unrolled: 1-line block ×4, first 2 shown]
	s_movk_i32 s60, 0x1f8
	v_cmp_neq_f32_e64 s[4:5], v18, v17
	v_cmp_class_f32_e64 s[60:61], v18, s60
	s_or_b64 s[4:5], s[4:5], s[60:61]
	s_and_saveexec_b64 s[60:61], s[4:5]
	s_cbranch_execz .LBB420_117
; %bb.116:
	v_sub_f32_e32 v18, v18, v17
	s_mov_b32 s4, 0x3fb8aa3b
	v_mul_f32_e32 v46, 0x3fb8aa3b, v18
	v_fma_f32 v47, v18, s4, -v46
	v_rndne_f32_e32 v48, v46
	v_fmac_f32_e32 v47, 0x32a5705f, v18
	v_sub_f32_e32 v46, v46, v48
	v_add_f32_e32 v46, v46, v47
	v_exp_f32_e32 v46, v46
	v_cvt_i32_f32_e32 v47, v48
	s_mov_b32 s4, 0xc2ce8ed0
	v_cmp_ngt_f32_e64 s[4:5], s4, v18
	v_mov_b32_e32 v48, 0x7f800000
	v_ldexp_f32 v46, v46, v47
	v_cndmask_b32_e64 v46, 0, v46, s[4:5]
	s_mov_b32 s4, 0x42b17218
	v_cmp_nlt_f32_e64 s[4:5], s4, v18
	v_cndmask_b32_e64 v18, v48, v46, s[4:5]
	v_add_f32_e32 v49, 1.0, v18
	v_cvt_f64_f32_e32 v[46:47], v49
	v_add_f32_e32 v50, -1.0, v49
	v_sub_f32_e32 v51, v50, v49
	v_sub_f32_e32 v50, v18, v50
	v_frexp_exp_i32_f64_e32 v46, v[46:47]
	v_add_f32_e32 v47, 1.0, v51
	v_add_f32_e32 v47, v50, v47
	v_frexp_mant_f32_e32 v50, v49
	s_mov_b32 s4, 0x3f2aaaab
	v_cmp_gt_f32_e64 s[4:5], s4, v50
	s_mov_b32 s84, 0x7f800000
	v_subbrev_co_u32_e64 v46, s[4:5], 0, v46, s[4:5]
	v_sub_u32_e32 v50, 0, v46
	v_ldexp_f32 v49, v49, v50
	v_ldexp_f32 v47, v47, v50
	v_add_f32_e32 v50, -1.0, v49
	v_add_f32_e32 v53, 1.0, v49
	v_add_f32_e32 v51, 1.0, v50
	v_add_f32_e32 v54, -1.0, v53
	v_sub_f32_e32 v51, v49, v51
	v_sub_f32_e32 v49, v49, v54
	v_add_f32_e32 v51, v47, v51
	v_add_f32_e32 v47, v47, v49
	;; [unrolled: 1-line block ×3, first 2 shown]
	v_rcp_f32_e32 v54, v49
	v_add_f32_e32 v52, v50, v51
	v_sub_f32_e32 v50, v50, v52
	v_add_f32_e32 v50, v51, v50
	v_sub_f32_e32 v51, v53, v49
	v_add_f32_e32 v47, v47, v51
	v_mul_f32_e32 v51, v52, v54
	v_mul_f32_e32 v53, v49, v51
	v_fma_f32 v55, v51, v49, -v53
	v_fmac_f32_e32 v55, v51, v47
	v_add_f32_e32 v56, v53, v55
	v_sub_f32_e32 v57, v52, v56
	v_sub_f32_e32 v52, v52, v57
	;; [unrolled: 1-line block ×4, first 2 shown]
	v_add_f32_e32 v50, v50, v52
	v_sub_f32_e32 v52, v53, v55
	v_add_f32_e32 v50, v52, v50
	v_add_f32_e32 v52, v57, v50
	v_mul_f32_e32 v53, v54, v52
	v_mul_f32_e32 v55, v49, v53
	v_fma_f32 v49, v53, v49, -v55
	v_fmac_f32_e32 v49, v53, v47
	v_sub_f32_e32 v47, v57, v52
	v_add_f32_e32 v47, v50, v47
	v_add_f32_e32 v50, v55, v49
	v_sub_f32_e32 v56, v52, v50
	v_sub_f32_e32 v52, v52, v56
	;; [unrolled: 1-line block ×4, first 2 shown]
	v_add_f32_e32 v47, v47, v50
	v_sub_f32_e32 v49, v55, v49
	v_add_f32_e32 v47, v49, v47
	v_add_f32_e32 v49, v51, v53
	;; [unrolled: 1-line block ×3, first 2 shown]
	v_sub_f32_e32 v50, v49, v51
	v_mul_f32_e32 v47, v54, v47
	v_sub_f32_e32 v50, v53, v50
	v_add_f32_e32 v47, v50, v47
	v_cvt_f32_i32_e32 v46, v46
	v_add_f32_e32 v50, v49, v47
	v_mul_f32_e32 v51, v50, v50
	v_mov_b32_e32 v52, 0x3ecc95a3
	v_fmac_f32_e32 v52, 0x3e9b6dac, v51
	v_mov_b32_e32 v53, 0x3f2aaada
	v_fmac_f32_e32 v53, v51, v52
	s_mov_b32 s4, 0x3f317218
	v_mul_f32_e32 v52, 0x3f317218, v46
	v_fma_f32 v54, v46, s4, -v52
	v_fmac_f32_e32 v54, 0xb102e308, v46
	v_sub_f32_e32 v46, v50, v49
	v_sub_f32_e32 v46, v47, v46
	v_add_f32_e32 v47, v52, v54
	v_sub_f32_e32 v49, v47, v52
	v_ldexp_f32 v52, v50, 1
	v_mul_f32_e32 v50, v50, v51
	v_mul_f32_e32 v50, v50, v53
	v_add_f32_e32 v51, v52, v50
	v_sub_f32_e32 v52, v51, v52
	v_ldexp_f32 v46, v46, 1
	v_sub_f32_e32 v50, v50, v52
	v_add_f32_e32 v46, v46, v50
	v_add_f32_e32 v50, v51, v46
	v_sub_f32_e32 v51, v50, v51
	v_sub_f32_e32 v46, v46, v51
	v_add_f32_e32 v51, v47, v50
	v_sub_f32_e32 v52, v51, v47
	v_sub_f32_e32 v53, v51, v52
	;; [unrolled: 1-line block ×5, first 2 shown]
	v_add_f32_e32 v47, v50, v47
	v_add_f32_e32 v50, v49, v46
	v_sub_f32_e32 v52, v50, v49
	v_sub_f32_e32 v53, v50, v52
	;; [unrolled: 1-line block ×4, first 2 shown]
	v_add_f32_e32 v47, v50, v47
	v_add_f32_e32 v46, v46, v49
	;; [unrolled: 1-line block ×3, first 2 shown]
	v_sub_f32_e32 v50, v49, v51
	v_sub_f32_e32 v47, v47, v50
	v_add_f32_e32 v46, v46, v47
	v_add_f32_e32 v46, v49, v46
	v_cmp_neq_f32_e64 s[4:5], s84, v18
	v_cndmask_b32_e64 v46, v48, v46, s[4:5]
	s_mov_b32 s4, 0x33800000
	v_cmp_lt_f32_e64 s[4:5], |v18|, s4
	v_cndmask_b32_e64 v18, v46, v18, s[4:5]
	v_add_f32_e32 v17, v17, v18
	v_cvt_f16_f32_e32 v46, v17
.LBB420_117:
	s_or_b64 exec, exec, s[60:61]
	v_and_b32_e32 v18, 0xffff, v46
	v_mov_b32_e32 v17, v46
.LBB420_118:
	s_or_b64 exec, exec, s[78:79]
	v_mov_b32_dpp v46, v18 row_shr:4 row_mask:0xf bank_mask:0xf
	v_cmp_lt_u32_e64 s[4:5], 3, v16
	s_and_saveexec_b64 s[78:79], s[4:5]
	s_cbranch_execz .LBB420_122
; %bb.119:
	v_cvt_f32_f16_e32 v47, v46
	v_cvt_f32_f16_e32 v48, v17
	v_cmp_u_f16_e64 s[4:5], v46, v46
	v_cmp_u_f16_e64 s[60:61], v17, v17
	v_min_f32_e32 v18, v47, v48
	v_max_f32_e32 v17, v47, v48
	v_cndmask_b32_e64 v18, v18, v47, s[4:5]
	v_cndmask_b32_e64 v17, v17, v47, s[4:5]
	;; [unrolled: 1-line block ×4, first 2 shown]
	s_movk_i32 s60, 0x1f8
	v_cmp_neq_f32_e64 s[4:5], v18, v17
	v_cmp_class_f32_e64 s[60:61], v18, s60
	s_or_b64 s[4:5], s[4:5], s[60:61]
	s_and_saveexec_b64 s[60:61], s[4:5]
	s_cbranch_execz .LBB420_121
; %bb.120:
	v_sub_f32_e32 v18, v18, v17
	s_mov_b32 s4, 0x3fb8aa3b
	v_mul_f32_e32 v46, 0x3fb8aa3b, v18
	v_fma_f32 v47, v18, s4, -v46
	v_rndne_f32_e32 v48, v46
	v_fmac_f32_e32 v47, 0x32a5705f, v18
	v_sub_f32_e32 v46, v46, v48
	v_add_f32_e32 v46, v46, v47
	v_exp_f32_e32 v46, v46
	v_cvt_i32_f32_e32 v47, v48
	s_mov_b32 s4, 0xc2ce8ed0
	v_cmp_ngt_f32_e64 s[4:5], s4, v18
	v_mov_b32_e32 v48, 0x7f800000
	v_ldexp_f32 v46, v46, v47
	v_cndmask_b32_e64 v46, 0, v46, s[4:5]
	s_mov_b32 s4, 0x42b17218
	v_cmp_nlt_f32_e64 s[4:5], s4, v18
	v_cndmask_b32_e64 v18, v48, v46, s[4:5]
	v_add_f32_e32 v49, 1.0, v18
	v_cvt_f64_f32_e32 v[46:47], v49
	v_add_f32_e32 v50, -1.0, v49
	v_sub_f32_e32 v51, v50, v49
	v_sub_f32_e32 v50, v18, v50
	v_frexp_exp_i32_f64_e32 v46, v[46:47]
	v_add_f32_e32 v47, 1.0, v51
	v_add_f32_e32 v47, v50, v47
	v_frexp_mant_f32_e32 v50, v49
	s_mov_b32 s4, 0x3f2aaaab
	v_cmp_gt_f32_e64 s[4:5], s4, v50
	s_mov_b32 s84, 0x7f800000
	v_subbrev_co_u32_e64 v46, s[4:5], 0, v46, s[4:5]
	v_sub_u32_e32 v50, 0, v46
	v_ldexp_f32 v49, v49, v50
	v_ldexp_f32 v47, v47, v50
	v_add_f32_e32 v50, -1.0, v49
	v_add_f32_e32 v53, 1.0, v49
	v_add_f32_e32 v51, 1.0, v50
	v_add_f32_e32 v54, -1.0, v53
	v_sub_f32_e32 v51, v49, v51
	v_sub_f32_e32 v49, v49, v54
	v_add_f32_e32 v51, v47, v51
	v_add_f32_e32 v47, v47, v49
	;; [unrolled: 1-line block ×3, first 2 shown]
	v_rcp_f32_e32 v54, v49
	v_add_f32_e32 v52, v50, v51
	v_sub_f32_e32 v50, v50, v52
	v_add_f32_e32 v50, v51, v50
	v_sub_f32_e32 v51, v53, v49
	v_add_f32_e32 v47, v47, v51
	v_mul_f32_e32 v51, v52, v54
	v_mul_f32_e32 v53, v49, v51
	v_fma_f32 v55, v51, v49, -v53
	v_fmac_f32_e32 v55, v51, v47
	v_add_f32_e32 v56, v53, v55
	v_sub_f32_e32 v57, v52, v56
	v_sub_f32_e32 v52, v52, v57
	v_sub_f32_e32 v53, v56, v53
	v_sub_f32_e32 v52, v52, v56
	v_add_f32_e32 v50, v50, v52
	v_sub_f32_e32 v52, v53, v55
	v_add_f32_e32 v50, v52, v50
	v_add_f32_e32 v52, v57, v50
	v_mul_f32_e32 v53, v54, v52
	v_mul_f32_e32 v55, v49, v53
	v_fma_f32 v49, v53, v49, -v55
	v_fmac_f32_e32 v49, v53, v47
	v_sub_f32_e32 v47, v57, v52
	v_add_f32_e32 v47, v50, v47
	v_add_f32_e32 v50, v55, v49
	v_sub_f32_e32 v56, v52, v50
	v_sub_f32_e32 v52, v52, v56
	;; [unrolled: 1-line block ×4, first 2 shown]
	v_add_f32_e32 v47, v47, v50
	v_sub_f32_e32 v49, v55, v49
	v_add_f32_e32 v47, v49, v47
	v_add_f32_e32 v49, v51, v53
	;; [unrolled: 1-line block ×3, first 2 shown]
	v_sub_f32_e32 v50, v49, v51
	v_mul_f32_e32 v47, v54, v47
	v_sub_f32_e32 v50, v53, v50
	v_add_f32_e32 v47, v50, v47
	v_cvt_f32_i32_e32 v46, v46
	v_add_f32_e32 v50, v49, v47
	v_mul_f32_e32 v51, v50, v50
	v_mov_b32_e32 v52, 0x3ecc95a3
	v_fmac_f32_e32 v52, 0x3e9b6dac, v51
	v_mov_b32_e32 v53, 0x3f2aaada
	v_fmac_f32_e32 v53, v51, v52
	s_mov_b32 s4, 0x3f317218
	v_mul_f32_e32 v52, 0x3f317218, v46
	v_fma_f32 v54, v46, s4, -v52
	v_fmac_f32_e32 v54, 0xb102e308, v46
	v_sub_f32_e32 v46, v50, v49
	v_sub_f32_e32 v46, v47, v46
	v_add_f32_e32 v47, v52, v54
	v_sub_f32_e32 v49, v47, v52
	v_ldexp_f32 v52, v50, 1
	v_mul_f32_e32 v50, v50, v51
	v_mul_f32_e32 v50, v50, v53
	v_add_f32_e32 v51, v52, v50
	v_sub_f32_e32 v52, v51, v52
	v_ldexp_f32 v46, v46, 1
	v_sub_f32_e32 v50, v50, v52
	v_add_f32_e32 v46, v46, v50
	v_add_f32_e32 v50, v51, v46
	v_sub_f32_e32 v51, v50, v51
	v_sub_f32_e32 v46, v46, v51
	v_add_f32_e32 v51, v47, v50
	v_sub_f32_e32 v52, v51, v47
	v_sub_f32_e32 v53, v51, v52
	;; [unrolled: 1-line block ×5, first 2 shown]
	v_add_f32_e32 v47, v50, v47
	v_add_f32_e32 v50, v49, v46
	v_sub_f32_e32 v52, v50, v49
	v_sub_f32_e32 v53, v50, v52
	;; [unrolled: 1-line block ×4, first 2 shown]
	v_add_f32_e32 v47, v50, v47
	v_add_f32_e32 v46, v46, v49
	;; [unrolled: 1-line block ×3, first 2 shown]
	v_sub_f32_e32 v50, v49, v51
	v_sub_f32_e32 v47, v47, v50
	v_add_f32_e32 v46, v46, v47
	v_add_f32_e32 v46, v49, v46
	v_cmp_neq_f32_e64 s[4:5], s84, v18
	v_cndmask_b32_e64 v46, v48, v46, s[4:5]
	s_mov_b32 s4, 0x33800000
	v_cmp_lt_f32_e64 s[4:5], |v18|, s4
	v_cndmask_b32_e64 v18, v46, v18, s[4:5]
	v_add_f32_e32 v17, v17, v18
	v_cvt_f16_f32_e32 v46, v17
.LBB420_121:
	s_or_b64 exec, exec, s[60:61]
	v_and_b32_e32 v18, 0xffff, v46
	v_mov_b32_e32 v17, v46
.LBB420_122:
	s_or_b64 exec, exec, s[78:79]
	v_mov_b32_dpp v46, v18 row_shr:8 row_mask:0xf bank_mask:0xf
	v_cmp_lt_u32_e64 s[4:5], 7, v16
	s_and_saveexec_b64 s[78:79], s[4:5]
	s_cbranch_execz .LBB420_126
; %bb.123:
	v_cvt_f32_f16_e32 v16, v46
	v_cvt_f32_f16_e32 v18, v17
	v_cmp_u_f16_e64 s[4:5], v46, v46
	v_cmp_u_f16_e64 s[60:61], v17, v17
	v_min_f32_e32 v47, v16, v18
	v_cndmask_b32_e64 v47, v47, v16, s[4:5]
	v_cndmask_b32_e64 v17, v47, v18, s[60:61]
	v_max_f32_e32 v47, v16, v18
	v_cndmask_b32_e64 v16, v47, v16, s[4:5]
	v_cndmask_b32_e64 v16, v16, v18, s[60:61]
	s_movk_i32 s60, 0x1f8
	v_cmp_neq_f32_e64 s[4:5], v17, v16
	v_cmp_class_f32_e64 s[60:61], v17, s60
	s_or_b64 s[4:5], s[4:5], s[60:61]
	s_and_saveexec_b64 s[60:61], s[4:5]
	s_cbranch_execz .LBB420_125
; %bb.124:
	v_sub_f32_e32 v17, v17, v16
	s_mov_b32 s4, 0x3fb8aa3b
	v_mul_f32_e32 v18, 0x3fb8aa3b, v17
	v_fma_f32 v46, v17, s4, -v18
	v_rndne_f32_e32 v47, v18
	v_fmac_f32_e32 v46, 0x32a5705f, v17
	v_sub_f32_e32 v18, v18, v47
	v_add_f32_e32 v18, v18, v46
	v_exp_f32_e32 v18, v18
	v_cvt_i32_f32_e32 v46, v47
	s_mov_b32 s4, 0xc2ce8ed0
	v_cmp_ngt_f32_e64 s[4:5], s4, v17
	s_mov_b32 s84, 0x7f800000
	v_ldexp_f32 v18, v18, v46
	v_cndmask_b32_e64 v18, 0, v18, s[4:5]
	s_mov_b32 s4, 0x42b17218
	v_mov_b32_e32 v46, 0x7f800000
	v_cmp_nlt_f32_e64 s[4:5], s4, v17
	v_cndmask_b32_e64 v47, v46, v18, s[4:5]
	v_add_f32_e32 v48, 1.0, v47
	v_cvt_f64_f32_e32 v[17:18], v48
	v_add_f32_e32 v49, -1.0, v48
	v_sub_f32_e32 v50, v49, v48
	v_sub_f32_e32 v49, v47, v49
	v_frexp_exp_i32_f64_e32 v17, v[17:18]
	v_add_f32_e32 v18, 1.0, v50
	v_add_f32_e32 v18, v49, v18
	v_frexp_mant_f32_e32 v49, v48
	s_mov_b32 s4, 0x3f2aaaab
	v_cmp_gt_f32_e64 s[4:5], s4, v49
	v_subbrev_co_u32_e64 v17, s[4:5], 0, v17, s[4:5]
	v_sub_u32_e32 v49, 0, v17
	v_ldexp_f32 v48, v48, v49
	v_ldexp_f32 v18, v18, v49
	v_add_f32_e32 v49, -1.0, v48
	v_add_f32_e32 v52, 1.0, v48
	v_add_f32_e32 v50, 1.0, v49
	v_add_f32_e32 v53, -1.0, v52
	v_sub_f32_e32 v50, v48, v50
	v_sub_f32_e32 v48, v48, v53
	v_add_f32_e32 v50, v18, v50
	v_add_f32_e32 v18, v18, v48
	;; [unrolled: 1-line block ×3, first 2 shown]
	v_rcp_f32_e32 v53, v48
	v_add_f32_e32 v51, v49, v50
	v_sub_f32_e32 v49, v49, v51
	v_add_f32_e32 v49, v50, v49
	v_sub_f32_e32 v50, v52, v48
	v_add_f32_e32 v18, v18, v50
	v_mul_f32_e32 v50, v51, v53
	v_mul_f32_e32 v52, v48, v50
	v_fma_f32 v54, v50, v48, -v52
	v_fmac_f32_e32 v54, v50, v18
	v_add_f32_e32 v55, v52, v54
	v_sub_f32_e32 v56, v51, v55
	v_sub_f32_e32 v51, v51, v56
	;; [unrolled: 1-line block ×4, first 2 shown]
	v_add_f32_e32 v49, v49, v51
	v_sub_f32_e32 v51, v52, v54
	v_add_f32_e32 v49, v51, v49
	v_add_f32_e32 v51, v56, v49
	v_mul_f32_e32 v52, v53, v51
	v_mul_f32_e32 v54, v48, v52
	v_fma_f32 v48, v52, v48, -v54
	v_fmac_f32_e32 v48, v52, v18
	v_sub_f32_e32 v18, v56, v51
	v_add_f32_e32 v18, v49, v18
	v_add_f32_e32 v49, v54, v48
	v_sub_f32_e32 v55, v51, v49
	v_sub_f32_e32 v51, v51, v55
	;; [unrolled: 1-line block ×4, first 2 shown]
	v_add_f32_e32 v18, v18, v49
	v_sub_f32_e32 v48, v54, v48
	v_add_f32_e32 v18, v48, v18
	v_add_f32_e32 v48, v50, v52
	;; [unrolled: 1-line block ×3, first 2 shown]
	v_sub_f32_e32 v49, v48, v50
	v_mul_f32_e32 v18, v53, v18
	v_sub_f32_e32 v49, v52, v49
	v_add_f32_e32 v18, v49, v18
	v_cvt_f32_i32_e32 v17, v17
	v_add_f32_e32 v49, v48, v18
	v_mul_f32_e32 v50, v49, v49
	v_mov_b32_e32 v51, 0x3ecc95a3
	v_fmac_f32_e32 v51, 0x3e9b6dac, v50
	v_mov_b32_e32 v52, 0x3f2aaada
	v_fmac_f32_e32 v52, v50, v51
	s_mov_b32 s4, 0x3f317218
	v_mul_f32_e32 v51, 0x3f317218, v17
	v_fma_f32 v53, v17, s4, -v51
	v_fmac_f32_e32 v53, 0xb102e308, v17
	v_sub_f32_e32 v17, v49, v48
	v_sub_f32_e32 v17, v18, v17
	v_add_f32_e32 v18, v51, v53
	v_sub_f32_e32 v48, v18, v51
	v_ldexp_f32 v51, v49, 1
	v_mul_f32_e32 v49, v49, v50
	v_mul_f32_e32 v49, v49, v52
	v_add_f32_e32 v50, v51, v49
	v_sub_f32_e32 v51, v50, v51
	v_ldexp_f32 v17, v17, 1
	v_sub_f32_e32 v49, v49, v51
	v_add_f32_e32 v17, v17, v49
	v_add_f32_e32 v49, v50, v17
	v_sub_f32_e32 v50, v49, v50
	v_sub_f32_e32 v17, v17, v50
	v_add_f32_e32 v50, v18, v49
	v_sub_f32_e32 v51, v50, v18
	v_sub_f32_e32 v52, v50, v51
	v_sub_f32_e32 v48, v53, v48
	v_sub_f32_e32 v18, v18, v52
	v_sub_f32_e32 v49, v49, v51
	v_add_f32_e32 v18, v49, v18
	v_add_f32_e32 v49, v48, v17
	v_sub_f32_e32 v51, v49, v48
	v_sub_f32_e32 v52, v49, v51
	;; [unrolled: 1-line block ×4, first 2 shown]
	v_add_f32_e32 v18, v49, v18
	v_add_f32_e32 v17, v17, v48
	;; [unrolled: 1-line block ×3, first 2 shown]
	v_sub_f32_e32 v49, v48, v50
	v_sub_f32_e32 v18, v18, v49
	v_add_f32_e32 v17, v17, v18
	v_add_f32_e32 v17, v48, v17
	v_cmp_neq_f32_e64 s[4:5], s84, v47
	v_cndmask_b32_e64 v17, v46, v17, s[4:5]
	s_mov_b32 s4, 0x33800000
	v_cmp_lt_f32_e64 s[4:5], |v47|, s4
	v_cndmask_b32_e64 v17, v17, v47, s[4:5]
	v_add_f32_e32 v16, v16, v17
	v_cvt_f16_f32_e32 v46, v16
.LBB420_125:
	s_or_b64 exec, exec, s[60:61]
	v_and_b32_e32 v18, 0xffff, v46
	v_mov_b32_e32 v17, v46
.LBB420_126:
	s_or_b64 exec, exec, s[78:79]
	v_and_b32_e32 v16, 16, v15
	v_mov_b32_dpp v46, v18 row_bcast:15 row_mask:0xf bank_mask:0xf
	v_cmp_ne_u32_e64 s[4:5], 0, v16
	s_and_saveexec_b64 s[78:79], s[4:5]
	s_cbranch_execz .LBB420_130
; %bb.127:
	v_cvt_f32_f16_e32 v16, v46
	v_cvt_f32_f16_e32 v18, v17
	v_cmp_u_f16_e64 s[4:5], v46, v46
	v_cmp_u_f16_e64 s[60:61], v17, v17
	v_min_f32_e32 v47, v16, v18
	v_cndmask_b32_e64 v47, v47, v16, s[4:5]
	v_cndmask_b32_e64 v17, v47, v18, s[60:61]
	v_max_f32_e32 v47, v16, v18
	v_cndmask_b32_e64 v16, v47, v16, s[4:5]
	v_cndmask_b32_e64 v16, v16, v18, s[60:61]
	s_movk_i32 s60, 0x1f8
	v_cmp_neq_f32_e64 s[4:5], v17, v16
	v_cmp_class_f32_e64 s[60:61], v17, s60
	s_or_b64 s[4:5], s[4:5], s[60:61]
	s_and_saveexec_b64 s[60:61], s[4:5]
	s_cbranch_execz .LBB420_129
; %bb.128:
	v_sub_f32_e32 v17, v17, v16
	s_mov_b32 s4, 0x3fb8aa3b
	v_mul_f32_e32 v18, 0x3fb8aa3b, v17
	v_fma_f32 v46, v17, s4, -v18
	v_rndne_f32_e32 v47, v18
	v_fmac_f32_e32 v46, 0x32a5705f, v17
	v_sub_f32_e32 v18, v18, v47
	v_add_f32_e32 v18, v18, v46
	v_exp_f32_e32 v18, v18
	v_cvt_i32_f32_e32 v46, v47
	s_mov_b32 s4, 0xc2ce8ed0
	v_cmp_ngt_f32_e64 s[4:5], s4, v17
	s_mov_b32 s84, 0x7f800000
	v_ldexp_f32 v18, v18, v46
	v_cndmask_b32_e64 v18, 0, v18, s[4:5]
	s_mov_b32 s4, 0x42b17218
	v_mov_b32_e32 v46, 0x7f800000
	v_cmp_nlt_f32_e64 s[4:5], s4, v17
	v_cndmask_b32_e64 v47, v46, v18, s[4:5]
	v_add_f32_e32 v48, 1.0, v47
	v_cvt_f64_f32_e32 v[17:18], v48
	v_add_f32_e32 v49, -1.0, v48
	v_sub_f32_e32 v50, v49, v48
	v_sub_f32_e32 v49, v47, v49
	v_frexp_exp_i32_f64_e32 v17, v[17:18]
	v_add_f32_e32 v18, 1.0, v50
	v_add_f32_e32 v18, v49, v18
	v_frexp_mant_f32_e32 v49, v48
	s_mov_b32 s4, 0x3f2aaaab
	v_cmp_gt_f32_e64 s[4:5], s4, v49
	v_subbrev_co_u32_e64 v17, s[4:5], 0, v17, s[4:5]
	v_sub_u32_e32 v49, 0, v17
	v_ldexp_f32 v48, v48, v49
	v_ldexp_f32 v18, v18, v49
	v_add_f32_e32 v49, -1.0, v48
	v_add_f32_e32 v52, 1.0, v48
	v_add_f32_e32 v50, 1.0, v49
	v_add_f32_e32 v53, -1.0, v52
	v_sub_f32_e32 v50, v48, v50
	v_sub_f32_e32 v48, v48, v53
	v_add_f32_e32 v50, v18, v50
	v_add_f32_e32 v18, v18, v48
	;; [unrolled: 1-line block ×3, first 2 shown]
	v_rcp_f32_e32 v53, v48
	v_add_f32_e32 v51, v49, v50
	v_sub_f32_e32 v49, v49, v51
	v_add_f32_e32 v49, v50, v49
	v_sub_f32_e32 v50, v52, v48
	v_add_f32_e32 v18, v18, v50
	v_mul_f32_e32 v50, v51, v53
	v_mul_f32_e32 v52, v48, v50
	v_fma_f32 v54, v50, v48, -v52
	v_fmac_f32_e32 v54, v50, v18
	v_add_f32_e32 v55, v52, v54
	v_sub_f32_e32 v56, v51, v55
	v_sub_f32_e32 v51, v51, v56
	;; [unrolled: 1-line block ×4, first 2 shown]
	v_add_f32_e32 v49, v49, v51
	v_sub_f32_e32 v51, v52, v54
	v_add_f32_e32 v49, v51, v49
	v_add_f32_e32 v51, v56, v49
	v_mul_f32_e32 v52, v53, v51
	v_mul_f32_e32 v54, v48, v52
	v_fma_f32 v48, v52, v48, -v54
	v_fmac_f32_e32 v48, v52, v18
	v_sub_f32_e32 v18, v56, v51
	v_add_f32_e32 v18, v49, v18
	v_add_f32_e32 v49, v54, v48
	v_sub_f32_e32 v55, v51, v49
	v_sub_f32_e32 v51, v51, v55
	;; [unrolled: 1-line block ×4, first 2 shown]
	v_add_f32_e32 v18, v18, v49
	v_sub_f32_e32 v48, v54, v48
	v_add_f32_e32 v18, v48, v18
	v_add_f32_e32 v48, v50, v52
	;; [unrolled: 1-line block ×3, first 2 shown]
	v_sub_f32_e32 v49, v48, v50
	v_mul_f32_e32 v18, v53, v18
	v_sub_f32_e32 v49, v52, v49
	v_add_f32_e32 v18, v49, v18
	v_cvt_f32_i32_e32 v17, v17
	v_add_f32_e32 v49, v48, v18
	v_mul_f32_e32 v50, v49, v49
	v_mov_b32_e32 v51, 0x3ecc95a3
	v_fmac_f32_e32 v51, 0x3e9b6dac, v50
	v_mov_b32_e32 v52, 0x3f2aaada
	v_fmac_f32_e32 v52, v50, v51
	s_mov_b32 s4, 0x3f317218
	v_mul_f32_e32 v51, 0x3f317218, v17
	v_fma_f32 v53, v17, s4, -v51
	v_fmac_f32_e32 v53, 0xb102e308, v17
	v_sub_f32_e32 v17, v49, v48
	v_sub_f32_e32 v17, v18, v17
	v_add_f32_e32 v18, v51, v53
	v_sub_f32_e32 v48, v18, v51
	v_ldexp_f32 v51, v49, 1
	v_mul_f32_e32 v49, v49, v50
	v_mul_f32_e32 v49, v49, v52
	v_add_f32_e32 v50, v51, v49
	v_sub_f32_e32 v51, v50, v51
	v_ldexp_f32 v17, v17, 1
	v_sub_f32_e32 v49, v49, v51
	v_add_f32_e32 v17, v17, v49
	v_add_f32_e32 v49, v50, v17
	v_sub_f32_e32 v50, v49, v50
	v_sub_f32_e32 v17, v17, v50
	v_add_f32_e32 v50, v18, v49
	v_sub_f32_e32 v51, v50, v18
	v_sub_f32_e32 v52, v50, v51
	;; [unrolled: 1-line block ×5, first 2 shown]
	v_add_f32_e32 v18, v49, v18
	v_add_f32_e32 v49, v48, v17
	v_sub_f32_e32 v51, v49, v48
	v_sub_f32_e32 v52, v49, v51
	;; [unrolled: 1-line block ×4, first 2 shown]
	v_add_f32_e32 v18, v49, v18
	v_add_f32_e32 v17, v17, v48
	;; [unrolled: 1-line block ×3, first 2 shown]
	v_sub_f32_e32 v49, v48, v50
	v_sub_f32_e32 v18, v18, v49
	v_add_f32_e32 v17, v17, v18
	v_add_f32_e32 v17, v48, v17
	v_cmp_neq_f32_e64 s[4:5], s84, v47
	v_cndmask_b32_e64 v17, v46, v17, s[4:5]
	s_mov_b32 s4, 0x33800000
	v_cmp_lt_f32_e64 s[4:5], |v47|, s4
	v_cndmask_b32_e64 v17, v17, v47, s[4:5]
	v_add_f32_e32 v16, v16, v17
	v_cvt_f16_f32_e32 v46, v16
.LBB420_129:
	s_or_b64 exec, exec, s[60:61]
	v_and_b32_e32 v18, 0xffff, v46
	v_mov_b32_e32 v17, v46
.LBB420_130:
	s_or_b64 exec, exec, s[78:79]
	v_mov_b32_dpp v18, v18 row_bcast:31 row_mask:0xf bank_mask:0xf
	v_cmp_lt_u32_e64 s[4:5], 31, v15
	s_and_saveexec_b64 s[78:79], s[4:5]
	s_cbranch_execz .LBB420_134
; %bb.131:
	v_cvt_f32_f16_e32 v16, v18
	v_cvt_f32_f16_e32 v46, v17
	v_cmp_u_f16_e64 s[4:5], v18, v18
	v_cmp_u_f16_e64 s[60:61], v17, v17
	v_min_f32_e32 v47, v16, v46
	v_cndmask_b32_e64 v47, v47, v16, s[4:5]
	v_cndmask_b32_e64 v17, v47, v46, s[60:61]
	v_max_f32_e32 v47, v16, v46
	v_cndmask_b32_e64 v16, v47, v16, s[4:5]
	v_cndmask_b32_e64 v16, v16, v46, s[60:61]
	s_movk_i32 s60, 0x1f8
	v_cmp_neq_f32_e64 s[4:5], v17, v16
	v_cmp_class_f32_e64 s[60:61], v17, s60
	s_or_b64 s[4:5], s[4:5], s[60:61]
	s_and_saveexec_b64 s[60:61], s[4:5]
	s_cbranch_execz .LBB420_133
; %bb.132:
	v_sub_f32_e32 v17, v17, v16
	s_mov_b32 s4, 0x3fb8aa3b
	v_mul_f32_e32 v18, 0x3fb8aa3b, v17
	v_fma_f32 v46, v17, s4, -v18
	v_rndne_f32_e32 v47, v18
	v_fmac_f32_e32 v46, 0x32a5705f, v17
	v_sub_f32_e32 v18, v18, v47
	v_add_f32_e32 v18, v18, v46
	v_exp_f32_e32 v18, v18
	v_cvt_i32_f32_e32 v46, v47
	s_mov_b32 s4, 0xc2ce8ed0
	v_cmp_ngt_f32_e64 s[4:5], s4, v17
	s_mov_b32 s84, 0x7f800000
	v_ldexp_f32 v18, v18, v46
	v_cndmask_b32_e64 v18, 0, v18, s[4:5]
	s_mov_b32 s4, 0x42b17218
	v_mov_b32_e32 v46, 0x7f800000
	v_cmp_nlt_f32_e64 s[4:5], s4, v17
	v_cndmask_b32_e64 v47, v46, v18, s[4:5]
	v_add_f32_e32 v48, 1.0, v47
	v_cvt_f64_f32_e32 v[17:18], v48
	v_add_f32_e32 v49, -1.0, v48
	v_sub_f32_e32 v50, v49, v48
	v_sub_f32_e32 v49, v47, v49
	v_frexp_exp_i32_f64_e32 v17, v[17:18]
	v_add_f32_e32 v18, 1.0, v50
	v_add_f32_e32 v18, v49, v18
	v_frexp_mant_f32_e32 v49, v48
	s_mov_b32 s4, 0x3f2aaaab
	v_cmp_gt_f32_e64 s[4:5], s4, v49
	v_subbrev_co_u32_e64 v17, s[4:5], 0, v17, s[4:5]
	v_sub_u32_e32 v49, 0, v17
	v_ldexp_f32 v48, v48, v49
	v_ldexp_f32 v18, v18, v49
	v_add_f32_e32 v49, -1.0, v48
	v_add_f32_e32 v52, 1.0, v48
	v_add_f32_e32 v50, 1.0, v49
	v_add_f32_e32 v53, -1.0, v52
	v_sub_f32_e32 v50, v48, v50
	v_sub_f32_e32 v48, v48, v53
	v_add_f32_e32 v50, v18, v50
	v_add_f32_e32 v18, v18, v48
	;; [unrolled: 1-line block ×3, first 2 shown]
	v_rcp_f32_e32 v53, v48
	v_add_f32_e32 v51, v49, v50
	v_sub_f32_e32 v49, v49, v51
	v_add_f32_e32 v49, v50, v49
	v_sub_f32_e32 v50, v52, v48
	v_add_f32_e32 v18, v18, v50
	v_mul_f32_e32 v50, v51, v53
	v_mul_f32_e32 v52, v48, v50
	v_fma_f32 v54, v50, v48, -v52
	v_fmac_f32_e32 v54, v50, v18
	v_add_f32_e32 v55, v52, v54
	v_sub_f32_e32 v56, v51, v55
	v_sub_f32_e32 v51, v51, v56
	;; [unrolled: 1-line block ×4, first 2 shown]
	v_add_f32_e32 v49, v49, v51
	v_sub_f32_e32 v51, v52, v54
	v_add_f32_e32 v49, v51, v49
	v_add_f32_e32 v51, v56, v49
	v_mul_f32_e32 v52, v53, v51
	v_mul_f32_e32 v54, v48, v52
	v_fma_f32 v48, v52, v48, -v54
	v_fmac_f32_e32 v48, v52, v18
	v_sub_f32_e32 v18, v56, v51
	v_add_f32_e32 v18, v49, v18
	v_add_f32_e32 v49, v54, v48
	v_sub_f32_e32 v55, v51, v49
	v_sub_f32_e32 v51, v51, v55
	;; [unrolled: 1-line block ×4, first 2 shown]
	v_add_f32_e32 v18, v18, v49
	v_sub_f32_e32 v48, v54, v48
	v_add_f32_e32 v18, v48, v18
	v_add_f32_e32 v48, v50, v52
	;; [unrolled: 1-line block ×3, first 2 shown]
	v_sub_f32_e32 v49, v48, v50
	v_mul_f32_e32 v18, v53, v18
	v_sub_f32_e32 v49, v52, v49
	v_add_f32_e32 v18, v49, v18
	v_cvt_f32_i32_e32 v17, v17
	v_add_f32_e32 v49, v48, v18
	v_mul_f32_e32 v50, v49, v49
	v_mov_b32_e32 v51, 0x3ecc95a3
	v_fmac_f32_e32 v51, 0x3e9b6dac, v50
	v_mov_b32_e32 v52, 0x3f2aaada
	v_fmac_f32_e32 v52, v50, v51
	s_mov_b32 s4, 0x3f317218
	v_mul_f32_e32 v51, 0x3f317218, v17
	v_fma_f32 v53, v17, s4, -v51
	v_fmac_f32_e32 v53, 0xb102e308, v17
	v_sub_f32_e32 v17, v49, v48
	v_sub_f32_e32 v17, v18, v17
	v_add_f32_e32 v18, v51, v53
	v_sub_f32_e32 v48, v18, v51
	v_ldexp_f32 v51, v49, 1
	v_mul_f32_e32 v49, v49, v50
	v_mul_f32_e32 v49, v49, v52
	v_add_f32_e32 v50, v51, v49
	v_sub_f32_e32 v51, v50, v51
	v_ldexp_f32 v17, v17, 1
	v_sub_f32_e32 v49, v49, v51
	v_add_f32_e32 v17, v17, v49
	v_add_f32_e32 v49, v50, v17
	v_sub_f32_e32 v50, v49, v50
	v_sub_f32_e32 v17, v17, v50
	v_add_f32_e32 v50, v18, v49
	v_sub_f32_e32 v51, v50, v18
	v_sub_f32_e32 v52, v50, v51
	;; [unrolled: 1-line block ×5, first 2 shown]
	v_add_f32_e32 v18, v49, v18
	v_add_f32_e32 v49, v48, v17
	v_sub_f32_e32 v51, v49, v48
	v_sub_f32_e32 v52, v49, v51
	;; [unrolled: 1-line block ×4, first 2 shown]
	v_add_f32_e32 v18, v49, v18
	v_add_f32_e32 v17, v17, v48
	;; [unrolled: 1-line block ×3, first 2 shown]
	v_sub_f32_e32 v49, v48, v50
	v_sub_f32_e32 v18, v18, v49
	v_add_f32_e32 v17, v17, v18
	v_add_f32_e32 v17, v48, v17
	v_cmp_neq_f32_e64 s[4:5], s84, v47
	v_cndmask_b32_e64 v17, v46, v17, s[4:5]
	s_mov_b32 s4, 0x33800000
	v_cmp_lt_f32_e64 s[4:5], |v47|, s4
	v_cndmask_b32_e64 v17, v17, v47, s[4:5]
	v_add_f32_e32 v16, v16, v17
	v_cvt_f16_f32_e32 v18, v16
.LBB420_133:
	s_or_b64 exec, exec, s[60:61]
	v_mov_b32_e32 v17, v18
.LBB420_134:
	s_or_b64 exec, exec, s[78:79]
	v_add_u32_e32 v16, -1, v15
	v_and_b32_e32 v18, 64, v15
	v_cmp_lt_i32_e64 s[4:5], v16, v18
	v_cndmask_b32_e64 v15, v16, v15, s[4:5]
	v_lshlrev_b32_e32 v15, 2, v15
	v_and_b32_e32 v16, 0xffff, v17
	ds_bpermute_b32 v15, v15, v16
	v_max_f32_e32 v17, v14, v14
	s_movk_i32 s60, 0x1f8
	s_waitcnt lgkmcnt(0)
	v_cvt_f32_f16_e32 v16, v15
	v_cmp_u_f16_e64 s[4:5], v15, v15
	v_min_f32_e32 v18, v16, v17
	v_max_f32_e32 v17, v16, v17
	v_cndmask_b32_e64 v18, v18, v16, s[4:5]
	v_cndmask_b32_e64 v17, v17, v16, s[4:5]
	;; [unrolled: 1-line block ×4, first 2 shown]
	v_cmp_neq_f32_e64 s[4:5], v16, v14
	v_cmp_class_f32_e64 s[56:57], v16, s60
	s_or_b64 s[4:5], s[4:5], s[56:57]
	s_and_saveexec_b64 s[56:57], s[4:5]
	s_cbranch_execz .LBB420_136
; %bb.135:
	v_sub_f32_e32 v15, v16, v14
	s_mov_b32 s4, 0x3fb8aa3b
	v_mul_f32_e32 v16, 0x3fb8aa3b, v15
	v_fma_f32 v17, v15, s4, -v16
	v_rndne_f32_e32 v18, v16
	v_fmac_f32_e32 v17, 0x32a5705f, v15
	v_sub_f32_e32 v16, v16, v18
	v_add_f32_e32 v16, v16, v17
	v_exp_f32_e32 v16, v16
	v_cvt_i32_f32_e32 v17, v18
	s_mov_b32 s4, 0xc2ce8ed0
	v_cmp_ngt_f32_e64 s[4:5], s4, v15
	s_mov_b32 s61, 0x7f800000
	v_ldexp_f32 v16, v16, v17
	v_cndmask_b32_e64 v16, 0, v16, s[4:5]
	s_mov_b32 s4, 0x42b17218
	v_mov_b32_e32 v17, 0x7f800000
	v_cmp_nlt_f32_e64 s[4:5], s4, v15
	v_cndmask_b32_e64 v18, v17, v16, s[4:5]
	v_add_f32_e32 v46, 1.0, v18
	v_cvt_f64_f32_e32 v[15:16], v46
	v_add_f32_e32 v47, -1.0, v46
	v_sub_f32_e32 v48, v47, v46
	v_sub_f32_e32 v47, v18, v47
	v_frexp_exp_i32_f64_e32 v15, v[15:16]
	v_add_f32_e32 v16, 1.0, v48
	v_add_f32_e32 v16, v47, v16
	v_frexp_mant_f32_e32 v47, v46
	s_mov_b32 s4, 0x3f2aaaab
	v_cmp_gt_f32_e64 s[4:5], s4, v47
	v_subbrev_co_u32_e64 v15, s[4:5], 0, v15, s[4:5]
	v_sub_u32_e32 v47, 0, v15
	v_ldexp_f32 v46, v46, v47
	v_ldexp_f32 v16, v16, v47
	v_add_f32_e32 v47, -1.0, v46
	v_add_f32_e32 v50, 1.0, v46
	v_add_f32_e32 v48, 1.0, v47
	v_add_f32_e32 v51, -1.0, v50
	v_sub_f32_e32 v48, v46, v48
	v_sub_f32_e32 v46, v46, v51
	v_add_f32_e32 v48, v16, v48
	v_add_f32_e32 v16, v16, v46
	;; [unrolled: 1-line block ×3, first 2 shown]
	v_rcp_f32_e32 v51, v46
	v_add_f32_e32 v49, v47, v48
	v_sub_f32_e32 v47, v47, v49
	v_add_f32_e32 v47, v48, v47
	v_sub_f32_e32 v48, v50, v46
	v_add_f32_e32 v16, v16, v48
	v_mul_f32_e32 v48, v49, v51
	v_mul_f32_e32 v50, v46, v48
	v_fma_f32 v52, v48, v46, -v50
	v_fmac_f32_e32 v52, v48, v16
	v_add_f32_e32 v53, v50, v52
	v_sub_f32_e32 v54, v49, v53
	v_sub_f32_e32 v49, v49, v54
	;; [unrolled: 1-line block ×4, first 2 shown]
	v_add_f32_e32 v47, v47, v49
	v_sub_f32_e32 v49, v50, v52
	v_add_f32_e32 v47, v49, v47
	v_add_f32_e32 v49, v54, v47
	v_mul_f32_e32 v50, v51, v49
	v_mul_f32_e32 v52, v46, v50
	v_fma_f32 v46, v50, v46, -v52
	v_fmac_f32_e32 v46, v50, v16
	v_sub_f32_e32 v16, v54, v49
	v_add_f32_e32 v16, v47, v16
	v_add_f32_e32 v47, v52, v46
	v_sub_f32_e32 v53, v49, v47
	v_sub_f32_e32 v49, v49, v53
	;; [unrolled: 1-line block ×4, first 2 shown]
	v_add_f32_e32 v16, v16, v47
	v_sub_f32_e32 v46, v52, v46
	v_add_f32_e32 v16, v46, v16
	v_add_f32_e32 v46, v48, v50
	v_add_f32_e32 v16, v53, v16
	v_sub_f32_e32 v47, v46, v48
	v_mul_f32_e32 v16, v51, v16
	v_sub_f32_e32 v47, v50, v47
	v_add_f32_e32 v16, v47, v16
	v_cvt_f32_i32_e32 v15, v15
	v_add_f32_e32 v47, v46, v16
	v_mul_f32_e32 v48, v47, v47
	v_mov_b32_e32 v49, 0x3ecc95a3
	v_fmac_f32_e32 v49, 0x3e9b6dac, v48
	v_mov_b32_e32 v50, 0x3f2aaada
	v_fmac_f32_e32 v50, v48, v49
	s_mov_b32 s4, 0x3f317218
	v_mul_f32_e32 v49, 0x3f317218, v15
	v_fma_f32 v51, v15, s4, -v49
	v_fmac_f32_e32 v51, 0xb102e308, v15
	v_sub_f32_e32 v15, v47, v46
	v_sub_f32_e32 v15, v16, v15
	v_add_f32_e32 v16, v49, v51
	v_sub_f32_e32 v46, v16, v49
	v_ldexp_f32 v49, v47, 1
	v_mul_f32_e32 v47, v47, v48
	v_mul_f32_e32 v47, v47, v50
	v_add_f32_e32 v48, v49, v47
	v_sub_f32_e32 v49, v48, v49
	v_ldexp_f32 v15, v15, 1
	v_sub_f32_e32 v47, v47, v49
	v_add_f32_e32 v15, v15, v47
	v_add_f32_e32 v47, v48, v15
	v_sub_f32_e32 v48, v47, v48
	v_sub_f32_e32 v15, v15, v48
	v_add_f32_e32 v48, v16, v47
	v_sub_f32_e32 v49, v48, v16
	v_sub_f32_e32 v50, v48, v49
	;; [unrolled: 1-line block ×5, first 2 shown]
	v_add_f32_e32 v16, v47, v16
	v_add_f32_e32 v47, v46, v15
	v_sub_f32_e32 v49, v47, v46
	v_sub_f32_e32 v50, v47, v49
	;; [unrolled: 1-line block ×4, first 2 shown]
	v_add_f32_e32 v16, v47, v16
	v_add_f32_e32 v15, v15, v46
	v_add_f32_e32 v46, v48, v16
	v_sub_f32_e32 v47, v46, v48
	v_sub_f32_e32 v16, v16, v47
	v_add_f32_e32 v15, v15, v16
	v_add_f32_e32 v15, v46, v15
	v_cmp_neq_f32_e64 s[4:5], s61, v18
	v_cndmask_b32_e64 v15, v17, v15, s[4:5]
	s_mov_b32 s4, 0x33800000
	v_cmp_lt_f32_e64 s[4:5], |v18|, s4
	v_cndmask_b32_e64 v15, v15, v18, s[4:5]
	v_add_f32_e32 v14, v14, v15
	v_cvt_f16_f32_e32 v15, v14
.LBB420_136:
	s_or_b64 exec, exec, s[56:57]
	v_cndmask_b32_e64 v15, v15, v45, s[58:59]
	; wave barrier
	ds_write_b16 v13, v15
	; wave barrier
	ds_read_u16 v14, v13 offset:2
	v_cvt_f32_f16_e32 v16, v15
	v_cmp_u_f16_e64 s[4:5], v15, v15
	s_waitcnt lgkmcnt(0)
	v_cvt_f32_f16_e32 v18, v14
	v_cmp_u_f16_e64 s[56:57], v14, v14
	v_min_f32_e32 v17, v16, v18
	v_max_f32_e32 v14, v16, v18
	v_cndmask_b32_e64 v17, v17, v16, s[4:5]
	v_cndmask_b32_e64 v14, v14, v16, s[4:5]
	;; [unrolled: 1-line block ×4, first 2 shown]
	v_cmp_neq_f32_e64 s[4:5], v17, v14
	v_cmp_class_f32_e64 s[56:57], v17, s60
	s_or_b64 s[4:5], s[4:5], s[56:57]
	s_and_saveexec_b64 s[56:57], s[4:5]
	s_cbranch_execz .LBB420_138
; %bb.137:
	v_sub_f32_e32 v15, v17, v14
	s_mov_b32 s4, 0x3fb8aa3b
	v_mul_f32_e32 v16, 0x3fb8aa3b, v15
	v_fma_f32 v17, v15, s4, -v16
	v_rndne_f32_e32 v18, v16
	v_fmac_f32_e32 v17, 0x32a5705f, v15
	v_sub_f32_e32 v16, v16, v18
	v_add_f32_e32 v16, v16, v17
	v_exp_f32_e32 v16, v16
	v_cvt_i32_f32_e32 v17, v18
	s_mov_b32 s4, 0xc2ce8ed0
	v_cmp_ngt_f32_e64 s[4:5], s4, v15
	s_mov_b32 s60, 0x7f800000
	v_ldexp_f32 v16, v16, v17
	v_cndmask_b32_e64 v16, 0, v16, s[4:5]
	s_mov_b32 s4, 0x42b17218
	v_mov_b32_e32 v17, 0x7f800000
	v_cmp_nlt_f32_e64 s[4:5], s4, v15
	v_cndmask_b32_e64 v18, v17, v16, s[4:5]
	v_add_f32_e32 v46, 1.0, v18
	v_cvt_f64_f32_e32 v[15:16], v46
	v_add_f32_e32 v47, -1.0, v46
	v_sub_f32_e32 v48, v47, v46
	v_sub_f32_e32 v47, v18, v47
	v_frexp_exp_i32_f64_e32 v15, v[15:16]
	v_add_f32_e32 v16, 1.0, v48
	v_add_f32_e32 v16, v47, v16
	v_frexp_mant_f32_e32 v47, v46
	s_mov_b32 s4, 0x3f2aaaab
	v_cmp_gt_f32_e64 s[4:5], s4, v47
	v_subbrev_co_u32_e64 v15, s[4:5], 0, v15, s[4:5]
	v_sub_u32_e32 v47, 0, v15
	v_ldexp_f32 v46, v46, v47
	v_ldexp_f32 v16, v16, v47
	v_add_f32_e32 v47, -1.0, v46
	v_add_f32_e32 v50, 1.0, v46
	v_add_f32_e32 v48, 1.0, v47
	v_add_f32_e32 v51, -1.0, v50
	v_sub_f32_e32 v48, v46, v48
	v_sub_f32_e32 v46, v46, v51
	v_add_f32_e32 v48, v16, v48
	v_add_f32_e32 v16, v16, v46
	;; [unrolled: 1-line block ×3, first 2 shown]
	v_rcp_f32_e32 v51, v46
	v_add_f32_e32 v49, v47, v48
	v_sub_f32_e32 v47, v47, v49
	v_add_f32_e32 v47, v48, v47
	v_sub_f32_e32 v48, v50, v46
	v_add_f32_e32 v16, v16, v48
	v_mul_f32_e32 v48, v49, v51
	v_mul_f32_e32 v50, v46, v48
	v_fma_f32 v52, v48, v46, -v50
	v_fmac_f32_e32 v52, v48, v16
	v_add_f32_e32 v53, v50, v52
	v_sub_f32_e32 v54, v49, v53
	v_sub_f32_e32 v49, v49, v54
	;; [unrolled: 1-line block ×4, first 2 shown]
	v_add_f32_e32 v47, v47, v49
	v_sub_f32_e32 v49, v50, v52
	v_add_f32_e32 v47, v49, v47
	v_add_f32_e32 v49, v54, v47
	v_mul_f32_e32 v50, v51, v49
	v_mul_f32_e32 v52, v46, v50
	v_fma_f32 v46, v50, v46, -v52
	v_fmac_f32_e32 v46, v50, v16
	v_sub_f32_e32 v16, v54, v49
	v_add_f32_e32 v16, v47, v16
	v_add_f32_e32 v47, v52, v46
	v_sub_f32_e32 v53, v49, v47
	v_sub_f32_e32 v49, v49, v53
	;; [unrolled: 1-line block ×4, first 2 shown]
	v_add_f32_e32 v16, v16, v47
	v_sub_f32_e32 v46, v52, v46
	v_add_f32_e32 v16, v46, v16
	v_add_f32_e32 v46, v48, v50
	;; [unrolled: 1-line block ×3, first 2 shown]
	v_sub_f32_e32 v47, v46, v48
	v_mul_f32_e32 v16, v51, v16
	v_sub_f32_e32 v47, v50, v47
	v_add_f32_e32 v16, v47, v16
	v_cvt_f32_i32_e32 v15, v15
	v_add_f32_e32 v47, v46, v16
	v_mul_f32_e32 v48, v47, v47
	v_mov_b32_e32 v49, 0x3ecc95a3
	v_fmac_f32_e32 v49, 0x3e9b6dac, v48
	v_mov_b32_e32 v50, 0x3f2aaada
	v_fmac_f32_e32 v50, v48, v49
	s_mov_b32 s4, 0x3f317218
	v_mul_f32_e32 v49, 0x3f317218, v15
	v_fma_f32 v51, v15, s4, -v49
	v_fmac_f32_e32 v51, 0xb102e308, v15
	v_sub_f32_e32 v15, v47, v46
	v_sub_f32_e32 v15, v16, v15
	v_add_f32_e32 v16, v49, v51
	v_sub_f32_e32 v46, v16, v49
	v_ldexp_f32 v49, v47, 1
	v_mul_f32_e32 v47, v47, v48
	v_mul_f32_e32 v47, v47, v50
	v_add_f32_e32 v48, v49, v47
	v_sub_f32_e32 v49, v48, v49
	v_ldexp_f32 v15, v15, 1
	v_sub_f32_e32 v47, v47, v49
	v_add_f32_e32 v15, v15, v47
	v_add_f32_e32 v47, v48, v15
	v_sub_f32_e32 v48, v47, v48
	v_sub_f32_e32 v15, v15, v48
	v_add_f32_e32 v48, v16, v47
	v_sub_f32_e32 v49, v48, v16
	v_sub_f32_e32 v50, v48, v49
	;; [unrolled: 1-line block ×5, first 2 shown]
	v_add_f32_e32 v16, v47, v16
	v_add_f32_e32 v47, v46, v15
	v_sub_f32_e32 v49, v47, v46
	v_sub_f32_e32 v50, v47, v49
	;; [unrolled: 1-line block ×4, first 2 shown]
	v_add_f32_e32 v16, v47, v16
	v_add_f32_e32 v15, v15, v46
	;; [unrolled: 1-line block ×3, first 2 shown]
	v_sub_f32_e32 v47, v46, v48
	v_sub_f32_e32 v16, v16, v47
	v_add_f32_e32 v15, v15, v16
	v_add_f32_e32 v15, v46, v15
	v_cmp_neq_f32_e64 s[4:5], s60, v18
	v_cndmask_b32_e64 v15, v17, v15, s[4:5]
	s_mov_b32 s4, 0x33800000
	v_cmp_lt_f32_e64 s[4:5], |v18|, s4
	v_cndmask_b32_e64 v15, v15, v18, s[4:5]
	v_add_f32_e32 v14, v14, v15
	v_cvt_f16_f32_e32 v15, v14
	v_cvt_f32_f16_e32 v16, v15
.LBB420_138:
	s_or_b64 exec, exec, s[56:57]
	ds_read_u16 v14, v13 offset:4
	v_max_f32_e32 v17, v16, v16
	v_cmp_u_f16_e64 s[4:5], v15, v15
	s_movk_i32 s60, 0x1f8
	ds_write_b16 v13, v15 offset:2
	s_waitcnt lgkmcnt(1)
	v_cvt_f32_f16_e32 v18, v14
	v_min_f32_e32 v46, v17, v18
	v_max_f32_e32 v17, v17, v18
	v_cndmask_b32_e64 v46, v46, v16, s[4:5]
	v_cndmask_b32_e64 v47, v17, v16, s[4:5]
	v_cmp_u_f16_e64 s[4:5], v14, v14
	v_cndmask_b32_e64 v17, v46, v18, s[4:5]
	v_cndmask_b32_e64 v14, v47, v18, s[4:5]
	v_cmp_neq_f32_e64 s[4:5], v17, v14
	v_cmp_class_f32_e64 s[56:57], v17, s60
	s_or_b64 s[4:5], s[4:5], s[56:57]
	s_and_saveexec_b64 s[56:57], s[4:5]
	s_cbranch_execz .LBB420_140
; %bb.139:
	v_sub_f32_e32 v15, v17, v14
	s_mov_b32 s4, 0x3fb8aa3b
	v_mul_f32_e32 v16, 0x3fb8aa3b, v15
	v_fma_f32 v17, v15, s4, -v16
	v_rndne_f32_e32 v18, v16
	v_fmac_f32_e32 v17, 0x32a5705f, v15
	v_sub_f32_e32 v16, v16, v18
	v_add_f32_e32 v16, v16, v17
	v_exp_f32_e32 v16, v16
	v_cvt_i32_f32_e32 v17, v18
	s_mov_b32 s4, 0xc2ce8ed0
	v_cmp_ngt_f32_e64 s[4:5], s4, v15
	s_mov_b32 s61, 0x7f800000
	v_ldexp_f32 v16, v16, v17
	v_cndmask_b32_e64 v16, 0, v16, s[4:5]
	s_mov_b32 s4, 0x42b17218
	v_mov_b32_e32 v17, 0x7f800000
	v_cmp_nlt_f32_e64 s[4:5], s4, v15
	v_cndmask_b32_e64 v18, v17, v16, s[4:5]
	v_add_f32_e32 v46, 1.0, v18
	v_cvt_f64_f32_e32 v[15:16], v46
	v_add_f32_e32 v47, -1.0, v46
	v_sub_f32_e32 v48, v47, v46
	v_sub_f32_e32 v47, v18, v47
	v_frexp_exp_i32_f64_e32 v15, v[15:16]
	v_add_f32_e32 v16, 1.0, v48
	v_add_f32_e32 v16, v47, v16
	v_frexp_mant_f32_e32 v47, v46
	s_mov_b32 s4, 0x3f2aaaab
	v_cmp_gt_f32_e64 s[4:5], s4, v47
	v_subbrev_co_u32_e64 v15, s[4:5], 0, v15, s[4:5]
	v_sub_u32_e32 v47, 0, v15
	v_ldexp_f32 v46, v46, v47
	v_ldexp_f32 v16, v16, v47
	v_add_f32_e32 v47, -1.0, v46
	v_add_f32_e32 v50, 1.0, v46
	v_add_f32_e32 v48, 1.0, v47
	v_add_f32_e32 v51, -1.0, v50
	v_sub_f32_e32 v48, v46, v48
	v_sub_f32_e32 v46, v46, v51
	v_add_f32_e32 v48, v16, v48
	v_add_f32_e32 v16, v16, v46
	;; [unrolled: 1-line block ×3, first 2 shown]
	v_rcp_f32_e32 v51, v46
	v_add_f32_e32 v49, v47, v48
	v_sub_f32_e32 v47, v47, v49
	v_add_f32_e32 v47, v48, v47
	v_sub_f32_e32 v48, v50, v46
	v_add_f32_e32 v16, v16, v48
	v_mul_f32_e32 v48, v49, v51
	v_mul_f32_e32 v50, v46, v48
	v_fma_f32 v52, v48, v46, -v50
	v_fmac_f32_e32 v52, v48, v16
	v_add_f32_e32 v53, v50, v52
	v_sub_f32_e32 v54, v49, v53
	v_sub_f32_e32 v49, v49, v54
	;; [unrolled: 1-line block ×4, first 2 shown]
	v_add_f32_e32 v47, v47, v49
	v_sub_f32_e32 v49, v50, v52
	v_add_f32_e32 v47, v49, v47
	v_add_f32_e32 v49, v54, v47
	v_mul_f32_e32 v50, v51, v49
	v_mul_f32_e32 v52, v46, v50
	v_fma_f32 v46, v50, v46, -v52
	v_fmac_f32_e32 v46, v50, v16
	v_sub_f32_e32 v16, v54, v49
	v_add_f32_e32 v16, v47, v16
	v_add_f32_e32 v47, v52, v46
	v_sub_f32_e32 v53, v49, v47
	v_sub_f32_e32 v49, v49, v53
	;; [unrolled: 1-line block ×4, first 2 shown]
	v_add_f32_e32 v16, v16, v47
	v_sub_f32_e32 v46, v52, v46
	v_add_f32_e32 v16, v46, v16
	v_add_f32_e32 v46, v48, v50
	v_add_f32_e32 v16, v53, v16
	v_sub_f32_e32 v47, v46, v48
	v_mul_f32_e32 v16, v51, v16
	v_sub_f32_e32 v47, v50, v47
	v_add_f32_e32 v16, v47, v16
	v_cvt_f32_i32_e32 v15, v15
	v_add_f32_e32 v47, v46, v16
	v_mul_f32_e32 v48, v47, v47
	v_mov_b32_e32 v49, 0x3ecc95a3
	v_fmac_f32_e32 v49, 0x3e9b6dac, v48
	v_mov_b32_e32 v50, 0x3f2aaada
	v_fmac_f32_e32 v50, v48, v49
	s_mov_b32 s4, 0x3f317218
	v_mul_f32_e32 v49, 0x3f317218, v15
	v_fma_f32 v51, v15, s4, -v49
	v_fmac_f32_e32 v51, 0xb102e308, v15
	v_sub_f32_e32 v15, v47, v46
	v_sub_f32_e32 v15, v16, v15
	v_add_f32_e32 v16, v49, v51
	v_sub_f32_e32 v46, v16, v49
	v_ldexp_f32 v49, v47, 1
	v_mul_f32_e32 v47, v47, v48
	v_mul_f32_e32 v47, v47, v50
	v_add_f32_e32 v48, v49, v47
	v_sub_f32_e32 v49, v48, v49
	v_ldexp_f32 v15, v15, 1
	v_sub_f32_e32 v47, v47, v49
	v_add_f32_e32 v15, v15, v47
	v_add_f32_e32 v47, v48, v15
	v_sub_f32_e32 v48, v47, v48
	v_sub_f32_e32 v15, v15, v48
	v_add_f32_e32 v48, v16, v47
	v_sub_f32_e32 v49, v48, v16
	v_sub_f32_e32 v50, v48, v49
	;; [unrolled: 1-line block ×5, first 2 shown]
	v_add_f32_e32 v16, v47, v16
	v_add_f32_e32 v47, v46, v15
	v_sub_f32_e32 v49, v47, v46
	v_sub_f32_e32 v50, v47, v49
	v_sub_f32_e32 v46, v46, v50
	v_sub_f32_e32 v15, v15, v49
	v_add_f32_e32 v16, v47, v16
	v_add_f32_e32 v15, v15, v46
	;; [unrolled: 1-line block ×3, first 2 shown]
	v_sub_f32_e32 v47, v46, v48
	v_sub_f32_e32 v16, v16, v47
	v_add_f32_e32 v15, v15, v16
	v_add_f32_e32 v15, v46, v15
	v_cmp_neq_f32_e64 s[4:5], s61, v18
	v_cndmask_b32_e64 v15, v17, v15, s[4:5]
	s_mov_b32 s4, 0x33800000
	v_cmp_lt_f32_e64 s[4:5], |v18|, s4
	v_cndmask_b32_e64 v15, v15, v18, s[4:5]
	v_add_f32_e32 v14, v14, v15
	v_cvt_f16_f32_e32 v15, v14
	v_cvt_f32_f16_e32 v16, v15
.LBB420_140:
	s_or_b64 exec, exec, s[56:57]
	ds_read_u16 v14, v13 offset:6
	v_max_f32_e32 v18, v16, v16
	v_cmp_u_f16_e64 s[4:5], v15, v15
	ds_write_b16 v13, v15 offset:4
	s_waitcnt lgkmcnt(1)
	v_cvt_f32_f16_e32 v17, v14
	v_min_f32_e32 v46, v18, v17
	v_max_f32_e32 v18, v18, v17
	v_cndmask_b32_e64 v46, v46, v16, s[4:5]
	v_cndmask_b32_e64 v18, v18, v16, s[4:5]
	v_cmp_u_f16_e64 s[4:5], v14, v14
	v_cndmask_b32_e64 v16, v46, v17, s[4:5]
	v_cndmask_b32_e64 v14, v18, v17, s[4:5]
	v_cmp_neq_f32_e64 s[4:5], v16, v14
	v_cmp_class_f32_e64 s[56:57], v16, s60
	s_or_b64 s[4:5], s[4:5], s[56:57]
	s_and_saveexec_b64 s[56:57], s[4:5]
	s_cbranch_execz .LBB420_142
; %bb.141:
	v_sub_f32_e32 v15, v16, v14
	s_mov_b32 s4, 0x3fb8aa3b
	v_mul_f32_e32 v16, 0x3fb8aa3b, v15
	v_fma_f32 v17, v15, s4, -v16
	v_rndne_f32_e32 v18, v16
	v_fmac_f32_e32 v17, 0x32a5705f, v15
	v_sub_f32_e32 v16, v16, v18
	v_add_f32_e32 v16, v16, v17
	v_exp_f32_e32 v16, v16
	v_cvt_i32_f32_e32 v17, v18
	s_mov_b32 s4, 0xc2ce8ed0
	v_cmp_ngt_f32_e64 s[4:5], s4, v15
	s_mov_b32 s60, 0x7f800000
	v_ldexp_f32 v16, v16, v17
	v_cndmask_b32_e64 v16, 0, v16, s[4:5]
	s_mov_b32 s4, 0x42b17218
	v_mov_b32_e32 v17, 0x7f800000
	v_cmp_nlt_f32_e64 s[4:5], s4, v15
	v_cndmask_b32_e64 v18, v17, v16, s[4:5]
	v_add_f32_e32 v46, 1.0, v18
	v_cvt_f64_f32_e32 v[15:16], v46
	v_add_f32_e32 v47, -1.0, v46
	v_sub_f32_e32 v48, v47, v46
	v_sub_f32_e32 v47, v18, v47
	v_frexp_exp_i32_f64_e32 v15, v[15:16]
	v_add_f32_e32 v16, 1.0, v48
	v_add_f32_e32 v16, v47, v16
	v_frexp_mant_f32_e32 v47, v46
	s_mov_b32 s4, 0x3f2aaaab
	v_cmp_gt_f32_e64 s[4:5], s4, v47
	v_subbrev_co_u32_e64 v15, s[4:5], 0, v15, s[4:5]
	v_sub_u32_e32 v47, 0, v15
	v_ldexp_f32 v46, v46, v47
	v_ldexp_f32 v16, v16, v47
	v_add_f32_e32 v47, -1.0, v46
	v_add_f32_e32 v50, 1.0, v46
	v_add_f32_e32 v48, 1.0, v47
	v_add_f32_e32 v51, -1.0, v50
	v_sub_f32_e32 v48, v46, v48
	v_sub_f32_e32 v46, v46, v51
	v_add_f32_e32 v48, v16, v48
	v_add_f32_e32 v16, v16, v46
	;; [unrolled: 1-line block ×3, first 2 shown]
	v_rcp_f32_e32 v51, v46
	v_add_f32_e32 v49, v47, v48
	v_sub_f32_e32 v47, v47, v49
	v_add_f32_e32 v47, v48, v47
	v_sub_f32_e32 v48, v50, v46
	v_add_f32_e32 v16, v16, v48
	v_mul_f32_e32 v48, v49, v51
	v_mul_f32_e32 v50, v46, v48
	v_fma_f32 v52, v48, v46, -v50
	v_fmac_f32_e32 v52, v48, v16
	v_add_f32_e32 v53, v50, v52
	v_sub_f32_e32 v54, v49, v53
	v_sub_f32_e32 v49, v49, v54
	;; [unrolled: 1-line block ×4, first 2 shown]
	v_add_f32_e32 v47, v47, v49
	v_sub_f32_e32 v49, v50, v52
	v_add_f32_e32 v47, v49, v47
	v_add_f32_e32 v49, v54, v47
	v_mul_f32_e32 v50, v51, v49
	v_mul_f32_e32 v52, v46, v50
	v_fma_f32 v46, v50, v46, -v52
	v_fmac_f32_e32 v46, v50, v16
	v_sub_f32_e32 v16, v54, v49
	v_add_f32_e32 v16, v47, v16
	v_add_f32_e32 v47, v52, v46
	v_sub_f32_e32 v53, v49, v47
	v_sub_f32_e32 v49, v49, v53
	;; [unrolled: 1-line block ×4, first 2 shown]
	v_add_f32_e32 v16, v16, v47
	v_sub_f32_e32 v46, v52, v46
	v_add_f32_e32 v16, v46, v16
	v_add_f32_e32 v46, v48, v50
	;; [unrolled: 1-line block ×3, first 2 shown]
	v_sub_f32_e32 v47, v46, v48
	v_mul_f32_e32 v16, v51, v16
	v_sub_f32_e32 v47, v50, v47
	v_add_f32_e32 v16, v47, v16
	v_cvt_f32_i32_e32 v15, v15
	v_add_f32_e32 v47, v46, v16
	v_mul_f32_e32 v48, v47, v47
	v_mov_b32_e32 v49, 0x3ecc95a3
	v_fmac_f32_e32 v49, 0x3e9b6dac, v48
	v_mov_b32_e32 v50, 0x3f2aaada
	v_fmac_f32_e32 v50, v48, v49
	s_mov_b32 s4, 0x3f317218
	v_mul_f32_e32 v49, 0x3f317218, v15
	v_fma_f32 v51, v15, s4, -v49
	v_fmac_f32_e32 v51, 0xb102e308, v15
	v_sub_f32_e32 v15, v47, v46
	v_sub_f32_e32 v15, v16, v15
	v_add_f32_e32 v16, v49, v51
	v_sub_f32_e32 v46, v16, v49
	v_ldexp_f32 v49, v47, 1
	v_mul_f32_e32 v47, v47, v48
	v_mul_f32_e32 v47, v47, v50
	v_add_f32_e32 v48, v49, v47
	v_sub_f32_e32 v49, v48, v49
	v_ldexp_f32 v15, v15, 1
	v_sub_f32_e32 v47, v47, v49
	v_add_f32_e32 v15, v15, v47
	v_add_f32_e32 v47, v48, v15
	v_sub_f32_e32 v48, v47, v48
	v_sub_f32_e32 v15, v15, v48
	v_add_f32_e32 v48, v16, v47
	v_sub_f32_e32 v49, v48, v16
	v_sub_f32_e32 v50, v48, v49
	;; [unrolled: 1-line block ×5, first 2 shown]
	v_add_f32_e32 v16, v47, v16
	v_add_f32_e32 v47, v46, v15
	v_sub_f32_e32 v49, v47, v46
	v_sub_f32_e32 v50, v47, v49
	;; [unrolled: 1-line block ×4, first 2 shown]
	v_add_f32_e32 v16, v47, v16
	v_add_f32_e32 v15, v15, v46
	;; [unrolled: 1-line block ×3, first 2 shown]
	v_sub_f32_e32 v47, v46, v48
	v_sub_f32_e32 v16, v16, v47
	v_add_f32_e32 v15, v15, v16
	v_add_f32_e32 v15, v46, v15
	v_cmp_neq_f32_e64 s[4:5], s60, v18
	v_cndmask_b32_e64 v15, v17, v15, s[4:5]
	s_mov_b32 s4, 0x33800000
	v_cmp_lt_f32_e64 s[4:5], |v18|, s4
	v_cndmask_b32_e64 v15, v15, v18, s[4:5]
	v_add_f32_e32 v14, v14, v15
	v_cvt_f16_f32_e32 v15, v14
.LBB420_142:
	s_or_b64 exec, exec, s[56:57]
	ds_write_b16 v13, v15 offset:6
.LBB420_143:
	s_or_b64 exec, exec, s[74:75]
	s_waitcnt lgkmcnt(0)
	s_barrier
	s_and_saveexec_b64 s[4:5], s[2:3]
; %bb.144:
	v_add_u32_e32 v13, -1, v0
	v_lshrrev_b32_e32 v14, 4, v13
	v_and_b32_e32 v14, 0xffffffe, v14
	v_lshl_add_u32 v13, v13, 1, v14
	ds_read_u16 v45, v13
; %bb.145:
	s_or_b64 exec, exec, s[4:5]
	s_and_saveexec_b64 s[60:61], vcc
	s_cbranch_execz .LBB420_217
; %bb.146:
	v_mov_b32_e32 v15, 0
	ds_read_u16 v46, v15 offset:524
	v_mbcnt_lo_u32_b32 v13, -1, 0
	v_mbcnt_hi_u32_b32 v18, -1, v13
	s_mov_b32 s75, 0
	v_cmp_eq_u32_e64 s[56:57], 0, v18
	s_and_saveexec_b64 s[4:5], s[56:57]
	s_cbranch_execz .LBB420_148
; %bb.147:
	s_add_i32 s74, s83, 64
	s_lshl_b64 s[74:75], s[74:75], 2
	s_add_u32 s74, s80, s74
	s_addc_u32 s75, s81, s75
	s_waitcnt lgkmcnt(0)
	v_or_b32_e32 v13, 0x10000, v46
	global_store_dword v15, v13, s[74:75]
.LBB420_148:
	s_or_b64 exec, exec, s[4:5]
	v_xad_u32 v13, v18, -1, s83
	v_add_u32_e32 v14, 64, v13
	v_lshlrev_b64 v[16:17], 2, v[14:15]
	v_mov_b32_e32 v14, s81
	v_add_co_u32_e32 v16, vcc, s80, v16
	v_addc_co_u32_e32 v17, vcc, v14, v17, vcc
	global_load_dword v64, v[16:17], off glc
	s_waitcnt vmcnt(0)
	v_lshrrev_b32_e32 v47, 16, v64
	v_cmp_eq_u16_sdwa s[74:75], v47, v15 src0_sel:BYTE_0 src1_sel:DWORD
	s_and_saveexec_b64 s[4:5], s[74:75]
	s_cbranch_execz .LBB420_152
; %bb.149:
	s_mov_b64 s[74:75], 0
	v_mov_b32_e32 v14, 0
.LBB420_150:                            ; =>This Inner Loop Header: Depth=1
	global_load_dword v64, v[16:17], off glc
	s_waitcnt vmcnt(0)
	v_lshrrev_b32_e32 v47, 16, v64
	v_cmp_ne_u16_sdwa s[78:79], v47, v14 src0_sel:BYTE_0 src1_sel:DWORD
	s_or_b64 s[74:75], s[78:79], s[74:75]
	s_andn2_b64 exec, exec, s[74:75]
	s_cbranch_execnz .LBB420_150
; %bb.151:
	s_or_b64 exec, exec, s[74:75]
.LBB420_152:
	s_or_b64 exec, exec, s[4:5]
	v_and_b32_e32 v48, 63, v18
	v_mov_b32_e32 v14, 2
	v_lshlrev_b64 v[15:16], v18, -1
	v_cmp_ne_u32_e32 vcc, 63, v48
	v_cmp_eq_u16_sdwa s[4:5], v47, v14 src0_sel:BYTE_0 src1_sel:DWORD
	v_addc_co_u32_e32 v17, vcc, 0, v18, vcc
	v_and_b32_e32 v14, s5, v16
	v_lshlrev_b32_e32 v49, 2, v17
	v_and_b32_e32 v17, 0xffff, v64
	v_or_b32_e32 v14, 0x80000000, v14
	ds_bpermute_b32 v50, v49, v17
	v_and_b32_e32 v51, s4, v15
	v_ffbl_b32_e32 v14, v14
	v_add_u32_e32 v14, 32, v14
	v_ffbl_b32_e32 v51, v51
	v_min_u32_e32 v14, v51, v14
	v_cmp_lt_u32_e32 vcc, v48, v14
	s_and_saveexec_b64 s[74:75], vcc
	s_cbranch_execz .LBB420_156
; %bb.153:
	s_waitcnt lgkmcnt(0)
	v_cvt_f32_f16_e32 v17, v50
	v_cvt_f32_f16_e32 v52, v64
	v_cmp_u_f16_e32 vcc, v50, v50
	v_cmp_u_f16_e64 s[4:5], v64, v64
	v_min_f32_e32 v51, v17, v52
	v_max_f32_e32 v53, v17, v52
	v_cndmask_b32_e32 v51, v51, v17, vcc
	v_cndmask_b32_e32 v17, v53, v17, vcc
	v_cndmask_b32_e64 v51, v51, v52, s[4:5]
	v_cndmask_b32_e64 v17, v17, v52, s[4:5]
	s_movk_i32 s4, 0x1f8
	v_cmp_neq_f32_e32 vcc, v51, v17
	v_cmp_class_f32_e64 s[4:5], v51, s4
	s_or_b64 s[78:79], vcc, s[4:5]
	s_and_saveexec_b64 s[4:5], s[78:79]
	s_cbranch_execz .LBB420_155
; %bb.154:
	v_sub_f32_e32 v50, v51, v17
	s_mov_b32 s78, 0x3fb8aa3b
	v_mul_f32_e32 v51, 0x3fb8aa3b, v50
	v_fma_f32 v52, v50, s78, -v51
	v_rndne_f32_e32 v53, v51
	v_fmac_f32_e32 v52, 0x32a5705f, v50
	v_sub_f32_e32 v51, v51, v53
	v_add_f32_e32 v51, v51, v52
	v_exp_f32_e32 v51, v51
	v_cvt_i32_f32_e32 v52, v53
	s_mov_b32 s78, 0xc2ce8ed0
	v_cmp_ngt_f32_e32 vcc, s78, v50
	s_mov_b32 s78, 0x42b17218
	v_ldexp_f32 v51, v51, v52
	v_cndmask_b32_e32 v51, 0, v51, vcc
	v_mov_b32_e32 v52, 0x7f800000
	v_cmp_nlt_f32_e32 vcc, s78, v50
	v_cndmask_b32_e32 v53, v52, v51, vcc
	v_add_f32_e32 v54, 1.0, v53
	v_cvt_f64_f32_e32 v[50:51], v54
	v_add_f32_e32 v55, -1.0, v54
	v_sub_f32_e32 v56, v55, v54
	v_sub_f32_e32 v55, v53, v55
	v_frexp_exp_i32_f64_e32 v50, v[50:51]
	v_add_f32_e32 v51, 1.0, v56
	v_add_f32_e32 v51, v55, v51
	v_frexp_mant_f32_e32 v55, v54
	s_mov_b32 s79, 0x3f2aaaab
	v_cmp_gt_f32_e32 vcc, s79, v55
	s_mov_b32 s79, 0x3f317218
	s_mov_b32 s78, 0x7f800000
	v_subbrev_co_u32_e32 v50, vcc, 0, v50, vcc
	v_sub_u32_e32 v55, 0, v50
	v_ldexp_f32 v54, v54, v55
	v_ldexp_f32 v51, v51, v55
	v_add_f32_e32 v55, -1.0, v54
	v_add_f32_e32 v58, 1.0, v54
	v_add_f32_e32 v56, 1.0, v55
	v_add_f32_e32 v59, -1.0, v58
	v_sub_f32_e32 v56, v54, v56
	v_sub_f32_e32 v54, v54, v59
	v_add_f32_e32 v56, v51, v56
	v_add_f32_e32 v51, v51, v54
	;; [unrolled: 1-line block ×3, first 2 shown]
	v_rcp_f32_e32 v59, v54
	v_add_f32_e32 v57, v55, v56
	v_sub_f32_e32 v55, v55, v57
	v_add_f32_e32 v55, v56, v55
	v_sub_f32_e32 v56, v58, v54
	v_add_f32_e32 v51, v51, v56
	v_mul_f32_e32 v56, v57, v59
	v_mul_f32_e32 v58, v54, v56
	v_fma_f32 v60, v56, v54, -v58
	v_fmac_f32_e32 v60, v56, v51
	v_add_f32_e32 v61, v58, v60
	v_sub_f32_e32 v62, v57, v61
	v_sub_f32_e32 v57, v57, v62
	;; [unrolled: 1-line block ×4, first 2 shown]
	v_add_f32_e32 v55, v55, v57
	v_sub_f32_e32 v57, v58, v60
	v_add_f32_e32 v55, v57, v55
	v_add_f32_e32 v57, v62, v55
	v_mul_f32_e32 v58, v59, v57
	v_mul_f32_e32 v60, v54, v58
	v_fma_f32 v54, v58, v54, -v60
	v_fmac_f32_e32 v54, v58, v51
	v_sub_f32_e32 v51, v62, v57
	v_add_f32_e32 v51, v55, v51
	v_add_f32_e32 v55, v60, v54
	v_sub_f32_e32 v61, v57, v55
	v_sub_f32_e32 v57, v57, v61
	;; [unrolled: 1-line block ×4, first 2 shown]
	v_add_f32_e32 v51, v51, v55
	v_sub_f32_e32 v54, v60, v54
	v_add_f32_e32 v51, v54, v51
	v_add_f32_e32 v54, v56, v58
	;; [unrolled: 1-line block ×3, first 2 shown]
	v_sub_f32_e32 v55, v54, v56
	v_mul_f32_e32 v51, v59, v51
	v_sub_f32_e32 v55, v58, v55
	v_add_f32_e32 v51, v55, v51
	v_cvt_f32_i32_e32 v50, v50
	v_add_f32_e32 v55, v54, v51
	v_mul_f32_e32 v56, v55, v55
	v_mov_b32_e32 v57, 0x3ecc95a3
	v_fmac_f32_e32 v57, 0x3e9b6dac, v56
	v_mov_b32_e32 v58, 0x3f2aaada
	v_fmac_f32_e32 v58, v56, v57
	v_mul_f32_e32 v57, 0x3f317218, v50
	v_fma_f32 v59, v50, s79, -v57
	v_fmac_f32_e32 v59, 0xb102e308, v50
	v_sub_f32_e32 v50, v55, v54
	v_sub_f32_e32 v50, v51, v50
	v_add_f32_e32 v51, v57, v59
	v_sub_f32_e32 v54, v51, v57
	v_ldexp_f32 v57, v55, 1
	v_mul_f32_e32 v55, v55, v56
	v_mul_f32_e32 v55, v55, v58
	v_add_f32_e32 v56, v57, v55
	v_sub_f32_e32 v57, v56, v57
	v_ldexp_f32 v50, v50, 1
	v_sub_f32_e32 v55, v55, v57
	v_add_f32_e32 v50, v50, v55
	v_add_f32_e32 v55, v56, v50
	v_sub_f32_e32 v56, v55, v56
	v_sub_f32_e32 v50, v50, v56
	v_add_f32_e32 v56, v51, v55
	v_sub_f32_e32 v57, v56, v51
	v_sub_f32_e32 v58, v56, v57
	;; [unrolled: 1-line block ×5, first 2 shown]
	v_add_f32_e32 v51, v55, v51
	v_add_f32_e32 v55, v54, v50
	v_sub_f32_e32 v57, v55, v54
	v_sub_f32_e32 v58, v55, v57
	;; [unrolled: 1-line block ×4, first 2 shown]
	v_add_f32_e32 v51, v55, v51
	v_add_f32_e32 v50, v50, v54
	;; [unrolled: 1-line block ×3, first 2 shown]
	v_sub_f32_e32 v55, v54, v56
	v_sub_f32_e32 v51, v51, v55
	v_add_f32_e32 v50, v50, v51
	v_add_f32_e32 v50, v54, v50
	v_cmp_neq_f32_e32 vcc, s78, v53
	s_mov_b32 s78, 0x33800000
	v_cndmask_b32_e32 v50, v52, v50, vcc
	v_cmp_lt_f32_e64 vcc, |v53|, s78
	v_cndmask_b32_e32 v50, v50, v53, vcc
	v_add_f32_e32 v17, v17, v50
	v_cvt_f16_f32_e32 v50, v17
.LBB420_155:
	s_or_b64 exec, exec, s[4:5]
	v_and_b32_e32 v17, 0xffff, v50
	v_mov_b32_e32 v64, v50
.LBB420_156:
	s_or_b64 exec, exec, s[74:75]
	v_cmp_gt_u32_e32 vcc, 62, v48
	s_waitcnt lgkmcnt(0)
	v_cndmask_b32_e64 v50, 0, 2, vcc
	v_add_lshl_u32 v50, v50, v18, 2
	ds_bpermute_b32 v52, v50, v17
	v_add_u32_e32 v51, 2, v48
	v_cmp_le_u32_e32 vcc, v51, v14
	s_and_saveexec_b64 s[74:75], vcc
	s_cbranch_execz .LBB420_160
; %bb.157:
	s_waitcnt lgkmcnt(0)
	v_cvt_f32_f16_e32 v17, v52
	v_cvt_f32_f16_e32 v54, v64
	v_cmp_u_f16_e32 vcc, v52, v52
	v_cmp_u_f16_e64 s[4:5], v64, v64
	v_min_f32_e32 v53, v17, v54
	v_max_f32_e32 v55, v17, v54
	v_cndmask_b32_e32 v53, v53, v17, vcc
	v_cndmask_b32_e32 v17, v55, v17, vcc
	v_cndmask_b32_e64 v53, v53, v54, s[4:5]
	v_cndmask_b32_e64 v17, v17, v54, s[4:5]
	s_movk_i32 s4, 0x1f8
	v_cmp_neq_f32_e32 vcc, v53, v17
	v_cmp_class_f32_e64 s[4:5], v53, s4
	s_or_b64 s[78:79], vcc, s[4:5]
	s_and_saveexec_b64 s[4:5], s[78:79]
	s_cbranch_execz .LBB420_159
; %bb.158:
	v_sub_f32_e32 v52, v53, v17
	s_mov_b32 s78, 0x3fb8aa3b
	v_mul_f32_e32 v53, 0x3fb8aa3b, v52
	v_fma_f32 v54, v52, s78, -v53
	v_rndne_f32_e32 v55, v53
	v_fmac_f32_e32 v54, 0x32a5705f, v52
	v_sub_f32_e32 v53, v53, v55
	v_add_f32_e32 v53, v53, v54
	v_exp_f32_e32 v53, v53
	v_cvt_i32_f32_e32 v54, v55
	s_mov_b32 s78, 0xc2ce8ed0
	v_cmp_ngt_f32_e32 vcc, s78, v52
	s_mov_b32 s78, 0x42b17218
	v_ldexp_f32 v53, v53, v54
	v_cndmask_b32_e32 v53, 0, v53, vcc
	v_mov_b32_e32 v54, 0x7f800000
	v_cmp_nlt_f32_e32 vcc, s78, v52
	v_cndmask_b32_e32 v55, v54, v53, vcc
	v_add_f32_e32 v56, 1.0, v55
	v_cvt_f64_f32_e32 v[52:53], v56
	v_add_f32_e32 v57, -1.0, v56
	v_sub_f32_e32 v58, v57, v56
	v_sub_f32_e32 v57, v55, v57
	v_frexp_exp_i32_f64_e32 v52, v[52:53]
	v_add_f32_e32 v53, 1.0, v58
	v_add_f32_e32 v53, v57, v53
	v_frexp_mant_f32_e32 v57, v56
	s_mov_b32 s79, 0x3f2aaaab
	v_cmp_gt_f32_e32 vcc, s79, v57
	s_mov_b32 s79, 0x3f317218
	s_mov_b32 s78, 0x7f800000
	v_subbrev_co_u32_e32 v52, vcc, 0, v52, vcc
	v_sub_u32_e32 v57, 0, v52
	v_ldexp_f32 v56, v56, v57
	v_ldexp_f32 v53, v53, v57
	v_add_f32_e32 v57, -1.0, v56
	v_add_f32_e32 v60, 1.0, v56
	v_add_f32_e32 v58, 1.0, v57
	v_add_f32_e32 v61, -1.0, v60
	v_sub_f32_e32 v58, v56, v58
	v_sub_f32_e32 v56, v56, v61
	v_add_f32_e32 v58, v53, v58
	v_add_f32_e32 v53, v53, v56
	v_add_f32_e32 v56, v60, v53
	v_rcp_f32_e32 v61, v56
	v_add_f32_e32 v59, v57, v58
	v_sub_f32_e32 v57, v57, v59
	v_add_f32_e32 v57, v58, v57
	v_sub_f32_e32 v58, v60, v56
	v_add_f32_e32 v53, v53, v58
	v_mul_f32_e32 v58, v59, v61
	v_mul_f32_e32 v60, v56, v58
	v_fma_f32 v62, v58, v56, -v60
	v_fmac_f32_e32 v62, v58, v53
	v_add_f32_e32 v63, v60, v62
	v_sub_f32_e32 v64, v59, v63
	v_sub_f32_e32 v59, v59, v64
	v_sub_f32_e32 v60, v63, v60
	v_sub_f32_e32 v59, v59, v63
	v_add_f32_e32 v57, v57, v59
	v_sub_f32_e32 v59, v60, v62
	v_add_f32_e32 v57, v59, v57
	v_add_f32_e32 v59, v64, v57
	v_mul_f32_e32 v60, v61, v59
	v_mul_f32_e32 v62, v56, v60
	v_fma_f32 v56, v60, v56, -v62
	v_fmac_f32_e32 v56, v60, v53
	v_sub_f32_e32 v53, v64, v59
	v_add_f32_e32 v53, v57, v53
	v_add_f32_e32 v57, v62, v56
	v_sub_f32_e32 v63, v59, v57
	v_sub_f32_e32 v59, v59, v63
	;; [unrolled: 1-line block ×4, first 2 shown]
	v_add_f32_e32 v53, v53, v57
	v_sub_f32_e32 v56, v62, v56
	v_add_f32_e32 v53, v56, v53
	v_add_f32_e32 v56, v58, v60
	;; [unrolled: 1-line block ×3, first 2 shown]
	v_sub_f32_e32 v57, v56, v58
	v_mul_f32_e32 v53, v61, v53
	v_sub_f32_e32 v57, v60, v57
	v_add_f32_e32 v53, v57, v53
	v_cvt_f32_i32_e32 v52, v52
	v_add_f32_e32 v57, v56, v53
	v_mul_f32_e32 v58, v57, v57
	v_mov_b32_e32 v59, 0x3ecc95a3
	v_fmac_f32_e32 v59, 0x3e9b6dac, v58
	v_mov_b32_e32 v60, 0x3f2aaada
	v_fmac_f32_e32 v60, v58, v59
	v_mul_f32_e32 v59, 0x3f317218, v52
	v_fma_f32 v61, v52, s79, -v59
	v_fmac_f32_e32 v61, 0xb102e308, v52
	v_sub_f32_e32 v52, v57, v56
	v_sub_f32_e32 v52, v53, v52
	v_add_f32_e32 v53, v59, v61
	v_sub_f32_e32 v56, v53, v59
	v_ldexp_f32 v59, v57, 1
	v_mul_f32_e32 v57, v57, v58
	v_mul_f32_e32 v57, v57, v60
	v_add_f32_e32 v58, v59, v57
	v_sub_f32_e32 v59, v58, v59
	v_ldexp_f32 v52, v52, 1
	v_sub_f32_e32 v57, v57, v59
	v_add_f32_e32 v52, v52, v57
	v_add_f32_e32 v57, v58, v52
	v_sub_f32_e32 v58, v57, v58
	v_sub_f32_e32 v52, v52, v58
	v_add_f32_e32 v58, v53, v57
	v_sub_f32_e32 v59, v58, v53
	v_sub_f32_e32 v60, v58, v59
	;; [unrolled: 1-line block ×5, first 2 shown]
	v_add_f32_e32 v53, v57, v53
	v_add_f32_e32 v57, v56, v52
	v_sub_f32_e32 v59, v57, v56
	v_sub_f32_e32 v60, v57, v59
	;; [unrolled: 1-line block ×4, first 2 shown]
	v_add_f32_e32 v53, v57, v53
	v_add_f32_e32 v52, v52, v56
	;; [unrolled: 1-line block ×3, first 2 shown]
	v_sub_f32_e32 v57, v56, v58
	v_sub_f32_e32 v53, v53, v57
	v_add_f32_e32 v52, v52, v53
	v_add_f32_e32 v52, v56, v52
	v_cmp_neq_f32_e32 vcc, s78, v55
	s_mov_b32 s78, 0x33800000
	v_cndmask_b32_e32 v52, v54, v52, vcc
	v_cmp_lt_f32_e64 vcc, |v55|, s78
	v_cndmask_b32_e32 v52, v52, v55, vcc
	v_add_f32_e32 v17, v17, v52
	v_cvt_f16_f32_e32 v52, v17
.LBB420_159:
	s_or_b64 exec, exec, s[4:5]
	v_and_b32_e32 v17, 0xffff, v52
	v_mov_b32_e32 v64, v52
.LBB420_160:
	s_or_b64 exec, exec, s[74:75]
	v_cmp_gt_u32_e32 vcc, 60, v48
	s_waitcnt lgkmcnt(0)
	v_cndmask_b32_e64 v52, 0, 4, vcc
	v_add_lshl_u32 v52, v52, v18, 2
	ds_bpermute_b32 v54, v52, v17
	v_add_u32_e32 v53, 4, v48
	v_cmp_le_u32_e32 vcc, v53, v14
	s_and_saveexec_b64 s[74:75], vcc
	s_cbranch_execz .LBB420_164
; %bb.161:
	s_waitcnt lgkmcnt(0)
	v_cvt_f32_f16_e32 v17, v54
	v_cvt_f32_f16_e32 v56, v64
	v_cmp_u_f16_e32 vcc, v54, v54
	v_cmp_u_f16_e64 s[4:5], v64, v64
	v_min_f32_e32 v55, v17, v56
	v_max_f32_e32 v57, v17, v56
	v_cndmask_b32_e32 v55, v55, v17, vcc
	v_cndmask_b32_e32 v17, v57, v17, vcc
	v_cndmask_b32_e64 v55, v55, v56, s[4:5]
	v_cndmask_b32_e64 v17, v17, v56, s[4:5]
	s_movk_i32 s4, 0x1f8
	v_cmp_neq_f32_e32 vcc, v55, v17
	v_cmp_class_f32_e64 s[4:5], v55, s4
	s_or_b64 s[78:79], vcc, s[4:5]
	s_and_saveexec_b64 s[4:5], s[78:79]
	s_cbranch_execz .LBB420_163
; %bb.162:
	v_sub_f32_e32 v54, v55, v17
	s_mov_b32 s78, 0x3fb8aa3b
	v_mul_f32_e32 v55, 0x3fb8aa3b, v54
	v_fma_f32 v56, v54, s78, -v55
	v_rndne_f32_e32 v57, v55
	v_fmac_f32_e32 v56, 0x32a5705f, v54
	v_sub_f32_e32 v55, v55, v57
	v_add_f32_e32 v55, v55, v56
	v_exp_f32_e32 v55, v55
	v_cvt_i32_f32_e32 v56, v57
	s_mov_b32 s78, 0xc2ce8ed0
	v_cmp_ngt_f32_e32 vcc, s78, v54
	s_mov_b32 s78, 0x42b17218
	v_ldexp_f32 v55, v55, v56
	v_cndmask_b32_e32 v55, 0, v55, vcc
	v_mov_b32_e32 v56, 0x7f800000
	v_cmp_nlt_f32_e32 vcc, s78, v54
	v_cndmask_b32_e32 v57, v56, v55, vcc
	v_add_f32_e32 v58, 1.0, v57
	v_cvt_f64_f32_e32 v[54:55], v58
	v_add_f32_e32 v59, -1.0, v58
	v_sub_f32_e32 v60, v59, v58
	v_sub_f32_e32 v59, v57, v59
	v_frexp_exp_i32_f64_e32 v54, v[54:55]
	v_add_f32_e32 v55, 1.0, v60
	v_add_f32_e32 v55, v59, v55
	v_frexp_mant_f32_e32 v59, v58
	s_mov_b32 s79, 0x3f2aaaab
	v_cmp_gt_f32_e32 vcc, s79, v59
	s_mov_b32 s79, 0x3f317218
	s_mov_b32 s78, 0x7f800000
	v_subbrev_co_u32_e32 v54, vcc, 0, v54, vcc
	v_sub_u32_e32 v59, 0, v54
	v_ldexp_f32 v58, v58, v59
	v_ldexp_f32 v55, v55, v59
	v_add_f32_e32 v59, -1.0, v58
	v_add_f32_e32 v62, 1.0, v58
	v_add_f32_e32 v60, 1.0, v59
	v_add_f32_e32 v63, -1.0, v62
	v_sub_f32_e32 v60, v58, v60
	v_sub_f32_e32 v58, v58, v63
	v_add_f32_e32 v60, v55, v60
	v_add_f32_e32 v55, v55, v58
	;; [unrolled: 1-line block ×3, first 2 shown]
	v_rcp_f32_e32 v63, v58
	v_add_f32_e32 v61, v59, v60
	v_sub_f32_e32 v59, v59, v61
	v_add_f32_e32 v59, v60, v59
	v_sub_f32_e32 v60, v62, v58
	v_add_f32_e32 v55, v55, v60
	v_mul_f32_e32 v60, v61, v63
	v_mul_f32_e32 v62, v58, v60
	v_fma_f32 v64, v60, v58, -v62
	v_fmac_f32_e32 v64, v60, v55
	v_add_f32_e32 v65, v62, v64
	v_sub_f32_e32 v66, v61, v65
	v_sub_f32_e32 v61, v61, v66
	;; [unrolled: 1-line block ×4, first 2 shown]
	v_add_f32_e32 v59, v59, v61
	v_sub_f32_e32 v61, v62, v64
	v_add_f32_e32 v59, v61, v59
	v_add_f32_e32 v61, v66, v59
	v_mul_f32_e32 v62, v63, v61
	v_mul_f32_e32 v64, v58, v62
	v_fma_f32 v58, v62, v58, -v64
	v_fmac_f32_e32 v58, v62, v55
	v_sub_f32_e32 v55, v66, v61
	v_add_f32_e32 v55, v59, v55
	v_add_f32_e32 v59, v64, v58
	v_sub_f32_e32 v65, v61, v59
	v_sub_f32_e32 v61, v61, v65
	;; [unrolled: 1-line block ×4, first 2 shown]
	v_add_f32_e32 v55, v55, v59
	v_sub_f32_e32 v58, v64, v58
	v_add_f32_e32 v55, v58, v55
	v_add_f32_e32 v58, v60, v62
	;; [unrolled: 1-line block ×3, first 2 shown]
	v_sub_f32_e32 v59, v58, v60
	v_mul_f32_e32 v55, v63, v55
	v_sub_f32_e32 v59, v62, v59
	v_add_f32_e32 v55, v59, v55
	v_cvt_f32_i32_e32 v54, v54
	v_add_f32_e32 v59, v58, v55
	v_mul_f32_e32 v60, v59, v59
	v_mov_b32_e32 v61, 0x3ecc95a3
	v_fmac_f32_e32 v61, 0x3e9b6dac, v60
	v_mov_b32_e32 v62, 0x3f2aaada
	v_fmac_f32_e32 v62, v60, v61
	v_mul_f32_e32 v61, 0x3f317218, v54
	v_fma_f32 v63, v54, s79, -v61
	v_fmac_f32_e32 v63, 0xb102e308, v54
	v_sub_f32_e32 v54, v59, v58
	v_sub_f32_e32 v54, v55, v54
	v_add_f32_e32 v55, v61, v63
	v_sub_f32_e32 v58, v55, v61
	v_ldexp_f32 v61, v59, 1
	v_mul_f32_e32 v59, v59, v60
	v_mul_f32_e32 v59, v59, v62
	v_add_f32_e32 v60, v61, v59
	v_sub_f32_e32 v61, v60, v61
	v_ldexp_f32 v54, v54, 1
	v_sub_f32_e32 v59, v59, v61
	v_add_f32_e32 v54, v54, v59
	v_add_f32_e32 v59, v60, v54
	v_sub_f32_e32 v60, v59, v60
	v_sub_f32_e32 v54, v54, v60
	v_add_f32_e32 v60, v55, v59
	v_sub_f32_e32 v61, v60, v55
	v_sub_f32_e32 v62, v60, v61
	v_sub_f32_e32 v58, v63, v58
	v_sub_f32_e32 v55, v55, v62
	v_sub_f32_e32 v59, v59, v61
	v_add_f32_e32 v55, v59, v55
	v_add_f32_e32 v59, v58, v54
	v_sub_f32_e32 v61, v59, v58
	v_sub_f32_e32 v62, v59, v61
	;; [unrolled: 1-line block ×4, first 2 shown]
	v_add_f32_e32 v55, v59, v55
	v_add_f32_e32 v54, v54, v58
	;; [unrolled: 1-line block ×3, first 2 shown]
	v_sub_f32_e32 v59, v58, v60
	v_sub_f32_e32 v55, v55, v59
	v_add_f32_e32 v54, v54, v55
	v_add_f32_e32 v54, v58, v54
	v_cmp_neq_f32_e32 vcc, s78, v57
	s_mov_b32 s78, 0x33800000
	v_cndmask_b32_e32 v54, v56, v54, vcc
	v_cmp_lt_f32_e64 vcc, |v57|, s78
	v_cndmask_b32_e32 v54, v54, v57, vcc
	v_add_f32_e32 v17, v17, v54
	v_cvt_f16_f32_e32 v54, v17
.LBB420_163:
	s_or_b64 exec, exec, s[4:5]
	v_and_b32_e32 v17, 0xffff, v54
	v_mov_b32_e32 v64, v54
.LBB420_164:
	s_or_b64 exec, exec, s[74:75]
	v_cmp_gt_u32_e32 vcc, 56, v48
	s_waitcnt lgkmcnt(0)
	v_cndmask_b32_e64 v54, 0, 8, vcc
	v_add_lshl_u32 v54, v54, v18, 2
	ds_bpermute_b32 v56, v54, v17
	v_add_u32_e32 v55, 8, v48
	v_cmp_le_u32_e32 vcc, v55, v14
	s_and_saveexec_b64 s[74:75], vcc
	s_cbranch_execz .LBB420_168
; %bb.165:
	s_waitcnt lgkmcnt(0)
	v_cvt_f32_f16_e32 v17, v56
	v_cvt_f32_f16_e32 v58, v64
	v_cmp_u_f16_e32 vcc, v56, v56
	v_cmp_u_f16_e64 s[4:5], v64, v64
	v_min_f32_e32 v57, v17, v58
	v_max_f32_e32 v59, v17, v58
	v_cndmask_b32_e32 v57, v57, v17, vcc
	v_cndmask_b32_e32 v17, v59, v17, vcc
	v_cndmask_b32_e64 v57, v57, v58, s[4:5]
	v_cndmask_b32_e64 v17, v17, v58, s[4:5]
	s_movk_i32 s4, 0x1f8
	v_cmp_neq_f32_e32 vcc, v57, v17
	v_cmp_class_f32_e64 s[4:5], v57, s4
	s_or_b64 s[78:79], vcc, s[4:5]
	s_and_saveexec_b64 s[4:5], s[78:79]
	s_cbranch_execz .LBB420_167
; %bb.166:
	v_sub_f32_e32 v56, v57, v17
	s_mov_b32 s78, 0x3fb8aa3b
	v_mul_f32_e32 v57, 0x3fb8aa3b, v56
	v_fma_f32 v58, v56, s78, -v57
	v_rndne_f32_e32 v59, v57
	v_fmac_f32_e32 v58, 0x32a5705f, v56
	v_sub_f32_e32 v57, v57, v59
	v_add_f32_e32 v57, v57, v58
	v_exp_f32_e32 v57, v57
	v_cvt_i32_f32_e32 v58, v59
	s_mov_b32 s78, 0xc2ce8ed0
	v_cmp_ngt_f32_e32 vcc, s78, v56
	s_mov_b32 s78, 0x42b17218
	v_ldexp_f32 v57, v57, v58
	v_cndmask_b32_e32 v57, 0, v57, vcc
	v_mov_b32_e32 v58, 0x7f800000
	v_cmp_nlt_f32_e32 vcc, s78, v56
	v_cndmask_b32_e32 v59, v58, v57, vcc
	v_add_f32_e32 v60, 1.0, v59
	v_cvt_f64_f32_e32 v[56:57], v60
	v_add_f32_e32 v61, -1.0, v60
	v_sub_f32_e32 v62, v61, v60
	v_sub_f32_e32 v61, v59, v61
	v_frexp_exp_i32_f64_e32 v56, v[56:57]
	v_add_f32_e32 v57, 1.0, v62
	v_add_f32_e32 v57, v61, v57
	v_frexp_mant_f32_e32 v61, v60
	s_mov_b32 s79, 0x3f2aaaab
	v_cmp_gt_f32_e32 vcc, s79, v61
	s_mov_b32 s79, 0x3f317218
	s_mov_b32 s78, 0x7f800000
	v_subbrev_co_u32_e32 v56, vcc, 0, v56, vcc
	v_sub_u32_e32 v61, 0, v56
	v_ldexp_f32 v60, v60, v61
	v_ldexp_f32 v57, v57, v61
	v_add_f32_e32 v61, -1.0, v60
	v_add_f32_e32 v64, 1.0, v60
	v_add_f32_e32 v62, 1.0, v61
	v_add_f32_e32 v65, -1.0, v64
	v_sub_f32_e32 v62, v60, v62
	v_sub_f32_e32 v60, v60, v65
	v_add_f32_e32 v62, v57, v62
	v_add_f32_e32 v57, v57, v60
	;; [unrolled: 1-line block ×3, first 2 shown]
	v_rcp_f32_e32 v65, v60
	v_add_f32_e32 v63, v61, v62
	v_sub_f32_e32 v61, v61, v63
	v_add_f32_e32 v61, v62, v61
	v_sub_f32_e32 v62, v64, v60
	v_add_f32_e32 v57, v57, v62
	v_mul_f32_e32 v62, v63, v65
	v_mul_f32_e32 v64, v60, v62
	v_fma_f32 v66, v62, v60, -v64
	v_fmac_f32_e32 v66, v62, v57
	v_add_f32_e32 v67, v64, v66
	v_sub_f32_e32 v68, v63, v67
	v_sub_f32_e32 v63, v63, v68
	;; [unrolled: 1-line block ×4, first 2 shown]
	v_add_f32_e32 v61, v61, v63
	v_sub_f32_e32 v63, v64, v66
	v_add_f32_e32 v61, v63, v61
	v_add_f32_e32 v63, v68, v61
	v_mul_f32_e32 v64, v65, v63
	v_mul_f32_e32 v66, v60, v64
	v_fma_f32 v60, v64, v60, -v66
	v_fmac_f32_e32 v60, v64, v57
	v_sub_f32_e32 v57, v68, v63
	v_add_f32_e32 v57, v61, v57
	v_add_f32_e32 v61, v66, v60
	v_sub_f32_e32 v67, v63, v61
	v_sub_f32_e32 v63, v63, v67
	;; [unrolled: 1-line block ×4, first 2 shown]
	v_add_f32_e32 v57, v57, v61
	v_sub_f32_e32 v60, v66, v60
	v_add_f32_e32 v57, v60, v57
	v_add_f32_e32 v60, v62, v64
	v_add_f32_e32 v57, v67, v57
	v_sub_f32_e32 v61, v60, v62
	v_mul_f32_e32 v57, v65, v57
	v_sub_f32_e32 v61, v64, v61
	v_add_f32_e32 v57, v61, v57
	v_cvt_f32_i32_e32 v56, v56
	v_add_f32_e32 v61, v60, v57
	v_mul_f32_e32 v62, v61, v61
	v_mov_b32_e32 v63, 0x3ecc95a3
	v_fmac_f32_e32 v63, 0x3e9b6dac, v62
	v_mov_b32_e32 v64, 0x3f2aaada
	v_fmac_f32_e32 v64, v62, v63
	v_mul_f32_e32 v63, 0x3f317218, v56
	v_fma_f32 v65, v56, s79, -v63
	v_fmac_f32_e32 v65, 0xb102e308, v56
	v_sub_f32_e32 v56, v61, v60
	v_sub_f32_e32 v56, v57, v56
	v_add_f32_e32 v57, v63, v65
	v_sub_f32_e32 v60, v57, v63
	v_ldexp_f32 v63, v61, 1
	v_mul_f32_e32 v61, v61, v62
	v_mul_f32_e32 v61, v61, v64
	v_add_f32_e32 v62, v63, v61
	v_sub_f32_e32 v63, v62, v63
	v_ldexp_f32 v56, v56, 1
	v_sub_f32_e32 v61, v61, v63
	v_add_f32_e32 v56, v56, v61
	v_add_f32_e32 v61, v62, v56
	v_sub_f32_e32 v62, v61, v62
	v_sub_f32_e32 v56, v56, v62
	v_add_f32_e32 v62, v57, v61
	v_sub_f32_e32 v63, v62, v57
	v_sub_f32_e32 v64, v62, v63
	;; [unrolled: 1-line block ×5, first 2 shown]
	v_add_f32_e32 v57, v61, v57
	v_add_f32_e32 v61, v60, v56
	v_sub_f32_e32 v63, v61, v60
	v_sub_f32_e32 v64, v61, v63
	;; [unrolled: 1-line block ×4, first 2 shown]
	v_add_f32_e32 v57, v61, v57
	v_add_f32_e32 v56, v56, v60
	;; [unrolled: 1-line block ×3, first 2 shown]
	v_sub_f32_e32 v61, v60, v62
	v_sub_f32_e32 v57, v57, v61
	v_add_f32_e32 v56, v56, v57
	v_add_f32_e32 v56, v60, v56
	v_cmp_neq_f32_e32 vcc, s78, v59
	s_mov_b32 s78, 0x33800000
	v_cndmask_b32_e32 v56, v58, v56, vcc
	v_cmp_lt_f32_e64 vcc, |v59|, s78
	v_cndmask_b32_e32 v56, v56, v59, vcc
	v_add_f32_e32 v17, v17, v56
	v_cvt_f16_f32_e32 v56, v17
.LBB420_167:
	s_or_b64 exec, exec, s[4:5]
	v_and_b32_e32 v17, 0xffff, v56
	v_mov_b32_e32 v64, v56
.LBB420_168:
	s_or_b64 exec, exec, s[74:75]
	v_cmp_gt_u32_e32 vcc, 48, v48
	s_waitcnt lgkmcnt(0)
	v_cndmask_b32_e64 v56, 0, 16, vcc
	v_add_lshl_u32 v56, v56, v18, 2
	ds_bpermute_b32 v58, v56, v17
	v_add_u32_e32 v57, 16, v48
	v_cmp_le_u32_e32 vcc, v57, v14
	s_and_saveexec_b64 s[74:75], vcc
	s_cbranch_execz .LBB420_172
; %bb.169:
	s_waitcnt lgkmcnt(0)
	v_cvt_f32_f16_e32 v17, v58
	v_cvt_f32_f16_e32 v60, v64
	v_cmp_u_f16_e32 vcc, v58, v58
	v_cmp_u_f16_e64 s[4:5], v64, v64
	v_min_f32_e32 v59, v17, v60
	v_max_f32_e32 v61, v17, v60
	v_cndmask_b32_e32 v59, v59, v17, vcc
	v_cndmask_b32_e32 v17, v61, v17, vcc
	v_cndmask_b32_e64 v59, v59, v60, s[4:5]
	v_cndmask_b32_e64 v17, v17, v60, s[4:5]
	s_movk_i32 s4, 0x1f8
	v_cmp_neq_f32_e32 vcc, v59, v17
	v_cmp_class_f32_e64 s[4:5], v59, s4
	s_or_b64 s[78:79], vcc, s[4:5]
	s_and_saveexec_b64 s[4:5], s[78:79]
	s_cbranch_execz .LBB420_171
; %bb.170:
	v_sub_f32_e32 v58, v59, v17
	s_mov_b32 s78, 0x3fb8aa3b
	v_mul_f32_e32 v59, 0x3fb8aa3b, v58
	v_fma_f32 v60, v58, s78, -v59
	v_rndne_f32_e32 v61, v59
	v_fmac_f32_e32 v60, 0x32a5705f, v58
	v_sub_f32_e32 v59, v59, v61
	v_add_f32_e32 v59, v59, v60
	v_exp_f32_e32 v59, v59
	v_cvt_i32_f32_e32 v60, v61
	s_mov_b32 s78, 0xc2ce8ed0
	v_cmp_ngt_f32_e32 vcc, s78, v58
	s_mov_b32 s78, 0x42b17218
	v_ldexp_f32 v59, v59, v60
	v_cndmask_b32_e32 v59, 0, v59, vcc
	v_mov_b32_e32 v60, 0x7f800000
	v_cmp_nlt_f32_e32 vcc, s78, v58
	v_cndmask_b32_e32 v61, v60, v59, vcc
	v_add_f32_e32 v62, 1.0, v61
	v_cvt_f64_f32_e32 v[58:59], v62
	v_add_f32_e32 v63, -1.0, v62
	v_sub_f32_e32 v64, v63, v62
	v_sub_f32_e32 v63, v61, v63
	v_frexp_exp_i32_f64_e32 v58, v[58:59]
	v_add_f32_e32 v59, 1.0, v64
	v_add_f32_e32 v59, v63, v59
	v_frexp_mant_f32_e32 v63, v62
	s_mov_b32 s79, 0x3f2aaaab
	v_cmp_gt_f32_e32 vcc, s79, v63
	s_mov_b32 s79, 0x3f317218
	s_mov_b32 s78, 0x7f800000
	v_subbrev_co_u32_e32 v58, vcc, 0, v58, vcc
	v_sub_u32_e32 v63, 0, v58
	v_ldexp_f32 v62, v62, v63
	v_ldexp_f32 v59, v59, v63
	v_add_f32_e32 v63, -1.0, v62
	v_add_f32_e32 v66, 1.0, v62
	v_add_f32_e32 v64, 1.0, v63
	v_add_f32_e32 v67, -1.0, v66
	v_sub_f32_e32 v64, v62, v64
	v_sub_f32_e32 v62, v62, v67
	v_add_f32_e32 v64, v59, v64
	v_add_f32_e32 v59, v59, v62
	;; [unrolled: 1-line block ×3, first 2 shown]
	v_rcp_f32_e32 v67, v62
	v_add_f32_e32 v65, v63, v64
	v_sub_f32_e32 v63, v63, v65
	v_add_f32_e32 v63, v64, v63
	v_sub_f32_e32 v64, v66, v62
	v_add_f32_e32 v59, v59, v64
	v_mul_f32_e32 v64, v65, v67
	v_mul_f32_e32 v66, v62, v64
	v_fma_f32 v68, v64, v62, -v66
	v_fmac_f32_e32 v68, v64, v59
	v_add_f32_e32 v69, v66, v68
	v_sub_f32_e32 v70, v65, v69
	v_sub_f32_e32 v65, v65, v70
	v_sub_f32_e32 v66, v69, v66
	v_sub_f32_e32 v65, v65, v69
	v_add_f32_e32 v63, v63, v65
	v_sub_f32_e32 v65, v66, v68
	v_add_f32_e32 v63, v65, v63
	v_add_f32_e32 v65, v70, v63
	v_mul_f32_e32 v66, v67, v65
	v_mul_f32_e32 v68, v62, v66
	v_fma_f32 v62, v66, v62, -v68
	v_fmac_f32_e32 v62, v66, v59
	v_sub_f32_e32 v59, v70, v65
	v_add_f32_e32 v59, v63, v59
	v_add_f32_e32 v63, v68, v62
	v_sub_f32_e32 v69, v65, v63
	v_sub_f32_e32 v65, v65, v69
	;; [unrolled: 1-line block ×4, first 2 shown]
	v_add_f32_e32 v59, v59, v63
	v_sub_f32_e32 v62, v68, v62
	v_add_f32_e32 v59, v62, v59
	v_add_f32_e32 v62, v64, v66
	;; [unrolled: 1-line block ×3, first 2 shown]
	v_sub_f32_e32 v63, v62, v64
	v_mul_f32_e32 v59, v67, v59
	v_sub_f32_e32 v63, v66, v63
	v_add_f32_e32 v59, v63, v59
	v_cvt_f32_i32_e32 v58, v58
	v_add_f32_e32 v63, v62, v59
	v_mul_f32_e32 v64, v63, v63
	v_mov_b32_e32 v65, 0x3ecc95a3
	v_fmac_f32_e32 v65, 0x3e9b6dac, v64
	v_mov_b32_e32 v66, 0x3f2aaada
	v_fmac_f32_e32 v66, v64, v65
	v_mul_f32_e32 v65, 0x3f317218, v58
	v_fma_f32 v67, v58, s79, -v65
	v_fmac_f32_e32 v67, 0xb102e308, v58
	v_sub_f32_e32 v58, v63, v62
	v_sub_f32_e32 v58, v59, v58
	v_add_f32_e32 v59, v65, v67
	v_sub_f32_e32 v62, v59, v65
	v_ldexp_f32 v65, v63, 1
	v_mul_f32_e32 v63, v63, v64
	v_mul_f32_e32 v63, v63, v66
	v_add_f32_e32 v64, v65, v63
	v_sub_f32_e32 v65, v64, v65
	v_ldexp_f32 v58, v58, 1
	v_sub_f32_e32 v63, v63, v65
	v_add_f32_e32 v58, v58, v63
	v_add_f32_e32 v63, v64, v58
	v_sub_f32_e32 v64, v63, v64
	v_sub_f32_e32 v58, v58, v64
	v_add_f32_e32 v64, v59, v63
	v_sub_f32_e32 v65, v64, v59
	v_sub_f32_e32 v66, v64, v65
	v_sub_f32_e32 v62, v67, v62
	v_sub_f32_e32 v59, v59, v66
	v_sub_f32_e32 v63, v63, v65
	v_add_f32_e32 v59, v63, v59
	v_add_f32_e32 v63, v62, v58
	v_sub_f32_e32 v65, v63, v62
	v_sub_f32_e32 v66, v63, v65
	;; [unrolled: 1-line block ×4, first 2 shown]
	v_add_f32_e32 v59, v63, v59
	v_add_f32_e32 v58, v58, v62
	;; [unrolled: 1-line block ×3, first 2 shown]
	v_sub_f32_e32 v63, v62, v64
	v_sub_f32_e32 v59, v59, v63
	v_add_f32_e32 v58, v58, v59
	v_add_f32_e32 v58, v62, v58
	v_cmp_neq_f32_e32 vcc, s78, v61
	s_mov_b32 s78, 0x33800000
	v_cndmask_b32_e32 v58, v60, v58, vcc
	v_cmp_lt_f32_e64 vcc, |v61|, s78
	v_cndmask_b32_e32 v58, v58, v61, vcc
	v_add_f32_e32 v17, v17, v58
	v_cvt_f16_f32_e32 v58, v17
.LBB420_171:
	s_or_b64 exec, exec, s[4:5]
	v_and_b32_e32 v17, 0xffff, v58
	v_mov_b32_e32 v64, v58
.LBB420_172:
	s_or_b64 exec, exec, s[74:75]
	s_waitcnt lgkmcnt(0)
	v_mov_b32_e32 v58, 0x80
	v_lshl_or_b32 v58, v18, 2, v58
	ds_bpermute_b32 v17, v58, v17
	v_add_u32_e32 v60, 32, v48
	v_cmp_le_u32_e32 vcc, v60, v14
	s_and_saveexec_b64 s[74:75], vcc
	s_cbranch_execz .LBB420_176
; %bb.173:
	s_waitcnt lgkmcnt(0)
	v_cvt_f32_f16_e32 v14, v17
	v_cvt_f32_f16_e32 v59, v64
	v_cmp_u_f16_e32 vcc, v17, v17
	v_cmp_u_f16_e64 s[4:5], v64, v64
	v_min_f32_e32 v18, v14, v59
	v_max_f32_e32 v61, v14, v59
	v_cndmask_b32_e32 v18, v18, v14, vcc
	v_cndmask_b32_e32 v14, v61, v14, vcc
	v_cndmask_b32_e64 v18, v18, v59, s[4:5]
	v_cndmask_b32_e64 v14, v14, v59, s[4:5]
	s_movk_i32 s4, 0x1f8
	v_cmp_neq_f32_e32 vcc, v18, v14
	v_cmp_class_f32_e64 s[4:5], v18, s4
	s_or_b64 s[78:79], vcc, s[4:5]
	s_and_saveexec_b64 s[4:5], s[78:79]
	s_cbranch_execz .LBB420_175
; %bb.174:
	v_sub_f32_e32 v17, v18, v14
	s_mov_b32 s78, 0x3fb8aa3b
	v_mul_f32_e32 v18, 0x3fb8aa3b, v17
	v_fma_f32 v59, v17, s78, -v18
	v_rndne_f32_e32 v61, v18
	v_fmac_f32_e32 v59, 0x32a5705f, v17
	v_sub_f32_e32 v18, v18, v61
	v_add_f32_e32 v18, v18, v59
	v_exp_f32_e32 v18, v18
	v_cvt_i32_f32_e32 v59, v61
	s_mov_b32 s78, 0xc2ce8ed0
	v_cmp_ngt_f32_e32 vcc, s78, v17
	s_mov_b32 s78, 0x42b17218
	v_ldexp_f32 v18, v18, v59
	v_cndmask_b32_e32 v18, 0, v18, vcc
	v_mov_b32_e32 v59, 0x7f800000
	v_cmp_nlt_f32_e32 vcc, s78, v17
	v_cndmask_b32_e32 v61, v59, v18, vcc
	v_add_f32_e32 v62, 1.0, v61
	v_cvt_f64_f32_e32 v[17:18], v62
	v_add_f32_e32 v63, -1.0, v62
	v_sub_f32_e32 v64, v63, v62
	v_sub_f32_e32 v63, v61, v63
	v_frexp_exp_i32_f64_e32 v17, v[17:18]
	v_add_f32_e32 v18, 1.0, v64
	v_add_f32_e32 v18, v63, v18
	v_frexp_mant_f32_e32 v63, v62
	s_mov_b32 s79, 0x3f2aaaab
	v_cmp_gt_f32_e32 vcc, s79, v63
	s_mov_b32 s79, 0x3f317218
	s_mov_b32 s78, 0x7f800000
	v_subbrev_co_u32_e32 v17, vcc, 0, v17, vcc
	v_sub_u32_e32 v63, 0, v17
	v_ldexp_f32 v62, v62, v63
	v_ldexp_f32 v18, v18, v63
	v_add_f32_e32 v63, -1.0, v62
	v_add_f32_e32 v66, 1.0, v62
	v_add_f32_e32 v64, 1.0, v63
	v_add_f32_e32 v67, -1.0, v66
	v_sub_f32_e32 v64, v62, v64
	v_sub_f32_e32 v62, v62, v67
	v_add_f32_e32 v64, v18, v64
	v_add_f32_e32 v18, v18, v62
	;; [unrolled: 1-line block ×3, first 2 shown]
	v_rcp_f32_e32 v67, v62
	v_add_f32_e32 v65, v63, v64
	v_sub_f32_e32 v63, v63, v65
	v_add_f32_e32 v63, v64, v63
	v_sub_f32_e32 v64, v66, v62
	v_add_f32_e32 v18, v18, v64
	v_mul_f32_e32 v64, v65, v67
	v_mul_f32_e32 v66, v62, v64
	v_fma_f32 v68, v64, v62, -v66
	v_fmac_f32_e32 v68, v64, v18
	v_add_f32_e32 v69, v66, v68
	v_sub_f32_e32 v70, v65, v69
	v_sub_f32_e32 v65, v65, v70
	;; [unrolled: 1-line block ×4, first 2 shown]
	v_add_f32_e32 v63, v63, v65
	v_sub_f32_e32 v65, v66, v68
	v_add_f32_e32 v63, v65, v63
	v_add_f32_e32 v65, v70, v63
	v_mul_f32_e32 v66, v67, v65
	v_mul_f32_e32 v68, v62, v66
	v_fma_f32 v62, v66, v62, -v68
	v_fmac_f32_e32 v62, v66, v18
	v_sub_f32_e32 v18, v70, v65
	v_add_f32_e32 v18, v63, v18
	v_add_f32_e32 v63, v68, v62
	v_sub_f32_e32 v69, v65, v63
	v_sub_f32_e32 v65, v65, v69
	;; [unrolled: 1-line block ×4, first 2 shown]
	v_add_f32_e32 v18, v18, v63
	v_sub_f32_e32 v62, v68, v62
	v_add_f32_e32 v18, v62, v18
	v_add_f32_e32 v62, v64, v66
	;; [unrolled: 1-line block ×3, first 2 shown]
	v_sub_f32_e32 v63, v62, v64
	v_mul_f32_e32 v18, v67, v18
	v_sub_f32_e32 v63, v66, v63
	v_add_f32_e32 v18, v63, v18
	v_cvt_f32_i32_e32 v17, v17
	v_add_f32_e32 v63, v62, v18
	v_mul_f32_e32 v64, v63, v63
	v_mov_b32_e32 v65, 0x3ecc95a3
	v_fmac_f32_e32 v65, 0x3e9b6dac, v64
	v_mov_b32_e32 v66, 0x3f2aaada
	v_fmac_f32_e32 v66, v64, v65
	v_mul_f32_e32 v65, 0x3f317218, v17
	v_fma_f32 v67, v17, s79, -v65
	v_fmac_f32_e32 v67, 0xb102e308, v17
	v_sub_f32_e32 v17, v63, v62
	v_sub_f32_e32 v17, v18, v17
	v_add_f32_e32 v18, v65, v67
	v_sub_f32_e32 v62, v18, v65
	v_ldexp_f32 v65, v63, 1
	v_mul_f32_e32 v63, v63, v64
	v_mul_f32_e32 v63, v63, v66
	v_add_f32_e32 v64, v65, v63
	v_sub_f32_e32 v65, v64, v65
	v_ldexp_f32 v17, v17, 1
	v_sub_f32_e32 v63, v63, v65
	v_add_f32_e32 v17, v17, v63
	v_add_f32_e32 v63, v64, v17
	v_sub_f32_e32 v64, v63, v64
	v_sub_f32_e32 v17, v17, v64
	v_add_f32_e32 v64, v18, v63
	v_sub_f32_e32 v65, v64, v18
	v_sub_f32_e32 v66, v64, v65
	;; [unrolled: 1-line block ×5, first 2 shown]
	v_add_f32_e32 v18, v63, v18
	v_add_f32_e32 v63, v62, v17
	v_sub_f32_e32 v65, v63, v62
	v_sub_f32_e32 v66, v63, v65
	;; [unrolled: 1-line block ×4, first 2 shown]
	v_add_f32_e32 v18, v63, v18
	v_add_f32_e32 v17, v17, v62
	;; [unrolled: 1-line block ×3, first 2 shown]
	v_sub_f32_e32 v63, v62, v64
	v_sub_f32_e32 v18, v18, v63
	v_add_f32_e32 v17, v17, v18
	v_add_f32_e32 v17, v62, v17
	v_cmp_neq_f32_e32 vcc, s78, v61
	s_mov_b32 s78, 0x33800000
	v_cndmask_b32_e32 v17, v59, v17, vcc
	v_cmp_lt_f32_e64 vcc, |v61|, s78
	v_cndmask_b32_e32 v17, v17, v61, vcc
	v_add_f32_e32 v14, v14, v17
	v_cvt_f16_f32_e32 v17, v14
.LBB420_175:
	s_or_b64 exec, exec, s[4:5]
	v_mov_b32_e32 v64, v17
.LBB420_176:
	s_or_b64 exec, exec, s[74:75]
	v_mov_b32_e32 v14, 0
	s_movk_i32 s78, 0x1f8
	s_mov_b32 s79, 0x3fb8aa3b
	s_mov_b32 s84, 0xc2ce8ed0
	;; [unrolled: 1-line block ×5, first 2 shown]
	v_mov_b32_e32 v61, 0x3f2aaada
	s_mov_b32 s88, 0x3f317218
	s_mov_b32 s89, 0x33800000
	v_mov_b32_e32 v62, 2
	v_mov_b32_e32 v63, 0x7f800000
	s_branch .LBB420_179
.LBB420_177:                            ;   in Loop: Header=BB420_179 Depth=1
	s_or_b64 exec, exec, s[4:5]
	v_subrev_u32_e32 v13, 64, v13
	s_mov_b64 s[4:5], 0
.LBB420_178:                            ;   in Loop: Header=BB420_179 Depth=1
	s_and_b64 vcc, exec, s[4:5]
	s_cbranch_vccnz .LBB420_211
.LBB420_179:                            ; =>This Loop Header: Depth=1
                                        ;     Child Loop BB420_182 Depth 2
	v_cmp_ne_u16_sdwa s[4:5], v47, v62 src0_sel:BYTE_0 src1_sel:DWORD
	v_mov_b32_e32 v59, v64
	s_cmp_lg_u64 s[4:5], exec
	s_mov_b64 s[4:5], -1
                                        ; implicit-def: $vgpr64
                                        ; implicit-def: $vgpr47
	s_cbranch_scc1 .LBB420_178
; %bb.180:                              ;   in Loop: Header=BB420_179 Depth=1
	s_waitcnt lgkmcnt(0)
	v_lshlrev_b64 v[17:18], 2, v[13:14]
	v_mov_b32_e32 v47, s81
	v_add_co_u32_e32 v17, vcc, s80, v17
	v_addc_co_u32_e32 v18, vcc, v47, v18, vcc
	global_load_dword v64, v[17:18], off glc
	s_waitcnt vmcnt(0)
	v_lshrrev_b32_e32 v47, 16, v64
	v_cmp_eq_u16_sdwa s[74:75], v47, v14 src0_sel:BYTE_0 src1_sel:DWORD
	s_and_saveexec_b64 s[4:5], s[74:75]
	s_cbranch_execz .LBB420_184
; %bb.181:                              ;   in Loop: Header=BB420_179 Depth=1
	s_mov_b64 s[74:75], 0
.LBB420_182:                            ;   Parent Loop BB420_179 Depth=1
                                        ; =>  This Inner Loop Header: Depth=2
	global_load_dword v64, v[17:18], off glc
	s_waitcnt vmcnt(0)
	v_lshrrev_b32_e32 v47, 16, v64
	v_cmp_ne_u16_sdwa s[90:91], v47, v14 src0_sel:BYTE_0 src1_sel:DWORD
	s_or_b64 s[74:75], s[90:91], s[74:75]
	s_andn2_b64 exec, exec, s[74:75]
	s_cbranch_execnz .LBB420_182
; %bb.183:                              ;   in Loop: Header=BB420_179 Depth=1
	s_or_b64 exec, exec, s[74:75]
.LBB420_184:                            ;   in Loop: Header=BB420_179 Depth=1
	s_or_b64 exec, exec, s[4:5]
	v_cmp_eq_u16_sdwa s[4:5], v47, v62 src0_sel:BYTE_0 src1_sel:DWORD
	v_and_b32_e32 v17, s5, v16
	v_and_b32_e32 v18, 0xffff, v64
	v_or_b32_e32 v17, 0x80000000, v17
	ds_bpermute_b32 v65, v49, v18
	v_and_b32_e32 v66, s4, v15
	v_ffbl_b32_e32 v17, v17
	v_add_u32_e32 v17, 32, v17
	v_ffbl_b32_e32 v66, v66
	v_min_u32_e32 v17, v66, v17
	v_cmp_lt_u32_e32 vcc, v48, v17
	s_and_saveexec_b64 s[74:75], vcc
	s_cbranch_execz .LBB420_188
; %bb.185:                              ;   in Loop: Header=BB420_179 Depth=1
	s_waitcnt lgkmcnt(0)
	v_cvt_f32_f16_e32 v18, v65
	v_cvt_f32_f16_e32 v66, v64
	v_cmp_u_f16_e32 vcc, v65, v65
	v_cmp_u_f16_e64 s[4:5], v64, v64
	v_min_f32_e32 v67, v18, v66
	v_cndmask_b32_e32 v67, v67, v18, vcc
	v_cndmask_b32_e64 v64, v67, v66, s[4:5]
	v_max_f32_e32 v67, v18, v66
	v_cndmask_b32_e32 v18, v67, v18, vcc
	v_cndmask_b32_e64 v18, v18, v66, s[4:5]
	v_cmp_neq_f32_e32 vcc, v64, v18
	v_cmp_class_f32_e64 s[4:5], v64, s78
	s_or_b64 s[90:91], vcc, s[4:5]
	s_and_saveexec_b64 s[4:5], s[90:91]
	s_cbranch_execz .LBB420_187
; %bb.186:                              ;   in Loop: Header=BB420_179 Depth=1
	v_sub_f32_e32 v64, v64, v18
	v_mul_f32_e32 v65, 0x3fb8aa3b, v64
	v_fma_f32 v66, v64, s79, -v65
	v_rndne_f32_e32 v67, v65
	v_fmac_f32_e32 v66, 0x32a5705f, v64
	v_sub_f32_e32 v65, v65, v67
	v_add_f32_e32 v65, v65, v66
	v_cvt_i32_f32_e32 v66, v67
	v_exp_f32_e32 v65, v65
	v_cmp_ngt_f32_e32 vcc, s84, v64
	v_ldexp_f32 v65, v65, v66
	v_cndmask_b32_e32 v65, 0, v65, vcc
	v_cmp_nlt_f32_e32 vcc, s85, v64
	v_cndmask_b32_e32 v66, v63, v65, vcc
	v_add_f32_e32 v67, 1.0, v66
	v_cvt_f64_f32_e32 v[64:65], v67
	v_add_f32_e32 v68, -1.0, v67
	v_sub_f32_e32 v69, v68, v67
	v_sub_f32_e32 v68, v66, v68
	v_frexp_exp_i32_f64_e32 v64, v[64:65]
	v_frexp_mant_f32_e32 v65, v67
	v_cmp_gt_f32_e32 vcc, s87, v65
	v_add_f32_e32 v69, 1.0, v69
	v_add_f32_e32 v68, v68, v69
	v_subbrev_co_u32_e32 v64, vcc, 0, v64, vcc
	v_sub_u32_e32 v65, 0, v64
	v_ldexp_f32 v67, v67, v65
	v_ldexp_f32 v65, v68, v65
	v_add_f32_e32 v68, -1.0, v67
	v_add_f32_e32 v71, 1.0, v67
	v_add_f32_e32 v69, 1.0, v68
	v_add_f32_e32 v72, -1.0, v71
	v_sub_f32_e32 v69, v67, v69
	v_sub_f32_e32 v67, v67, v72
	v_add_f32_e32 v69, v65, v69
	v_add_f32_e32 v65, v65, v67
	;; [unrolled: 1-line block ×3, first 2 shown]
	v_rcp_f32_e32 v72, v67
	v_add_f32_e32 v70, v68, v69
	v_sub_f32_e32 v68, v68, v70
	v_add_f32_e32 v68, v69, v68
	v_sub_f32_e32 v69, v71, v67
	v_add_f32_e32 v65, v65, v69
	v_mul_f32_e32 v69, v70, v72
	v_mul_f32_e32 v71, v67, v69
	v_fma_f32 v73, v69, v67, -v71
	v_fmac_f32_e32 v73, v69, v65
	v_add_f32_e32 v74, v71, v73
	v_sub_f32_e32 v75, v70, v74
	v_sub_f32_e32 v70, v70, v75
	;; [unrolled: 1-line block ×4, first 2 shown]
	v_add_f32_e32 v68, v68, v70
	v_sub_f32_e32 v70, v71, v73
	v_add_f32_e32 v68, v70, v68
	v_add_f32_e32 v70, v75, v68
	v_mul_f32_e32 v71, v72, v70
	v_mul_f32_e32 v73, v67, v71
	v_fma_f32 v67, v71, v67, -v73
	v_fmac_f32_e32 v67, v71, v65
	v_sub_f32_e32 v65, v75, v70
	v_add_f32_e32 v65, v68, v65
	v_add_f32_e32 v68, v73, v67
	v_sub_f32_e32 v74, v70, v68
	v_sub_f32_e32 v70, v70, v74
	;; [unrolled: 1-line block ×4, first 2 shown]
	v_add_f32_e32 v65, v65, v68
	v_sub_f32_e32 v67, v73, v67
	v_cvt_f32_i32_e32 v64, v64
	v_add_f32_e32 v65, v67, v65
	v_add_f32_e32 v67, v69, v71
	v_add_f32_e32 v65, v74, v65
	v_sub_f32_e32 v68, v67, v69
	v_mul_f32_e32 v65, v72, v65
	v_sub_f32_e32 v68, v71, v68
	v_add_f32_e32 v65, v68, v65
	v_mul_f32_e32 v71, 0x3f317218, v64
	v_add_f32_e32 v68, v67, v65
	v_fma_f32 v72, v64, s88, -v71
	v_mul_f32_e32 v69, v68, v68
	v_mov_b32_e32 v70, 0x3ecc95a3
	v_fmac_f32_e32 v72, 0xb102e308, v64
	v_sub_f32_e32 v64, v68, v67
	v_fmac_f32_e32 v70, 0x3e9b6dac, v69
	v_sub_f32_e32 v64, v65, v64
	v_add_f32_e32 v65, v71, v72
	v_fma_f32 v70, v69, v70, v61
	v_sub_f32_e32 v67, v65, v71
	v_ldexp_f32 v71, v68, 1
	v_mul_f32_e32 v68, v68, v69
	v_mul_f32_e32 v68, v68, v70
	v_add_f32_e32 v69, v71, v68
	v_sub_f32_e32 v70, v69, v71
	v_ldexp_f32 v64, v64, 1
	v_sub_f32_e32 v68, v68, v70
	v_add_f32_e32 v64, v64, v68
	v_add_f32_e32 v68, v69, v64
	v_sub_f32_e32 v69, v68, v69
	v_sub_f32_e32 v64, v64, v69
	v_add_f32_e32 v69, v65, v68
	v_sub_f32_e32 v70, v69, v65
	v_sub_f32_e32 v71, v69, v70
	v_sub_f32_e32 v67, v72, v67
	v_sub_f32_e32 v65, v65, v71
	v_sub_f32_e32 v68, v68, v70
	v_add_f32_e32 v65, v68, v65
	v_add_f32_e32 v68, v67, v64
	v_sub_f32_e32 v70, v68, v67
	v_sub_f32_e32 v71, v68, v70
	;; [unrolled: 1-line block ×4, first 2 shown]
	v_add_f32_e32 v65, v68, v65
	v_add_f32_e32 v64, v64, v67
	v_add_f32_e32 v67, v69, v65
	v_sub_f32_e32 v68, v67, v69
	v_sub_f32_e32 v65, v65, v68
	v_add_f32_e32 v64, v64, v65
	v_add_f32_e32 v64, v67, v64
	v_cmp_neq_f32_e32 vcc, s86, v66
	v_cndmask_b32_e32 v64, v63, v64, vcc
	v_cmp_lt_f32_e64 vcc, |v66|, s89
	v_cndmask_b32_e32 v64, v64, v66, vcc
	v_add_f32_e32 v18, v18, v64
	v_cvt_f16_f32_e32 v65, v18
.LBB420_187:                            ;   in Loop: Header=BB420_179 Depth=1
	s_or_b64 exec, exec, s[4:5]
	v_and_b32_e32 v18, 0xffff, v65
	v_mov_b32_e32 v64, v65
.LBB420_188:                            ;   in Loop: Header=BB420_179 Depth=1
	s_or_b64 exec, exec, s[74:75]
	s_waitcnt lgkmcnt(0)
	ds_bpermute_b32 v65, v50, v18
	v_cmp_le_u32_e32 vcc, v51, v17
	s_and_saveexec_b64 s[74:75], vcc
	s_cbranch_execz .LBB420_192
; %bb.189:                              ;   in Loop: Header=BB420_179 Depth=1
	s_waitcnt lgkmcnt(0)
	v_cvt_f32_f16_e32 v18, v65
	v_cvt_f32_f16_e32 v66, v64
	v_cmp_u_f16_e32 vcc, v65, v65
	v_cmp_u_f16_e64 s[4:5], v64, v64
	v_min_f32_e32 v67, v18, v66
	v_cndmask_b32_e32 v67, v67, v18, vcc
	v_cndmask_b32_e64 v64, v67, v66, s[4:5]
	v_max_f32_e32 v67, v18, v66
	v_cndmask_b32_e32 v18, v67, v18, vcc
	v_cndmask_b32_e64 v18, v18, v66, s[4:5]
	v_cmp_neq_f32_e32 vcc, v64, v18
	v_cmp_class_f32_e64 s[4:5], v64, s78
	s_or_b64 s[90:91], vcc, s[4:5]
	s_and_saveexec_b64 s[4:5], s[90:91]
	s_cbranch_execz .LBB420_191
; %bb.190:                              ;   in Loop: Header=BB420_179 Depth=1
	v_sub_f32_e32 v64, v64, v18
	v_mul_f32_e32 v65, 0x3fb8aa3b, v64
	v_fma_f32 v66, v64, s79, -v65
	v_rndne_f32_e32 v67, v65
	v_fmac_f32_e32 v66, 0x32a5705f, v64
	v_sub_f32_e32 v65, v65, v67
	v_add_f32_e32 v65, v65, v66
	v_cvt_i32_f32_e32 v66, v67
	v_exp_f32_e32 v65, v65
	v_cmp_ngt_f32_e32 vcc, s84, v64
	v_ldexp_f32 v65, v65, v66
	v_cndmask_b32_e32 v65, 0, v65, vcc
	v_cmp_nlt_f32_e32 vcc, s85, v64
	v_cndmask_b32_e32 v66, v63, v65, vcc
	v_add_f32_e32 v67, 1.0, v66
	v_cvt_f64_f32_e32 v[64:65], v67
	v_add_f32_e32 v68, -1.0, v67
	v_sub_f32_e32 v69, v68, v67
	v_sub_f32_e32 v68, v66, v68
	v_frexp_exp_i32_f64_e32 v64, v[64:65]
	v_frexp_mant_f32_e32 v65, v67
	v_cmp_gt_f32_e32 vcc, s87, v65
	v_add_f32_e32 v69, 1.0, v69
	v_add_f32_e32 v68, v68, v69
	v_subbrev_co_u32_e32 v64, vcc, 0, v64, vcc
	v_sub_u32_e32 v65, 0, v64
	v_ldexp_f32 v67, v67, v65
	v_ldexp_f32 v65, v68, v65
	v_add_f32_e32 v68, -1.0, v67
	v_add_f32_e32 v71, 1.0, v67
	v_add_f32_e32 v69, 1.0, v68
	v_add_f32_e32 v72, -1.0, v71
	v_sub_f32_e32 v69, v67, v69
	v_sub_f32_e32 v67, v67, v72
	v_add_f32_e32 v69, v65, v69
	v_add_f32_e32 v65, v65, v67
	;; [unrolled: 1-line block ×3, first 2 shown]
	v_rcp_f32_e32 v72, v67
	v_add_f32_e32 v70, v68, v69
	v_sub_f32_e32 v68, v68, v70
	v_add_f32_e32 v68, v69, v68
	v_sub_f32_e32 v69, v71, v67
	v_add_f32_e32 v65, v65, v69
	v_mul_f32_e32 v69, v70, v72
	v_mul_f32_e32 v71, v67, v69
	v_fma_f32 v73, v69, v67, -v71
	v_fmac_f32_e32 v73, v69, v65
	v_add_f32_e32 v74, v71, v73
	v_sub_f32_e32 v75, v70, v74
	v_sub_f32_e32 v70, v70, v75
	v_sub_f32_e32 v71, v74, v71
	v_sub_f32_e32 v70, v70, v74
	v_add_f32_e32 v68, v68, v70
	v_sub_f32_e32 v70, v71, v73
	v_add_f32_e32 v68, v70, v68
	v_add_f32_e32 v70, v75, v68
	v_mul_f32_e32 v71, v72, v70
	v_mul_f32_e32 v73, v67, v71
	v_fma_f32 v67, v71, v67, -v73
	v_fmac_f32_e32 v67, v71, v65
	v_sub_f32_e32 v65, v75, v70
	v_add_f32_e32 v65, v68, v65
	v_add_f32_e32 v68, v73, v67
	v_sub_f32_e32 v74, v70, v68
	v_sub_f32_e32 v70, v70, v74
	;; [unrolled: 1-line block ×4, first 2 shown]
	v_add_f32_e32 v65, v65, v68
	v_sub_f32_e32 v67, v73, v67
	v_cvt_f32_i32_e32 v64, v64
	v_add_f32_e32 v65, v67, v65
	v_add_f32_e32 v67, v69, v71
	;; [unrolled: 1-line block ×3, first 2 shown]
	v_sub_f32_e32 v68, v67, v69
	v_mul_f32_e32 v65, v72, v65
	v_sub_f32_e32 v68, v71, v68
	v_add_f32_e32 v65, v68, v65
	v_mul_f32_e32 v71, 0x3f317218, v64
	v_add_f32_e32 v68, v67, v65
	v_fma_f32 v72, v64, s88, -v71
	v_mul_f32_e32 v69, v68, v68
	v_mov_b32_e32 v70, 0x3ecc95a3
	v_fmac_f32_e32 v72, 0xb102e308, v64
	v_sub_f32_e32 v64, v68, v67
	v_fmac_f32_e32 v70, 0x3e9b6dac, v69
	v_sub_f32_e32 v64, v65, v64
	v_add_f32_e32 v65, v71, v72
	v_fma_f32 v70, v69, v70, v61
	v_sub_f32_e32 v67, v65, v71
	v_ldexp_f32 v71, v68, 1
	v_mul_f32_e32 v68, v68, v69
	v_mul_f32_e32 v68, v68, v70
	v_add_f32_e32 v69, v71, v68
	v_sub_f32_e32 v70, v69, v71
	v_ldexp_f32 v64, v64, 1
	v_sub_f32_e32 v68, v68, v70
	v_add_f32_e32 v64, v64, v68
	v_add_f32_e32 v68, v69, v64
	v_sub_f32_e32 v69, v68, v69
	v_sub_f32_e32 v64, v64, v69
	v_add_f32_e32 v69, v65, v68
	v_sub_f32_e32 v70, v69, v65
	v_sub_f32_e32 v71, v69, v70
	v_sub_f32_e32 v67, v72, v67
	v_sub_f32_e32 v65, v65, v71
	v_sub_f32_e32 v68, v68, v70
	v_add_f32_e32 v65, v68, v65
	v_add_f32_e32 v68, v67, v64
	v_sub_f32_e32 v70, v68, v67
	v_sub_f32_e32 v71, v68, v70
	;; [unrolled: 1-line block ×4, first 2 shown]
	v_add_f32_e32 v65, v68, v65
	v_add_f32_e32 v64, v64, v67
	v_add_f32_e32 v67, v69, v65
	v_sub_f32_e32 v68, v67, v69
	v_sub_f32_e32 v65, v65, v68
	v_add_f32_e32 v64, v64, v65
	v_add_f32_e32 v64, v67, v64
	v_cmp_neq_f32_e32 vcc, s86, v66
	v_cndmask_b32_e32 v64, v63, v64, vcc
	v_cmp_lt_f32_e64 vcc, |v66|, s89
	v_cndmask_b32_e32 v64, v64, v66, vcc
	v_add_f32_e32 v18, v18, v64
	v_cvt_f16_f32_e32 v65, v18
.LBB420_191:                            ;   in Loop: Header=BB420_179 Depth=1
	s_or_b64 exec, exec, s[4:5]
	v_and_b32_e32 v18, 0xffff, v65
	v_mov_b32_e32 v64, v65
.LBB420_192:                            ;   in Loop: Header=BB420_179 Depth=1
	s_or_b64 exec, exec, s[74:75]
	s_waitcnt lgkmcnt(0)
	ds_bpermute_b32 v65, v52, v18
	v_cmp_le_u32_e32 vcc, v53, v17
	s_and_saveexec_b64 s[74:75], vcc
	s_cbranch_execz .LBB420_196
; %bb.193:                              ;   in Loop: Header=BB420_179 Depth=1
	s_waitcnt lgkmcnt(0)
	v_cvt_f32_f16_e32 v18, v65
	v_cvt_f32_f16_e32 v66, v64
	v_cmp_u_f16_e32 vcc, v65, v65
	v_cmp_u_f16_e64 s[4:5], v64, v64
	v_min_f32_e32 v67, v18, v66
	v_cndmask_b32_e32 v67, v67, v18, vcc
	v_cndmask_b32_e64 v64, v67, v66, s[4:5]
	v_max_f32_e32 v67, v18, v66
	v_cndmask_b32_e32 v18, v67, v18, vcc
	v_cndmask_b32_e64 v18, v18, v66, s[4:5]
	v_cmp_neq_f32_e32 vcc, v64, v18
	v_cmp_class_f32_e64 s[4:5], v64, s78
	s_or_b64 s[90:91], vcc, s[4:5]
	s_and_saveexec_b64 s[4:5], s[90:91]
	s_cbranch_execz .LBB420_195
; %bb.194:                              ;   in Loop: Header=BB420_179 Depth=1
	v_sub_f32_e32 v64, v64, v18
	v_mul_f32_e32 v65, 0x3fb8aa3b, v64
	v_fma_f32 v66, v64, s79, -v65
	v_rndne_f32_e32 v67, v65
	v_fmac_f32_e32 v66, 0x32a5705f, v64
	v_sub_f32_e32 v65, v65, v67
	v_add_f32_e32 v65, v65, v66
	v_cvt_i32_f32_e32 v66, v67
	v_exp_f32_e32 v65, v65
	v_cmp_ngt_f32_e32 vcc, s84, v64
	v_ldexp_f32 v65, v65, v66
	v_cndmask_b32_e32 v65, 0, v65, vcc
	v_cmp_nlt_f32_e32 vcc, s85, v64
	v_cndmask_b32_e32 v66, v63, v65, vcc
	v_add_f32_e32 v67, 1.0, v66
	v_cvt_f64_f32_e32 v[64:65], v67
	v_add_f32_e32 v68, -1.0, v67
	v_sub_f32_e32 v69, v68, v67
	v_sub_f32_e32 v68, v66, v68
	v_frexp_exp_i32_f64_e32 v64, v[64:65]
	v_frexp_mant_f32_e32 v65, v67
	v_cmp_gt_f32_e32 vcc, s87, v65
	v_add_f32_e32 v69, 1.0, v69
	v_add_f32_e32 v68, v68, v69
	v_subbrev_co_u32_e32 v64, vcc, 0, v64, vcc
	v_sub_u32_e32 v65, 0, v64
	v_ldexp_f32 v67, v67, v65
	v_ldexp_f32 v65, v68, v65
	v_add_f32_e32 v68, -1.0, v67
	v_add_f32_e32 v71, 1.0, v67
	v_add_f32_e32 v69, 1.0, v68
	v_add_f32_e32 v72, -1.0, v71
	v_sub_f32_e32 v69, v67, v69
	v_sub_f32_e32 v67, v67, v72
	v_add_f32_e32 v69, v65, v69
	v_add_f32_e32 v65, v65, v67
	;; [unrolled: 1-line block ×3, first 2 shown]
	v_rcp_f32_e32 v72, v67
	v_add_f32_e32 v70, v68, v69
	v_sub_f32_e32 v68, v68, v70
	v_add_f32_e32 v68, v69, v68
	v_sub_f32_e32 v69, v71, v67
	v_add_f32_e32 v65, v65, v69
	v_mul_f32_e32 v69, v70, v72
	v_mul_f32_e32 v71, v67, v69
	v_fma_f32 v73, v69, v67, -v71
	v_fmac_f32_e32 v73, v69, v65
	v_add_f32_e32 v74, v71, v73
	v_sub_f32_e32 v75, v70, v74
	v_sub_f32_e32 v70, v70, v75
	;; [unrolled: 1-line block ×4, first 2 shown]
	v_add_f32_e32 v68, v68, v70
	v_sub_f32_e32 v70, v71, v73
	v_add_f32_e32 v68, v70, v68
	v_add_f32_e32 v70, v75, v68
	v_mul_f32_e32 v71, v72, v70
	v_mul_f32_e32 v73, v67, v71
	v_fma_f32 v67, v71, v67, -v73
	v_fmac_f32_e32 v67, v71, v65
	v_sub_f32_e32 v65, v75, v70
	v_add_f32_e32 v65, v68, v65
	v_add_f32_e32 v68, v73, v67
	v_sub_f32_e32 v74, v70, v68
	v_sub_f32_e32 v70, v70, v74
	v_sub_f32_e32 v73, v68, v73
	v_sub_f32_e32 v68, v70, v68
	v_add_f32_e32 v65, v65, v68
	v_sub_f32_e32 v67, v73, v67
	v_cvt_f32_i32_e32 v64, v64
	v_add_f32_e32 v65, v67, v65
	v_add_f32_e32 v67, v69, v71
	;; [unrolled: 1-line block ×3, first 2 shown]
	v_sub_f32_e32 v68, v67, v69
	v_mul_f32_e32 v65, v72, v65
	v_sub_f32_e32 v68, v71, v68
	v_add_f32_e32 v65, v68, v65
	v_mul_f32_e32 v71, 0x3f317218, v64
	v_add_f32_e32 v68, v67, v65
	v_fma_f32 v72, v64, s88, -v71
	v_mul_f32_e32 v69, v68, v68
	v_mov_b32_e32 v70, 0x3ecc95a3
	v_fmac_f32_e32 v72, 0xb102e308, v64
	v_sub_f32_e32 v64, v68, v67
	v_fmac_f32_e32 v70, 0x3e9b6dac, v69
	v_sub_f32_e32 v64, v65, v64
	v_add_f32_e32 v65, v71, v72
	v_fma_f32 v70, v69, v70, v61
	v_sub_f32_e32 v67, v65, v71
	v_ldexp_f32 v71, v68, 1
	v_mul_f32_e32 v68, v68, v69
	v_mul_f32_e32 v68, v68, v70
	v_add_f32_e32 v69, v71, v68
	v_sub_f32_e32 v70, v69, v71
	v_ldexp_f32 v64, v64, 1
	v_sub_f32_e32 v68, v68, v70
	v_add_f32_e32 v64, v64, v68
	v_add_f32_e32 v68, v69, v64
	v_sub_f32_e32 v69, v68, v69
	v_sub_f32_e32 v64, v64, v69
	v_add_f32_e32 v69, v65, v68
	v_sub_f32_e32 v70, v69, v65
	v_sub_f32_e32 v71, v69, v70
	;; [unrolled: 1-line block ×5, first 2 shown]
	v_add_f32_e32 v65, v68, v65
	v_add_f32_e32 v68, v67, v64
	v_sub_f32_e32 v70, v68, v67
	v_sub_f32_e32 v71, v68, v70
	;; [unrolled: 1-line block ×4, first 2 shown]
	v_add_f32_e32 v65, v68, v65
	v_add_f32_e32 v64, v64, v67
	;; [unrolled: 1-line block ×3, first 2 shown]
	v_sub_f32_e32 v68, v67, v69
	v_sub_f32_e32 v65, v65, v68
	v_add_f32_e32 v64, v64, v65
	v_add_f32_e32 v64, v67, v64
	v_cmp_neq_f32_e32 vcc, s86, v66
	v_cndmask_b32_e32 v64, v63, v64, vcc
	v_cmp_lt_f32_e64 vcc, |v66|, s89
	v_cndmask_b32_e32 v64, v64, v66, vcc
	v_add_f32_e32 v18, v18, v64
	v_cvt_f16_f32_e32 v65, v18
.LBB420_195:                            ;   in Loop: Header=BB420_179 Depth=1
	s_or_b64 exec, exec, s[4:5]
	v_and_b32_e32 v18, 0xffff, v65
	v_mov_b32_e32 v64, v65
.LBB420_196:                            ;   in Loop: Header=BB420_179 Depth=1
	s_or_b64 exec, exec, s[74:75]
	s_waitcnt lgkmcnt(0)
	ds_bpermute_b32 v65, v54, v18
	v_cmp_le_u32_e32 vcc, v55, v17
	s_and_saveexec_b64 s[74:75], vcc
	s_cbranch_execz .LBB420_200
; %bb.197:                              ;   in Loop: Header=BB420_179 Depth=1
	s_waitcnt lgkmcnt(0)
	v_cvt_f32_f16_e32 v18, v65
	v_cvt_f32_f16_e32 v66, v64
	v_cmp_u_f16_e32 vcc, v65, v65
	v_cmp_u_f16_e64 s[4:5], v64, v64
	v_min_f32_e32 v67, v18, v66
	v_cndmask_b32_e32 v67, v67, v18, vcc
	v_cndmask_b32_e64 v64, v67, v66, s[4:5]
	v_max_f32_e32 v67, v18, v66
	v_cndmask_b32_e32 v18, v67, v18, vcc
	v_cndmask_b32_e64 v18, v18, v66, s[4:5]
	v_cmp_neq_f32_e32 vcc, v64, v18
	v_cmp_class_f32_e64 s[4:5], v64, s78
	s_or_b64 s[90:91], vcc, s[4:5]
	s_and_saveexec_b64 s[4:5], s[90:91]
	s_cbranch_execz .LBB420_199
; %bb.198:                              ;   in Loop: Header=BB420_179 Depth=1
	v_sub_f32_e32 v64, v64, v18
	v_mul_f32_e32 v65, 0x3fb8aa3b, v64
	v_fma_f32 v66, v64, s79, -v65
	v_rndne_f32_e32 v67, v65
	v_fmac_f32_e32 v66, 0x32a5705f, v64
	v_sub_f32_e32 v65, v65, v67
	v_add_f32_e32 v65, v65, v66
	v_cvt_i32_f32_e32 v66, v67
	v_exp_f32_e32 v65, v65
	v_cmp_ngt_f32_e32 vcc, s84, v64
	v_ldexp_f32 v65, v65, v66
	v_cndmask_b32_e32 v65, 0, v65, vcc
	v_cmp_nlt_f32_e32 vcc, s85, v64
	v_cndmask_b32_e32 v66, v63, v65, vcc
	v_add_f32_e32 v67, 1.0, v66
	v_cvt_f64_f32_e32 v[64:65], v67
	v_add_f32_e32 v68, -1.0, v67
	v_sub_f32_e32 v69, v68, v67
	v_sub_f32_e32 v68, v66, v68
	v_frexp_exp_i32_f64_e32 v64, v[64:65]
	v_frexp_mant_f32_e32 v65, v67
	v_cmp_gt_f32_e32 vcc, s87, v65
	v_add_f32_e32 v69, 1.0, v69
	v_add_f32_e32 v68, v68, v69
	v_subbrev_co_u32_e32 v64, vcc, 0, v64, vcc
	v_sub_u32_e32 v65, 0, v64
	v_ldexp_f32 v67, v67, v65
	v_ldexp_f32 v65, v68, v65
	v_add_f32_e32 v68, -1.0, v67
	v_add_f32_e32 v71, 1.0, v67
	v_add_f32_e32 v69, 1.0, v68
	v_add_f32_e32 v72, -1.0, v71
	v_sub_f32_e32 v69, v67, v69
	v_sub_f32_e32 v67, v67, v72
	v_add_f32_e32 v69, v65, v69
	v_add_f32_e32 v65, v65, v67
	;; [unrolled: 1-line block ×3, first 2 shown]
	v_rcp_f32_e32 v72, v67
	v_add_f32_e32 v70, v68, v69
	v_sub_f32_e32 v68, v68, v70
	v_add_f32_e32 v68, v69, v68
	v_sub_f32_e32 v69, v71, v67
	v_add_f32_e32 v65, v65, v69
	v_mul_f32_e32 v69, v70, v72
	v_mul_f32_e32 v71, v67, v69
	v_fma_f32 v73, v69, v67, -v71
	v_fmac_f32_e32 v73, v69, v65
	v_add_f32_e32 v74, v71, v73
	v_sub_f32_e32 v75, v70, v74
	v_sub_f32_e32 v70, v70, v75
	;; [unrolled: 1-line block ×4, first 2 shown]
	v_add_f32_e32 v68, v68, v70
	v_sub_f32_e32 v70, v71, v73
	v_add_f32_e32 v68, v70, v68
	v_add_f32_e32 v70, v75, v68
	v_mul_f32_e32 v71, v72, v70
	v_mul_f32_e32 v73, v67, v71
	v_fma_f32 v67, v71, v67, -v73
	v_fmac_f32_e32 v67, v71, v65
	v_sub_f32_e32 v65, v75, v70
	v_add_f32_e32 v65, v68, v65
	v_add_f32_e32 v68, v73, v67
	v_sub_f32_e32 v74, v70, v68
	v_sub_f32_e32 v70, v70, v74
	v_sub_f32_e32 v73, v68, v73
	v_sub_f32_e32 v68, v70, v68
	v_add_f32_e32 v65, v65, v68
	v_sub_f32_e32 v67, v73, v67
	v_cvt_f32_i32_e32 v64, v64
	v_add_f32_e32 v65, v67, v65
	v_add_f32_e32 v67, v69, v71
	;; [unrolled: 1-line block ×3, first 2 shown]
	v_sub_f32_e32 v68, v67, v69
	v_mul_f32_e32 v65, v72, v65
	v_sub_f32_e32 v68, v71, v68
	v_add_f32_e32 v65, v68, v65
	v_mul_f32_e32 v71, 0x3f317218, v64
	v_add_f32_e32 v68, v67, v65
	v_fma_f32 v72, v64, s88, -v71
	v_mul_f32_e32 v69, v68, v68
	v_mov_b32_e32 v70, 0x3ecc95a3
	v_fmac_f32_e32 v72, 0xb102e308, v64
	v_sub_f32_e32 v64, v68, v67
	v_fmac_f32_e32 v70, 0x3e9b6dac, v69
	v_sub_f32_e32 v64, v65, v64
	v_add_f32_e32 v65, v71, v72
	v_fma_f32 v70, v69, v70, v61
	v_sub_f32_e32 v67, v65, v71
	v_ldexp_f32 v71, v68, 1
	v_mul_f32_e32 v68, v68, v69
	v_mul_f32_e32 v68, v68, v70
	v_add_f32_e32 v69, v71, v68
	v_sub_f32_e32 v70, v69, v71
	v_ldexp_f32 v64, v64, 1
	v_sub_f32_e32 v68, v68, v70
	v_add_f32_e32 v64, v64, v68
	v_add_f32_e32 v68, v69, v64
	v_sub_f32_e32 v69, v68, v69
	v_sub_f32_e32 v64, v64, v69
	v_add_f32_e32 v69, v65, v68
	v_sub_f32_e32 v70, v69, v65
	v_sub_f32_e32 v71, v69, v70
	;; [unrolled: 1-line block ×5, first 2 shown]
	v_add_f32_e32 v65, v68, v65
	v_add_f32_e32 v68, v67, v64
	v_sub_f32_e32 v70, v68, v67
	v_sub_f32_e32 v71, v68, v70
	;; [unrolled: 1-line block ×4, first 2 shown]
	v_add_f32_e32 v65, v68, v65
	v_add_f32_e32 v64, v64, v67
	v_add_f32_e32 v67, v69, v65
	v_sub_f32_e32 v68, v67, v69
	v_sub_f32_e32 v65, v65, v68
	v_add_f32_e32 v64, v64, v65
	v_add_f32_e32 v64, v67, v64
	v_cmp_neq_f32_e32 vcc, s86, v66
	v_cndmask_b32_e32 v64, v63, v64, vcc
	v_cmp_lt_f32_e64 vcc, |v66|, s89
	v_cndmask_b32_e32 v64, v64, v66, vcc
	v_add_f32_e32 v18, v18, v64
	v_cvt_f16_f32_e32 v65, v18
.LBB420_199:                            ;   in Loop: Header=BB420_179 Depth=1
	s_or_b64 exec, exec, s[4:5]
	v_and_b32_e32 v18, 0xffff, v65
	v_mov_b32_e32 v64, v65
.LBB420_200:                            ;   in Loop: Header=BB420_179 Depth=1
	s_or_b64 exec, exec, s[74:75]
	s_waitcnt lgkmcnt(0)
	ds_bpermute_b32 v65, v56, v18
	v_cmp_le_u32_e32 vcc, v57, v17
	s_and_saveexec_b64 s[74:75], vcc
	s_cbranch_execz .LBB420_204
; %bb.201:                              ;   in Loop: Header=BB420_179 Depth=1
	s_waitcnt lgkmcnt(0)
	v_cvt_f32_f16_e32 v18, v65
	v_cvt_f32_f16_e32 v66, v64
	v_cmp_u_f16_e32 vcc, v65, v65
	v_cmp_u_f16_e64 s[4:5], v64, v64
	v_min_f32_e32 v67, v18, v66
	v_cndmask_b32_e32 v67, v67, v18, vcc
	v_cndmask_b32_e64 v64, v67, v66, s[4:5]
	v_max_f32_e32 v67, v18, v66
	v_cndmask_b32_e32 v18, v67, v18, vcc
	v_cndmask_b32_e64 v18, v18, v66, s[4:5]
	v_cmp_neq_f32_e32 vcc, v64, v18
	v_cmp_class_f32_e64 s[4:5], v64, s78
	s_or_b64 s[90:91], vcc, s[4:5]
	s_and_saveexec_b64 s[4:5], s[90:91]
	s_cbranch_execz .LBB420_203
; %bb.202:                              ;   in Loop: Header=BB420_179 Depth=1
	v_sub_f32_e32 v64, v64, v18
	v_mul_f32_e32 v65, 0x3fb8aa3b, v64
	v_fma_f32 v66, v64, s79, -v65
	v_rndne_f32_e32 v67, v65
	v_fmac_f32_e32 v66, 0x32a5705f, v64
	v_sub_f32_e32 v65, v65, v67
	v_add_f32_e32 v65, v65, v66
	v_cvt_i32_f32_e32 v66, v67
	v_exp_f32_e32 v65, v65
	v_cmp_ngt_f32_e32 vcc, s84, v64
	v_ldexp_f32 v65, v65, v66
	v_cndmask_b32_e32 v65, 0, v65, vcc
	v_cmp_nlt_f32_e32 vcc, s85, v64
	v_cndmask_b32_e32 v66, v63, v65, vcc
	v_add_f32_e32 v67, 1.0, v66
	v_cvt_f64_f32_e32 v[64:65], v67
	v_add_f32_e32 v68, -1.0, v67
	v_sub_f32_e32 v69, v68, v67
	v_sub_f32_e32 v68, v66, v68
	v_frexp_exp_i32_f64_e32 v64, v[64:65]
	v_frexp_mant_f32_e32 v65, v67
	v_cmp_gt_f32_e32 vcc, s87, v65
	v_add_f32_e32 v69, 1.0, v69
	v_add_f32_e32 v68, v68, v69
	v_subbrev_co_u32_e32 v64, vcc, 0, v64, vcc
	v_sub_u32_e32 v65, 0, v64
	v_ldexp_f32 v67, v67, v65
	v_ldexp_f32 v65, v68, v65
	v_add_f32_e32 v68, -1.0, v67
	v_add_f32_e32 v71, 1.0, v67
	v_add_f32_e32 v69, 1.0, v68
	v_add_f32_e32 v72, -1.0, v71
	v_sub_f32_e32 v69, v67, v69
	v_sub_f32_e32 v67, v67, v72
	v_add_f32_e32 v69, v65, v69
	v_add_f32_e32 v65, v65, v67
	;; [unrolled: 1-line block ×3, first 2 shown]
	v_rcp_f32_e32 v72, v67
	v_add_f32_e32 v70, v68, v69
	v_sub_f32_e32 v68, v68, v70
	v_add_f32_e32 v68, v69, v68
	v_sub_f32_e32 v69, v71, v67
	v_add_f32_e32 v65, v65, v69
	v_mul_f32_e32 v69, v70, v72
	v_mul_f32_e32 v71, v67, v69
	v_fma_f32 v73, v69, v67, -v71
	v_fmac_f32_e32 v73, v69, v65
	v_add_f32_e32 v74, v71, v73
	v_sub_f32_e32 v75, v70, v74
	v_sub_f32_e32 v70, v70, v75
	;; [unrolled: 1-line block ×4, first 2 shown]
	v_add_f32_e32 v68, v68, v70
	v_sub_f32_e32 v70, v71, v73
	v_add_f32_e32 v68, v70, v68
	v_add_f32_e32 v70, v75, v68
	v_mul_f32_e32 v71, v72, v70
	v_mul_f32_e32 v73, v67, v71
	v_fma_f32 v67, v71, v67, -v73
	v_fmac_f32_e32 v67, v71, v65
	v_sub_f32_e32 v65, v75, v70
	v_add_f32_e32 v65, v68, v65
	v_add_f32_e32 v68, v73, v67
	v_sub_f32_e32 v74, v70, v68
	v_sub_f32_e32 v70, v70, v74
	;; [unrolled: 1-line block ×4, first 2 shown]
	v_add_f32_e32 v65, v65, v68
	v_sub_f32_e32 v67, v73, v67
	v_cvt_f32_i32_e32 v64, v64
	v_add_f32_e32 v65, v67, v65
	v_add_f32_e32 v67, v69, v71
	;; [unrolled: 1-line block ×3, first 2 shown]
	v_sub_f32_e32 v68, v67, v69
	v_mul_f32_e32 v65, v72, v65
	v_sub_f32_e32 v68, v71, v68
	v_add_f32_e32 v65, v68, v65
	v_mul_f32_e32 v71, 0x3f317218, v64
	v_add_f32_e32 v68, v67, v65
	v_fma_f32 v72, v64, s88, -v71
	v_mul_f32_e32 v69, v68, v68
	v_mov_b32_e32 v70, 0x3ecc95a3
	v_fmac_f32_e32 v72, 0xb102e308, v64
	v_sub_f32_e32 v64, v68, v67
	v_fmac_f32_e32 v70, 0x3e9b6dac, v69
	v_sub_f32_e32 v64, v65, v64
	v_add_f32_e32 v65, v71, v72
	v_fma_f32 v70, v69, v70, v61
	v_sub_f32_e32 v67, v65, v71
	v_ldexp_f32 v71, v68, 1
	v_mul_f32_e32 v68, v68, v69
	v_mul_f32_e32 v68, v68, v70
	v_add_f32_e32 v69, v71, v68
	v_sub_f32_e32 v70, v69, v71
	v_ldexp_f32 v64, v64, 1
	v_sub_f32_e32 v68, v68, v70
	v_add_f32_e32 v64, v64, v68
	v_add_f32_e32 v68, v69, v64
	v_sub_f32_e32 v69, v68, v69
	v_sub_f32_e32 v64, v64, v69
	v_add_f32_e32 v69, v65, v68
	v_sub_f32_e32 v70, v69, v65
	v_sub_f32_e32 v71, v69, v70
	;; [unrolled: 1-line block ×5, first 2 shown]
	v_add_f32_e32 v65, v68, v65
	v_add_f32_e32 v68, v67, v64
	v_sub_f32_e32 v70, v68, v67
	v_sub_f32_e32 v71, v68, v70
	;; [unrolled: 1-line block ×4, first 2 shown]
	v_add_f32_e32 v65, v68, v65
	v_add_f32_e32 v64, v64, v67
	;; [unrolled: 1-line block ×3, first 2 shown]
	v_sub_f32_e32 v68, v67, v69
	v_sub_f32_e32 v65, v65, v68
	v_add_f32_e32 v64, v64, v65
	v_add_f32_e32 v64, v67, v64
	v_cmp_neq_f32_e32 vcc, s86, v66
	v_cndmask_b32_e32 v64, v63, v64, vcc
	v_cmp_lt_f32_e64 vcc, |v66|, s89
	v_cndmask_b32_e32 v64, v64, v66, vcc
	v_add_f32_e32 v18, v18, v64
	v_cvt_f16_f32_e32 v65, v18
.LBB420_203:                            ;   in Loop: Header=BB420_179 Depth=1
	s_or_b64 exec, exec, s[4:5]
	v_and_b32_e32 v18, 0xffff, v65
	v_mov_b32_e32 v64, v65
.LBB420_204:                            ;   in Loop: Header=BB420_179 Depth=1
	s_or_b64 exec, exec, s[74:75]
	ds_bpermute_b32 v18, v58, v18
	v_cmp_le_u32_e32 vcc, v60, v17
	s_and_saveexec_b64 s[74:75], vcc
	s_cbranch_execz .LBB420_208
; %bb.205:                              ;   in Loop: Header=BB420_179 Depth=1
	s_waitcnt lgkmcnt(0)
	v_cvt_f32_f16_e32 v17, v18
	v_cvt_f32_f16_e32 v65, v64
	v_cmp_u_f16_e32 vcc, v18, v18
	v_cmp_u_f16_e64 s[4:5], v64, v64
	v_min_f32_e32 v66, v17, v65
	v_cndmask_b32_e32 v66, v66, v17, vcc
	v_cndmask_b32_e64 v64, v66, v65, s[4:5]
	v_max_f32_e32 v66, v17, v65
	v_cndmask_b32_e32 v17, v66, v17, vcc
	v_cndmask_b32_e64 v17, v17, v65, s[4:5]
	v_cmp_neq_f32_e32 vcc, v64, v17
	v_cmp_class_f32_e64 s[4:5], v64, s78
	s_or_b64 s[90:91], vcc, s[4:5]
	s_and_saveexec_b64 s[4:5], s[90:91]
	s_cbranch_execz .LBB420_207
; %bb.206:                              ;   in Loop: Header=BB420_179 Depth=1
	v_sub_f32_e32 v18, v64, v17
	v_mul_f32_e32 v64, 0x3fb8aa3b, v18
	v_fma_f32 v65, v18, s79, -v64
	v_rndne_f32_e32 v66, v64
	v_fmac_f32_e32 v65, 0x32a5705f, v18
	v_sub_f32_e32 v64, v64, v66
	v_add_f32_e32 v64, v64, v65
	v_cvt_i32_f32_e32 v65, v66
	v_exp_f32_e32 v64, v64
	v_cmp_ngt_f32_e32 vcc, s84, v18
	v_ldexp_f32 v64, v64, v65
	v_cndmask_b32_e32 v64, 0, v64, vcc
	v_cmp_nlt_f32_e32 vcc, s85, v18
	v_cndmask_b32_e32 v18, v63, v64, vcc
	v_add_f32_e32 v66, 1.0, v18
	v_cvt_f64_f32_e32 v[64:65], v66
	v_add_f32_e32 v67, -1.0, v66
	v_sub_f32_e32 v68, v67, v66
	v_sub_f32_e32 v67, v18, v67
	v_frexp_exp_i32_f64_e32 v64, v[64:65]
	v_frexp_mant_f32_e32 v65, v66
	v_cmp_gt_f32_e32 vcc, s87, v65
	v_add_f32_e32 v68, 1.0, v68
	v_add_f32_e32 v67, v67, v68
	v_subbrev_co_u32_e32 v64, vcc, 0, v64, vcc
	v_sub_u32_e32 v65, 0, v64
	v_ldexp_f32 v66, v66, v65
	v_ldexp_f32 v65, v67, v65
	v_add_f32_e32 v67, -1.0, v66
	v_add_f32_e32 v70, 1.0, v66
	v_add_f32_e32 v68, 1.0, v67
	v_add_f32_e32 v71, -1.0, v70
	v_sub_f32_e32 v68, v66, v68
	v_sub_f32_e32 v66, v66, v71
	v_add_f32_e32 v68, v65, v68
	v_add_f32_e32 v65, v65, v66
	;; [unrolled: 1-line block ×3, first 2 shown]
	v_rcp_f32_e32 v71, v66
	v_add_f32_e32 v69, v67, v68
	v_sub_f32_e32 v67, v67, v69
	v_add_f32_e32 v67, v68, v67
	v_sub_f32_e32 v68, v70, v66
	v_add_f32_e32 v65, v65, v68
	v_mul_f32_e32 v68, v69, v71
	v_mul_f32_e32 v70, v66, v68
	v_fma_f32 v72, v68, v66, -v70
	v_fmac_f32_e32 v72, v68, v65
	v_add_f32_e32 v73, v70, v72
	v_sub_f32_e32 v74, v69, v73
	v_sub_f32_e32 v69, v69, v74
	;; [unrolled: 1-line block ×4, first 2 shown]
	v_add_f32_e32 v67, v67, v69
	v_sub_f32_e32 v69, v70, v72
	v_add_f32_e32 v67, v69, v67
	v_add_f32_e32 v69, v74, v67
	v_mul_f32_e32 v70, v71, v69
	v_mul_f32_e32 v72, v66, v70
	v_fma_f32 v66, v70, v66, -v72
	v_fmac_f32_e32 v66, v70, v65
	v_sub_f32_e32 v65, v74, v69
	v_add_f32_e32 v65, v67, v65
	v_add_f32_e32 v67, v72, v66
	v_sub_f32_e32 v73, v69, v67
	v_sub_f32_e32 v69, v69, v73
	;; [unrolled: 1-line block ×4, first 2 shown]
	v_add_f32_e32 v65, v65, v67
	v_sub_f32_e32 v66, v72, v66
	v_cvt_f32_i32_e32 v64, v64
	v_add_f32_e32 v65, v66, v65
	v_add_f32_e32 v66, v68, v70
	;; [unrolled: 1-line block ×3, first 2 shown]
	v_sub_f32_e32 v67, v66, v68
	v_mul_f32_e32 v65, v71, v65
	v_sub_f32_e32 v67, v70, v67
	v_add_f32_e32 v65, v67, v65
	v_mul_f32_e32 v70, 0x3f317218, v64
	v_add_f32_e32 v67, v66, v65
	v_fma_f32 v71, v64, s88, -v70
	v_mul_f32_e32 v68, v67, v67
	v_mov_b32_e32 v69, 0x3ecc95a3
	v_fmac_f32_e32 v71, 0xb102e308, v64
	v_sub_f32_e32 v64, v67, v66
	v_fmac_f32_e32 v69, 0x3e9b6dac, v68
	v_sub_f32_e32 v64, v65, v64
	v_add_f32_e32 v65, v70, v71
	v_fma_f32 v69, v68, v69, v61
	v_sub_f32_e32 v66, v65, v70
	v_ldexp_f32 v70, v67, 1
	v_mul_f32_e32 v67, v67, v68
	v_mul_f32_e32 v67, v67, v69
	v_add_f32_e32 v68, v70, v67
	v_sub_f32_e32 v69, v68, v70
	v_ldexp_f32 v64, v64, 1
	v_sub_f32_e32 v67, v67, v69
	v_add_f32_e32 v64, v64, v67
	v_add_f32_e32 v67, v68, v64
	v_sub_f32_e32 v68, v67, v68
	v_sub_f32_e32 v64, v64, v68
	v_add_f32_e32 v68, v65, v67
	v_sub_f32_e32 v69, v68, v65
	v_sub_f32_e32 v70, v68, v69
	;; [unrolled: 1-line block ×5, first 2 shown]
	v_add_f32_e32 v65, v67, v65
	v_add_f32_e32 v67, v66, v64
	v_sub_f32_e32 v69, v67, v66
	v_sub_f32_e32 v70, v67, v69
	;; [unrolled: 1-line block ×4, first 2 shown]
	v_add_f32_e32 v65, v67, v65
	v_add_f32_e32 v64, v64, v66
	;; [unrolled: 1-line block ×3, first 2 shown]
	v_sub_f32_e32 v67, v66, v68
	v_sub_f32_e32 v65, v65, v67
	v_add_f32_e32 v64, v64, v65
	v_add_f32_e32 v64, v66, v64
	v_cmp_neq_f32_e32 vcc, s86, v18
	v_cndmask_b32_e32 v64, v63, v64, vcc
	v_cmp_lt_f32_e64 vcc, |v18|, s89
	v_cndmask_b32_e32 v18, v64, v18, vcc
	v_add_f32_e32 v17, v17, v18
	v_cvt_f16_f32_e32 v18, v17
.LBB420_207:                            ;   in Loop: Header=BB420_179 Depth=1
	s_or_b64 exec, exec, s[4:5]
	v_mov_b32_e32 v64, v18
.LBB420_208:                            ;   in Loop: Header=BB420_179 Depth=1
	s_or_b64 exec, exec, s[74:75]
	v_cvt_f32_f16_e32 v17, v64
	s_waitcnt lgkmcnt(1)
	v_cvt_f32_f16_e32 v65, v59
	v_cmp_u_f16_e32 vcc, v64, v64
	v_cmp_u_f16_e64 s[4:5], v59, v59
	s_waitcnt lgkmcnt(0)
	v_min_f32_e32 v18, v17, v65
	v_max_f32_e32 v66, v17, v65
	v_cndmask_b32_e32 v18, v18, v17, vcc
	v_cndmask_b32_e32 v17, v66, v17, vcc
	v_cndmask_b32_e64 v18, v18, v65, s[4:5]
	v_cndmask_b32_e64 v17, v17, v65, s[4:5]
	v_cmp_neq_f32_e32 vcc, v18, v17
	v_cmp_class_f32_e64 s[4:5], v18, s78
	s_or_b64 s[4:5], vcc, s[4:5]
	s_and_saveexec_b64 s[74:75], s[4:5]
	s_xor_b64 s[4:5], exec, s[74:75]
	s_cbranch_execz .LBB420_177
; %bb.209:                              ;   in Loop: Header=BB420_179 Depth=1
	v_sub_f32_e32 v18, v18, v17
	v_mul_f32_e32 v64, 0x3fb8aa3b, v18
	v_fma_f32 v65, v18, s79, -v64
	v_rndne_f32_e32 v66, v64
	v_fmac_f32_e32 v65, 0x32a5705f, v18
	v_sub_f32_e32 v64, v64, v66
	v_add_f32_e32 v64, v64, v65
	v_cvt_i32_f32_e32 v65, v66
	v_exp_f32_e32 v64, v64
	v_cmp_ngt_f32_e32 vcc, s84, v18
	v_ldexp_f32 v64, v64, v65
	v_cndmask_b32_e32 v64, 0, v64, vcc
	v_cmp_nlt_f32_e32 vcc, s85, v18
	v_cndmask_b32_e32 v18, v63, v64, vcc
	v_add_f32_e32 v66, 1.0, v18
	v_cvt_f64_f32_e32 v[64:65], v66
	v_add_f32_e32 v67, -1.0, v66
	v_sub_f32_e32 v68, v67, v66
	v_sub_f32_e32 v67, v18, v67
	v_frexp_exp_i32_f64_e32 v64, v[64:65]
	v_frexp_mant_f32_e32 v65, v66
	v_cmp_gt_f32_e32 vcc, s87, v65
	v_add_f32_e32 v68, 1.0, v68
	v_add_f32_e32 v67, v67, v68
	v_subbrev_co_u32_e32 v64, vcc, 0, v64, vcc
	v_sub_u32_e32 v65, 0, v64
	v_ldexp_f32 v66, v66, v65
	v_ldexp_f32 v65, v67, v65
	v_add_f32_e32 v67, -1.0, v66
	v_add_f32_e32 v70, 1.0, v66
	v_add_f32_e32 v68, 1.0, v67
	v_add_f32_e32 v71, -1.0, v70
	v_sub_f32_e32 v68, v66, v68
	v_sub_f32_e32 v66, v66, v71
	v_add_f32_e32 v68, v65, v68
	v_add_f32_e32 v65, v65, v66
	;; [unrolled: 1-line block ×3, first 2 shown]
	v_rcp_f32_e32 v71, v66
	v_add_f32_e32 v69, v67, v68
	v_sub_f32_e32 v67, v67, v69
	v_add_f32_e32 v67, v68, v67
	v_sub_f32_e32 v68, v70, v66
	v_add_f32_e32 v65, v65, v68
	v_mul_f32_e32 v68, v69, v71
	v_mul_f32_e32 v70, v66, v68
	v_fma_f32 v72, v68, v66, -v70
	v_fmac_f32_e32 v72, v68, v65
	v_add_f32_e32 v73, v70, v72
	v_sub_f32_e32 v74, v69, v73
	v_sub_f32_e32 v69, v69, v74
	;; [unrolled: 1-line block ×4, first 2 shown]
	v_add_f32_e32 v67, v67, v69
	v_sub_f32_e32 v69, v70, v72
	v_add_f32_e32 v67, v69, v67
	v_add_f32_e32 v69, v74, v67
	v_mul_f32_e32 v70, v71, v69
	v_mul_f32_e32 v72, v66, v70
	v_fma_f32 v66, v70, v66, -v72
	v_fmac_f32_e32 v66, v70, v65
	v_sub_f32_e32 v65, v74, v69
	v_add_f32_e32 v65, v67, v65
	v_add_f32_e32 v67, v72, v66
	v_sub_f32_e32 v73, v69, v67
	v_sub_f32_e32 v69, v69, v73
	;; [unrolled: 1-line block ×4, first 2 shown]
	v_add_f32_e32 v65, v65, v67
	v_sub_f32_e32 v66, v72, v66
	v_cvt_f32_i32_e32 v64, v64
	v_add_f32_e32 v65, v66, v65
	v_add_f32_e32 v66, v68, v70
	;; [unrolled: 1-line block ×3, first 2 shown]
	v_sub_f32_e32 v67, v66, v68
	v_mul_f32_e32 v65, v71, v65
	v_sub_f32_e32 v67, v70, v67
	v_add_f32_e32 v65, v67, v65
	v_mul_f32_e32 v70, 0x3f317218, v64
	v_add_f32_e32 v67, v66, v65
	v_fma_f32 v71, v64, s88, -v70
	v_mul_f32_e32 v68, v67, v67
	v_mov_b32_e32 v69, 0x3ecc95a3
	v_fmac_f32_e32 v71, 0xb102e308, v64
	v_sub_f32_e32 v64, v67, v66
	v_fmac_f32_e32 v69, 0x3e9b6dac, v68
	v_sub_f32_e32 v64, v65, v64
	v_add_f32_e32 v65, v70, v71
	v_fma_f32 v69, v68, v69, v61
	v_sub_f32_e32 v66, v65, v70
	v_ldexp_f32 v70, v67, 1
	v_mul_f32_e32 v67, v67, v68
	v_mul_f32_e32 v67, v67, v69
	v_add_f32_e32 v68, v70, v67
	v_sub_f32_e32 v69, v68, v70
	v_ldexp_f32 v64, v64, 1
	v_sub_f32_e32 v67, v67, v69
	v_add_f32_e32 v64, v64, v67
	v_add_f32_e32 v67, v68, v64
	v_sub_f32_e32 v68, v67, v68
	v_sub_f32_e32 v64, v64, v68
	v_add_f32_e32 v68, v65, v67
	v_sub_f32_e32 v69, v68, v65
	v_sub_f32_e32 v70, v68, v69
	;; [unrolled: 1-line block ×5, first 2 shown]
	v_add_f32_e32 v65, v67, v65
	v_add_f32_e32 v67, v66, v64
	v_sub_f32_e32 v69, v67, v66
	v_sub_f32_e32 v70, v67, v69
	;; [unrolled: 1-line block ×4, first 2 shown]
	v_add_f32_e32 v65, v67, v65
	v_add_f32_e32 v64, v64, v66
	;; [unrolled: 1-line block ×3, first 2 shown]
	v_sub_f32_e32 v67, v66, v68
	v_sub_f32_e32 v65, v65, v67
	v_add_f32_e32 v64, v64, v65
	v_add_f32_e32 v64, v66, v64
	v_cmp_neq_f32_e32 vcc, s86, v18
	v_cndmask_b32_e32 v64, v63, v64, vcc
	v_cmp_lt_f32_e64 vcc, |v18|, s89
	v_cndmask_b32_e32 v18, v64, v18, vcc
	v_add_f32_e32 v17, v17, v18
	v_cvt_f16_f32_e32 v64, v17
	s_branch .LBB420_177
.LBB420_210:
                                        ; implicit-def: $vgpr13
                                        ; implicit-def: $vgpr14
                                        ; implicit-def: $vgpr15
                                        ; implicit-def: $vgpr16
                                        ; implicit-def: $vgpr18
                                        ; implicit-def: $vgpr22
                                        ; implicit-def: $vgpr44
                                        ; implicit-def: $vgpr23
                                        ; implicit-def: $vgpr45
                                        ; implicit-def: $vgpr24
                                        ; implicit-def: $vgpr46
                                        ; implicit-def: $vgpr25
                                        ; implicit-def: $vgpr32
                                        ; implicit-def: $vgpr26
                                        ; implicit-def: $vgpr33
                                        ; implicit-def: $vgpr27
                                        ; implicit-def: $vgpr34
                                        ; implicit-def: $vgpr28
                                        ; implicit-def: $vgpr35
                                        ; implicit-def: $vgpr29
                                        ; implicit-def: $vgpr36
                                        ; implicit-def: $vgpr30
                                        ; implicit-def: $vgpr37
                                        ; implicit-def: $vgpr17
	s_cbranch_execnz .LBB420_270
	s_branch .LBB420_413
.LBB420_211:
	s_and_saveexec_b64 s[74:75], s[56:57]
	s_cbranch_execz .LBB420_215
; %bb.212:
	v_cvt_f32_f16_e32 v13, v59
	v_cvt_f32_f16_e32 v14, v46
	v_cmp_u_f16_e32 vcc, v59, v59
	v_cmp_u_f16_e64 s[4:5], v46, v46
	v_min_f32_e32 v15, v13, v14
	v_max_f32_e32 v16, v13, v14
	v_cndmask_b32_e32 v15, v15, v13, vcc
	v_cndmask_b32_e32 v13, v16, v13, vcc
	v_cndmask_b32_e64 v15, v15, v14, s[4:5]
	v_cndmask_b32_e64 v13, v13, v14, s[4:5]
	s_movk_i32 s4, 0x1f8
	v_cmp_neq_f32_e32 vcc, v15, v13
	v_cmp_class_f32_e64 s[4:5], v15, s4
	s_or_b64 s[56:57], vcc, s[4:5]
	v_mov_b32_e32 v14, v59
	s_and_saveexec_b64 s[4:5], s[56:57]
	s_cbranch_execz .LBB420_214
; %bb.213:
	v_sub_f32_e32 v14, v15, v13
	s_mov_b32 s56, 0x3fb8aa3b
	v_mul_f32_e32 v15, 0x3fb8aa3b, v14
	v_fma_f32 v16, v14, s56, -v15
	s_waitcnt lgkmcnt(0)
	v_rndne_f32_e32 v17, v15
	v_fmac_f32_e32 v16, 0x32a5705f, v14
	v_sub_f32_e32 v15, v15, v17
	v_add_f32_e32 v15, v15, v16
	v_exp_f32_e32 v15, v15
	v_cvt_i32_f32_e32 v16, v17
	s_mov_b32 s56, 0xc2ce8ed0
	v_cmp_ngt_f32_e32 vcc, s56, v14
	s_mov_b32 s56, 0x42b17218
	v_ldexp_f32 v15, v15, v16
	v_cndmask_b32_e32 v15, 0, v15, vcc
	v_mov_b32_e32 v16, 0x7f800000
	v_cmp_nlt_f32_e32 vcc, s56, v14
	v_cndmask_b32_e32 v17, v16, v15, vcc
	v_add_f32_e32 v18, 1.0, v17
	v_cvt_f64_f32_e32 v[14:15], v18
	v_add_f32_e32 v46, -1.0, v18
	v_sub_f32_e32 v47, v46, v18
	v_sub_f32_e32 v46, v17, v46
	v_frexp_exp_i32_f64_e32 v14, v[14:15]
	v_add_f32_e32 v15, 1.0, v47
	v_add_f32_e32 v15, v46, v15
	v_frexp_mant_f32_e32 v46, v18
	s_mov_b32 s57, 0x3f2aaaab
	v_cmp_gt_f32_e32 vcc, s57, v46
	s_mov_b32 s57, 0x3f317218
	s_mov_b32 s56, 0x7f800000
	v_subbrev_co_u32_e32 v14, vcc, 0, v14, vcc
	v_sub_u32_e32 v46, 0, v14
	v_ldexp_f32 v18, v18, v46
	v_ldexp_f32 v15, v15, v46
	v_add_f32_e32 v46, -1.0, v18
	v_add_f32_e32 v49, 1.0, v18
	v_add_f32_e32 v47, 1.0, v46
	v_add_f32_e32 v50, -1.0, v49
	v_sub_f32_e32 v47, v18, v47
	v_sub_f32_e32 v18, v18, v50
	v_add_f32_e32 v47, v15, v47
	v_add_f32_e32 v15, v15, v18
	;; [unrolled: 1-line block ×3, first 2 shown]
	v_rcp_f32_e32 v50, v18
	v_add_f32_e32 v48, v46, v47
	v_sub_f32_e32 v46, v46, v48
	v_add_f32_e32 v46, v47, v46
	v_sub_f32_e32 v47, v49, v18
	v_add_f32_e32 v15, v15, v47
	v_mul_f32_e32 v47, v48, v50
	v_mul_f32_e32 v49, v18, v47
	v_fma_f32 v51, v47, v18, -v49
	v_fmac_f32_e32 v51, v47, v15
	v_add_f32_e32 v52, v49, v51
	v_sub_f32_e32 v53, v48, v52
	v_sub_f32_e32 v48, v48, v53
	;; [unrolled: 1-line block ×4, first 2 shown]
	v_add_f32_e32 v46, v46, v48
	v_sub_f32_e32 v48, v49, v51
	v_add_f32_e32 v46, v48, v46
	v_add_f32_e32 v48, v53, v46
	v_mul_f32_e32 v49, v50, v48
	v_mul_f32_e32 v51, v18, v49
	v_fma_f32 v18, v49, v18, -v51
	v_fmac_f32_e32 v18, v49, v15
	v_sub_f32_e32 v15, v53, v48
	v_add_f32_e32 v15, v46, v15
	v_add_f32_e32 v46, v51, v18
	v_sub_f32_e32 v52, v48, v46
	v_sub_f32_e32 v48, v48, v52
	;; [unrolled: 1-line block ×4, first 2 shown]
	v_add_f32_e32 v15, v15, v46
	v_sub_f32_e32 v18, v51, v18
	v_add_f32_e32 v15, v18, v15
	v_add_f32_e32 v18, v47, v49
	;; [unrolled: 1-line block ×3, first 2 shown]
	v_sub_f32_e32 v46, v18, v47
	v_mul_f32_e32 v15, v50, v15
	v_sub_f32_e32 v46, v49, v46
	v_add_f32_e32 v15, v46, v15
	v_cvt_f32_i32_e32 v14, v14
	v_add_f32_e32 v46, v18, v15
	v_mul_f32_e32 v47, v46, v46
	v_mov_b32_e32 v48, 0x3ecc95a3
	v_fmac_f32_e32 v48, 0x3e9b6dac, v47
	v_mov_b32_e32 v49, 0x3f2aaada
	v_fmac_f32_e32 v49, v47, v48
	v_mul_f32_e32 v48, 0x3f317218, v14
	v_fma_f32 v50, v14, s57, -v48
	v_fmac_f32_e32 v50, 0xb102e308, v14
	v_sub_f32_e32 v14, v46, v18
	v_sub_f32_e32 v14, v15, v14
	v_add_f32_e32 v15, v48, v50
	v_sub_f32_e32 v18, v15, v48
	v_ldexp_f32 v48, v46, 1
	v_mul_f32_e32 v46, v46, v47
	v_mul_f32_e32 v46, v46, v49
	v_add_f32_e32 v47, v48, v46
	v_sub_f32_e32 v48, v47, v48
	v_ldexp_f32 v14, v14, 1
	v_sub_f32_e32 v46, v46, v48
	v_add_f32_e32 v14, v14, v46
	v_add_f32_e32 v46, v47, v14
	v_sub_f32_e32 v47, v46, v47
	v_sub_f32_e32 v14, v14, v47
	v_add_f32_e32 v47, v15, v46
	v_sub_f32_e32 v48, v47, v15
	v_sub_f32_e32 v49, v47, v48
	;; [unrolled: 1-line block ×5, first 2 shown]
	v_add_f32_e32 v15, v46, v15
	v_add_f32_e32 v46, v18, v14
	v_sub_f32_e32 v48, v46, v18
	v_sub_f32_e32 v49, v46, v48
	;; [unrolled: 1-line block ×4, first 2 shown]
	v_add_f32_e32 v15, v46, v15
	v_add_f32_e32 v14, v14, v18
	;; [unrolled: 1-line block ×3, first 2 shown]
	v_sub_f32_e32 v46, v18, v47
	v_sub_f32_e32 v15, v15, v46
	v_add_f32_e32 v14, v14, v15
	v_add_f32_e32 v14, v18, v14
	v_cmp_neq_f32_e32 vcc, s56, v17
	s_mov_b32 s56, 0x33800000
	v_cndmask_b32_e32 v14, v16, v14, vcc
	v_cmp_lt_f32_e64 vcc, |v17|, s56
	v_cndmask_b32_e32 v14, v14, v17, vcc
	v_add_f32_e32 v13, v13, v14
	v_cvt_f16_f32_e32 v14, v13
.LBB420_214:
	s_or_b64 exec, exec, s[4:5]
	s_add_i32 s4, s83, 64
	s_mov_b32 s5, 0
	s_lshl_b64 s[4:5], s[4:5], 2
	s_add_u32 s4, s80, s4
	s_mov_b32 s56, 0x20000
	s_addc_u32 s5, s81, s5
	v_mov_b32_e32 v13, 0
	v_or_b32_sdwa v14, v14, s56 dst_sel:DWORD dst_unused:UNUSED_PAD src0_sel:WORD_0 src1_sel:DWORD
	global_store_dword v13, v14, s[4:5]
.LBB420_215:
	s_or_b64 exec, exec, s[74:75]
	s_and_b64 exec, exec, s[58:59]
; %bb.216:
	v_mov_b32_e32 v13, 0
	ds_write_b16 v13, v59
.LBB420_217:
	s_or_b64 exec, exec, s[60:61]
	v_mov_b32_e32 v13, 0
	s_waitcnt vmcnt(0) lgkmcnt(0)
	s_barrier
	ds_read_u16 v13, v13
	v_mov_b32_e32 v14, v9
	s_and_saveexec_b64 s[4:5], s[2:3]
	s_cbranch_execz .LBB420_221
; %bb.218:
	v_cvt_f32_f16_e32 v15, v45
	v_max_f32_e32 v14, v44, v44
	v_cmp_u_f16_e32 vcc, v45, v45
	v_min_f32_e32 v16, v15, v14
	v_max_f32_e32 v14, v15, v14
	v_cndmask_b32_e32 v16, v16, v15, vcc
	v_cndmask_b32_e32 v14, v14, v15, vcc
	v_cndmask_b32_e64 v16, v16, v44, s[54:55]
	v_cndmask_b32_e64 v14, v14, v44, s[54:55]
	s_movk_i32 s54, 0x1f8
	v_cmp_neq_f32_e32 vcc, v16, v14
	v_cmp_class_f32_e64 s[54:55], v16, s54
	s_or_b64 s[56:57], vcc, s[54:55]
	s_and_saveexec_b64 s[54:55], s[56:57]
	s_cbranch_execz .LBB420_220
; %bb.219:
	v_sub_f32_e32 v15, v16, v14
	s_mov_b32 s56, 0x3fb8aa3b
	v_mul_f32_e32 v16, 0x3fb8aa3b, v15
	v_fma_f32 v17, v15, s56, -v16
	v_rndne_f32_e32 v18, v16
	v_fmac_f32_e32 v17, 0x32a5705f, v15
	v_sub_f32_e32 v16, v16, v18
	v_add_f32_e32 v16, v16, v17
	v_exp_f32_e32 v16, v16
	v_cvt_i32_f32_e32 v17, v18
	s_mov_b32 s56, 0xc2ce8ed0
	v_cmp_ngt_f32_e32 vcc, s56, v15
	s_mov_b32 s56, 0x42b17218
	v_ldexp_f32 v16, v16, v17
	v_cndmask_b32_e32 v16, 0, v16, vcc
	v_mov_b32_e32 v17, 0x7f800000
	v_cmp_nlt_f32_e32 vcc, s56, v15
	v_cndmask_b32_e32 v18, v17, v16, vcc
	v_add_f32_e32 v44, 1.0, v18
	v_cvt_f64_f32_e32 v[15:16], v44
	v_add_f32_e32 v45, -1.0, v44
	v_sub_f32_e32 v46, v45, v44
	v_sub_f32_e32 v45, v18, v45
	v_frexp_exp_i32_f64_e32 v15, v[15:16]
	v_add_f32_e32 v16, 1.0, v46
	v_add_f32_e32 v16, v45, v16
	v_frexp_mant_f32_e32 v45, v44
	s_mov_b32 s57, 0x3f2aaaab
	v_cmp_gt_f32_e32 vcc, s57, v45
	s_mov_b32 s57, 0x3f317218
	s_mov_b32 s56, 0x7f800000
	v_subbrev_co_u32_e32 v15, vcc, 0, v15, vcc
	v_sub_u32_e32 v45, 0, v15
	v_ldexp_f32 v44, v44, v45
	v_ldexp_f32 v16, v16, v45
	v_add_f32_e32 v45, -1.0, v44
	v_add_f32_e32 v48, 1.0, v44
	v_add_f32_e32 v46, 1.0, v45
	v_add_f32_e32 v49, -1.0, v48
	v_sub_f32_e32 v46, v44, v46
	v_sub_f32_e32 v44, v44, v49
	v_add_f32_e32 v46, v16, v46
	v_add_f32_e32 v16, v16, v44
	;; [unrolled: 1-line block ×3, first 2 shown]
	v_rcp_f32_e32 v49, v44
	v_add_f32_e32 v47, v45, v46
	v_sub_f32_e32 v45, v45, v47
	v_add_f32_e32 v45, v46, v45
	v_sub_f32_e32 v46, v48, v44
	v_add_f32_e32 v16, v16, v46
	v_mul_f32_e32 v46, v47, v49
	v_mul_f32_e32 v48, v44, v46
	v_fma_f32 v50, v46, v44, -v48
	v_fmac_f32_e32 v50, v46, v16
	v_add_f32_e32 v51, v48, v50
	v_sub_f32_e32 v52, v47, v51
	v_sub_f32_e32 v47, v47, v52
	;; [unrolled: 1-line block ×4, first 2 shown]
	v_add_f32_e32 v45, v45, v47
	v_sub_f32_e32 v47, v48, v50
	v_add_f32_e32 v45, v47, v45
	v_add_f32_e32 v47, v52, v45
	v_mul_f32_e32 v48, v49, v47
	v_mul_f32_e32 v50, v44, v48
	v_fma_f32 v44, v48, v44, -v50
	v_fmac_f32_e32 v44, v48, v16
	v_sub_f32_e32 v16, v52, v47
	v_add_f32_e32 v16, v45, v16
	v_add_f32_e32 v45, v50, v44
	v_sub_f32_e32 v51, v47, v45
	v_sub_f32_e32 v47, v47, v51
	;; [unrolled: 1-line block ×4, first 2 shown]
	v_add_f32_e32 v16, v16, v45
	v_sub_f32_e32 v44, v50, v44
	v_add_f32_e32 v16, v44, v16
	v_add_f32_e32 v44, v46, v48
	;; [unrolled: 1-line block ×3, first 2 shown]
	v_sub_f32_e32 v45, v44, v46
	v_mul_f32_e32 v16, v49, v16
	v_sub_f32_e32 v45, v48, v45
	v_add_f32_e32 v16, v45, v16
	v_cvt_f32_i32_e32 v15, v15
	v_add_f32_e32 v45, v44, v16
	v_mul_f32_e32 v46, v45, v45
	v_mov_b32_e32 v47, 0x3ecc95a3
	v_fmac_f32_e32 v47, 0x3e9b6dac, v46
	v_mov_b32_e32 v48, 0x3f2aaada
	v_fmac_f32_e32 v48, v46, v47
	v_mul_f32_e32 v47, 0x3f317218, v15
	v_fma_f32 v49, v15, s57, -v47
	v_fmac_f32_e32 v49, 0xb102e308, v15
	v_sub_f32_e32 v15, v45, v44
	v_sub_f32_e32 v15, v16, v15
	v_add_f32_e32 v16, v47, v49
	v_sub_f32_e32 v44, v16, v47
	v_ldexp_f32 v47, v45, 1
	v_mul_f32_e32 v45, v45, v46
	v_mul_f32_e32 v45, v45, v48
	v_add_f32_e32 v46, v47, v45
	v_sub_f32_e32 v47, v46, v47
	v_ldexp_f32 v15, v15, 1
	v_sub_f32_e32 v45, v45, v47
	v_add_f32_e32 v15, v15, v45
	v_add_f32_e32 v45, v46, v15
	v_sub_f32_e32 v46, v45, v46
	v_sub_f32_e32 v15, v15, v46
	v_add_f32_e32 v46, v16, v45
	v_sub_f32_e32 v47, v46, v16
	v_sub_f32_e32 v48, v46, v47
	;; [unrolled: 1-line block ×5, first 2 shown]
	v_add_f32_e32 v16, v45, v16
	v_add_f32_e32 v45, v44, v15
	v_sub_f32_e32 v47, v45, v44
	v_sub_f32_e32 v48, v45, v47
	;; [unrolled: 1-line block ×4, first 2 shown]
	v_add_f32_e32 v16, v45, v16
	v_add_f32_e32 v15, v15, v44
	;; [unrolled: 1-line block ×3, first 2 shown]
	v_sub_f32_e32 v45, v44, v46
	v_sub_f32_e32 v16, v16, v45
	v_add_f32_e32 v15, v15, v16
	v_add_f32_e32 v15, v44, v15
	v_cmp_neq_f32_e32 vcc, s56, v18
	s_mov_b32 s56, 0x33800000
	v_cndmask_b32_e32 v15, v17, v15, vcc
	v_cmp_lt_f32_e64 vcc, |v18|, s56
	v_cndmask_b32_e32 v15, v15, v18, vcc
	v_add_f32_e32 v14, v14, v15
	v_cvt_f16_f32_e32 v45, v14
	v_cvt_f32_f16_e32 v15, v45
.LBB420_220:
	s_or_b64 exec, exec, s[54:55]
	v_mov_b32_e32 v44, v15
	v_mov_b32_e32 v14, v45
.LBB420_221:
	s_or_b64 exec, exec, s[4:5]
	s_waitcnt lgkmcnt(0)
	v_cvt_f32_f16_e32 v17, v13
	v_max_f32_e32 v16, v44, v44
	v_cmp_u_f16_e32 vcc, v13, v13
	v_cmp_u_f16_e64 s[4:5], v14, v14
	v_min_f32_e32 v15, v17, v16
	v_max_f32_e32 v14, v17, v16
	v_cndmask_b32_e32 v15, v15, v17, vcc
	v_cndmask_b32_e32 v14, v14, v17, vcc
	v_cndmask_b32_e64 v15, v15, v44, s[4:5]
	v_cndmask_b32_e64 v14, v14, v44, s[4:5]
	s_movk_i32 s54, 0x1f8
	v_cmp_neq_f32_e32 vcc, v15, v14
	v_cmp_class_f32_e64 s[4:5], v15, s54
	s_or_b64 s[56:57], vcc, s[4:5]
	s_and_saveexec_b64 s[4:5], s[56:57]
	s_cbranch_execz .LBB420_223
; %bb.222:
	v_sub_f32_e32 v13, v15, v14
	s_mov_b32 s55, 0x3fb8aa3b
	v_mul_f32_e32 v15, 0x3fb8aa3b, v13
	v_fma_f32 v16, v13, s55, -v15
	v_rndne_f32_e32 v17, v15
	v_fmac_f32_e32 v16, 0x32a5705f, v13
	v_sub_f32_e32 v15, v15, v17
	v_add_f32_e32 v15, v15, v16
	v_exp_f32_e32 v15, v15
	v_cvt_i32_f32_e32 v16, v17
	s_mov_b32 s55, 0xc2ce8ed0
	v_cmp_ngt_f32_e32 vcc, s55, v13
	s_mov_b32 s55, 0x42b17218
	v_ldexp_f32 v15, v15, v16
	v_cndmask_b32_e32 v15, 0, v15, vcc
	v_mov_b32_e32 v17, 0x7f800000
	v_cmp_nlt_f32_e32 vcc, s55, v13
	v_cndmask_b32_e32 v13, v17, v15, vcc
	v_add_f32_e32 v18, 1.0, v13
	v_cvt_f64_f32_e32 v[15:16], v18
	v_add_f32_e32 v44, -1.0, v18
	v_sub_f32_e32 v45, v44, v18
	v_sub_f32_e32 v44, v13, v44
	v_frexp_exp_i32_f64_e32 v15, v[15:16]
	v_add_f32_e32 v16, 1.0, v45
	v_add_f32_e32 v16, v44, v16
	v_frexp_mant_f32_e32 v44, v18
	s_mov_b32 s56, 0x3f2aaaab
	v_cmp_gt_f32_e32 vcc, s56, v44
	s_mov_b32 s56, 0x3f317218
	s_mov_b32 s55, 0x7f800000
	v_subbrev_co_u32_e32 v15, vcc, 0, v15, vcc
	v_sub_u32_e32 v44, 0, v15
	v_ldexp_f32 v18, v18, v44
	v_ldexp_f32 v16, v16, v44
	v_add_f32_e32 v44, -1.0, v18
	v_add_f32_e32 v47, 1.0, v18
	v_add_f32_e32 v45, 1.0, v44
	v_add_f32_e32 v48, -1.0, v47
	v_sub_f32_e32 v45, v18, v45
	v_sub_f32_e32 v18, v18, v48
	v_add_f32_e32 v45, v16, v45
	v_add_f32_e32 v16, v16, v18
	;; [unrolled: 1-line block ×3, first 2 shown]
	v_rcp_f32_e32 v48, v18
	v_add_f32_e32 v46, v44, v45
	v_sub_f32_e32 v44, v44, v46
	v_add_f32_e32 v44, v45, v44
	v_sub_f32_e32 v45, v47, v18
	v_add_f32_e32 v16, v16, v45
	v_mul_f32_e32 v45, v46, v48
	v_mul_f32_e32 v47, v18, v45
	v_fma_f32 v49, v45, v18, -v47
	v_fmac_f32_e32 v49, v45, v16
	v_add_f32_e32 v50, v47, v49
	v_sub_f32_e32 v51, v46, v50
	v_sub_f32_e32 v46, v46, v51
	;; [unrolled: 1-line block ×4, first 2 shown]
	v_add_f32_e32 v44, v44, v46
	v_sub_f32_e32 v46, v47, v49
	v_add_f32_e32 v44, v46, v44
	v_add_f32_e32 v46, v51, v44
	v_mul_f32_e32 v47, v48, v46
	v_mul_f32_e32 v49, v18, v47
	v_fma_f32 v18, v47, v18, -v49
	v_fmac_f32_e32 v18, v47, v16
	v_sub_f32_e32 v16, v51, v46
	v_add_f32_e32 v16, v44, v16
	v_add_f32_e32 v44, v49, v18
	v_sub_f32_e32 v50, v46, v44
	v_sub_f32_e32 v46, v46, v50
	;; [unrolled: 1-line block ×4, first 2 shown]
	v_add_f32_e32 v16, v16, v44
	v_sub_f32_e32 v18, v49, v18
	v_add_f32_e32 v16, v18, v16
	v_add_f32_e32 v18, v45, v47
	;; [unrolled: 1-line block ×3, first 2 shown]
	v_sub_f32_e32 v44, v18, v45
	v_mul_f32_e32 v16, v48, v16
	v_sub_f32_e32 v44, v47, v44
	v_add_f32_e32 v16, v44, v16
	v_cvt_f32_i32_e32 v15, v15
	v_add_f32_e32 v44, v18, v16
	v_mul_f32_e32 v45, v44, v44
	v_mov_b32_e32 v46, 0x3ecc95a3
	v_fmac_f32_e32 v46, 0x3e9b6dac, v45
	v_mov_b32_e32 v47, 0x3f2aaada
	v_fmac_f32_e32 v47, v45, v46
	v_mul_f32_e32 v46, 0x3f317218, v15
	v_fma_f32 v48, v15, s56, -v46
	v_fmac_f32_e32 v48, 0xb102e308, v15
	v_sub_f32_e32 v15, v44, v18
	v_sub_f32_e32 v15, v16, v15
	v_add_f32_e32 v16, v46, v48
	v_sub_f32_e32 v18, v16, v46
	v_ldexp_f32 v46, v44, 1
	v_mul_f32_e32 v44, v44, v45
	v_mul_f32_e32 v44, v44, v47
	v_add_f32_e32 v45, v46, v44
	v_sub_f32_e32 v46, v45, v46
	v_ldexp_f32 v15, v15, 1
	v_sub_f32_e32 v44, v44, v46
	v_add_f32_e32 v15, v15, v44
	v_add_f32_e32 v44, v45, v15
	v_sub_f32_e32 v45, v44, v45
	v_sub_f32_e32 v15, v15, v45
	v_add_f32_e32 v45, v16, v44
	v_sub_f32_e32 v46, v45, v16
	v_sub_f32_e32 v47, v45, v46
	;; [unrolled: 1-line block ×5, first 2 shown]
	v_add_f32_e32 v16, v44, v16
	v_add_f32_e32 v44, v18, v15
	v_sub_f32_e32 v46, v44, v18
	v_sub_f32_e32 v47, v44, v46
	;; [unrolled: 1-line block ×4, first 2 shown]
	v_add_f32_e32 v16, v44, v16
	v_add_f32_e32 v15, v15, v18
	;; [unrolled: 1-line block ×3, first 2 shown]
	v_sub_f32_e32 v44, v18, v45
	v_sub_f32_e32 v16, v16, v44
	v_add_f32_e32 v15, v15, v16
	v_add_f32_e32 v15, v18, v15
	v_cmp_neq_f32_e32 vcc, s55, v13
	s_mov_b32 s55, 0x33800000
	v_cndmask_b32_e32 v15, v17, v15, vcc
	v_cmp_lt_f32_e64 vcc, |v13|, s55
	v_cndmask_b32_e32 v13, v15, v13, vcc
	v_add_f32_e32 v13, v14, v13
	v_cvt_f16_f32_e32 v13, v13
	v_cvt_f32_f16_e32 v17, v13
.LBB420_223:
	s_or_b64 exec, exec, s[4:5]
	v_max_f32_e32 v14, v21, v21
	v_max_f32_e32 v15, v17, v17
	v_min_f32_e32 v16, v15, v14
	v_cmp_u_f16_e32 vcc, v13, v13
	v_max_f32_e32 v14, v15, v14
	v_cndmask_b32_e32 v16, v16, v17, vcc
	v_cndmask_b32_e32 v14, v14, v17, vcc
	v_cndmask_b32_e64 v16, v16, v21, s[6:7]
	v_cndmask_b32_e64 v15, v14, v21, s[6:7]
	v_cmp_neq_f32_e32 vcc, v16, v15
	v_cmp_class_f32_e64 s[4:5], v16, s54
	s_or_b64 s[6:7], vcc, s[4:5]
	v_mov_b32_e32 v47, v13
	v_mov_b32_e32 v14, v13
	s_and_saveexec_b64 s[4:5], s[6:7]
	s_cbranch_execz .LBB420_225
; %bb.224:
	v_sub_f32_e32 v14, v16, v15
	s_mov_b32 s6, 0x3fb8aa3b
	v_mul_f32_e32 v16, 0x3fb8aa3b, v14
	v_fma_f32 v17, v14, s6, -v16
	v_rndne_f32_e32 v18, v16
	v_fmac_f32_e32 v17, 0x32a5705f, v14
	v_sub_f32_e32 v16, v16, v18
	v_add_f32_e32 v16, v16, v17
	v_exp_f32_e32 v16, v16
	v_cvt_i32_f32_e32 v17, v18
	s_mov_b32 s6, 0xc2ce8ed0
	v_cmp_ngt_f32_e32 vcc, s6, v14
	s_mov_b32 s6, 0x42b17218
	v_ldexp_f32 v16, v16, v17
	v_cndmask_b32_e32 v16, 0, v16, vcc
	v_mov_b32_e32 v18, 0x7f800000
	v_cmp_nlt_f32_e32 vcc, s6, v14
	v_cndmask_b32_e32 v14, v18, v16, vcc
	v_add_f32_e32 v44, 1.0, v14
	v_cvt_f64_f32_e32 v[16:17], v44
	v_add_f32_e32 v45, -1.0, v44
	v_sub_f32_e32 v46, v45, v44
	v_sub_f32_e32 v45, v14, v45
	v_frexp_exp_i32_f64_e32 v16, v[16:17]
	v_add_f32_e32 v17, 1.0, v46
	v_add_f32_e32 v17, v45, v17
	v_frexp_mant_f32_e32 v45, v44
	s_mov_b32 s7, 0x3f2aaaab
	v_cmp_gt_f32_e32 vcc, s7, v45
	s_mov_b32 s7, 0x3f317218
	s_mov_b32 s6, 0x7f800000
	v_subbrev_co_u32_e32 v16, vcc, 0, v16, vcc
	v_sub_u32_e32 v45, 0, v16
	v_ldexp_f32 v44, v44, v45
	v_ldexp_f32 v17, v17, v45
	v_add_f32_e32 v45, -1.0, v44
	v_add_f32_e32 v48, 1.0, v44
	v_add_f32_e32 v46, 1.0, v45
	v_add_f32_e32 v49, -1.0, v48
	v_sub_f32_e32 v46, v44, v46
	v_sub_f32_e32 v44, v44, v49
	v_add_f32_e32 v46, v17, v46
	v_add_f32_e32 v17, v17, v44
	;; [unrolled: 1-line block ×3, first 2 shown]
	v_rcp_f32_e32 v49, v44
	v_add_f32_e32 v47, v45, v46
	v_sub_f32_e32 v45, v45, v47
	v_add_f32_e32 v45, v46, v45
	v_sub_f32_e32 v46, v48, v44
	v_add_f32_e32 v17, v17, v46
	v_mul_f32_e32 v46, v47, v49
	v_mul_f32_e32 v48, v44, v46
	v_fma_f32 v50, v46, v44, -v48
	v_fmac_f32_e32 v50, v46, v17
	v_add_f32_e32 v51, v48, v50
	v_sub_f32_e32 v52, v47, v51
	v_sub_f32_e32 v47, v47, v52
	;; [unrolled: 1-line block ×4, first 2 shown]
	v_add_f32_e32 v45, v45, v47
	v_sub_f32_e32 v47, v48, v50
	v_add_f32_e32 v45, v47, v45
	v_add_f32_e32 v47, v52, v45
	v_mul_f32_e32 v48, v49, v47
	v_mul_f32_e32 v50, v44, v48
	v_fma_f32 v44, v48, v44, -v50
	v_fmac_f32_e32 v44, v48, v17
	v_sub_f32_e32 v17, v52, v47
	v_add_f32_e32 v17, v45, v17
	v_add_f32_e32 v45, v50, v44
	v_sub_f32_e32 v51, v47, v45
	v_sub_f32_e32 v47, v47, v51
	;; [unrolled: 1-line block ×4, first 2 shown]
	v_add_f32_e32 v17, v17, v45
	v_sub_f32_e32 v44, v50, v44
	v_add_f32_e32 v17, v44, v17
	v_add_f32_e32 v44, v46, v48
	;; [unrolled: 1-line block ×3, first 2 shown]
	v_sub_f32_e32 v45, v44, v46
	v_mul_f32_e32 v17, v49, v17
	v_sub_f32_e32 v45, v48, v45
	v_add_f32_e32 v17, v45, v17
	v_cvt_f32_i32_e32 v16, v16
	v_add_f32_e32 v45, v44, v17
	v_mul_f32_e32 v46, v45, v45
	v_mov_b32_e32 v47, 0x3ecc95a3
	v_fmac_f32_e32 v47, 0x3e9b6dac, v46
	v_mov_b32_e32 v48, 0x3f2aaada
	v_fmac_f32_e32 v48, v46, v47
	v_mul_f32_e32 v47, 0x3f317218, v16
	v_fma_f32 v49, v16, s7, -v47
	v_fmac_f32_e32 v49, 0xb102e308, v16
	v_sub_f32_e32 v16, v45, v44
	v_sub_f32_e32 v16, v17, v16
	v_add_f32_e32 v17, v47, v49
	v_sub_f32_e32 v44, v17, v47
	v_ldexp_f32 v47, v45, 1
	v_mul_f32_e32 v45, v45, v46
	v_mul_f32_e32 v45, v45, v48
	v_add_f32_e32 v46, v47, v45
	v_sub_f32_e32 v47, v46, v47
	v_ldexp_f32 v16, v16, 1
	v_sub_f32_e32 v45, v45, v47
	v_add_f32_e32 v16, v16, v45
	v_add_f32_e32 v45, v46, v16
	v_sub_f32_e32 v46, v45, v46
	v_sub_f32_e32 v16, v16, v46
	v_add_f32_e32 v46, v17, v45
	v_sub_f32_e32 v47, v46, v17
	v_sub_f32_e32 v48, v46, v47
	;; [unrolled: 1-line block ×5, first 2 shown]
	v_add_f32_e32 v17, v45, v17
	v_add_f32_e32 v45, v44, v16
	v_sub_f32_e32 v47, v45, v44
	v_sub_f32_e32 v48, v45, v47
	;; [unrolled: 1-line block ×4, first 2 shown]
	v_add_f32_e32 v17, v45, v17
	v_add_f32_e32 v16, v16, v44
	;; [unrolled: 1-line block ×3, first 2 shown]
	v_sub_f32_e32 v45, v44, v46
	v_sub_f32_e32 v17, v17, v45
	v_add_f32_e32 v16, v16, v17
	v_add_f32_e32 v16, v44, v16
	v_cmp_neq_f32_e32 vcc, s6, v14
	s_mov_b32 s6, 0x33800000
	v_cndmask_b32_e32 v16, v18, v16, vcc
	v_cmp_lt_f32_e64 vcc, |v14|, s6
	v_cndmask_b32_e32 v14, v16, v14, vcc
	v_add_f32_e32 v14, v15, v14
	v_cvt_f16_f32_e32 v47, v14
	v_cvt_f32_f16_e32 v17, v47
	v_mov_b32_e32 v14, v47
.LBB420_225:
	s_or_b64 exec, exec, s[4:5]
	v_max_f32_e32 v15, v22, v22
	v_max_f32_e32 v16, v17, v17
	v_min_f32_e32 v18, v16, v15
	v_cmp_u_f16_e32 vcc, v47, v47
	v_max_f32_e32 v15, v16, v15
	v_cndmask_b32_e32 v18, v18, v17, vcc
	v_cndmask_b32_e32 v15, v15, v17, vcc
	v_cndmask_b32_e64 v18, v18, v22, s[8:9]
	v_cndmask_b32_e64 v16, v15, v22, s[8:9]
	s_movk_i32 s6, 0x1f8
	v_cmp_neq_f32_e32 vcc, v18, v16
	v_cmp_class_f32_e64 s[4:5], v18, s6
	s_or_b64 s[8:9], vcc, s[4:5]
	v_mov_b32_e32 v15, v14
	s_and_saveexec_b64 s[4:5], s[8:9]
	s_cbranch_execz .LBB420_227
; %bb.226:
	v_sub_f32_e32 v15, v18, v16
	s_mov_b32 s7, 0x3fb8aa3b
	v_mul_f32_e32 v17, 0x3fb8aa3b, v15
	v_fma_f32 v18, v15, s7, -v17
	v_rndne_f32_e32 v22, v17
	v_fmac_f32_e32 v18, 0x32a5705f, v15
	v_sub_f32_e32 v17, v17, v22
	v_add_f32_e32 v17, v17, v18
	v_exp_f32_e32 v17, v17
	v_cvt_i32_f32_e32 v18, v22
	s_mov_b32 s7, 0xc2ce8ed0
	v_cmp_ngt_f32_e32 vcc, s7, v15
	s_mov_b32 s7, 0x42b17218
	v_ldexp_f32 v17, v17, v18
	v_cndmask_b32_e32 v17, 0, v17, vcc
	v_mov_b32_e32 v22, 0x7f800000
	v_cmp_nlt_f32_e32 vcc, s7, v15
	v_cndmask_b32_e32 v15, v22, v17, vcc
	v_add_f32_e32 v44, 1.0, v15
	v_cvt_f64_f32_e32 v[17:18], v44
	v_add_f32_e32 v45, -1.0, v44
	v_sub_f32_e32 v46, v45, v44
	v_sub_f32_e32 v45, v15, v45
	v_frexp_exp_i32_f64_e32 v17, v[17:18]
	v_add_f32_e32 v18, 1.0, v46
	v_add_f32_e32 v18, v45, v18
	v_frexp_mant_f32_e32 v45, v44
	s_mov_b32 s8, 0x3f2aaaab
	v_cmp_gt_f32_e32 vcc, s8, v45
	s_mov_b32 s8, 0x3f317218
	s_mov_b32 s7, 0x7f800000
	v_subbrev_co_u32_e32 v17, vcc, 0, v17, vcc
	v_sub_u32_e32 v45, 0, v17
	v_ldexp_f32 v44, v44, v45
	v_ldexp_f32 v18, v18, v45
	v_add_f32_e32 v45, -1.0, v44
	v_add_f32_e32 v48, 1.0, v44
	v_add_f32_e32 v46, 1.0, v45
	v_add_f32_e32 v49, -1.0, v48
	v_sub_f32_e32 v46, v44, v46
	v_sub_f32_e32 v44, v44, v49
	v_add_f32_e32 v46, v18, v46
	v_add_f32_e32 v18, v18, v44
	;; [unrolled: 1-line block ×3, first 2 shown]
	v_rcp_f32_e32 v49, v44
	v_add_f32_e32 v47, v45, v46
	v_sub_f32_e32 v45, v45, v47
	v_add_f32_e32 v45, v46, v45
	v_sub_f32_e32 v46, v48, v44
	v_add_f32_e32 v18, v18, v46
	v_mul_f32_e32 v46, v47, v49
	v_mul_f32_e32 v48, v44, v46
	v_fma_f32 v50, v46, v44, -v48
	v_fmac_f32_e32 v50, v46, v18
	v_add_f32_e32 v51, v48, v50
	v_sub_f32_e32 v52, v47, v51
	v_sub_f32_e32 v47, v47, v52
	;; [unrolled: 1-line block ×4, first 2 shown]
	v_add_f32_e32 v45, v45, v47
	v_sub_f32_e32 v47, v48, v50
	v_add_f32_e32 v45, v47, v45
	v_add_f32_e32 v47, v52, v45
	v_mul_f32_e32 v48, v49, v47
	v_mul_f32_e32 v50, v44, v48
	v_fma_f32 v44, v48, v44, -v50
	v_fmac_f32_e32 v44, v48, v18
	v_sub_f32_e32 v18, v52, v47
	v_add_f32_e32 v18, v45, v18
	v_add_f32_e32 v45, v50, v44
	v_sub_f32_e32 v51, v47, v45
	v_sub_f32_e32 v47, v47, v51
	;; [unrolled: 1-line block ×4, first 2 shown]
	v_add_f32_e32 v18, v18, v45
	v_sub_f32_e32 v44, v50, v44
	v_add_f32_e32 v18, v44, v18
	v_add_f32_e32 v44, v46, v48
	;; [unrolled: 1-line block ×3, first 2 shown]
	v_sub_f32_e32 v45, v44, v46
	v_mul_f32_e32 v18, v49, v18
	v_sub_f32_e32 v45, v48, v45
	v_add_f32_e32 v18, v45, v18
	v_cvt_f32_i32_e32 v17, v17
	v_add_f32_e32 v45, v44, v18
	v_mul_f32_e32 v46, v45, v45
	v_mov_b32_e32 v47, 0x3ecc95a3
	v_fmac_f32_e32 v47, 0x3e9b6dac, v46
	v_mov_b32_e32 v48, 0x3f2aaada
	v_fmac_f32_e32 v48, v46, v47
	v_mul_f32_e32 v47, 0x3f317218, v17
	v_fma_f32 v49, v17, s8, -v47
	v_fmac_f32_e32 v49, 0xb102e308, v17
	v_sub_f32_e32 v17, v45, v44
	v_sub_f32_e32 v17, v18, v17
	v_add_f32_e32 v18, v47, v49
	v_sub_f32_e32 v44, v18, v47
	v_ldexp_f32 v47, v45, 1
	v_mul_f32_e32 v45, v45, v46
	v_mul_f32_e32 v45, v45, v48
	v_add_f32_e32 v46, v47, v45
	v_sub_f32_e32 v47, v46, v47
	v_ldexp_f32 v17, v17, 1
	v_sub_f32_e32 v45, v45, v47
	v_add_f32_e32 v17, v17, v45
	v_add_f32_e32 v45, v46, v17
	v_sub_f32_e32 v46, v45, v46
	v_sub_f32_e32 v17, v17, v46
	v_add_f32_e32 v46, v18, v45
	v_sub_f32_e32 v47, v46, v18
	v_sub_f32_e32 v48, v46, v47
	;; [unrolled: 1-line block ×5, first 2 shown]
	v_add_f32_e32 v18, v45, v18
	v_add_f32_e32 v45, v44, v17
	v_sub_f32_e32 v47, v45, v44
	v_sub_f32_e32 v48, v45, v47
	v_sub_f32_e32 v44, v44, v48
	v_sub_f32_e32 v17, v17, v47
	v_add_f32_e32 v18, v45, v18
	v_add_f32_e32 v17, v17, v44
	;; [unrolled: 1-line block ×3, first 2 shown]
	v_sub_f32_e32 v45, v44, v46
	v_sub_f32_e32 v18, v18, v45
	v_add_f32_e32 v17, v17, v18
	v_add_f32_e32 v17, v44, v17
	v_cmp_neq_f32_e32 vcc, s7, v15
	s_mov_b32 s7, 0x33800000
	v_cndmask_b32_e32 v17, v22, v17, vcc
	v_cmp_lt_f32_e64 vcc, |v15|, s7
	v_cndmask_b32_e32 v15, v17, v15, vcc
	v_add_f32_e32 v15, v16, v15
	v_cvt_f16_f32_e32 v47, v15
	v_cvt_f32_f16_e32 v17, v47
	v_mov_b32_e32 v15, v47
.LBB420_227:
	s_or_b64 exec, exec, s[4:5]
	v_max_f32_e32 v16, v23, v23
	v_max_f32_e32 v18, v17, v17
	v_min_f32_e32 v22, v18, v16
	v_cmp_u_f16_e32 vcc, v47, v47
	v_max_f32_e32 v16, v18, v16
	v_cndmask_b32_e32 v22, v22, v17, vcc
	v_cndmask_b32_e32 v16, v16, v17, vcc
	v_cndmask_b32_e64 v22, v22, v23, s[10:11]
	v_cndmask_b32_e64 v18, v16, v23, s[10:11]
	v_cmp_neq_f32_e32 vcc, v22, v18
	v_cmp_class_f32_e64 s[4:5], v22, s6
	s_or_b64 s[6:7], vcc, s[4:5]
	v_mov_b32_e32 v16, v15
	s_and_saveexec_b64 s[4:5], s[6:7]
	s_cbranch_execz .LBB420_229
; %bb.228:
	v_sub_f32_e32 v16, v22, v18
	s_mov_b32 s6, 0x3fb8aa3b
	v_mul_f32_e32 v17, 0x3fb8aa3b, v16
	v_fma_f32 v22, v16, s6, -v17
	v_rndne_f32_e32 v23, v17
	v_fmac_f32_e32 v22, 0x32a5705f, v16
	v_sub_f32_e32 v17, v17, v23
	v_add_f32_e32 v17, v17, v22
	v_exp_f32_e32 v17, v17
	v_cvt_i32_f32_e32 v22, v23
	s_mov_b32 s6, 0xc2ce8ed0
	v_cmp_ngt_f32_e32 vcc, s6, v16
	s_mov_b32 s6, 0x42b17218
	v_ldexp_f32 v17, v17, v22
	v_cndmask_b32_e32 v17, 0, v17, vcc
	v_mov_b32_e32 v22, 0x7f800000
	v_cmp_nlt_f32_e32 vcc, s6, v16
	v_cndmask_b32_e32 v23, v22, v17, vcc
	v_add_f32_e32 v44, 1.0, v23
	v_cvt_f64_f32_e32 v[16:17], v44
	v_add_f32_e32 v45, -1.0, v44
	v_sub_f32_e32 v46, v45, v44
	v_sub_f32_e32 v45, v23, v45
	v_frexp_exp_i32_f64_e32 v16, v[16:17]
	v_add_f32_e32 v17, 1.0, v46
	v_add_f32_e32 v17, v45, v17
	v_frexp_mant_f32_e32 v45, v44
	s_mov_b32 s7, 0x3f2aaaab
	v_cmp_gt_f32_e32 vcc, s7, v45
	s_mov_b32 s7, 0x3f317218
	s_mov_b32 s6, 0x7f800000
	v_subbrev_co_u32_e32 v16, vcc, 0, v16, vcc
	v_sub_u32_e32 v45, 0, v16
	v_ldexp_f32 v44, v44, v45
	v_ldexp_f32 v17, v17, v45
	v_add_f32_e32 v45, -1.0, v44
	v_add_f32_e32 v48, 1.0, v44
	v_add_f32_e32 v46, 1.0, v45
	v_add_f32_e32 v49, -1.0, v48
	v_sub_f32_e32 v46, v44, v46
	v_sub_f32_e32 v44, v44, v49
	v_add_f32_e32 v46, v17, v46
	v_add_f32_e32 v17, v17, v44
	;; [unrolled: 1-line block ×3, first 2 shown]
	v_rcp_f32_e32 v49, v44
	v_add_f32_e32 v47, v45, v46
	v_sub_f32_e32 v45, v45, v47
	v_add_f32_e32 v45, v46, v45
	v_sub_f32_e32 v46, v48, v44
	v_add_f32_e32 v17, v17, v46
	v_mul_f32_e32 v46, v47, v49
	v_mul_f32_e32 v48, v44, v46
	v_fma_f32 v50, v46, v44, -v48
	v_fmac_f32_e32 v50, v46, v17
	v_add_f32_e32 v51, v48, v50
	v_sub_f32_e32 v52, v47, v51
	v_sub_f32_e32 v47, v47, v52
	;; [unrolled: 1-line block ×4, first 2 shown]
	v_add_f32_e32 v45, v45, v47
	v_sub_f32_e32 v47, v48, v50
	v_add_f32_e32 v45, v47, v45
	v_add_f32_e32 v47, v52, v45
	v_mul_f32_e32 v48, v49, v47
	v_mul_f32_e32 v50, v44, v48
	v_fma_f32 v44, v48, v44, -v50
	v_fmac_f32_e32 v44, v48, v17
	v_sub_f32_e32 v17, v52, v47
	v_add_f32_e32 v17, v45, v17
	v_add_f32_e32 v45, v50, v44
	v_sub_f32_e32 v51, v47, v45
	v_sub_f32_e32 v47, v47, v51
	;; [unrolled: 1-line block ×4, first 2 shown]
	v_add_f32_e32 v17, v17, v45
	v_sub_f32_e32 v44, v50, v44
	v_add_f32_e32 v17, v44, v17
	v_add_f32_e32 v44, v46, v48
	;; [unrolled: 1-line block ×3, first 2 shown]
	v_sub_f32_e32 v45, v44, v46
	v_mul_f32_e32 v17, v49, v17
	v_sub_f32_e32 v45, v48, v45
	v_add_f32_e32 v17, v45, v17
	v_cvt_f32_i32_e32 v16, v16
	v_add_f32_e32 v45, v44, v17
	v_mul_f32_e32 v46, v45, v45
	v_mov_b32_e32 v47, 0x3ecc95a3
	v_fmac_f32_e32 v47, 0x3e9b6dac, v46
	v_mov_b32_e32 v48, 0x3f2aaada
	v_fmac_f32_e32 v48, v46, v47
	v_mul_f32_e32 v47, 0x3f317218, v16
	v_fma_f32 v49, v16, s7, -v47
	v_fmac_f32_e32 v49, 0xb102e308, v16
	v_sub_f32_e32 v16, v45, v44
	v_sub_f32_e32 v16, v17, v16
	v_add_f32_e32 v17, v47, v49
	v_sub_f32_e32 v44, v17, v47
	v_ldexp_f32 v47, v45, 1
	v_mul_f32_e32 v45, v45, v46
	v_mul_f32_e32 v45, v45, v48
	v_add_f32_e32 v46, v47, v45
	v_sub_f32_e32 v47, v46, v47
	v_ldexp_f32 v16, v16, 1
	v_sub_f32_e32 v45, v45, v47
	v_add_f32_e32 v16, v16, v45
	v_add_f32_e32 v45, v46, v16
	v_sub_f32_e32 v46, v45, v46
	v_sub_f32_e32 v16, v16, v46
	v_add_f32_e32 v46, v17, v45
	v_sub_f32_e32 v47, v46, v17
	v_sub_f32_e32 v48, v46, v47
	;; [unrolled: 1-line block ×5, first 2 shown]
	v_add_f32_e32 v17, v45, v17
	v_add_f32_e32 v45, v44, v16
	v_sub_f32_e32 v47, v45, v44
	v_sub_f32_e32 v48, v45, v47
	;; [unrolled: 1-line block ×4, first 2 shown]
	v_add_f32_e32 v17, v45, v17
	v_add_f32_e32 v16, v16, v44
	;; [unrolled: 1-line block ×3, first 2 shown]
	v_sub_f32_e32 v45, v44, v46
	v_sub_f32_e32 v17, v17, v45
	v_add_f32_e32 v16, v16, v17
	v_add_f32_e32 v16, v44, v16
	v_cmp_neq_f32_e32 vcc, s6, v23
	s_mov_b32 s6, 0x33800000
	v_cndmask_b32_e32 v16, v22, v16, vcc
	v_cmp_lt_f32_e64 vcc, |v23|, s6
	v_cndmask_b32_e32 v16, v16, v23, vcc
	v_add_f32_e32 v16, v18, v16
	v_cvt_f16_f32_e32 v47, v16
	v_cvt_f32_f16_e32 v17, v47
	v_mov_b32_e32 v16, v47
.LBB420_229:
	s_or_b64 exec, exec, s[4:5]
	v_max_f32_e32 v18, v24, v24
	v_max_f32_e32 v22, v17, v17
	v_min_f32_e32 v23, v22, v18
	v_cmp_u_f16_e32 vcc, v47, v47
	v_max_f32_e32 v18, v22, v18
	v_cndmask_b32_e32 v23, v23, v17, vcc
	v_cndmask_b32_e32 v18, v18, v17, vcc
	v_cndmask_b32_e64 v23, v23, v24, s[12:13]
	v_cndmask_b32_e64 v22, v18, v24, s[12:13]
	s_movk_i32 s6, 0x1f8
	v_cmp_neq_f32_e32 vcc, v23, v22
	v_cmp_class_f32_e64 s[4:5], v23, s6
	s_or_b64 s[8:9], vcc, s[4:5]
	v_mov_b32_e32 v18, v16
	s_and_saveexec_b64 s[4:5], s[8:9]
	s_cbranch_execz .LBB420_231
; %bb.230:
	v_sub_f32_e32 v17, v23, v22
	s_mov_b32 s7, 0x3fb8aa3b
	v_mul_f32_e32 v18, 0x3fb8aa3b, v17
	v_fma_f32 v23, v17, s7, -v18
	v_rndne_f32_e32 v24, v18
	v_fmac_f32_e32 v23, 0x32a5705f, v17
	v_sub_f32_e32 v18, v18, v24
	v_add_f32_e32 v18, v18, v23
	v_exp_f32_e32 v18, v18
	v_cvt_i32_f32_e32 v23, v24
	s_mov_b32 s7, 0xc2ce8ed0
	v_cmp_ngt_f32_e32 vcc, s7, v17
	s_mov_b32 s7, 0x42b17218
	v_ldexp_f32 v18, v18, v23
	v_cndmask_b32_e32 v18, 0, v18, vcc
	v_mov_b32_e32 v23, 0x7f800000
	v_cmp_nlt_f32_e32 vcc, s7, v17
	v_cndmask_b32_e32 v24, v23, v18, vcc
	v_add_f32_e32 v44, 1.0, v24
	v_cvt_f64_f32_e32 v[17:18], v44
	v_add_f32_e32 v45, -1.0, v44
	v_sub_f32_e32 v46, v45, v44
	v_sub_f32_e32 v45, v24, v45
	v_frexp_exp_i32_f64_e32 v17, v[17:18]
	v_add_f32_e32 v18, 1.0, v46
	v_add_f32_e32 v18, v45, v18
	v_frexp_mant_f32_e32 v45, v44
	s_mov_b32 s8, 0x3f2aaaab
	v_cmp_gt_f32_e32 vcc, s8, v45
	s_mov_b32 s8, 0x3f317218
	s_mov_b32 s7, 0x7f800000
	v_subbrev_co_u32_e32 v17, vcc, 0, v17, vcc
	v_sub_u32_e32 v45, 0, v17
	v_ldexp_f32 v44, v44, v45
	v_ldexp_f32 v18, v18, v45
	v_add_f32_e32 v45, -1.0, v44
	v_add_f32_e32 v48, 1.0, v44
	v_add_f32_e32 v46, 1.0, v45
	v_add_f32_e32 v49, -1.0, v48
	v_sub_f32_e32 v46, v44, v46
	v_sub_f32_e32 v44, v44, v49
	v_add_f32_e32 v46, v18, v46
	v_add_f32_e32 v18, v18, v44
	;; [unrolled: 1-line block ×3, first 2 shown]
	v_rcp_f32_e32 v49, v44
	v_add_f32_e32 v47, v45, v46
	v_sub_f32_e32 v45, v45, v47
	v_add_f32_e32 v45, v46, v45
	v_sub_f32_e32 v46, v48, v44
	v_add_f32_e32 v18, v18, v46
	v_mul_f32_e32 v46, v47, v49
	v_mul_f32_e32 v48, v44, v46
	v_fma_f32 v50, v46, v44, -v48
	v_fmac_f32_e32 v50, v46, v18
	v_add_f32_e32 v51, v48, v50
	v_sub_f32_e32 v52, v47, v51
	v_sub_f32_e32 v47, v47, v52
	v_sub_f32_e32 v48, v51, v48
	v_sub_f32_e32 v47, v47, v51
	v_add_f32_e32 v45, v45, v47
	v_sub_f32_e32 v47, v48, v50
	v_add_f32_e32 v45, v47, v45
	v_add_f32_e32 v47, v52, v45
	v_mul_f32_e32 v48, v49, v47
	v_mul_f32_e32 v50, v44, v48
	v_fma_f32 v44, v48, v44, -v50
	v_fmac_f32_e32 v44, v48, v18
	v_sub_f32_e32 v18, v52, v47
	v_add_f32_e32 v18, v45, v18
	v_add_f32_e32 v45, v50, v44
	v_sub_f32_e32 v51, v47, v45
	v_sub_f32_e32 v47, v47, v51
	;; [unrolled: 1-line block ×4, first 2 shown]
	v_add_f32_e32 v18, v18, v45
	v_sub_f32_e32 v44, v50, v44
	v_add_f32_e32 v18, v44, v18
	v_add_f32_e32 v44, v46, v48
	;; [unrolled: 1-line block ×3, first 2 shown]
	v_sub_f32_e32 v45, v44, v46
	v_mul_f32_e32 v18, v49, v18
	v_sub_f32_e32 v45, v48, v45
	v_add_f32_e32 v18, v45, v18
	v_cvt_f32_i32_e32 v17, v17
	v_add_f32_e32 v45, v44, v18
	v_mul_f32_e32 v46, v45, v45
	v_mov_b32_e32 v47, 0x3ecc95a3
	v_fmac_f32_e32 v47, 0x3e9b6dac, v46
	v_mov_b32_e32 v48, 0x3f2aaada
	v_fmac_f32_e32 v48, v46, v47
	v_mul_f32_e32 v47, 0x3f317218, v17
	v_fma_f32 v49, v17, s8, -v47
	v_fmac_f32_e32 v49, 0xb102e308, v17
	v_sub_f32_e32 v17, v45, v44
	v_sub_f32_e32 v17, v18, v17
	v_add_f32_e32 v18, v47, v49
	v_sub_f32_e32 v44, v18, v47
	v_ldexp_f32 v47, v45, 1
	v_mul_f32_e32 v45, v45, v46
	v_mul_f32_e32 v45, v45, v48
	v_add_f32_e32 v46, v47, v45
	v_sub_f32_e32 v47, v46, v47
	v_ldexp_f32 v17, v17, 1
	v_sub_f32_e32 v45, v45, v47
	v_add_f32_e32 v17, v17, v45
	v_add_f32_e32 v45, v46, v17
	v_sub_f32_e32 v46, v45, v46
	v_sub_f32_e32 v17, v17, v46
	v_add_f32_e32 v46, v18, v45
	v_sub_f32_e32 v47, v46, v18
	v_sub_f32_e32 v48, v46, v47
	;; [unrolled: 1-line block ×5, first 2 shown]
	v_add_f32_e32 v18, v45, v18
	v_add_f32_e32 v45, v44, v17
	v_sub_f32_e32 v47, v45, v44
	v_sub_f32_e32 v48, v45, v47
	;; [unrolled: 1-line block ×4, first 2 shown]
	v_add_f32_e32 v18, v45, v18
	v_add_f32_e32 v17, v17, v44
	;; [unrolled: 1-line block ×3, first 2 shown]
	v_sub_f32_e32 v45, v44, v46
	v_sub_f32_e32 v18, v18, v45
	v_add_f32_e32 v17, v17, v18
	v_add_f32_e32 v17, v44, v17
	v_cmp_neq_f32_e32 vcc, s7, v24
	s_mov_b32 s7, 0x33800000
	v_cndmask_b32_e32 v17, v23, v17, vcc
	v_cmp_lt_f32_e64 vcc, |v24|, s7
	v_cndmask_b32_e32 v17, v17, v24, vcc
	v_add_f32_e32 v17, v22, v17
	v_cvt_f16_f32_e32 v47, v17
	v_cvt_f32_f16_e32 v17, v47
	v_mov_b32_e32 v18, v47
.LBB420_231:
	s_or_b64 exec, exec, s[4:5]
	v_max_f32_e32 v22, v25, v25
	v_max_f32_e32 v23, v17, v17
	v_min_f32_e32 v24, v23, v22
	v_cmp_u_f16_e32 vcc, v47, v47
	v_max_f32_e32 v22, v23, v22
	v_cndmask_b32_e32 v24, v24, v17, vcc
	v_cndmask_b32_e32 v22, v22, v17, vcc
	v_cndmask_b32_e64 v24, v24, v25, s[14:15]
	v_cndmask_b32_e64 v23, v22, v25, s[14:15]
	v_cmp_neq_f32_e32 vcc, v24, v23
	v_cmp_class_f32_e64 s[4:5], v24, s6
	s_or_b64 s[6:7], vcc, s[4:5]
	v_mov_b32_e32 v22, v18
	s_and_saveexec_b64 s[4:5], s[6:7]
	s_cbranch_execz .LBB420_233
; %bb.232:
	v_sub_f32_e32 v17, v24, v23
	s_mov_b32 s6, 0x3fb8aa3b
	v_mul_f32_e32 v22, 0x3fb8aa3b, v17
	v_fma_f32 v24, v17, s6, -v22
	v_rndne_f32_e32 v25, v22
	v_fmac_f32_e32 v24, 0x32a5705f, v17
	v_sub_f32_e32 v22, v22, v25
	v_add_f32_e32 v22, v22, v24
	v_exp_f32_e32 v22, v22
	v_cvt_i32_f32_e32 v24, v25
	s_mov_b32 s6, 0xc2ce8ed0
	v_cmp_ngt_f32_e32 vcc, s6, v17
	s_mov_b32 s6, 0x42b17218
	v_ldexp_f32 v22, v22, v24
	v_cndmask_b32_e32 v22, 0, v22, vcc
	v_mov_b32_e32 v44, 0x7f800000
	v_cmp_nlt_f32_e32 vcc, s6, v17
	v_cndmask_b32_e32 v17, v44, v22, vcc
	v_add_f32_e32 v22, 1.0, v17
	v_cvt_f64_f32_e32 v[24:25], v22
	v_add_f32_e32 v45, -1.0, v22
	v_sub_f32_e32 v46, v45, v22
	v_sub_f32_e32 v45, v17, v45
	v_frexp_exp_i32_f64_e32 v24, v[24:25]
	v_add_f32_e32 v25, 1.0, v46
	v_add_f32_e32 v25, v45, v25
	v_frexp_mant_f32_e32 v45, v22
	s_mov_b32 s7, 0x3f2aaaab
	v_cmp_gt_f32_e32 vcc, s7, v45
	s_mov_b32 s7, 0x3f317218
	s_mov_b32 s6, 0x7f800000
	v_subbrev_co_u32_e32 v24, vcc, 0, v24, vcc
	v_sub_u32_e32 v45, 0, v24
	v_ldexp_f32 v22, v22, v45
	v_ldexp_f32 v25, v25, v45
	v_add_f32_e32 v45, -1.0, v22
	v_add_f32_e32 v48, 1.0, v22
	v_add_f32_e32 v46, 1.0, v45
	v_add_f32_e32 v49, -1.0, v48
	v_sub_f32_e32 v46, v22, v46
	v_sub_f32_e32 v22, v22, v49
	v_add_f32_e32 v22, v25, v22
	v_add_f32_e32 v46, v25, v46
	;; [unrolled: 1-line block ×3, first 2 shown]
	v_rcp_f32_e32 v49, v25
	v_add_f32_e32 v47, v45, v46
	v_sub_f32_e32 v45, v45, v47
	v_add_f32_e32 v45, v46, v45
	v_sub_f32_e32 v46, v48, v25
	v_add_f32_e32 v22, v22, v46
	v_mul_f32_e32 v46, v47, v49
	v_mul_f32_e32 v48, v25, v46
	v_fma_f32 v50, v46, v25, -v48
	v_fmac_f32_e32 v50, v46, v22
	v_add_f32_e32 v51, v48, v50
	v_sub_f32_e32 v52, v47, v51
	v_sub_f32_e32 v47, v47, v52
	;; [unrolled: 1-line block ×4, first 2 shown]
	v_add_f32_e32 v45, v45, v47
	v_sub_f32_e32 v47, v48, v50
	v_add_f32_e32 v45, v47, v45
	v_add_f32_e32 v47, v52, v45
	v_mul_f32_e32 v48, v49, v47
	v_mul_f32_e32 v50, v25, v48
	v_fma_f32 v25, v48, v25, -v50
	v_fmac_f32_e32 v25, v48, v22
	v_sub_f32_e32 v22, v52, v47
	v_add_f32_e32 v22, v45, v22
	v_add_f32_e32 v45, v50, v25
	v_sub_f32_e32 v51, v47, v45
	v_sub_f32_e32 v47, v47, v51
	;; [unrolled: 1-line block ×4, first 2 shown]
	v_add_f32_e32 v22, v22, v45
	v_sub_f32_e32 v25, v50, v25
	v_add_f32_e32 v22, v25, v22
	v_add_f32_e32 v25, v46, v48
	;; [unrolled: 1-line block ×3, first 2 shown]
	v_sub_f32_e32 v45, v25, v46
	v_mul_f32_e32 v22, v49, v22
	v_sub_f32_e32 v45, v48, v45
	v_add_f32_e32 v22, v45, v22
	v_cvt_f32_i32_e32 v24, v24
	v_add_f32_e32 v45, v25, v22
	v_mul_f32_e32 v46, v45, v45
	v_mov_b32_e32 v47, 0x3ecc95a3
	v_fmac_f32_e32 v47, 0x3e9b6dac, v46
	v_mov_b32_e32 v48, 0x3f2aaada
	v_fmac_f32_e32 v48, v46, v47
	v_mul_f32_e32 v47, 0x3f317218, v24
	v_fma_f32 v49, v24, s7, -v47
	v_fmac_f32_e32 v49, 0xb102e308, v24
	v_sub_f32_e32 v24, v45, v25
	v_sub_f32_e32 v22, v22, v24
	v_add_f32_e32 v24, v47, v49
	v_sub_f32_e32 v25, v24, v47
	v_ldexp_f32 v47, v45, 1
	v_mul_f32_e32 v45, v45, v46
	v_mul_f32_e32 v45, v45, v48
	v_add_f32_e32 v46, v47, v45
	v_sub_f32_e32 v47, v46, v47
	v_ldexp_f32 v22, v22, 1
	v_sub_f32_e32 v45, v45, v47
	v_add_f32_e32 v22, v22, v45
	v_add_f32_e32 v45, v46, v22
	v_sub_f32_e32 v46, v45, v46
	v_sub_f32_e32 v22, v22, v46
	v_add_f32_e32 v46, v24, v45
	v_sub_f32_e32 v47, v46, v24
	v_sub_f32_e32 v48, v46, v47
	;; [unrolled: 1-line block ×5, first 2 shown]
	v_add_f32_e32 v24, v45, v24
	v_add_f32_e32 v45, v25, v22
	v_sub_f32_e32 v47, v45, v25
	v_sub_f32_e32 v48, v45, v47
	;; [unrolled: 1-line block ×4, first 2 shown]
	v_add_f32_e32 v24, v45, v24
	v_add_f32_e32 v22, v22, v25
	;; [unrolled: 1-line block ×3, first 2 shown]
	v_sub_f32_e32 v45, v25, v46
	v_sub_f32_e32 v24, v24, v45
	v_add_f32_e32 v22, v22, v24
	v_add_f32_e32 v22, v25, v22
	v_cmp_neq_f32_e32 vcc, s6, v17
	s_mov_b32 s6, 0x33800000
	v_cndmask_b32_e32 v22, v44, v22, vcc
	v_cmp_lt_f32_e64 vcc, |v17|, s6
	v_cndmask_b32_e32 v17, v22, v17, vcc
	v_add_f32_e32 v17, v23, v17
	v_cvt_f16_f32_e32 v47, v17
	v_cvt_f32_f16_e32 v17, v47
	v_mov_b32_e32 v22, v47
.LBB420_233:
	s_or_b64 exec, exec, s[4:5]
	v_max_f32_e32 v23, v26, v26
	v_max_f32_e32 v25, v17, v17
	v_min_f32_e32 v24, v25, v23
	v_cmp_u_f16_e32 vcc, v47, v47
	v_max_f32_e32 v23, v25, v23
	v_cndmask_b32_e32 v24, v24, v17, vcc
	v_cndmask_b32_e32 v23, v23, v17, vcc
	v_cndmask_b32_e64 v24, v24, v26, s[16:17]
	v_cndmask_b32_e64 v23, v23, v26, s[16:17]
	s_movk_i32 s6, 0x1f8
	v_cmp_neq_f32_e32 vcc, v24, v23
	v_cmp_class_f32_e64 s[4:5], v24, s6
	s_or_b64 s[8:9], vcc, s[4:5]
	v_mov_b32_e32 v44, v22
	s_and_saveexec_b64 s[4:5], s[8:9]
	s_cbranch_execz .LBB420_235
; %bb.234:
	v_sub_f32_e32 v17, v24, v23
	s_mov_b32 s7, 0x3fb8aa3b
	v_mul_f32_e32 v24, 0x3fb8aa3b, v17
	v_fma_f32 v25, v17, s7, -v24
	v_rndne_f32_e32 v26, v24
	v_fmac_f32_e32 v25, 0x32a5705f, v17
	v_sub_f32_e32 v24, v24, v26
	v_add_f32_e32 v24, v24, v25
	v_exp_f32_e32 v24, v24
	v_cvt_i32_f32_e32 v25, v26
	s_mov_b32 s7, 0xc2ce8ed0
	v_cmp_ngt_f32_e32 vcc, s7, v17
	s_mov_b32 s7, 0x42b17218
	v_ldexp_f32 v24, v24, v25
	v_cndmask_b32_e32 v24, 0, v24, vcc
	v_mov_b32_e32 v26, 0x7f800000
	v_cmp_nlt_f32_e32 vcc, s7, v17
	v_cndmask_b32_e32 v17, v26, v24, vcc
	v_add_f32_e32 v44, 1.0, v17
	v_cvt_f64_f32_e32 v[24:25], v44
	v_add_f32_e32 v45, -1.0, v44
	v_sub_f32_e32 v46, v45, v44
	v_sub_f32_e32 v45, v17, v45
	v_frexp_exp_i32_f64_e32 v24, v[24:25]
	v_add_f32_e32 v25, 1.0, v46
	v_add_f32_e32 v25, v45, v25
	v_frexp_mant_f32_e32 v45, v44
	s_mov_b32 s8, 0x3f2aaaab
	v_cmp_gt_f32_e32 vcc, s8, v45
	s_mov_b32 s8, 0x3f317218
	s_mov_b32 s7, 0x7f800000
	v_subbrev_co_u32_e32 v24, vcc, 0, v24, vcc
	v_sub_u32_e32 v45, 0, v24
	v_ldexp_f32 v44, v44, v45
	v_ldexp_f32 v25, v25, v45
	v_add_f32_e32 v45, -1.0, v44
	v_add_f32_e32 v48, 1.0, v44
	v_add_f32_e32 v46, 1.0, v45
	v_add_f32_e32 v49, -1.0, v48
	v_sub_f32_e32 v46, v44, v46
	v_sub_f32_e32 v44, v44, v49
	v_add_f32_e32 v46, v25, v46
	v_add_f32_e32 v25, v25, v44
	;; [unrolled: 1-line block ×3, first 2 shown]
	v_rcp_f32_e32 v49, v44
	v_add_f32_e32 v47, v45, v46
	v_sub_f32_e32 v45, v45, v47
	v_add_f32_e32 v45, v46, v45
	v_sub_f32_e32 v46, v48, v44
	v_add_f32_e32 v25, v25, v46
	v_mul_f32_e32 v46, v47, v49
	v_mul_f32_e32 v48, v44, v46
	v_fma_f32 v50, v46, v44, -v48
	v_fmac_f32_e32 v50, v46, v25
	v_add_f32_e32 v51, v48, v50
	v_sub_f32_e32 v52, v47, v51
	v_sub_f32_e32 v47, v47, v52
	;; [unrolled: 1-line block ×4, first 2 shown]
	v_add_f32_e32 v45, v45, v47
	v_sub_f32_e32 v47, v48, v50
	v_add_f32_e32 v45, v47, v45
	v_add_f32_e32 v47, v52, v45
	v_mul_f32_e32 v48, v49, v47
	v_mul_f32_e32 v50, v44, v48
	v_fma_f32 v44, v48, v44, -v50
	v_fmac_f32_e32 v44, v48, v25
	v_sub_f32_e32 v25, v52, v47
	v_add_f32_e32 v25, v45, v25
	v_add_f32_e32 v45, v50, v44
	v_sub_f32_e32 v51, v47, v45
	v_sub_f32_e32 v47, v47, v51
	;; [unrolled: 1-line block ×4, first 2 shown]
	v_add_f32_e32 v25, v25, v45
	v_sub_f32_e32 v44, v50, v44
	v_add_f32_e32 v25, v44, v25
	v_add_f32_e32 v44, v46, v48
	;; [unrolled: 1-line block ×3, first 2 shown]
	v_sub_f32_e32 v45, v44, v46
	v_mul_f32_e32 v25, v49, v25
	v_sub_f32_e32 v45, v48, v45
	v_add_f32_e32 v25, v45, v25
	v_cvt_f32_i32_e32 v24, v24
	v_add_f32_e32 v45, v44, v25
	v_mul_f32_e32 v46, v45, v45
	v_mov_b32_e32 v47, 0x3ecc95a3
	v_fmac_f32_e32 v47, 0x3e9b6dac, v46
	v_mov_b32_e32 v48, 0x3f2aaada
	v_fmac_f32_e32 v48, v46, v47
	v_mul_f32_e32 v47, 0x3f317218, v24
	v_fma_f32 v49, v24, s8, -v47
	v_fmac_f32_e32 v49, 0xb102e308, v24
	v_sub_f32_e32 v24, v45, v44
	v_sub_f32_e32 v24, v25, v24
	v_add_f32_e32 v25, v47, v49
	v_sub_f32_e32 v44, v25, v47
	v_ldexp_f32 v47, v45, 1
	v_mul_f32_e32 v45, v45, v46
	v_mul_f32_e32 v45, v45, v48
	v_add_f32_e32 v46, v47, v45
	v_sub_f32_e32 v47, v46, v47
	v_ldexp_f32 v24, v24, 1
	v_sub_f32_e32 v45, v45, v47
	v_add_f32_e32 v24, v24, v45
	v_add_f32_e32 v45, v46, v24
	v_sub_f32_e32 v46, v45, v46
	v_sub_f32_e32 v24, v24, v46
	v_add_f32_e32 v46, v25, v45
	v_sub_f32_e32 v47, v46, v25
	v_sub_f32_e32 v48, v46, v47
	;; [unrolled: 1-line block ×5, first 2 shown]
	v_add_f32_e32 v25, v45, v25
	v_add_f32_e32 v45, v44, v24
	v_sub_f32_e32 v47, v45, v44
	v_sub_f32_e32 v48, v45, v47
	;; [unrolled: 1-line block ×4, first 2 shown]
	v_add_f32_e32 v25, v45, v25
	v_add_f32_e32 v24, v24, v44
	;; [unrolled: 1-line block ×3, first 2 shown]
	v_sub_f32_e32 v45, v44, v46
	v_sub_f32_e32 v25, v25, v45
	v_add_f32_e32 v24, v24, v25
	v_add_f32_e32 v24, v44, v24
	v_cmp_neq_f32_e32 vcc, s7, v17
	s_mov_b32 s7, 0x33800000
	v_cndmask_b32_e32 v24, v26, v24, vcc
	v_cmp_lt_f32_e64 vcc, |v17|, s7
	v_cndmask_b32_e32 v17, v24, v17, vcc
	v_add_f32_e32 v17, v23, v17
	v_cvt_f16_f32_e32 v47, v17
	v_cvt_f32_f16_e32 v17, v47
	v_mov_b32_e32 v44, v47
.LBB420_235:
	s_or_b64 exec, exec, s[4:5]
	v_max_f32_e32 v23, v27, v27
	v_max_f32_e32 v24, v17, v17
	v_min_f32_e32 v25, v24, v23
	v_cmp_u_f16_e32 vcc, v47, v47
	v_max_f32_e32 v23, v24, v23
	v_cndmask_b32_e32 v25, v25, v17, vcc
	v_cndmask_b32_e32 v23, v23, v17, vcc
	v_cndmask_b32_e64 v25, v25, v27, s[18:19]
	v_cndmask_b32_e64 v24, v23, v27, s[18:19]
	v_cmp_neq_f32_e32 vcc, v25, v24
	v_cmp_class_f32_e64 s[4:5], v25, s6
	s_or_b64 s[6:7], vcc, s[4:5]
	v_mov_b32_e32 v23, v44
	s_and_saveexec_b64 s[4:5], s[6:7]
	s_cbranch_execz .LBB420_237
; %bb.236:
	v_sub_f32_e32 v17, v25, v24
	s_mov_b32 s6, 0x3fb8aa3b
	v_mul_f32_e32 v23, 0x3fb8aa3b, v17
	v_fma_f32 v25, v17, s6, -v23
	v_rndne_f32_e32 v26, v23
	v_fmac_f32_e32 v25, 0x32a5705f, v17
	v_sub_f32_e32 v23, v23, v26
	v_add_f32_e32 v23, v23, v25
	v_exp_f32_e32 v23, v23
	v_cvt_i32_f32_e32 v25, v26
	s_mov_b32 s6, 0xc2ce8ed0
	v_cmp_ngt_f32_e32 vcc, s6, v17
	s_mov_b32 s6, 0x42b17218
	v_ldexp_f32 v23, v23, v25
	v_cndmask_b32_e32 v23, 0, v23, vcc
	v_mov_b32_e32 v27, 0x7f800000
	v_cmp_nlt_f32_e32 vcc, s6, v17
	v_cndmask_b32_e32 v17, v27, v23, vcc
	v_add_f32_e32 v23, 1.0, v17
	v_cvt_f64_f32_e32 v[25:26], v23
	v_add_f32_e32 v45, -1.0, v23
	v_sub_f32_e32 v46, v45, v23
	v_sub_f32_e32 v45, v17, v45
	v_frexp_exp_i32_f64_e32 v25, v[25:26]
	v_add_f32_e32 v26, 1.0, v46
	v_add_f32_e32 v26, v45, v26
	v_frexp_mant_f32_e32 v45, v23
	s_mov_b32 s7, 0x3f2aaaab
	v_cmp_gt_f32_e32 vcc, s7, v45
	s_mov_b32 s7, 0x3f317218
	s_mov_b32 s6, 0x7f800000
	v_subbrev_co_u32_e32 v25, vcc, 0, v25, vcc
	v_sub_u32_e32 v45, 0, v25
	v_ldexp_f32 v23, v23, v45
	v_ldexp_f32 v26, v26, v45
	v_add_f32_e32 v45, -1.0, v23
	v_add_f32_e32 v48, 1.0, v23
	v_add_f32_e32 v46, 1.0, v45
	v_add_f32_e32 v49, -1.0, v48
	v_sub_f32_e32 v46, v23, v46
	v_sub_f32_e32 v23, v23, v49
	v_add_f32_e32 v23, v26, v23
	v_add_f32_e32 v46, v26, v46
	;; [unrolled: 1-line block ×3, first 2 shown]
	v_rcp_f32_e32 v49, v26
	v_add_f32_e32 v47, v45, v46
	v_sub_f32_e32 v45, v45, v47
	v_add_f32_e32 v45, v46, v45
	v_sub_f32_e32 v46, v48, v26
	v_add_f32_e32 v23, v23, v46
	v_mul_f32_e32 v46, v47, v49
	v_mul_f32_e32 v48, v26, v46
	v_fma_f32 v50, v46, v26, -v48
	v_fmac_f32_e32 v50, v46, v23
	v_add_f32_e32 v51, v48, v50
	v_sub_f32_e32 v52, v47, v51
	v_sub_f32_e32 v47, v47, v52
	;; [unrolled: 1-line block ×4, first 2 shown]
	v_add_f32_e32 v45, v45, v47
	v_sub_f32_e32 v47, v48, v50
	v_add_f32_e32 v45, v47, v45
	v_add_f32_e32 v47, v52, v45
	v_mul_f32_e32 v48, v49, v47
	v_mul_f32_e32 v50, v26, v48
	v_fma_f32 v26, v48, v26, -v50
	v_fmac_f32_e32 v26, v48, v23
	v_sub_f32_e32 v23, v52, v47
	v_add_f32_e32 v23, v45, v23
	v_add_f32_e32 v45, v50, v26
	v_sub_f32_e32 v51, v47, v45
	v_sub_f32_e32 v47, v47, v51
	;; [unrolled: 1-line block ×4, first 2 shown]
	v_add_f32_e32 v23, v23, v45
	v_sub_f32_e32 v26, v50, v26
	v_add_f32_e32 v23, v26, v23
	v_add_f32_e32 v26, v46, v48
	;; [unrolled: 1-line block ×3, first 2 shown]
	v_sub_f32_e32 v45, v26, v46
	v_mul_f32_e32 v23, v49, v23
	v_sub_f32_e32 v45, v48, v45
	v_add_f32_e32 v23, v45, v23
	v_cvt_f32_i32_e32 v25, v25
	v_add_f32_e32 v45, v26, v23
	v_mul_f32_e32 v46, v45, v45
	v_mov_b32_e32 v47, 0x3ecc95a3
	v_fmac_f32_e32 v47, 0x3e9b6dac, v46
	v_mov_b32_e32 v48, 0x3f2aaada
	v_fmac_f32_e32 v48, v46, v47
	v_mul_f32_e32 v47, 0x3f317218, v25
	v_fma_f32 v49, v25, s7, -v47
	v_fmac_f32_e32 v49, 0xb102e308, v25
	v_sub_f32_e32 v25, v45, v26
	v_sub_f32_e32 v23, v23, v25
	v_add_f32_e32 v25, v47, v49
	v_sub_f32_e32 v26, v25, v47
	v_ldexp_f32 v47, v45, 1
	v_mul_f32_e32 v45, v45, v46
	v_mul_f32_e32 v45, v45, v48
	v_add_f32_e32 v46, v47, v45
	v_sub_f32_e32 v47, v46, v47
	v_ldexp_f32 v23, v23, 1
	v_sub_f32_e32 v45, v45, v47
	v_add_f32_e32 v23, v23, v45
	v_add_f32_e32 v45, v46, v23
	v_sub_f32_e32 v46, v45, v46
	v_sub_f32_e32 v23, v23, v46
	v_add_f32_e32 v46, v25, v45
	v_sub_f32_e32 v47, v46, v25
	v_sub_f32_e32 v48, v46, v47
	;; [unrolled: 1-line block ×5, first 2 shown]
	v_add_f32_e32 v25, v45, v25
	v_add_f32_e32 v45, v26, v23
	v_sub_f32_e32 v47, v45, v26
	v_sub_f32_e32 v48, v45, v47
	;; [unrolled: 1-line block ×4, first 2 shown]
	v_add_f32_e32 v25, v45, v25
	v_add_f32_e32 v23, v23, v26
	;; [unrolled: 1-line block ×3, first 2 shown]
	v_sub_f32_e32 v45, v26, v46
	v_sub_f32_e32 v25, v25, v45
	v_add_f32_e32 v23, v23, v25
	v_add_f32_e32 v23, v26, v23
	v_cmp_neq_f32_e32 vcc, s6, v17
	s_mov_b32 s6, 0x33800000
	v_cndmask_b32_e32 v23, v27, v23, vcc
	v_cmp_lt_f32_e64 vcc, |v17|, s6
	v_cndmask_b32_e32 v17, v23, v17, vcc
	v_add_f32_e32 v17, v24, v17
	v_cvt_f16_f32_e32 v47, v17
	v_cvt_f32_f16_e32 v17, v47
	v_mov_b32_e32 v23, v47
.LBB420_237:
	s_or_b64 exec, exec, s[4:5]
	v_max_f32_e32 v24, v28, v28
	v_max_f32_e32 v26, v17, v17
	v_min_f32_e32 v25, v26, v24
	v_cmp_u_f16_e32 vcc, v47, v47
	v_max_f32_e32 v24, v26, v24
	v_cndmask_b32_e32 v25, v25, v17, vcc
	v_cndmask_b32_e32 v24, v24, v17, vcc
	v_cndmask_b32_e64 v25, v25, v28, s[20:21]
	v_cndmask_b32_e64 v24, v24, v28, s[20:21]
	s_movk_i32 s6, 0x1f8
	v_cmp_neq_f32_e32 vcc, v25, v24
	v_cmp_class_f32_e64 s[4:5], v25, s6
	s_or_b64 s[8:9], vcc, s[4:5]
	v_mov_b32_e32 v45, v23
	s_and_saveexec_b64 s[4:5], s[8:9]
	s_cbranch_execz .LBB420_239
; %bb.238:
	v_sub_f32_e32 v17, v25, v24
	s_mov_b32 s7, 0x3fb8aa3b
	v_mul_f32_e32 v25, 0x3fb8aa3b, v17
	v_fma_f32 v26, v17, s7, -v25
	v_rndne_f32_e32 v27, v25
	v_fmac_f32_e32 v26, 0x32a5705f, v17
	v_sub_f32_e32 v25, v25, v27
	v_add_f32_e32 v25, v25, v26
	v_exp_f32_e32 v25, v25
	v_cvt_i32_f32_e32 v26, v27
	s_mov_b32 s7, 0xc2ce8ed0
	v_cmp_ngt_f32_e32 vcc, s7, v17
	s_mov_b32 s7, 0x42b17218
	v_ldexp_f32 v25, v25, v26
	v_cndmask_b32_e32 v25, 0, v25, vcc
	v_mov_b32_e32 v27, 0x7f800000
	v_cmp_nlt_f32_e32 vcc, s7, v17
	v_cndmask_b32_e32 v17, v27, v25, vcc
	v_add_f32_e32 v28, 1.0, v17
	v_cvt_f64_f32_e32 v[25:26], v28
	v_add_f32_e32 v45, -1.0, v28
	v_sub_f32_e32 v46, v45, v28
	v_sub_f32_e32 v45, v17, v45
	v_frexp_exp_i32_f64_e32 v25, v[25:26]
	v_add_f32_e32 v26, 1.0, v46
	v_add_f32_e32 v26, v45, v26
	v_frexp_mant_f32_e32 v45, v28
	s_mov_b32 s8, 0x3f2aaaab
	v_cmp_gt_f32_e32 vcc, s8, v45
	s_mov_b32 s8, 0x3f317218
	s_mov_b32 s7, 0x7f800000
	v_subbrev_co_u32_e32 v25, vcc, 0, v25, vcc
	v_sub_u32_e32 v45, 0, v25
	v_ldexp_f32 v28, v28, v45
	v_ldexp_f32 v26, v26, v45
	v_add_f32_e32 v45, -1.0, v28
	v_add_f32_e32 v48, 1.0, v28
	v_add_f32_e32 v46, 1.0, v45
	v_add_f32_e32 v49, -1.0, v48
	v_sub_f32_e32 v46, v28, v46
	v_sub_f32_e32 v28, v28, v49
	v_add_f32_e32 v46, v26, v46
	v_add_f32_e32 v26, v26, v28
	;; [unrolled: 1-line block ×3, first 2 shown]
	v_rcp_f32_e32 v49, v28
	v_add_f32_e32 v47, v45, v46
	v_sub_f32_e32 v45, v45, v47
	v_add_f32_e32 v45, v46, v45
	v_sub_f32_e32 v46, v48, v28
	v_add_f32_e32 v26, v26, v46
	v_mul_f32_e32 v46, v47, v49
	v_mul_f32_e32 v48, v28, v46
	v_fma_f32 v50, v46, v28, -v48
	v_fmac_f32_e32 v50, v46, v26
	v_add_f32_e32 v51, v48, v50
	v_sub_f32_e32 v52, v47, v51
	v_sub_f32_e32 v47, v47, v52
	;; [unrolled: 1-line block ×4, first 2 shown]
	v_add_f32_e32 v45, v45, v47
	v_sub_f32_e32 v47, v48, v50
	v_add_f32_e32 v45, v47, v45
	v_add_f32_e32 v47, v52, v45
	v_mul_f32_e32 v48, v49, v47
	v_mul_f32_e32 v50, v28, v48
	v_fma_f32 v28, v48, v28, -v50
	v_fmac_f32_e32 v28, v48, v26
	v_sub_f32_e32 v26, v52, v47
	v_add_f32_e32 v26, v45, v26
	v_add_f32_e32 v45, v50, v28
	v_sub_f32_e32 v51, v47, v45
	v_sub_f32_e32 v47, v47, v51
	;; [unrolled: 1-line block ×4, first 2 shown]
	v_add_f32_e32 v26, v26, v45
	v_sub_f32_e32 v28, v50, v28
	v_add_f32_e32 v26, v28, v26
	v_add_f32_e32 v28, v46, v48
	;; [unrolled: 1-line block ×3, first 2 shown]
	v_sub_f32_e32 v45, v28, v46
	v_mul_f32_e32 v26, v49, v26
	v_sub_f32_e32 v45, v48, v45
	v_add_f32_e32 v26, v45, v26
	v_cvt_f32_i32_e32 v25, v25
	v_add_f32_e32 v45, v28, v26
	v_mul_f32_e32 v46, v45, v45
	v_mov_b32_e32 v47, 0x3ecc95a3
	v_fmac_f32_e32 v47, 0x3e9b6dac, v46
	v_mov_b32_e32 v48, 0x3f2aaada
	v_fmac_f32_e32 v48, v46, v47
	v_mul_f32_e32 v47, 0x3f317218, v25
	v_fma_f32 v49, v25, s8, -v47
	v_fmac_f32_e32 v49, 0xb102e308, v25
	v_sub_f32_e32 v25, v45, v28
	v_sub_f32_e32 v25, v26, v25
	v_add_f32_e32 v26, v47, v49
	v_sub_f32_e32 v28, v26, v47
	v_ldexp_f32 v47, v45, 1
	v_mul_f32_e32 v45, v45, v46
	v_mul_f32_e32 v45, v45, v48
	v_add_f32_e32 v46, v47, v45
	v_sub_f32_e32 v47, v46, v47
	v_ldexp_f32 v25, v25, 1
	v_sub_f32_e32 v45, v45, v47
	v_add_f32_e32 v25, v25, v45
	v_add_f32_e32 v45, v46, v25
	v_sub_f32_e32 v46, v45, v46
	v_sub_f32_e32 v25, v25, v46
	v_add_f32_e32 v46, v26, v45
	v_sub_f32_e32 v47, v46, v26
	v_sub_f32_e32 v48, v46, v47
	;; [unrolled: 1-line block ×5, first 2 shown]
	v_add_f32_e32 v26, v45, v26
	v_add_f32_e32 v45, v28, v25
	v_sub_f32_e32 v47, v45, v28
	v_sub_f32_e32 v48, v45, v47
	v_sub_f32_e32 v28, v28, v48
	v_sub_f32_e32 v25, v25, v47
	v_add_f32_e32 v26, v45, v26
	v_add_f32_e32 v25, v25, v28
	;; [unrolled: 1-line block ×3, first 2 shown]
	v_sub_f32_e32 v45, v28, v46
	v_sub_f32_e32 v26, v26, v45
	v_add_f32_e32 v25, v25, v26
	v_add_f32_e32 v25, v28, v25
	v_cmp_neq_f32_e32 vcc, s7, v17
	s_mov_b32 s7, 0x33800000
	v_cndmask_b32_e32 v25, v27, v25, vcc
	v_cmp_lt_f32_e64 vcc, |v17|, s7
	v_cndmask_b32_e32 v17, v25, v17, vcc
	v_add_f32_e32 v17, v24, v17
	v_cvt_f16_f32_e32 v47, v17
	v_cvt_f32_f16_e32 v17, v47
	v_mov_b32_e32 v45, v47
.LBB420_239:
	s_or_b64 exec, exec, s[4:5]
	v_max_f32_e32 v24, v29, v29
	v_max_f32_e32 v25, v17, v17
	v_min_f32_e32 v26, v25, v24
	v_cmp_u_f16_e32 vcc, v47, v47
	v_max_f32_e32 v24, v25, v24
	v_cndmask_b32_e32 v26, v26, v17, vcc
	v_cndmask_b32_e32 v24, v24, v17, vcc
	v_cndmask_b32_e64 v26, v26, v29, s[22:23]
	v_cndmask_b32_e64 v25, v24, v29, s[22:23]
	v_cmp_neq_f32_e32 vcc, v26, v25
	v_cmp_class_f32_e64 s[4:5], v26, s6
	s_or_b64 s[6:7], vcc, s[4:5]
	v_mov_b32_e32 v24, v45
	s_and_saveexec_b64 s[4:5], s[6:7]
	s_cbranch_execz .LBB420_241
; %bb.240:
	v_sub_f32_e32 v17, v26, v25
	s_mov_b32 s6, 0x3fb8aa3b
	v_mul_f32_e32 v24, 0x3fb8aa3b, v17
	v_fma_f32 v26, v17, s6, -v24
	v_rndne_f32_e32 v27, v24
	v_fmac_f32_e32 v26, 0x32a5705f, v17
	v_sub_f32_e32 v24, v24, v27
	v_add_f32_e32 v24, v24, v26
	v_exp_f32_e32 v24, v24
	v_cvt_i32_f32_e32 v26, v27
	s_mov_b32 s6, 0xc2ce8ed0
	v_cmp_ngt_f32_e32 vcc, s6, v17
	s_mov_b32 s6, 0x42b17218
	v_ldexp_f32 v24, v24, v26
	v_cndmask_b32_e32 v24, 0, v24, vcc
	v_mov_b32_e32 v28, 0x7f800000
	v_cmp_nlt_f32_e32 vcc, s6, v17
	v_cndmask_b32_e32 v17, v28, v24, vcc
	v_add_f32_e32 v24, 1.0, v17
	v_cvt_f64_f32_e32 v[26:27], v24
	v_add_f32_e32 v29, -1.0, v24
	v_sub_f32_e32 v46, v29, v24
	v_sub_f32_e32 v29, v17, v29
	v_frexp_exp_i32_f64_e32 v26, v[26:27]
	v_add_f32_e32 v27, 1.0, v46
	v_add_f32_e32 v27, v29, v27
	v_frexp_mant_f32_e32 v29, v24
	s_mov_b32 s7, 0x3f2aaaab
	v_cmp_gt_f32_e32 vcc, s7, v29
	s_mov_b32 s7, 0x3f317218
	s_mov_b32 s6, 0x7f800000
	v_subbrev_co_u32_e32 v26, vcc, 0, v26, vcc
	v_sub_u32_e32 v29, 0, v26
	v_ldexp_f32 v24, v24, v29
	v_ldexp_f32 v27, v27, v29
	v_add_f32_e32 v29, -1.0, v24
	v_add_f32_e32 v48, 1.0, v24
	v_add_f32_e32 v46, 1.0, v29
	v_add_f32_e32 v49, -1.0, v48
	v_sub_f32_e32 v46, v24, v46
	v_sub_f32_e32 v24, v24, v49
	v_add_f32_e32 v24, v27, v24
	v_add_f32_e32 v46, v27, v46
	;; [unrolled: 1-line block ×3, first 2 shown]
	v_rcp_f32_e32 v49, v27
	v_add_f32_e32 v47, v29, v46
	v_sub_f32_e32 v29, v29, v47
	v_add_f32_e32 v29, v46, v29
	v_sub_f32_e32 v46, v48, v27
	v_add_f32_e32 v24, v24, v46
	v_mul_f32_e32 v46, v47, v49
	v_mul_f32_e32 v48, v27, v46
	v_fma_f32 v50, v46, v27, -v48
	v_fmac_f32_e32 v50, v46, v24
	v_add_f32_e32 v51, v48, v50
	v_sub_f32_e32 v52, v47, v51
	v_sub_f32_e32 v47, v47, v52
	;; [unrolled: 1-line block ×4, first 2 shown]
	v_add_f32_e32 v29, v29, v47
	v_sub_f32_e32 v47, v48, v50
	v_add_f32_e32 v29, v47, v29
	v_add_f32_e32 v47, v52, v29
	v_mul_f32_e32 v48, v49, v47
	v_mul_f32_e32 v50, v27, v48
	v_fma_f32 v27, v48, v27, -v50
	v_fmac_f32_e32 v27, v48, v24
	v_sub_f32_e32 v24, v52, v47
	v_add_f32_e32 v24, v29, v24
	v_add_f32_e32 v29, v50, v27
	v_sub_f32_e32 v51, v47, v29
	v_sub_f32_e32 v47, v47, v51
	;; [unrolled: 1-line block ×4, first 2 shown]
	v_add_f32_e32 v24, v24, v29
	v_sub_f32_e32 v27, v50, v27
	v_add_f32_e32 v24, v27, v24
	v_add_f32_e32 v27, v46, v48
	;; [unrolled: 1-line block ×3, first 2 shown]
	v_sub_f32_e32 v29, v27, v46
	v_mul_f32_e32 v24, v49, v24
	v_sub_f32_e32 v29, v48, v29
	v_add_f32_e32 v24, v29, v24
	v_cvt_f32_i32_e32 v26, v26
	v_add_f32_e32 v29, v27, v24
	v_mul_f32_e32 v46, v29, v29
	v_mov_b32_e32 v47, 0x3ecc95a3
	v_fmac_f32_e32 v47, 0x3e9b6dac, v46
	v_mov_b32_e32 v48, 0x3f2aaada
	v_fmac_f32_e32 v48, v46, v47
	v_mul_f32_e32 v47, 0x3f317218, v26
	v_fma_f32 v49, v26, s7, -v47
	v_fmac_f32_e32 v49, 0xb102e308, v26
	v_sub_f32_e32 v26, v29, v27
	v_sub_f32_e32 v24, v24, v26
	v_add_f32_e32 v26, v47, v49
	v_sub_f32_e32 v27, v26, v47
	v_ldexp_f32 v47, v29, 1
	v_mul_f32_e32 v29, v29, v46
	v_mul_f32_e32 v29, v29, v48
	v_add_f32_e32 v46, v47, v29
	v_sub_f32_e32 v47, v46, v47
	v_ldexp_f32 v24, v24, 1
	v_sub_f32_e32 v29, v29, v47
	v_add_f32_e32 v24, v24, v29
	v_add_f32_e32 v29, v46, v24
	v_sub_f32_e32 v46, v29, v46
	v_sub_f32_e32 v24, v24, v46
	v_add_f32_e32 v46, v26, v29
	v_sub_f32_e32 v47, v46, v26
	v_sub_f32_e32 v48, v46, v47
	;; [unrolled: 1-line block ×5, first 2 shown]
	v_add_f32_e32 v26, v29, v26
	v_add_f32_e32 v29, v27, v24
	v_sub_f32_e32 v47, v29, v27
	v_sub_f32_e32 v48, v29, v47
	;; [unrolled: 1-line block ×4, first 2 shown]
	v_add_f32_e32 v26, v29, v26
	v_add_f32_e32 v24, v24, v27
	;; [unrolled: 1-line block ×3, first 2 shown]
	v_sub_f32_e32 v29, v27, v46
	v_sub_f32_e32 v26, v26, v29
	v_add_f32_e32 v24, v24, v26
	v_add_f32_e32 v24, v27, v24
	v_cmp_neq_f32_e32 vcc, s6, v17
	s_mov_b32 s6, 0x33800000
	v_cndmask_b32_e32 v24, v28, v24, vcc
	v_cmp_lt_f32_e64 vcc, |v17|, s6
	v_cndmask_b32_e32 v17, v24, v17, vcc
	v_add_f32_e32 v17, v25, v17
	v_cvt_f16_f32_e32 v47, v17
	v_cvt_f32_f16_e32 v17, v47
	v_mov_b32_e32 v24, v47
.LBB420_241:
	s_or_b64 exec, exec, s[4:5]
	v_max_f32_e32 v25, v30, v30
	v_max_f32_e32 v27, v17, v17
	v_min_f32_e32 v26, v27, v25
	v_cmp_u_f16_e32 vcc, v47, v47
	v_max_f32_e32 v25, v27, v25
	v_cndmask_b32_e32 v26, v26, v17, vcc
	v_cndmask_b32_e32 v25, v25, v17, vcc
	v_cndmask_b32_e64 v26, v26, v30, s[24:25]
	v_cndmask_b32_e64 v25, v25, v30, s[24:25]
	s_movk_i32 s6, 0x1f8
	v_cmp_neq_f32_e32 vcc, v26, v25
	v_cmp_class_f32_e64 s[4:5], v26, s6
	s_or_b64 s[8:9], vcc, s[4:5]
	v_mov_b32_e32 v46, v24
	s_and_saveexec_b64 s[4:5], s[8:9]
	s_cbranch_execz .LBB420_243
; %bb.242:
	v_sub_f32_e32 v17, v26, v25
	s_mov_b32 s7, 0x3fb8aa3b
	v_mul_f32_e32 v26, 0x3fb8aa3b, v17
	v_fma_f32 v27, v17, s7, -v26
	v_rndne_f32_e32 v28, v26
	v_fmac_f32_e32 v27, 0x32a5705f, v17
	v_sub_f32_e32 v26, v26, v28
	v_add_f32_e32 v26, v26, v27
	v_exp_f32_e32 v26, v26
	v_cvt_i32_f32_e32 v27, v28
	s_mov_b32 s7, 0xc2ce8ed0
	v_cmp_ngt_f32_e32 vcc, s7, v17
	s_mov_b32 s7, 0x42b17218
	v_ldexp_f32 v26, v26, v27
	v_cndmask_b32_e32 v26, 0, v26, vcc
	v_mov_b32_e32 v28, 0x7f800000
	v_cmp_nlt_f32_e32 vcc, s7, v17
	v_cndmask_b32_e32 v17, v28, v26, vcc
	v_add_f32_e32 v29, 1.0, v17
	v_cvt_f64_f32_e32 v[26:27], v29
	v_add_f32_e32 v30, -1.0, v29
	v_sub_f32_e32 v46, v30, v29
	v_sub_f32_e32 v30, v17, v30
	v_frexp_exp_i32_f64_e32 v26, v[26:27]
	v_add_f32_e32 v27, 1.0, v46
	v_add_f32_e32 v27, v30, v27
	v_frexp_mant_f32_e32 v30, v29
	s_mov_b32 s8, 0x3f2aaaab
	v_cmp_gt_f32_e32 vcc, s8, v30
	s_mov_b32 s8, 0x3f317218
	s_mov_b32 s7, 0x7f800000
	v_subbrev_co_u32_e32 v26, vcc, 0, v26, vcc
	v_sub_u32_e32 v30, 0, v26
	v_ldexp_f32 v29, v29, v30
	v_ldexp_f32 v27, v27, v30
	v_add_f32_e32 v30, -1.0, v29
	v_add_f32_e32 v48, 1.0, v29
	v_add_f32_e32 v46, 1.0, v30
	v_add_f32_e32 v49, -1.0, v48
	v_sub_f32_e32 v46, v29, v46
	v_sub_f32_e32 v29, v29, v49
	v_add_f32_e32 v46, v27, v46
	v_add_f32_e32 v27, v27, v29
	;; [unrolled: 1-line block ×3, first 2 shown]
	v_rcp_f32_e32 v49, v29
	v_add_f32_e32 v47, v30, v46
	v_sub_f32_e32 v30, v30, v47
	v_add_f32_e32 v30, v46, v30
	v_sub_f32_e32 v46, v48, v29
	v_add_f32_e32 v27, v27, v46
	v_mul_f32_e32 v46, v47, v49
	v_mul_f32_e32 v48, v29, v46
	v_fma_f32 v50, v46, v29, -v48
	v_fmac_f32_e32 v50, v46, v27
	v_add_f32_e32 v51, v48, v50
	v_sub_f32_e32 v52, v47, v51
	v_sub_f32_e32 v47, v47, v52
	;; [unrolled: 1-line block ×4, first 2 shown]
	v_add_f32_e32 v30, v30, v47
	v_sub_f32_e32 v47, v48, v50
	v_add_f32_e32 v30, v47, v30
	v_add_f32_e32 v47, v52, v30
	v_mul_f32_e32 v48, v49, v47
	v_mul_f32_e32 v50, v29, v48
	v_fma_f32 v29, v48, v29, -v50
	v_fmac_f32_e32 v29, v48, v27
	v_sub_f32_e32 v27, v52, v47
	v_add_f32_e32 v27, v30, v27
	v_add_f32_e32 v30, v50, v29
	v_sub_f32_e32 v51, v47, v30
	v_sub_f32_e32 v47, v47, v51
	;; [unrolled: 1-line block ×4, first 2 shown]
	v_add_f32_e32 v27, v27, v30
	v_sub_f32_e32 v29, v50, v29
	v_add_f32_e32 v27, v29, v27
	v_add_f32_e32 v29, v46, v48
	;; [unrolled: 1-line block ×3, first 2 shown]
	v_sub_f32_e32 v30, v29, v46
	v_mul_f32_e32 v27, v49, v27
	v_sub_f32_e32 v30, v48, v30
	v_add_f32_e32 v27, v30, v27
	v_cvt_f32_i32_e32 v26, v26
	v_add_f32_e32 v30, v29, v27
	v_mul_f32_e32 v46, v30, v30
	v_mov_b32_e32 v47, 0x3ecc95a3
	v_fmac_f32_e32 v47, 0x3e9b6dac, v46
	v_mov_b32_e32 v48, 0x3f2aaada
	v_fmac_f32_e32 v48, v46, v47
	v_mul_f32_e32 v47, 0x3f317218, v26
	v_fma_f32 v49, v26, s8, -v47
	v_fmac_f32_e32 v49, 0xb102e308, v26
	v_sub_f32_e32 v26, v30, v29
	v_sub_f32_e32 v26, v27, v26
	v_add_f32_e32 v27, v47, v49
	v_sub_f32_e32 v29, v27, v47
	v_ldexp_f32 v47, v30, 1
	v_mul_f32_e32 v30, v30, v46
	v_mul_f32_e32 v30, v30, v48
	v_add_f32_e32 v46, v47, v30
	v_sub_f32_e32 v47, v46, v47
	v_ldexp_f32 v26, v26, 1
	v_sub_f32_e32 v30, v30, v47
	v_add_f32_e32 v26, v26, v30
	v_add_f32_e32 v30, v46, v26
	v_sub_f32_e32 v46, v30, v46
	v_sub_f32_e32 v26, v26, v46
	v_add_f32_e32 v46, v27, v30
	v_sub_f32_e32 v47, v46, v27
	v_sub_f32_e32 v48, v46, v47
	;; [unrolled: 1-line block ×5, first 2 shown]
	v_add_f32_e32 v27, v30, v27
	v_add_f32_e32 v30, v29, v26
	v_sub_f32_e32 v47, v30, v29
	v_sub_f32_e32 v48, v30, v47
	;; [unrolled: 1-line block ×4, first 2 shown]
	v_add_f32_e32 v27, v30, v27
	v_add_f32_e32 v26, v26, v29
	;; [unrolled: 1-line block ×3, first 2 shown]
	v_sub_f32_e32 v30, v29, v46
	v_sub_f32_e32 v27, v27, v30
	v_add_f32_e32 v26, v26, v27
	v_add_f32_e32 v26, v29, v26
	v_cmp_neq_f32_e32 vcc, s7, v17
	s_mov_b32 s7, 0x33800000
	v_cndmask_b32_e32 v26, v28, v26, vcc
	v_cmp_lt_f32_e64 vcc, |v17|, s7
	v_cndmask_b32_e32 v17, v26, v17, vcc
	v_add_f32_e32 v17, v25, v17
	v_cvt_f16_f32_e32 v47, v17
	v_cvt_f32_f16_e32 v17, v47
	v_mov_b32_e32 v46, v47
.LBB420_243:
	s_or_b64 exec, exec, s[4:5]
	v_max_f32_e32 v25, v31, v31
	v_max_f32_e32 v26, v17, v17
	v_min_f32_e32 v27, v26, v25
	v_cmp_u_f16_e32 vcc, v47, v47
	v_max_f32_e32 v25, v26, v25
	v_cndmask_b32_e32 v27, v27, v17, vcc
	v_cndmask_b32_e32 v25, v25, v17, vcc
	v_cndmask_b32_e64 v27, v27, v31, s[26:27]
	v_cndmask_b32_e64 v26, v25, v31, s[26:27]
	v_cmp_neq_f32_e32 vcc, v27, v26
	v_cmp_class_f32_e64 s[4:5], v27, s6
	s_or_b64 s[6:7], vcc, s[4:5]
	v_mov_b32_e32 v25, v46
	s_and_saveexec_b64 s[4:5], s[6:7]
	s_cbranch_execz .LBB420_245
; %bb.244:
	v_sub_f32_e32 v17, v27, v26
	s_mov_b32 s6, 0x3fb8aa3b
	v_mul_f32_e32 v25, 0x3fb8aa3b, v17
	v_fma_f32 v27, v17, s6, -v25
	v_rndne_f32_e32 v28, v25
	v_fmac_f32_e32 v27, 0x32a5705f, v17
	v_sub_f32_e32 v25, v25, v28
	v_add_f32_e32 v25, v25, v27
	v_exp_f32_e32 v25, v25
	v_cvt_i32_f32_e32 v27, v28
	s_mov_b32 s6, 0xc2ce8ed0
	v_cmp_ngt_f32_e32 vcc, s6, v17
	s_mov_b32 s6, 0x42b17218
	v_ldexp_f32 v25, v25, v27
	v_cndmask_b32_e32 v25, 0, v25, vcc
	v_mov_b32_e32 v29, 0x7f800000
	v_cmp_nlt_f32_e32 vcc, s6, v17
	v_cndmask_b32_e32 v17, v29, v25, vcc
	v_add_f32_e32 v25, 1.0, v17
	v_cvt_f64_f32_e32 v[27:28], v25
	v_add_f32_e32 v30, -1.0, v25
	v_sub_f32_e32 v31, v30, v25
	v_sub_f32_e32 v30, v17, v30
	v_frexp_exp_i32_f64_e32 v27, v[27:28]
	v_add_f32_e32 v28, 1.0, v31
	v_add_f32_e32 v28, v30, v28
	v_frexp_mant_f32_e32 v30, v25
	s_mov_b32 s7, 0x3f2aaaab
	v_cmp_gt_f32_e32 vcc, s7, v30
	s_mov_b32 s7, 0x3f317218
	s_mov_b32 s6, 0x7f800000
	v_subbrev_co_u32_e32 v27, vcc, 0, v27, vcc
	v_sub_u32_e32 v30, 0, v27
	v_ldexp_f32 v25, v25, v30
	v_ldexp_f32 v28, v28, v30
	v_add_f32_e32 v30, -1.0, v25
	v_add_f32_e32 v48, 1.0, v25
	v_add_f32_e32 v31, 1.0, v30
	v_add_f32_e32 v49, -1.0, v48
	v_sub_f32_e32 v31, v25, v31
	v_sub_f32_e32 v25, v25, v49
	v_add_f32_e32 v25, v28, v25
	v_add_f32_e32 v31, v28, v31
	;; [unrolled: 1-line block ×3, first 2 shown]
	v_rcp_f32_e32 v49, v28
	v_add_f32_e32 v47, v30, v31
	v_sub_f32_e32 v30, v30, v47
	v_add_f32_e32 v30, v31, v30
	v_sub_f32_e32 v31, v48, v28
	v_add_f32_e32 v25, v25, v31
	v_mul_f32_e32 v31, v47, v49
	v_mul_f32_e32 v48, v28, v31
	v_fma_f32 v50, v31, v28, -v48
	v_fmac_f32_e32 v50, v31, v25
	v_add_f32_e32 v51, v48, v50
	v_sub_f32_e32 v52, v47, v51
	v_sub_f32_e32 v47, v47, v52
	;; [unrolled: 1-line block ×4, first 2 shown]
	v_add_f32_e32 v30, v30, v47
	v_sub_f32_e32 v47, v48, v50
	v_add_f32_e32 v30, v47, v30
	v_add_f32_e32 v47, v52, v30
	v_mul_f32_e32 v48, v49, v47
	v_mul_f32_e32 v50, v28, v48
	v_fma_f32 v28, v48, v28, -v50
	v_fmac_f32_e32 v28, v48, v25
	v_sub_f32_e32 v25, v52, v47
	v_add_f32_e32 v25, v30, v25
	v_add_f32_e32 v30, v50, v28
	v_sub_f32_e32 v51, v47, v30
	v_sub_f32_e32 v47, v47, v51
	;; [unrolled: 1-line block ×4, first 2 shown]
	v_add_f32_e32 v25, v25, v30
	v_sub_f32_e32 v28, v50, v28
	v_add_f32_e32 v25, v28, v25
	v_add_f32_e32 v28, v31, v48
	;; [unrolled: 1-line block ×3, first 2 shown]
	v_sub_f32_e32 v30, v28, v31
	v_mul_f32_e32 v25, v49, v25
	v_sub_f32_e32 v30, v48, v30
	v_add_f32_e32 v25, v30, v25
	v_cvt_f32_i32_e32 v27, v27
	v_add_f32_e32 v30, v28, v25
	v_mul_f32_e32 v31, v30, v30
	v_mov_b32_e32 v47, 0x3ecc95a3
	v_fmac_f32_e32 v47, 0x3e9b6dac, v31
	v_mov_b32_e32 v48, 0x3f2aaada
	v_fmac_f32_e32 v48, v31, v47
	v_mul_f32_e32 v47, 0x3f317218, v27
	v_fma_f32 v49, v27, s7, -v47
	v_fmac_f32_e32 v49, 0xb102e308, v27
	v_sub_f32_e32 v27, v30, v28
	v_sub_f32_e32 v25, v25, v27
	v_add_f32_e32 v27, v47, v49
	v_sub_f32_e32 v28, v27, v47
	v_ldexp_f32 v47, v30, 1
	v_mul_f32_e32 v30, v30, v31
	v_mul_f32_e32 v30, v30, v48
	v_add_f32_e32 v31, v47, v30
	v_sub_f32_e32 v47, v31, v47
	v_ldexp_f32 v25, v25, 1
	v_sub_f32_e32 v30, v30, v47
	v_add_f32_e32 v25, v25, v30
	v_add_f32_e32 v30, v31, v25
	v_sub_f32_e32 v31, v30, v31
	v_sub_f32_e32 v25, v25, v31
	v_add_f32_e32 v31, v27, v30
	v_sub_f32_e32 v47, v31, v27
	v_sub_f32_e32 v48, v31, v47
	;; [unrolled: 1-line block ×5, first 2 shown]
	v_add_f32_e32 v27, v30, v27
	v_add_f32_e32 v30, v28, v25
	v_sub_f32_e32 v47, v30, v28
	v_sub_f32_e32 v48, v30, v47
	v_sub_f32_e32 v28, v28, v48
	v_sub_f32_e32 v25, v25, v47
	v_add_f32_e32 v27, v30, v27
	v_add_f32_e32 v25, v25, v28
	;; [unrolled: 1-line block ×3, first 2 shown]
	v_sub_f32_e32 v30, v28, v31
	v_sub_f32_e32 v27, v27, v30
	v_add_f32_e32 v25, v25, v27
	v_add_f32_e32 v25, v28, v25
	v_cmp_neq_f32_e32 vcc, s6, v17
	s_mov_b32 s6, 0x33800000
	v_cndmask_b32_e32 v25, v29, v25, vcc
	v_cmp_lt_f32_e64 vcc, |v17|, s6
	v_cndmask_b32_e32 v17, v25, v17, vcc
	v_add_f32_e32 v17, v26, v17
	v_cvt_f16_f32_e32 v47, v17
	v_cvt_f32_f16_e32 v17, v47
	v_mov_b32_e32 v25, v47
.LBB420_245:
	s_or_b64 exec, exec, s[4:5]
	v_max_f32_e32 v26, v32, v32
	v_max_f32_e32 v28, v17, v17
	v_min_f32_e32 v27, v28, v26
	v_cmp_u_f16_e32 vcc, v47, v47
	v_max_f32_e32 v26, v28, v26
	v_cndmask_b32_e32 v27, v27, v17, vcc
	v_cndmask_b32_e32 v26, v26, v17, vcc
	v_cndmask_b32_e64 v27, v27, v32, s[28:29]
	v_cndmask_b32_e64 v26, v26, v32, s[28:29]
	s_movk_i32 s6, 0x1f8
	v_cmp_neq_f32_e32 vcc, v27, v26
	v_cmp_class_f32_e64 s[4:5], v27, s6
	s_or_b64 s[8:9], vcc, s[4:5]
	v_mov_b32_e32 v32, v25
	s_and_saveexec_b64 s[4:5], s[8:9]
	s_cbranch_execz .LBB420_247
; %bb.246:
	v_sub_f32_e32 v17, v27, v26
	s_mov_b32 s7, 0x3fb8aa3b
	v_mul_f32_e32 v27, 0x3fb8aa3b, v17
	v_fma_f32 v28, v17, s7, -v27
	v_rndne_f32_e32 v29, v27
	v_fmac_f32_e32 v28, 0x32a5705f, v17
	v_sub_f32_e32 v27, v27, v29
	v_add_f32_e32 v27, v27, v28
	v_exp_f32_e32 v27, v27
	v_cvt_i32_f32_e32 v28, v29
	s_mov_b32 s7, 0xc2ce8ed0
	v_cmp_ngt_f32_e32 vcc, s7, v17
	s_mov_b32 s7, 0x42b17218
	v_ldexp_f32 v27, v27, v28
	v_cndmask_b32_e32 v27, 0, v27, vcc
	v_mov_b32_e32 v29, 0x7f800000
	v_cmp_nlt_f32_e32 vcc, s7, v17
	v_cndmask_b32_e32 v17, v29, v27, vcc
	v_add_f32_e32 v30, 1.0, v17
	v_cvt_f64_f32_e32 v[27:28], v30
	v_add_f32_e32 v31, -1.0, v30
	v_sub_f32_e32 v32, v31, v30
	v_sub_f32_e32 v31, v17, v31
	v_frexp_exp_i32_f64_e32 v27, v[27:28]
	v_add_f32_e32 v28, 1.0, v32
	v_add_f32_e32 v28, v31, v28
	v_frexp_mant_f32_e32 v31, v30
	s_mov_b32 s8, 0x3f2aaaab
	v_cmp_gt_f32_e32 vcc, s8, v31
	s_mov_b32 s8, 0x3f317218
	s_mov_b32 s7, 0x7f800000
	v_subbrev_co_u32_e32 v27, vcc, 0, v27, vcc
	v_sub_u32_e32 v31, 0, v27
	v_ldexp_f32 v30, v30, v31
	v_ldexp_f32 v28, v28, v31
	v_add_f32_e32 v31, -1.0, v30
	v_add_f32_e32 v48, 1.0, v30
	v_add_f32_e32 v32, 1.0, v31
	v_add_f32_e32 v49, -1.0, v48
	v_sub_f32_e32 v32, v30, v32
	v_sub_f32_e32 v30, v30, v49
	v_add_f32_e32 v32, v28, v32
	v_add_f32_e32 v28, v28, v30
	;; [unrolled: 1-line block ×3, first 2 shown]
	v_rcp_f32_e32 v49, v30
	v_add_f32_e32 v47, v31, v32
	v_sub_f32_e32 v31, v31, v47
	v_add_f32_e32 v31, v32, v31
	v_sub_f32_e32 v32, v48, v30
	v_add_f32_e32 v28, v28, v32
	v_mul_f32_e32 v32, v47, v49
	v_mul_f32_e32 v48, v30, v32
	v_fma_f32 v50, v32, v30, -v48
	v_fmac_f32_e32 v50, v32, v28
	v_add_f32_e32 v51, v48, v50
	v_sub_f32_e32 v52, v47, v51
	v_sub_f32_e32 v47, v47, v52
	v_sub_f32_e32 v48, v51, v48
	v_sub_f32_e32 v47, v47, v51
	v_add_f32_e32 v31, v31, v47
	v_sub_f32_e32 v47, v48, v50
	v_add_f32_e32 v31, v47, v31
	v_add_f32_e32 v47, v52, v31
	v_mul_f32_e32 v48, v49, v47
	v_mul_f32_e32 v50, v30, v48
	v_fma_f32 v30, v48, v30, -v50
	v_fmac_f32_e32 v30, v48, v28
	v_sub_f32_e32 v28, v52, v47
	v_add_f32_e32 v28, v31, v28
	v_add_f32_e32 v31, v50, v30
	v_sub_f32_e32 v51, v47, v31
	v_sub_f32_e32 v47, v47, v51
	;; [unrolled: 1-line block ×4, first 2 shown]
	v_add_f32_e32 v28, v28, v31
	v_sub_f32_e32 v30, v50, v30
	v_add_f32_e32 v28, v30, v28
	v_add_f32_e32 v30, v32, v48
	;; [unrolled: 1-line block ×3, first 2 shown]
	v_sub_f32_e32 v31, v30, v32
	v_mul_f32_e32 v28, v49, v28
	v_sub_f32_e32 v31, v48, v31
	v_add_f32_e32 v28, v31, v28
	v_cvt_f32_i32_e32 v27, v27
	v_add_f32_e32 v31, v30, v28
	v_mul_f32_e32 v32, v31, v31
	v_mov_b32_e32 v47, 0x3ecc95a3
	v_fmac_f32_e32 v47, 0x3e9b6dac, v32
	v_mov_b32_e32 v48, 0x3f2aaada
	v_fmac_f32_e32 v48, v32, v47
	v_mul_f32_e32 v47, 0x3f317218, v27
	v_fma_f32 v49, v27, s8, -v47
	v_fmac_f32_e32 v49, 0xb102e308, v27
	v_sub_f32_e32 v27, v31, v30
	v_sub_f32_e32 v27, v28, v27
	v_add_f32_e32 v28, v47, v49
	v_sub_f32_e32 v30, v28, v47
	v_ldexp_f32 v47, v31, 1
	v_mul_f32_e32 v31, v31, v32
	v_mul_f32_e32 v31, v31, v48
	v_add_f32_e32 v32, v47, v31
	v_sub_f32_e32 v47, v32, v47
	v_ldexp_f32 v27, v27, 1
	v_sub_f32_e32 v31, v31, v47
	v_add_f32_e32 v27, v27, v31
	v_add_f32_e32 v31, v32, v27
	v_sub_f32_e32 v32, v31, v32
	v_sub_f32_e32 v27, v27, v32
	v_add_f32_e32 v32, v28, v31
	v_sub_f32_e32 v47, v32, v28
	v_sub_f32_e32 v48, v32, v47
	;; [unrolled: 1-line block ×5, first 2 shown]
	v_add_f32_e32 v28, v31, v28
	v_add_f32_e32 v31, v30, v27
	v_sub_f32_e32 v47, v31, v30
	v_sub_f32_e32 v48, v31, v47
	;; [unrolled: 1-line block ×4, first 2 shown]
	v_add_f32_e32 v28, v31, v28
	v_add_f32_e32 v27, v27, v30
	;; [unrolled: 1-line block ×3, first 2 shown]
	v_sub_f32_e32 v31, v30, v32
	v_sub_f32_e32 v28, v28, v31
	v_add_f32_e32 v27, v27, v28
	v_add_f32_e32 v27, v30, v27
	v_cmp_neq_f32_e32 vcc, s7, v17
	s_mov_b32 s7, 0x33800000
	v_cndmask_b32_e32 v27, v29, v27, vcc
	v_cmp_lt_f32_e64 vcc, |v17|, s7
	v_cndmask_b32_e32 v17, v27, v17, vcc
	v_add_f32_e32 v17, v26, v17
	v_cvt_f16_f32_e32 v47, v17
	v_cvt_f32_f16_e32 v17, v47
	v_mov_b32_e32 v32, v47
.LBB420_247:
	s_or_b64 exec, exec, s[4:5]
	v_max_f32_e32 v26, v33, v33
	v_max_f32_e32 v27, v17, v17
	v_min_f32_e32 v28, v27, v26
	v_cmp_u_f16_e32 vcc, v47, v47
	v_max_f32_e32 v26, v27, v26
	v_cndmask_b32_e32 v28, v28, v17, vcc
	v_cndmask_b32_e32 v26, v26, v17, vcc
	v_cndmask_b32_e64 v28, v28, v33, s[30:31]
	v_cndmask_b32_e64 v27, v26, v33, s[30:31]
	v_cmp_neq_f32_e32 vcc, v28, v27
	v_cmp_class_f32_e64 s[4:5], v28, s6
	s_or_b64 s[6:7], vcc, s[4:5]
	v_mov_b32_e32 v26, v32
	s_and_saveexec_b64 s[4:5], s[6:7]
	s_cbranch_execz .LBB420_249
; %bb.248:
	v_sub_f32_e32 v17, v28, v27
	s_mov_b32 s6, 0x3fb8aa3b
	v_mul_f32_e32 v26, 0x3fb8aa3b, v17
	v_fma_f32 v28, v17, s6, -v26
	v_rndne_f32_e32 v29, v26
	v_fmac_f32_e32 v28, 0x32a5705f, v17
	v_sub_f32_e32 v26, v26, v29
	v_add_f32_e32 v26, v26, v28
	v_exp_f32_e32 v26, v26
	v_cvt_i32_f32_e32 v28, v29
	s_mov_b32 s6, 0xc2ce8ed0
	v_cmp_ngt_f32_e32 vcc, s6, v17
	s_mov_b32 s6, 0x42b17218
	v_ldexp_f32 v26, v26, v28
	v_cndmask_b32_e32 v26, 0, v26, vcc
	v_mov_b32_e32 v30, 0x7f800000
	v_cmp_nlt_f32_e32 vcc, s6, v17
	v_cndmask_b32_e32 v17, v30, v26, vcc
	v_add_f32_e32 v26, 1.0, v17
	v_cvt_f64_f32_e32 v[28:29], v26
	v_add_f32_e32 v31, -1.0, v26
	v_sub_f32_e32 v33, v31, v26
	v_sub_f32_e32 v31, v17, v31
	v_frexp_exp_i32_f64_e32 v28, v[28:29]
	v_add_f32_e32 v29, 1.0, v33
	v_add_f32_e32 v29, v31, v29
	v_frexp_mant_f32_e32 v31, v26
	s_mov_b32 s7, 0x3f2aaaab
	v_cmp_gt_f32_e32 vcc, s7, v31
	s_mov_b32 s7, 0x3f317218
	s_mov_b32 s6, 0x7f800000
	v_subbrev_co_u32_e32 v28, vcc, 0, v28, vcc
	v_sub_u32_e32 v31, 0, v28
	v_ldexp_f32 v26, v26, v31
	v_ldexp_f32 v29, v29, v31
	v_add_f32_e32 v31, -1.0, v26
	v_add_f32_e32 v48, 1.0, v26
	v_add_f32_e32 v33, 1.0, v31
	v_add_f32_e32 v49, -1.0, v48
	v_sub_f32_e32 v33, v26, v33
	v_sub_f32_e32 v26, v26, v49
	v_add_f32_e32 v26, v29, v26
	v_add_f32_e32 v33, v29, v33
	;; [unrolled: 1-line block ×3, first 2 shown]
	v_rcp_f32_e32 v49, v29
	v_add_f32_e32 v47, v31, v33
	v_sub_f32_e32 v31, v31, v47
	v_add_f32_e32 v31, v33, v31
	v_sub_f32_e32 v33, v48, v29
	v_add_f32_e32 v26, v26, v33
	v_mul_f32_e32 v33, v47, v49
	v_mul_f32_e32 v48, v29, v33
	v_fma_f32 v50, v33, v29, -v48
	v_fmac_f32_e32 v50, v33, v26
	v_add_f32_e32 v51, v48, v50
	v_sub_f32_e32 v52, v47, v51
	v_sub_f32_e32 v47, v47, v52
	;; [unrolled: 1-line block ×4, first 2 shown]
	v_add_f32_e32 v31, v31, v47
	v_sub_f32_e32 v47, v48, v50
	v_add_f32_e32 v31, v47, v31
	v_add_f32_e32 v47, v52, v31
	v_mul_f32_e32 v48, v49, v47
	v_mul_f32_e32 v50, v29, v48
	v_fma_f32 v29, v48, v29, -v50
	v_fmac_f32_e32 v29, v48, v26
	v_sub_f32_e32 v26, v52, v47
	v_add_f32_e32 v26, v31, v26
	v_add_f32_e32 v31, v50, v29
	v_sub_f32_e32 v51, v47, v31
	v_sub_f32_e32 v47, v47, v51
	;; [unrolled: 1-line block ×4, first 2 shown]
	v_add_f32_e32 v26, v26, v31
	v_sub_f32_e32 v29, v50, v29
	v_add_f32_e32 v26, v29, v26
	v_add_f32_e32 v29, v33, v48
	;; [unrolled: 1-line block ×3, first 2 shown]
	v_sub_f32_e32 v31, v29, v33
	v_mul_f32_e32 v26, v49, v26
	v_sub_f32_e32 v31, v48, v31
	v_add_f32_e32 v26, v31, v26
	v_cvt_f32_i32_e32 v28, v28
	v_add_f32_e32 v31, v29, v26
	v_mul_f32_e32 v33, v31, v31
	v_mov_b32_e32 v47, 0x3ecc95a3
	v_fmac_f32_e32 v47, 0x3e9b6dac, v33
	v_mov_b32_e32 v48, 0x3f2aaada
	v_fmac_f32_e32 v48, v33, v47
	v_mul_f32_e32 v47, 0x3f317218, v28
	v_fma_f32 v49, v28, s7, -v47
	v_fmac_f32_e32 v49, 0xb102e308, v28
	v_sub_f32_e32 v28, v31, v29
	v_sub_f32_e32 v26, v26, v28
	v_add_f32_e32 v28, v47, v49
	v_sub_f32_e32 v29, v28, v47
	v_ldexp_f32 v47, v31, 1
	v_mul_f32_e32 v31, v31, v33
	v_mul_f32_e32 v31, v31, v48
	v_add_f32_e32 v33, v47, v31
	v_sub_f32_e32 v47, v33, v47
	v_ldexp_f32 v26, v26, 1
	v_sub_f32_e32 v31, v31, v47
	v_add_f32_e32 v26, v26, v31
	v_add_f32_e32 v31, v33, v26
	v_sub_f32_e32 v33, v31, v33
	v_sub_f32_e32 v26, v26, v33
	v_add_f32_e32 v33, v28, v31
	v_sub_f32_e32 v47, v33, v28
	v_sub_f32_e32 v48, v33, v47
	v_sub_f32_e32 v29, v49, v29
	v_sub_f32_e32 v28, v28, v48
	v_sub_f32_e32 v31, v31, v47
	v_add_f32_e32 v28, v31, v28
	v_add_f32_e32 v31, v29, v26
	v_sub_f32_e32 v47, v31, v29
	v_sub_f32_e32 v48, v31, v47
	v_sub_f32_e32 v29, v29, v48
	v_sub_f32_e32 v26, v26, v47
	v_add_f32_e32 v28, v31, v28
	v_add_f32_e32 v26, v26, v29
	;; [unrolled: 1-line block ×3, first 2 shown]
	v_sub_f32_e32 v31, v29, v33
	v_sub_f32_e32 v28, v28, v31
	v_add_f32_e32 v26, v26, v28
	v_add_f32_e32 v26, v29, v26
	v_cmp_neq_f32_e32 vcc, s6, v17
	s_mov_b32 s6, 0x33800000
	v_cndmask_b32_e32 v26, v30, v26, vcc
	v_cmp_lt_f32_e64 vcc, |v17|, s6
	v_cndmask_b32_e32 v17, v26, v17, vcc
	v_add_f32_e32 v17, v27, v17
	v_cvt_f16_f32_e32 v47, v17
	v_cvt_f32_f16_e32 v17, v47
	v_mov_b32_e32 v26, v47
.LBB420_249:
	s_or_b64 exec, exec, s[4:5]
	v_max_f32_e32 v27, v34, v34
	v_max_f32_e32 v29, v17, v17
	v_min_f32_e32 v28, v29, v27
	v_cmp_u_f16_e32 vcc, v47, v47
	v_max_f32_e32 v27, v29, v27
	v_cndmask_b32_e32 v28, v28, v17, vcc
	v_cndmask_b32_e32 v27, v27, v17, vcc
	v_cndmask_b32_e64 v28, v28, v34, s[34:35]
	v_cndmask_b32_e64 v27, v27, v34, s[34:35]
	s_movk_i32 s6, 0x1f8
	v_cmp_neq_f32_e32 vcc, v28, v27
	v_cmp_class_f32_e64 s[4:5], v28, s6
	s_or_b64 s[8:9], vcc, s[4:5]
	v_mov_b32_e32 v33, v26
	s_and_saveexec_b64 s[4:5], s[8:9]
	s_cbranch_execz .LBB420_251
; %bb.250:
	v_sub_f32_e32 v17, v28, v27
	s_mov_b32 s7, 0x3fb8aa3b
	v_mul_f32_e32 v28, 0x3fb8aa3b, v17
	v_fma_f32 v29, v17, s7, -v28
	v_rndne_f32_e32 v30, v28
	v_fmac_f32_e32 v29, 0x32a5705f, v17
	v_sub_f32_e32 v28, v28, v30
	v_add_f32_e32 v28, v28, v29
	v_exp_f32_e32 v28, v28
	v_cvt_i32_f32_e32 v29, v30
	s_mov_b32 s7, 0xc2ce8ed0
	v_cmp_ngt_f32_e32 vcc, s7, v17
	s_mov_b32 s7, 0x42b17218
	v_ldexp_f32 v28, v28, v29
	v_cndmask_b32_e32 v28, 0, v28, vcc
	v_mov_b32_e32 v30, 0x7f800000
	v_cmp_nlt_f32_e32 vcc, s7, v17
	v_cndmask_b32_e32 v17, v30, v28, vcc
	v_add_f32_e32 v31, 1.0, v17
	v_cvt_f64_f32_e32 v[28:29], v31
	v_add_f32_e32 v33, -1.0, v31
	v_sub_f32_e32 v34, v33, v31
	v_sub_f32_e32 v33, v17, v33
	v_frexp_exp_i32_f64_e32 v28, v[28:29]
	v_add_f32_e32 v29, 1.0, v34
	v_add_f32_e32 v29, v33, v29
	v_frexp_mant_f32_e32 v33, v31
	s_mov_b32 s8, 0x3f2aaaab
	v_cmp_gt_f32_e32 vcc, s8, v33
	s_mov_b32 s8, 0x3f317218
	s_mov_b32 s7, 0x7f800000
	v_subbrev_co_u32_e32 v28, vcc, 0, v28, vcc
	v_sub_u32_e32 v33, 0, v28
	v_ldexp_f32 v31, v31, v33
	v_ldexp_f32 v29, v29, v33
	v_add_f32_e32 v33, -1.0, v31
	v_add_f32_e32 v48, 1.0, v31
	v_add_f32_e32 v34, 1.0, v33
	v_add_f32_e32 v49, -1.0, v48
	v_sub_f32_e32 v34, v31, v34
	v_sub_f32_e32 v31, v31, v49
	v_add_f32_e32 v34, v29, v34
	v_add_f32_e32 v29, v29, v31
	;; [unrolled: 1-line block ×3, first 2 shown]
	v_rcp_f32_e32 v49, v31
	v_add_f32_e32 v47, v33, v34
	v_sub_f32_e32 v33, v33, v47
	v_add_f32_e32 v33, v34, v33
	v_sub_f32_e32 v34, v48, v31
	v_add_f32_e32 v29, v29, v34
	v_mul_f32_e32 v34, v47, v49
	v_mul_f32_e32 v48, v31, v34
	v_fma_f32 v50, v34, v31, -v48
	v_fmac_f32_e32 v50, v34, v29
	v_add_f32_e32 v51, v48, v50
	v_sub_f32_e32 v52, v47, v51
	v_sub_f32_e32 v47, v47, v52
	;; [unrolled: 1-line block ×4, first 2 shown]
	v_add_f32_e32 v33, v33, v47
	v_sub_f32_e32 v47, v48, v50
	v_add_f32_e32 v33, v47, v33
	v_add_f32_e32 v47, v52, v33
	v_mul_f32_e32 v48, v49, v47
	v_mul_f32_e32 v50, v31, v48
	v_fma_f32 v31, v48, v31, -v50
	v_fmac_f32_e32 v31, v48, v29
	v_sub_f32_e32 v29, v52, v47
	v_add_f32_e32 v29, v33, v29
	v_add_f32_e32 v33, v50, v31
	v_sub_f32_e32 v51, v47, v33
	v_sub_f32_e32 v47, v47, v51
	;; [unrolled: 1-line block ×4, first 2 shown]
	v_add_f32_e32 v29, v29, v33
	v_sub_f32_e32 v31, v50, v31
	v_add_f32_e32 v29, v31, v29
	v_add_f32_e32 v31, v34, v48
	v_add_f32_e32 v29, v51, v29
	v_sub_f32_e32 v33, v31, v34
	v_mul_f32_e32 v29, v49, v29
	v_sub_f32_e32 v33, v48, v33
	v_add_f32_e32 v29, v33, v29
	v_cvt_f32_i32_e32 v28, v28
	v_add_f32_e32 v33, v31, v29
	v_mul_f32_e32 v34, v33, v33
	v_mov_b32_e32 v47, 0x3ecc95a3
	v_fmac_f32_e32 v47, 0x3e9b6dac, v34
	v_mov_b32_e32 v48, 0x3f2aaada
	v_fmac_f32_e32 v48, v34, v47
	v_mul_f32_e32 v47, 0x3f317218, v28
	v_fma_f32 v49, v28, s8, -v47
	v_fmac_f32_e32 v49, 0xb102e308, v28
	v_sub_f32_e32 v28, v33, v31
	v_sub_f32_e32 v28, v29, v28
	v_add_f32_e32 v29, v47, v49
	v_sub_f32_e32 v31, v29, v47
	v_ldexp_f32 v47, v33, 1
	v_mul_f32_e32 v33, v33, v34
	v_mul_f32_e32 v33, v33, v48
	v_add_f32_e32 v34, v47, v33
	v_sub_f32_e32 v47, v34, v47
	v_ldexp_f32 v28, v28, 1
	v_sub_f32_e32 v33, v33, v47
	v_add_f32_e32 v28, v28, v33
	v_add_f32_e32 v33, v34, v28
	v_sub_f32_e32 v34, v33, v34
	v_sub_f32_e32 v28, v28, v34
	v_add_f32_e32 v34, v29, v33
	v_sub_f32_e32 v47, v34, v29
	v_sub_f32_e32 v48, v34, v47
	;; [unrolled: 1-line block ×5, first 2 shown]
	v_add_f32_e32 v29, v33, v29
	v_add_f32_e32 v33, v31, v28
	v_sub_f32_e32 v47, v33, v31
	v_sub_f32_e32 v48, v33, v47
	;; [unrolled: 1-line block ×4, first 2 shown]
	v_add_f32_e32 v29, v33, v29
	v_add_f32_e32 v28, v28, v31
	;; [unrolled: 1-line block ×3, first 2 shown]
	v_sub_f32_e32 v33, v31, v34
	v_sub_f32_e32 v29, v29, v33
	v_add_f32_e32 v28, v28, v29
	v_add_f32_e32 v28, v31, v28
	v_cmp_neq_f32_e32 vcc, s7, v17
	s_mov_b32 s7, 0x33800000
	v_cndmask_b32_e32 v28, v30, v28, vcc
	v_cmp_lt_f32_e64 vcc, |v17|, s7
	v_cndmask_b32_e32 v17, v28, v17, vcc
	v_add_f32_e32 v17, v27, v17
	v_cvt_f16_f32_e32 v47, v17
	v_cvt_f32_f16_e32 v17, v47
	v_mov_b32_e32 v33, v47
.LBB420_251:
	s_or_b64 exec, exec, s[4:5]
	v_max_f32_e32 v27, v35, v35
	v_max_f32_e32 v28, v17, v17
	v_min_f32_e32 v29, v28, v27
	v_cmp_u_f16_e32 vcc, v47, v47
	v_max_f32_e32 v27, v28, v27
	v_cndmask_b32_e32 v29, v29, v17, vcc
	v_cndmask_b32_e32 v27, v27, v17, vcc
	v_cndmask_b32_e64 v29, v29, v35, s[36:37]
	v_cndmask_b32_e64 v28, v27, v35, s[36:37]
	v_cmp_neq_f32_e32 vcc, v29, v28
	v_cmp_class_f32_e64 s[4:5], v29, s6
	s_or_b64 s[6:7], vcc, s[4:5]
	v_mov_b32_e32 v27, v33
	s_and_saveexec_b64 s[4:5], s[6:7]
	s_cbranch_execz .LBB420_253
; %bb.252:
	v_sub_f32_e32 v17, v29, v28
	s_mov_b32 s6, 0x3fb8aa3b
	v_mul_f32_e32 v27, 0x3fb8aa3b, v17
	v_fma_f32 v29, v17, s6, -v27
	v_rndne_f32_e32 v30, v27
	v_fmac_f32_e32 v29, 0x32a5705f, v17
	v_sub_f32_e32 v27, v27, v30
	v_add_f32_e32 v27, v27, v29
	v_exp_f32_e32 v27, v27
	v_cvt_i32_f32_e32 v29, v30
	s_mov_b32 s6, 0xc2ce8ed0
	v_cmp_ngt_f32_e32 vcc, s6, v17
	s_mov_b32 s6, 0x42b17218
	v_ldexp_f32 v27, v27, v29
	v_cndmask_b32_e32 v27, 0, v27, vcc
	v_mov_b32_e32 v31, 0x7f800000
	v_cmp_nlt_f32_e32 vcc, s6, v17
	v_cndmask_b32_e32 v17, v31, v27, vcc
	v_add_f32_e32 v27, 1.0, v17
	v_cvt_f64_f32_e32 v[29:30], v27
	v_add_f32_e32 v34, -1.0, v27
	v_sub_f32_e32 v35, v34, v27
	v_sub_f32_e32 v34, v17, v34
	v_frexp_exp_i32_f64_e32 v29, v[29:30]
	v_add_f32_e32 v30, 1.0, v35
	v_add_f32_e32 v30, v34, v30
	v_frexp_mant_f32_e32 v34, v27
	s_mov_b32 s7, 0x3f2aaaab
	v_cmp_gt_f32_e32 vcc, s7, v34
	s_mov_b32 s7, 0x3f317218
	s_mov_b32 s6, 0x7f800000
	v_subbrev_co_u32_e32 v29, vcc, 0, v29, vcc
	v_sub_u32_e32 v34, 0, v29
	v_ldexp_f32 v27, v27, v34
	v_ldexp_f32 v30, v30, v34
	v_add_f32_e32 v34, -1.0, v27
	v_add_f32_e32 v48, 1.0, v27
	v_add_f32_e32 v35, 1.0, v34
	v_add_f32_e32 v49, -1.0, v48
	v_sub_f32_e32 v35, v27, v35
	v_sub_f32_e32 v27, v27, v49
	v_add_f32_e32 v27, v30, v27
	v_add_f32_e32 v35, v30, v35
	;; [unrolled: 1-line block ×3, first 2 shown]
	v_rcp_f32_e32 v49, v30
	v_add_f32_e32 v47, v34, v35
	v_sub_f32_e32 v34, v34, v47
	v_add_f32_e32 v34, v35, v34
	v_sub_f32_e32 v35, v48, v30
	v_add_f32_e32 v27, v27, v35
	v_mul_f32_e32 v35, v47, v49
	v_mul_f32_e32 v48, v30, v35
	v_fma_f32 v50, v35, v30, -v48
	v_fmac_f32_e32 v50, v35, v27
	v_add_f32_e32 v51, v48, v50
	v_sub_f32_e32 v52, v47, v51
	v_sub_f32_e32 v47, v47, v52
	;; [unrolled: 1-line block ×4, first 2 shown]
	v_add_f32_e32 v34, v34, v47
	v_sub_f32_e32 v47, v48, v50
	v_add_f32_e32 v34, v47, v34
	v_add_f32_e32 v47, v52, v34
	v_mul_f32_e32 v48, v49, v47
	v_mul_f32_e32 v50, v30, v48
	v_fma_f32 v30, v48, v30, -v50
	v_fmac_f32_e32 v30, v48, v27
	v_sub_f32_e32 v27, v52, v47
	v_add_f32_e32 v27, v34, v27
	v_add_f32_e32 v34, v50, v30
	v_sub_f32_e32 v51, v47, v34
	v_sub_f32_e32 v47, v47, v51
	;; [unrolled: 1-line block ×4, first 2 shown]
	v_add_f32_e32 v27, v27, v34
	v_sub_f32_e32 v30, v50, v30
	v_add_f32_e32 v27, v30, v27
	v_add_f32_e32 v30, v35, v48
	;; [unrolled: 1-line block ×3, first 2 shown]
	v_sub_f32_e32 v34, v30, v35
	v_mul_f32_e32 v27, v49, v27
	v_sub_f32_e32 v34, v48, v34
	v_add_f32_e32 v27, v34, v27
	v_cvt_f32_i32_e32 v29, v29
	v_add_f32_e32 v34, v30, v27
	v_mul_f32_e32 v35, v34, v34
	v_mov_b32_e32 v47, 0x3ecc95a3
	v_fmac_f32_e32 v47, 0x3e9b6dac, v35
	v_mov_b32_e32 v48, 0x3f2aaada
	v_fmac_f32_e32 v48, v35, v47
	v_mul_f32_e32 v47, 0x3f317218, v29
	v_fma_f32 v49, v29, s7, -v47
	v_fmac_f32_e32 v49, 0xb102e308, v29
	v_sub_f32_e32 v29, v34, v30
	v_sub_f32_e32 v27, v27, v29
	v_add_f32_e32 v29, v47, v49
	v_sub_f32_e32 v30, v29, v47
	v_ldexp_f32 v47, v34, 1
	v_mul_f32_e32 v34, v34, v35
	v_mul_f32_e32 v34, v34, v48
	v_add_f32_e32 v35, v47, v34
	v_sub_f32_e32 v47, v35, v47
	v_ldexp_f32 v27, v27, 1
	v_sub_f32_e32 v34, v34, v47
	v_add_f32_e32 v27, v27, v34
	v_add_f32_e32 v34, v35, v27
	v_sub_f32_e32 v35, v34, v35
	v_sub_f32_e32 v27, v27, v35
	v_add_f32_e32 v35, v29, v34
	v_sub_f32_e32 v47, v35, v29
	v_sub_f32_e32 v48, v35, v47
	;; [unrolled: 1-line block ×5, first 2 shown]
	v_add_f32_e32 v29, v34, v29
	v_add_f32_e32 v34, v30, v27
	v_sub_f32_e32 v47, v34, v30
	v_sub_f32_e32 v48, v34, v47
	;; [unrolled: 1-line block ×4, first 2 shown]
	v_add_f32_e32 v29, v34, v29
	v_add_f32_e32 v27, v27, v30
	;; [unrolled: 1-line block ×3, first 2 shown]
	v_sub_f32_e32 v34, v30, v35
	v_sub_f32_e32 v29, v29, v34
	v_add_f32_e32 v27, v27, v29
	v_add_f32_e32 v27, v30, v27
	v_cmp_neq_f32_e32 vcc, s6, v17
	s_mov_b32 s6, 0x33800000
	v_cndmask_b32_e32 v27, v31, v27, vcc
	v_cmp_lt_f32_e64 vcc, |v17|, s6
	v_cndmask_b32_e32 v17, v27, v17, vcc
	v_add_f32_e32 v17, v28, v17
	v_cvt_f16_f32_e32 v47, v17
	v_cvt_f32_f16_e32 v17, v47
	v_mov_b32_e32 v27, v47
.LBB420_253:
	s_or_b64 exec, exec, s[4:5]
	v_max_f32_e32 v28, v36, v36
	v_max_f32_e32 v30, v17, v17
	v_min_f32_e32 v29, v30, v28
	v_cmp_u_f16_e32 vcc, v47, v47
	v_max_f32_e32 v28, v30, v28
	v_cndmask_b32_e32 v29, v29, v17, vcc
	v_cndmask_b32_e32 v28, v28, v17, vcc
	v_cndmask_b32_e64 v29, v29, v36, s[38:39]
	v_cndmask_b32_e64 v28, v28, v36, s[38:39]
	s_movk_i32 s6, 0x1f8
	v_cmp_neq_f32_e32 vcc, v29, v28
	v_cmp_class_f32_e64 s[4:5], v29, s6
	s_or_b64 s[8:9], vcc, s[4:5]
	v_mov_b32_e32 v34, v27
	s_and_saveexec_b64 s[4:5], s[8:9]
	s_cbranch_execz .LBB420_255
; %bb.254:
	v_sub_f32_e32 v17, v29, v28
	s_mov_b32 s7, 0x3fb8aa3b
	v_mul_f32_e32 v29, 0x3fb8aa3b, v17
	v_fma_f32 v30, v17, s7, -v29
	v_rndne_f32_e32 v31, v29
	v_fmac_f32_e32 v30, 0x32a5705f, v17
	v_sub_f32_e32 v29, v29, v31
	v_add_f32_e32 v29, v29, v30
	v_exp_f32_e32 v29, v29
	v_cvt_i32_f32_e32 v30, v31
	s_mov_b32 s7, 0xc2ce8ed0
	v_cmp_ngt_f32_e32 vcc, s7, v17
	s_mov_b32 s7, 0x42b17218
	v_ldexp_f32 v29, v29, v30
	v_cndmask_b32_e32 v29, 0, v29, vcc
	v_mov_b32_e32 v31, 0x7f800000
	v_cmp_nlt_f32_e32 vcc, s7, v17
	v_cndmask_b32_e32 v17, v31, v29, vcc
	v_add_f32_e32 v34, 1.0, v17
	v_cvt_f64_f32_e32 v[29:30], v34
	v_add_f32_e32 v35, -1.0, v34
	v_sub_f32_e32 v36, v35, v34
	v_sub_f32_e32 v35, v17, v35
	v_frexp_exp_i32_f64_e32 v29, v[29:30]
	v_add_f32_e32 v30, 1.0, v36
	v_add_f32_e32 v30, v35, v30
	v_frexp_mant_f32_e32 v35, v34
	s_mov_b32 s8, 0x3f2aaaab
	v_cmp_gt_f32_e32 vcc, s8, v35
	s_mov_b32 s8, 0x3f317218
	s_mov_b32 s7, 0x7f800000
	v_subbrev_co_u32_e32 v29, vcc, 0, v29, vcc
	v_sub_u32_e32 v35, 0, v29
	v_ldexp_f32 v34, v34, v35
	v_ldexp_f32 v30, v30, v35
	v_add_f32_e32 v35, -1.0, v34
	v_add_f32_e32 v48, 1.0, v34
	v_add_f32_e32 v36, 1.0, v35
	v_add_f32_e32 v49, -1.0, v48
	v_sub_f32_e32 v36, v34, v36
	v_sub_f32_e32 v34, v34, v49
	v_add_f32_e32 v36, v30, v36
	v_add_f32_e32 v30, v30, v34
	;; [unrolled: 1-line block ×3, first 2 shown]
	v_rcp_f32_e32 v49, v34
	v_add_f32_e32 v47, v35, v36
	v_sub_f32_e32 v35, v35, v47
	v_add_f32_e32 v35, v36, v35
	v_sub_f32_e32 v36, v48, v34
	v_add_f32_e32 v30, v30, v36
	v_mul_f32_e32 v36, v47, v49
	v_mul_f32_e32 v48, v34, v36
	v_fma_f32 v50, v36, v34, -v48
	v_fmac_f32_e32 v50, v36, v30
	v_add_f32_e32 v51, v48, v50
	v_sub_f32_e32 v52, v47, v51
	v_sub_f32_e32 v47, v47, v52
	;; [unrolled: 1-line block ×4, first 2 shown]
	v_add_f32_e32 v35, v35, v47
	v_sub_f32_e32 v47, v48, v50
	v_add_f32_e32 v35, v47, v35
	v_add_f32_e32 v47, v52, v35
	v_mul_f32_e32 v48, v49, v47
	v_mul_f32_e32 v50, v34, v48
	v_fma_f32 v34, v48, v34, -v50
	v_fmac_f32_e32 v34, v48, v30
	v_sub_f32_e32 v30, v52, v47
	v_add_f32_e32 v30, v35, v30
	v_add_f32_e32 v35, v50, v34
	v_sub_f32_e32 v51, v47, v35
	v_sub_f32_e32 v47, v47, v51
	;; [unrolled: 1-line block ×4, first 2 shown]
	v_add_f32_e32 v30, v30, v35
	v_sub_f32_e32 v34, v50, v34
	v_add_f32_e32 v30, v34, v30
	v_add_f32_e32 v34, v36, v48
	;; [unrolled: 1-line block ×3, first 2 shown]
	v_sub_f32_e32 v35, v34, v36
	v_mul_f32_e32 v30, v49, v30
	v_sub_f32_e32 v35, v48, v35
	v_add_f32_e32 v30, v35, v30
	v_cvt_f32_i32_e32 v29, v29
	v_add_f32_e32 v35, v34, v30
	v_mul_f32_e32 v36, v35, v35
	v_mov_b32_e32 v47, 0x3ecc95a3
	v_fmac_f32_e32 v47, 0x3e9b6dac, v36
	v_mov_b32_e32 v48, 0x3f2aaada
	v_fmac_f32_e32 v48, v36, v47
	v_mul_f32_e32 v47, 0x3f317218, v29
	v_fma_f32 v49, v29, s8, -v47
	v_fmac_f32_e32 v49, 0xb102e308, v29
	v_sub_f32_e32 v29, v35, v34
	v_sub_f32_e32 v29, v30, v29
	v_add_f32_e32 v30, v47, v49
	v_sub_f32_e32 v34, v30, v47
	v_ldexp_f32 v47, v35, 1
	v_mul_f32_e32 v35, v35, v36
	v_mul_f32_e32 v35, v35, v48
	v_add_f32_e32 v36, v47, v35
	v_sub_f32_e32 v47, v36, v47
	v_ldexp_f32 v29, v29, 1
	v_sub_f32_e32 v35, v35, v47
	v_add_f32_e32 v29, v29, v35
	v_add_f32_e32 v35, v36, v29
	v_sub_f32_e32 v36, v35, v36
	v_sub_f32_e32 v29, v29, v36
	v_add_f32_e32 v36, v30, v35
	v_sub_f32_e32 v47, v36, v30
	v_sub_f32_e32 v48, v36, v47
	;; [unrolled: 1-line block ×5, first 2 shown]
	v_add_f32_e32 v30, v35, v30
	v_add_f32_e32 v35, v34, v29
	v_sub_f32_e32 v47, v35, v34
	v_sub_f32_e32 v48, v35, v47
	v_sub_f32_e32 v34, v34, v48
	v_sub_f32_e32 v29, v29, v47
	v_add_f32_e32 v30, v35, v30
	v_add_f32_e32 v29, v29, v34
	;; [unrolled: 1-line block ×3, first 2 shown]
	v_sub_f32_e32 v35, v34, v36
	v_sub_f32_e32 v30, v30, v35
	v_add_f32_e32 v29, v29, v30
	v_add_f32_e32 v29, v34, v29
	v_cmp_neq_f32_e32 vcc, s7, v17
	s_mov_b32 s7, 0x33800000
	v_cndmask_b32_e32 v29, v31, v29, vcc
	v_cmp_lt_f32_e64 vcc, |v17|, s7
	v_cndmask_b32_e32 v17, v29, v17, vcc
	v_add_f32_e32 v17, v28, v17
	v_cvt_f16_f32_e32 v47, v17
	v_cvt_f32_f16_e32 v17, v47
	v_mov_b32_e32 v34, v47
.LBB420_255:
	s_or_b64 exec, exec, s[4:5]
	v_max_f32_e32 v28, v37, v37
	v_max_f32_e32 v29, v17, v17
	v_min_f32_e32 v30, v29, v28
	v_cmp_u_f16_e32 vcc, v47, v47
	v_max_f32_e32 v28, v29, v28
	v_cndmask_b32_e32 v30, v30, v17, vcc
	v_cndmask_b32_e32 v28, v28, v17, vcc
	v_cndmask_b32_e64 v30, v30, v37, s[40:41]
	v_cndmask_b32_e64 v29, v28, v37, s[40:41]
	v_cmp_neq_f32_e32 vcc, v30, v29
	v_cmp_class_f32_e64 s[4:5], v30, s6
	s_or_b64 s[6:7], vcc, s[4:5]
	v_mov_b32_e32 v28, v34
	s_and_saveexec_b64 s[4:5], s[6:7]
	s_cbranch_execz .LBB420_257
; %bb.256:
	v_sub_f32_e32 v17, v30, v29
	s_mov_b32 s6, 0x3fb8aa3b
	v_mul_f32_e32 v28, 0x3fb8aa3b, v17
	v_fma_f32 v30, v17, s6, -v28
	v_rndne_f32_e32 v31, v28
	v_fmac_f32_e32 v30, 0x32a5705f, v17
	v_sub_f32_e32 v28, v28, v31
	v_add_f32_e32 v28, v28, v30
	v_exp_f32_e32 v28, v28
	v_cvt_i32_f32_e32 v30, v31
	s_mov_b32 s6, 0xc2ce8ed0
	v_cmp_ngt_f32_e32 vcc, s6, v17
	s_mov_b32 s6, 0x42b17218
	v_ldexp_f32 v28, v28, v30
	v_cndmask_b32_e32 v28, 0, v28, vcc
	v_mov_b32_e32 v35, 0x7f800000
	v_cmp_nlt_f32_e32 vcc, s6, v17
	v_cndmask_b32_e32 v17, v35, v28, vcc
	v_add_f32_e32 v28, 1.0, v17
	v_cvt_f64_f32_e32 v[30:31], v28
	v_add_f32_e32 v36, -1.0, v28
	v_sub_f32_e32 v37, v36, v28
	v_sub_f32_e32 v36, v17, v36
	v_frexp_exp_i32_f64_e32 v30, v[30:31]
	v_add_f32_e32 v31, 1.0, v37
	v_add_f32_e32 v31, v36, v31
	v_frexp_mant_f32_e32 v36, v28
	s_mov_b32 s7, 0x3f2aaaab
	v_cmp_gt_f32_e32 vcc, s7, v36
	s_mov_b32 s7, 0x3f317218
	s_mov_b32 s6, 0x7f800000
	v_subbrev_co_u32_e32 v30, vcc, 0, v30, vcc
	v_sub_u32_e32 v36, 0, v30
	v_ldexp_f32 v28, v28, v36
	v_ldexp_f32 v31, v31, v36
	v_add_f32_e32 v36, -1.0, v28
	v_add_f32_e32 v48, 1.0, v28
	v_add_f32_e32 v37, 1.0, v36
	v_add_f32_e32 v49, -1.0, v48
	v_sub_f32_e32 v37, v28, v37
	v_sub_f32_e32 v28, v28, v49
	v_add_f32_e32 v28, v31, v28
	v_add_f32_e32 v37, v31, v37
	;; [unrolled: 1-line block ×3, first 2 shown]
	v_rcp_f32_e32 v49, v31
	v_add_f32_e32 v47, v36, v37
	v_sub_f32_e32 v36, v36, v47
	v_add_f32_e32 v36, v37, v36
	v_sub_f32_e32 v37, v48, v31
	v_add_f32_e32 v28, v28, v37
	v_mul_f32_e32 v37, v47, v49
	v_mul_f32_e32 v48, v31, v37
	v_fma_f32 v50, v37, v31, -v48
	v_fmac_f32_e32 v50, v37, v28
	v_add_f32_e32 v51, v48, v50
	v_sub_f32_e32 v52, v47, v51
	v_sub_f32_e32 v47, v47, v52
	;; [unrolled: 1-line block ×4, first 2 shown]
	v_add_f32_e32 v36, v36, v47
	v_sub_f32_e32 v47, v48, v50
	v_add_f32_e32 v36, v47, v36
	v_add_f32_e32 v47, v52, v36
	v_mul_f32_e32 v48, v49, v47
	v_mul_f32_e32 v50, v31, v48
	v_fma_f32 v31, v48, v31, -v50
	v_fmac_f32_e32 v31, v48, v28
	v_sub_f32_e32 v28, v52, v47
	v_add_f32_e32 v28, v36, v28
	v_add_f32_e32 v36, v50, v31
	v_sub_f32_e32 v51, v47, v36
	v_sub_f32_e32 v47, v47, v51
	;; [unrolled: 1-line block ×4, first 2 shown]
	v_add_f32_e32 v28, v28, v36
	v_sub_f32_e32 v31, v50, v31
	v_add_f32_e32 v28, v31, v28
	v_add_f32_e32 v31, v37, v48
	;; [unrolled: 1-line block ×3, first 2 shown]
	v_sub_f32_e32 v36, v31, v37
	v_mul_f32_e32 v28, v49, v28
	v_sub_f32_e32 v36, v48, v36
	v_add_f32_e32 v28, v36, v28
	v_cvt_f32_i32_e32 v30, v30
	v_add_f32_e32 v36, v31, v28
	v_mul_f32_e32 v37, v36, v36
	v_mov_b32_e32 v47, 0x3ecc95a3
	v_fmac_f32_e32 v47, 0x3e9b6dac, v37
	v_mov_b32_e32 v48, 0x3f2aaada
	v_fmac_f32_e32 v48, v37, v47
	v_mul_f32_e32 v47, 0x3f317218, v30
	v_fma_f32 v49, v30, s7, -v47
	v_fmac_f32_e32 v49, 0xb102e308, v30
	v_sub_f32_e32 v30, v36, v31
	v_sub_f32_e32 v28, v28, v30
	v_add_f32_e32 v30, v47, v49
	v_sub_f32_e32 v31, v30, v47
	v_ldexp_f32 v47, v36, 1
	v_mul_f32_e32 v36, v36, v37
	v_mul_f32_e32 v36, v36, v48
	v_add_f32_e32 v37, v47, v36
	v_sub_f32_e32 v47, v37, v47
	v_ldexp_f32 v28, v28, 1
	v_sub_f32_e32 v36, v36, v47
	v_add_f32_e32 v28, v28, v36
	v_add_f32_e32 v36, v37, v28
	v_sub_f32_e32 v37, v36, v37
	v_sub_f32_e32 v28, v28, v37
	v_add_f32_e32 v37, v30, v36
	v_sub_f32_e32 v47, v37, v30
	v_sub_f32_e32 v48, v37, v47
	;; [unrolled: 1-line block ×5, first 2 shown]
	v_add_f32_e32 v30, v36, v30
	v_add_f32_e32 v36, v31, v28
	v_sub_f32_e32 v47, v36, v31
	v_sub_f32_e32 v48, v36, v47
	;; [unrolled: 1-line block ×4, first 2 shown]
	v_add_f32_e32 v30, v36, v30
	v_add_f32_e32 v28, v28, v31
	;; [unrolled: 1-line block ×3, first 2 shown]
	v_sub_f32_e32 v36, v31, v37
	v_sub_f32_e32 v30, v30, v36
	v_add_f32_e32 v28, v28, v30
	v_add_f32_e32 v28, v31, v28
	v_cmp_neq_f32_e32 vcc, s6, v17
	s_mov_b32 s6, 0x33800000
	v_cndmask_b32_e32 v28, v35, v28, vcc
	v_cmp_lt_f32_e64 vcc, |v17|, s6
	v_cndmask_b32_e32 v17, v28, v17, vcc
	v_add_f32_e32 v17, v29, v17
	v_cvt_f16_f32_e32 v47, v17
	v_cvt_f32_f16_e32 v17, v47
	v_mov_b32_e32 v28, v47
.LBB420_257:
	s_or_b64 exec, exec, s[4:5]
	v_max_f32_e32 v29, v38, v38
	v_max_f32_e32 v31, v17, v17
	v_min_f32_e32 v30, v31, v29
	v_cmp_u_f16_e32 vcc, v47, v47
	v_max_f32_e32 v29, v31, v29
	v_cndmask_b32_e32 v30, v30, v17, vcc
	v_cndmask_b32_e32 v29, v29, v17, vcc
	v_cndmask_b32_e64 v30, v30, v38, s[42:43]
	v_cndmask_b32_e64 v29, v29, v38, s[42:43]
	s_movk_i32 s6, 0x1f8
	v_cmp_neq_f32_e32 vcc, v30, v29
	v_cmp_class_f32_e64 s[4:5], v30, s6
	s_or_b64 s[8:9], vcc, s[4:5]
	v_mov_b32_e32 v35, v28
	s_and_saveexec_b64 s[4:5], s[8:9]
	s_cbranch_execz .LBB420_259
; %bb.258:
	v_sub_f32_e32 v17, v30, v29
	s_mov_b32 s7, 0x3fb8aa3b
	v_mul_f32_e32 v30, 0x3fb8aa3b, v17
	v_fma_f32 v31, v17, s7, -v30
	v_rndne_f32_e32 v35, v30
	v_fmac_f32_e32 v31, 0x32a5705f, v17
	v_sub_f32_e32 v30, v30, v35
	v_add_f32_e32 v30, v30, v31
	v_exp_f32_e32 v30, v30
	v_cvt_i32_f32_e32 v31, v35
	s_mov_b32 s7, 0xc2ce8ed0
	v_cmp_ngt_f32_e32 vcc, s7, v17
	s_mov_b32 s7, 0x42b17218
	v_ldexp_f32 v30, v30, v31
	v_cndmask_b32_e32 v30, 0, v30, vcc
	v_mov_b32_e32 v35, 0x7f800000
	v_cmp_nlt_f32_e32 vcc, s7, v17
	v_cndmask_b32_e32 v17, v35, v30, vcc
	v_add_f32_e32 v36, 1.0, v17
	v_cvt_f64_f32_e32 v[30:31], v36
	v_add_f32_e32 v37, -1.0, v36
	v_sub_f32_e32 v38, v37, v36
	v_sub_f32_e32 v37, v17, v37
	v_frexp_exp_i32_f64_e32 v30, v[30:31]
	v_add_f32_e32 v31, 1.0, v38
	v_add_f32_e32 v31, v37, v31
	v_frexp_mant_f32_e32 v37, v36
	s_mov_b32 s8, 0x3f2aaaab
	v_cmp_gt_f32_e32 vcc, s8, v37
	s_mov_b32 s8, 0x3f317218
	s_mov_b32 s7, 0x7f800000
	v_subbrev_co_u32_e32 v30, vcc, 0, v30, vcc
	v_sub_u32_e32 v37, 0, v30
	v_ldexp_f32 v36, v36, v37
	v_ldexp_f32 v31, v31, v37
	v_add_f32_e32 v37, -1.0, v36
	v_add_f32_e32 v48, 1.0, v36
	v_add_f32_e32 v38, 1.0, v37
	v_add_f32_e32 v49, -1.0, v48
	v_sub_f32_e32 v38, v36, v38
	v_sub_f32_e32 v36, v36, v49
	v_add_f32_e32 v38, v31, v38
	v_add_f32_e32 v31, v31, v36
	v_add_f32_e32 v36, v48, v31
	v_rcp_f32_e32 v49, v36
	v_add_f32_e32 v47, v37, v38
	v_sub_f32_e32 v37, v37, v47
	v_add_f32_e32 v37, v38, v37
	v_sub_f32_e32 v38, v48, v36
	v_add_f32_e32 v31, v31, v38
	v_mul_f32_e32 v38, v47, v49
	v_mul_f32_e32 v48, v36, v38
	v_fma_f32 v50, v38, v36, -v48
	v_fmac_f32_e32 v50, v38, v31
	v_add_f32_e32 v51, v48, v50
	v_sub_f32_e32 v52, v47, v51
	v_sub_f32_e32 v47, v47, v52
	;; [unrolled: 1-line block ×4, first 2 shown]
	v_add_f32_e32 v37, v37, v47
	v_sub_f32_e32 v47, v48, v50
	v_add_f32_e32 v37, v47, v37
	v_add_f32_e32 v47, v52, v37
	v_mul_f32_e32 v48, v49, v47
	v_mul_f32_e32 v50, v36, v48
	v_fma_f32 v36, v48, v36, -v50
	v_fmac_f32_e32 v36, v48, v31
	v_sub_f32_e32 v31, v52, v47
	v_add_f32_e32 v31, v37, v31
	v_add_f32_e32 v37, v50, v36
	v_sub_f32_e32 v51, v47, v37
	v_sub_f32_e32 v47, v47, v51
	;; [unrolled: 1-line block ×4, first 2 shown]
	v_add_f32_e32 v31, v31, v37
	v_sub_f32_e32 v36, v50, v36
	v_add_f32_e32 v31, v36, v31
	v_add_f32_e32 v36, v38, v48
	;; [unrolled: 1-line block ×3, first 2 shown]
	v_sub_f32_e32 v37, v36, v38
	v_mul_f32_e32 v31, v49, v31
	v_sub_f32_e32 v37, v48, v37
	v_add_f32_e32 v31, v37, v31
	v_cvt_f32_i32_e32 v30, v30
	v_add_f32_e32 v37, v36, v31
	v_mul_f32_e32 v38, v37, v37
	v_mov_b32_e32 v47, 0x3ecc95a3
	v_fmac_f32_e32 v47, 0x3e9b6dac, v38
	v_mov_b32_e32 v48, 0x3f2aaada
	v_fmac_f32_e32 v48, v38, v47
	v_mul_f32_e32 v47, 0x3f317218, v30
	v_fma_f32 v49, v30, s8, -v47
	v_fmac_f32_e32 v49, 0xb102e308, v30
	v_sub_f32_e32 v30, v37, v36
	v_sub_f32_e32 v30, v31, v30
	v_add_f32_e32 v31, v47, v49
	v_sub_f32_e32 v36, v31, v47
	v_ldexp_f32 v47, v37, 1
	v_mul_f32_e32 v37, v37, v38
	v_mul_f32_e32 v37, v37, v48
	v_add_f32_e32 v38, v47, v37
	v_sub_f32_e32 v47, v38, v47
	v_ldexp_f32 v30, v30, 1
	v_sub_f32_e32 v37, v37, v47
	v_add_f32_e32 v30, v30, v37
	v_add_f32_e32 v37, v38, v30
	v_sub_f32_e32 v38, v37, v38
	v_sub_f32_e32 v30, v30, v38
	v_add_f32_e32 v38, v31, v37
	v_sub_f32_e32 v47, v38, v31
	v_sub_f32_e32 v48, v38, v47
	;; [unrolled: 1-line block ×5, first 2 shown]
	v_add_f32_e32 v31, v37, v31
	v_add_f32_e32 v37, v36, v30
	v_sub_f32_e32 v47, v37, v36
	v_sub_f32_e32 v48, v37, v47
	;; [unrolled: 1-line block ×4, first 2 shown]
	v_add_f32_e32 v31, v37, v31
	v_add_f32_e32 v30, v30, v36
	;; [unrolled: 1-line block ×3, first 2 shown]
	v_sub_f32_e32 v37, v36, v38
	v_sub_f32_e32 v31, v31, v37
	v_add_f32_e32 v30, v30, v31
	v_add_f32_e32 v30, v36, v30
	v_cmp_neq_f32_e32 vcc, s7, v17
	s_mov_b32 s7, 0x33800000
	v_cndmask_b32_e32 v30, v35, v30, vcc
	v_cmp_lt_f32_e64 vcc, |v17|, s7
	v_cndmask_b32_e32 v17, v30, v17, vcc
	v_add_f32_e32 v17, v29, v17
	v_cvt_f16_f32_e32 v47, v17
	v_cvt_f32_f16_e32 v17, v47
	v_mov_b32_e32 v35, v47
.LBB420_259:
	s_or_b64 exec, exec, s[4:5]
	v_max_f32_e32 v29, v39, v39
	v_max_f32_e32 v30, v17, v17
	v_min_f32_e32 v31, v30, v29
	v_cmp_u_f16_e32 vcc, v47, v47
	v_max_f32_e32 v29, v30, v29
	v_cndmask_b32_e32 v31, v31, v17, vcc
	v_cndmask_b32_e32 v29, v29, v17, vcc
	v_cndmask_b32_e64 v31, v31, v39, s[44:45]
	v_cndmask_b32_e64 v30, v29, v39, s[44:45]
	v_cmp_neq_f32_e32 vcc, v31, v30
	v_cmp_class_f32_e64 s[4:5], v31, s6
	s_or_b64 s[6:7], vcc, s[4:5]
	v_mov_b32_e32 v29, v35
	s_and_saveexec_b64 s[4:5], s[6:7]
	s_cbranch_execz .LBB420_261
; %bb.260:
	v_sub_f32_e32 v17, v31, v30
	s_mov_b32 s6, 0x3fb8aa3b
	v_mul_f32_e32 v29, 0x3fb8aa3b, v17
	v_fma_f32 v31, v17, s6, -v29
	v_rndne_f32_e32 v36, v29
	v_fmac_f32_e32 v31, 0x32a5705f, v17
	v_sub_f32_e32 v29, v29, v36
	v_add_f32_e32 v29, v29, v31
	v_exp_f32_e32 v29, v29
	v_cvt_i32_f32_e32 v31, v36
	s_mov_b32 s6, 0xc2ce8ed0
	v_cmp_ngt_f32_e32 vcc, s6, v17
	s_mov_b32 s6, 0x42b17218
	v_ldexp_f32 v29, v29, v31
	v_cndmask_b32_e32 v29, 0, v29, vcc
	v_mov_b32_e32 v31, 0x7f800000
	v_cmp_nlt_f32_e32 vcc, s6, v17
	v_cndmask_b32_e32 v17, v31, v29, vcc
	v_add_f32_e32 v29, 1.0, v17
	v_cvt_f64_f32_e32 v[36:37], v29
	v_add_f32_e32 v38, -1.0, v29
	v_sub_f32_e32 v39, v38, v29
	v_sub_f32_e32 v38, v17, v38
	v_frexp_exp_i32_f64_e32 v36, v[36:37]
	v_add_f32_e32 v37, 1.0, v39
	v_add_f32_e32 v37, v38, v37
	v_frexp_mant_f32_e32 v38, v29
	s_mov_b32 s7, 0x3f2aaaab
	v_cmp_gt_f32_e32 vcc, s7, v38
	s_mov_b32 s7, 0x3f317218
	s_mov_b32 s6, 0x7f800000
	v_subbrev_co_u32_e32 v36, vcc, 0, v36, vcc
	v_sub_u32_e32 v38, 0, v36
	v_ldexp_f32 v29, v29, v38
	v_ldexp_f32 v37, v37, v38
	v_add_f32_e32 v38, -1.0, v29
	v_add_f32_e32 v48, 1.0, v29
	v_add_f32_e32 v39, 1.0, v38
	v_add_f32_e32 v49, -1.0, v48
	v_sub_f32_e32 v39, v29, v39
	v_sub_f32_e32 v29, v29, v49
	v_add_f32_e32 v29, v37, v29
	v_add_f32_e32 v39, v37, v39
	;; [unrolled: 1-line block ×3, first 2 shown]
	v_rcp_f32_e32 v49, v37
	v_add_f32_e32 v47, v38, v39
	v_sub_f32_e32 v38, v38, v47
	v_add_f32_e32 v38, v39, v38
	v_sub_f32_e32 v39, v48, v37
	v_add_f32_e32 v29, v29, v39
	v_mul_f32_e32 v39, v47, v49
	v_mul_f32_e32 v48, v37, v39
	v_fma_f32 v50, v39, v37, -v48
	v_fmac_f32_e32 v50, v39, v29
	v_add_f32_e32 v51, v48, v50
	v_sub_f32_e32 v52, v47, v51
	v_sub_f32_e32 v47, v47, v52
	;; [unrolled: 1-line block ×4, first 2 shown]
	v_add_f32_e32 v38, v38, v47
	v_sub_f32_e32 v47, v48, v50
	v_add_f32_e32 v38, v47, v38
	v_add_f32_e32 v47, v52, v38
	v_mul_f32_e32 v48, v49, v47
	v_mul_f32_e32 v50, v37, v48
	v_fma_f32 v37, v48, v37, -v50
	v_fmac_f32_e32 v37, v48, v29
	v_sub_f32_e32 v29, v52, v47
	v_add_f32_e32 v29, v38, v29
	v_add_f32_e32 v38, v50, v37
	v_sub_f32_e32 v51, v47, v38
	v_sub_f32_e32 v47, v47, v51
	;; [unrolled: 1-line block ×4, first 2 shown]
	v_add_f32_e32 v29, v29, v38
	v_sub_f32_e32 v37, v50, v37
	v_add_f32_e32 v29, v37, v29
	v_add_f32_e32 v37, v39, v48
	;; [unrolled: 1-line block ×3, first 2 shown]
	v_sub_f32_e32 v38, v37, v39
	v_mul_f32_e32 v29, v49, v29
	v_sub_f32_e32 v38, v48, v38
	v_add_f32_e32 v29, v38, v29
	v_cvt_f32_i32_e32 v36, v36
	v_add_f32_e32 v38, v37, v29
	v_mul_f32_e32 v39, v38, v38
	v_mov_b32_e32 v47, 0x3ecc95a3
	v_fmac_f32_e32 v47, 0x3e9b6dac, v39
	v_mov_b32_e32 v48, 0x3f2aaada
	v_fmac_f32_e32 v48, v39, v47
	v_mul_f32_e32 v47, 0x3f317218, v36
	v_fma_f32 v49, v36, s7, -v47
	v_fmac_f32_e32 v49, 0xb102e308, v36
	v_sub_f32_e32 v36, v38, v37
	v_sub_f32_e32 v29, v29, v36
	v_add_f32_e32 v36, v47, v49
	v_sub_f32_e32 v37, v36, v47
	v_ldexp_f32 v47, v38, 1
	v_mul_f32_e32 v38, v38, v39
	v_mul_f32_e32 v38, v38, v48
	v_add_f32_e32 v39, v47, v38
	v_sub_f32_e32 v47, v39, v47
	v_ldexp_f32 v29, v29, 1
	v_sub_f32_e32 v38, v38, v47
	v_add_f32_e32 v29, v29, v38
	v_add_f32_e32 v38, v39, v29
	v_sub_f32_e32 v39, v38, v39
	v_sub_f32_e32 v29, v29, v39
	v_add_f32_e32 v39, v36, v38
	v_sub_f32_e32 v47, v39, v36
	v_sub_f32_e32 v48, v39, v47
	;; [unrolled: 1-line block ×5, first 2 shown]
	v_add_f32_e32 v36, v38, v36
	v_add_f32_e32 v38, v37, v29
	v_sub_f32_e32 v47, v38, v37
	v_sub_f32_e32 v48, v38, v47
	;; [unrolled: 1-line block ×4, first 2 shown]
	v_add_f32_e32 v36, v38, v36
	v_add_f32_e32 v29, v29, v37
	;; [unrolled: 1-line block ×3, first 2 shown]
	v_sub_f32_e32 v38, v37, v39
	v_sub_f32_e32 v36, v36, v38
	v_add_f32_e32 v29, v29, v36
	v_add_f32_e32 v29, v37, v29
	v_cmp_neq_f32_e32 vcc, s6, v17
	s_mov_b32 s6, 0x33800000
	v_cndmask_b32_e32 v29, v31, v29, vcc
	v_cmp_lt_f32_e64 vcc, |v17|, s6
	v_cndmask_b32_e32 v17, v29, v17, vcc
	v_add_f32_e32 v17, v30, v17
	v_cvt_f16_f32_e32 v47, v17
	v_cvt_f32_f16_e32 v17, v47
	v_mov_b32_e32 v29, v47
.LBB420_261:
	s_or_b64 exec, exec, s[4:5]
	v_max_f32_e32 v30, v40, v40
	v_max_f32_e32 v36, v17, v17
	v_min_f32_e32 v31, v36, v30
	v_cmp_u_f16_e32 vcc, v47, v47
	v_max_f32_e32 v30, v36, v30
	v_cndmask_b32_e32 v31, v31, v17, vcc
	v_cndmask_b32_e32 v30, v30, v17, vcc
	v_cndmask_b32_e64 v31, v31, v40, s[46:47]
	v_cndmask_b32_e64 v30, v30, v40, s[46:47]
	s_movk_i32 s6, 0x1f8
	v_cmp_neq_f32_e32 vcc, v31, v30
	v_cmp_class_f32_e64 s[4:5], v31, s6
	s_or_b64 s[8:9], vcc, s[4:5]
	v_mov_b32_e32 v36, v29
	s_and_saveexec_b64 s[4:5], s[8:9]
	s_cbranch_execz .LBB420_263
; %bb.262:
	v_sub_f32_e32 v17, v31, v30
	s_mov_b32 s7, 0x3fb8aa3b
	v_mul_f32_e32 v31, 0x3fb8aa3b, v17
	v_fma_f32 v36, v17, s7, -v31
	v_rndne_f32_e32 v37, v31
	v_fmac_f32_e32 v36, 0x32a5705f, v17
	v_sub_f32_e32 v31, v31, v37
	v_add_f32_e32 v31, v31, v36
	v_exp_f32_e32 v31, v31
	v_cvt_i32_f32_e32 v36, v37
	s_mov_b32 s7, 0xc2ce8ed0
	v_cmp_ngt_f32_e32 vcc, s7, v17
	s_mov_b32 s7, 0x42b17218
	v_ldexp_f32 v31, v31, v36
	v_cndmask_b32_e32 v31, 0, v31, vcc
	v_mov_b32_e32 v38, 0x7f800000
	v_cmp_nlt_f32_e32 vcc, s7, v17
	v_cndmask_b32_e32 v17, v38, v31, vcc
	v_add_f32_e32 v31, 1.0, v17
	v_cvt_f64_f32_e32 v[36:37], v31
	v_add_f32_e32 v39, -1.0, v31
	v_sub_f32_e32 v40, v39, v31
	v_sub_f32_e32 v39, v17, v39
	v_frexp_exp_i32_f64_e32 v36, v[36:37]
	v_add_f32_e32 v37, 1.0, v40
	v_add_f32_e32 v37, v39, v37
	v_frexp_mant_f32_e32 v39, v31
	s_mov_b32 s8, 0x3f2aaaab
	v_cmp_gt_f32_e32 vcc, s8, v39
	s_mov_b32 s8, 0x3f317218
	s_mov_b32 s7, 0x7f800000
	v_subbrev_co_u32_e32 v36, vcc, 0, v36, vcc
	v_sub_u32_e32 v39, 0, v36
	v_ldexp_f32 v31, v31, v39
	v_ldexp_f32 v37, v37, v39
	v_add_f32_e32 v39, -1.0, v31
	v_add_f32_e32 v48, 1.0, v31
	v_add_f32_e32 v40, 1.0, v39
	v_add_f32_e32 v49, -1.0, v48
	v_sub_f32_e32 v40, v31, v40
	v_sub_f32_e32 v31, v31, v49
	v_add_f32_e32 v31, v37, v31
	v_add_f32_e32 v40, v37, v40
	;; [unrolled: 1-line block ×3, first 2 shown]
	v_rcp_f32_e32 v49, v37
	v_add_f32_e32 v47, v39, v40
	v_sub_f32_e32 v39, v39, v47
	v_add_f32_e32 v39, v40, v39
	v_sub_f32_e32 v40, v48, v37
	v_add_f32_e32 v31, v31, v40
	v_mul_f32_e32 v40, v47, v49
	v_mul_f32_e32 v48, v37, v40
	v_fma_f32 v50, v40, v37, -v48
	v_fmac_f32_e32 v50, v40, v31
	v_add_f32_e32 v51, v48, v50
	v_sub_f32_e32 v52, v47, v51
	v_sub_f32_e32 v47, v47, v52
	v_sub_f32_e32 v48, v51, v48
	v_sub_f32_e32 v47, v47, v51
	v_add_f32_e32 v39, v39, v47
	v_sub_f32_e32 v47, v48, v50
	v_add_f32_e32 v39, v47, v39
	v_add_f32_e32 v47, v52, v39
	v_mul_f32_e32 v48, v49, v47
	v_mul_f32_e32 v50, v37, v48
	v_fma_f32 v37, v48, v37, -v50
	v_fmac_f32_e32 v37, v48, v31
	v_sub_f32_e32 v31, v52, v47
	v_add_f32_e32 v31, v39, v31
	v_add_f32_e32 v39, v50, v37
	v_sub_f32_e32 v51, v47, v39
	v_sub_f32_e32 v47, v47, v51
	;; [unrolled: 1-line block ×4, first 2 shown]
	v_add_f32_e32 v31, v31, v39
	v_sub_f32_e32 v37, v50, v37
	v_add_f32_e32 v31, v37, v31
	v_add_f32_e32 v37, v40, v48
	;; [unrolled: 1-line block ×3, first 2 shown]
	v_sub_f32_e32 v39, v37, v40
	v_mul_f32_e32 v31, v49, v31
	v_sub_f32_e32 v39, v48, v39
	v_add_f32_e32 v31, v39, v31
	v_cvt_f32_i32_e32 v36, v36
	v_add_f32_e32 v39, v37, v31
	v_mul_f32_e32 v40, v39, v39
	v_mov_b32_e32 v47, 0x3ecc95a3
	v_fmac_f32_e32 v47, 0x3e9b6dac, v40
	v_mov_b32_e32 v48, 0x3f2aaada
	v_fmac_f32_e32 v48, v40, v47
	v_mul_f32_e32 v47, 0x3f317218, v36
	v_fma_f32 v49, v36, s8, -v47
	v_fmac_f32_e32 v49, 0xb102e308, v36
	v_sub_f32_e32 v36, v39, v37
	v_sub_f32_e32 v31, v31, v36
	v_add_f32_e32 v36, v47, v49
	v_sub_f32_e32 v37, v36, v47
	v_ldexp_f32 v47, v39, 1
	v_mul_f32_e32 v39, v39, v40
	v_mul_f32_e32 v39, v39, v48
	v_add_f32_e32 v40, v47, v39
	v_sub_f32_e32 v47, v40, v47
	v_ldexp_f32 v31, v31, 1
	v_sub_f32_e32 v39, v39, v47
	v_add_f32_e32 v31, v31, v39
	v_add_f32_e32 v39, v40, v31
	v_sub_f32_e32 v40, v39, v40
	v_sub_f32_e32 v31, v31, v40
	v_add_f32_e32 v40, v36, v39
	v_sub_f32_e32 v47, v40, v36
	v_sub_f32_e32 v48, v40, v47
	v_sub_f32_e32 v37, v49, v37
	v_sub_f32_e32 v36, v36, v48
	v_sub_f32_e32 v39, v39, v47
	v_add_f32_e32 v36, v39, v36
	v_add_f32_e32 v39, v37, v31
	v_sub_f32_e32 v47, v39, v37
	v_sub_f32_e32 v48, v39, v47
	;; [unrolled: 1-line block ×4, first 2 shown]
	v_add_f32_e32 v36, v39, v36
	v_add_f32_e32 v31, v31, v37
	;; [unrolled: 1-line block ×3, first 2 shown]
	v_sub_f32_e32 v39, v37, v40
	v_sub_f32_e32 v36, v36, v39
	v_add_f32_e32 v31, v31, v36
	v_add_f32_e32 v31, v37, v31
	v_cmp_neq_f32_e32 vcc, s7, v17
	s_mov_b32 s7, 0x33800000
	v_cndmask_b32_e32 v31, v38, v31, vcc
	v_cmp_lt_f32_e64 vcc, |v17|, s7
	v_cndmask_b32_e32 v17, v31, v17, vcc
	v_add_f32_e32 v17, v30, v17
	v_cvt_f16_f32_e32 v47, v17
	v_cvt_f32_f16_e32 v17, v47
	v_mov_b32_e32 v36, v47
.LBB420_263:
	s_or_b64 exec, exec, s[4:5]
	v_max_f32_e32 v30, v41, v41
	v_max_f32_e32 v31, v17, v17
	v_min_f32_e32 v37, v31, v30
	v_cmp_u_f16_e32 vcc, v47, v47
	v_max_f32_e32 v30, v31, v30
	v_cndmask_b32_e32 v37, v37, v17, vcc
	v_cndmask_b32_e32 v30, v30, v17, vcc
	v_cndmask_b32_e64 v37, v37, v41, s[48:49]
	v_cndmask_b32_e64 v31, v30, v41, s[48:49]
	v_cmp_neq_f32_e32 vcc, v37, v31
	v_cmp_class_f32_e64 s[4:5], v37, s6
	s_or_b64 s[6:7], vcc, s[4:5]
	v_mov_b32_e32 v30, v36
	s_and_saveexec_b64 s[4:5], s[6:7]
	s_cbranch_execz .LBB420_265
; %bb.264:
	v_sub_f32_e32 v17, v37, v31
	s_mov_b32 s6, 0x3fb8aa3b
	v_mul_f32_e32 v30, 0x3fb8aa3b, v17
	v_fma_f32 v37, v17, s6, -v30
	v_rndne_f32_e32 v38, v30
	v_fmac_f32_e32 v37, 0x32a5705f, v17
	v_sub_f32_e32 v30, v30, v38
	v_add_f32_e32 v30, v30, v37
	v_exp_f32_e32 v30, v30
	v_cvt_i32_f32_e32 v37, v38
	s_mov_b32 s6, 0xc2ce8ed0
	v_cmp_ngt_f32_e32 vcc, s6, v17
	s_mov_b32 s6, 0x42b17218
	v_ldexp_f32 v30, v30, v37
	v_cndmask_b32_e32 v30, 0, v30, vcc
	v_mov_b32_e32 v39, 0x7f800000
	v_cmp_nlt_f32_e32 vcc, s6, v17
	v_cndmask_b32_e32 v17, v39, v30, vcc
	v_add_f32_e32 v30, 1.0, v17
	v_cvt_f64_f32_e32 v[37:38], v30
	v_add_f32_e32 v40, -1.0, v30
	v_sub_f32_e32 v41, v40, v30
	v_sub_f32_e32 v40, v17, v40
	v_frexp_exp_i32_f64_e32 v37, v[37:38]
	v_add_f32_e32 v38, 1.0, v41
	v_add_f32_e32 v38, v40, v38
	v_frexp_mant_f32_e32 v40, v30
	s_mov_b32 s7, 0x3f2aaaab
	v_cmp_gt_f32_e32 vcc, s7, v40
	s_mov_b32 s7, 0x3f317218
	s_mov_b32 s6, 0x7f800000
	v_subbrev_co_u32_e32 v37, vcc, 0, v37, vcc
	v_sub_u32_e32 v40, 0, v37
	v_ldexp_f32 v30, v30, v40
	v_ldexp_f32 v38, v38, v40
	v_add_f32_e32 v40, -1.0, v30
	v_add_f32_e32 v48, 1.0, v30
	v_add_f32_e32 v41, 1.0, v40
	v_add_f32_e32 v49, -1.0, v48
	v_sub_f32_e32 v41, v30, v41
	v_sub_f32_e32 v30, v30, v49
	v_add_f32_e32 v30, v38, v30
	v_add_f32_e32 v41, v38, v41
	;; [unrolled: 1-line block ×3, first 2 shown]
	v_rcp_f32_e32 v49, v38
	v_add_f32_e32 v47, v40, v41
	v_sub_f32_e32 v40, v40, v47
	v_add_f32_e32 v40, v41, v40
	v_sub_f32_e32 v41, v48, v38
	v_add_f32_e32 v30, v30, v41
	v_mul_f32_e32 v41, v47, v49
	v_mul_f32_e32 v48, v38, v41
	v_fma_f32 v50, v41, v38, -v48
	v_fmac_f32_e32 v50, v41, v30
	v_add_f32_e32 v51, v48, v50
	v_sub_f32_e32 v52, v47, v51
	v_sub_f32_e32 v47, v47, v52
	;; [unrolled: 1-line block ×4, first 2 shown]
	v_add_f32_e32 v40, v40, v47
	v_sub_f32_e32 v47, v48, v50
	v_add_f32_e32 v40, v47, v40
	v_add_f32_e32 v47, v52, v40
	v_mul_f32_e32 v48, v49, v47
	v_mul_f32_e32 v50, v38, v48
	v_fma_f32 v38, v48, v38, -v50
	v_fmac_f32_e32 v38, v48, v30
	v_sub_f32_e32 v30, v52, v47
	v_add_f32_e32 v30, v40, v30
	v_add_f32_e32 v40, v50, v38
	v_sub_f32_e32 v51, v47, v40
	v_sub_f32_e32 v47, v47, v51
	;; [unrolled: 1-line block ×4, first 2 shown]
	v_add_f32_e32 v30, v30, v40
	v_sub_f32_e32 v38, v50, v38
	v_add_f32_e32 v30, v38, v30
	v_add_f32_e32 v38, v41, v48
	;; [unrolled: 1-line block ×3, first 2 shown]
	v_sub_f32_e32 v40, v38, v41
	v_mul_f32_e32 v30, v49, v30
	v_sub_f32_e32 v40, v48, v40
	v_add_f32_e32 v30, v40, v30
	v_cvt_f32_i32_e32 v37, v37
	v_add_f32_e32 v40, v38, v30
	v_mul_f32_e32 v41, v40, v40
	v_mov_b32_e32 v47, 0x3ecc95a3
	v_fmac_f32_e32 v47, 0x3e9b6dac, v41
	v_mov_b32_e32 v48, 0x3f2aaada
	v_fmac_f32_e32 v48, v41, v47
	v_mul_f32_e32 v47, 0x3f317218, v37
	v_fma_f32 v49, v37, s7, -v47
	v_fmac_f32_e32 v49, 0xb102e308, v37
	v_sub_f32_e32 v37, v40, v38
	v_sub_f32_e32 v30, v30, v37
	v_add_f32_e32 v37, v47, v49
	v_sub_f32_e32 v38, v37, v47
	v_ldexp_f32 v47, v40, 1
	v_mul_f32_e32 v40, v40, v41
	v_mul_f32_e32 v40, v40, v48
	v_add_f32_e32 v41, v47, v40
	v_sub_f32_e32 v47, v41, v47
	v_ldexp_f32 v30, v30, 1
	v_sub_f32_e32 v40, v40, v47
	v_add_f32_e32 v30, v30, v40
	v_add_f32_e32 v40, v41, v30
	v_sub_f32_e32 v41, v40, v41
	v_sub_f32_e32 v30, v30, v41
	v_add_f32_e32 v41, v37, v40
	v_sub_f32_e32 v47, v41, v37
	v_sub_f32_e32 v48, v41, v47
	;; [unrolled: 1-line block ×5, first 2 shown]
	v_add_f32_e32 v37, v40, v37
	v_add_f32_e32 v40, v38, v30
	v_sub_f32_e32 v47, v40, v38
	v_sub_f32_e32 v48, v40, v47
	v_sub_f32_e32 v38, v38, v48
	v_sub_f32_e32 v30, v30, v47
	v_add_f32_e32 v37, v40, v37
	v_add_f32_e32 v30, v30, v38
	;; [unrolled: 1-line block ×3, first 2 shown]
	v_sub_f32_e32 v40, v38, v41
	v_sub_f32_e32 v37, v37, v40
	v_add_f32_e32 v30, v30, v37
	v_add_f32_e32 v30, v38, v30
	v_cmp_neq_f32_e32 vcc, s6, v17
	s_mov_b32 s6, 0x33800000
	v_cndmask_b32_e32 v30, v39, v30, vcc
	v_cmp_lt_f32_e64 vcc, |v17|, s6
	v_cndmask_b32_e32 v17, v30, v17, vcc
	v_add_f32_e32 v17, v31, v17
	v_cvt_f16_f32_e32 v47, v17
	v_cvt_f32_f16_e32 v17, v47
	v_mov_b32_e32 v30, v47
.LBB420_265:
	s_or_b64 exec, exec, s[4:5]
	v_max_f32_e32 v31, v42, v42
	v_max_f32_e32 v37, v17, v17
	v_min_f32_e32 v38, v37, v31
	v_cmp_u_f16_e32 vcc, v47, v47
	v_max_f32_e32 v31, v37, v31
	v_cndmask_b32_e32 v38, v38, v17, vcc
	v_cndmask_b32_e32 v31, v31, v17, vcc
	v_cndmask_b32_e64 v38, v38, v42, s[50:51]
	v_cndmask_b32_e64 v31, v31, v42, s[50:51]
	s_movk_i32 s6, 0x1f8
	v_cmp_neq_f32_e32 vcc, v38, v31
	v_cmp_class_f32_e64 s[4:5], v38, s6
	s_or_b64 s[8:9], vcc, s[4:5]
	v_mov_b32_e32 v37, v30
	s_and_saveexec_b64 s[4:5], s[8:9]
	s_cbranch_execz .LBB420_267
; %bb.266:
	v_sub_f32_e32 v17, v38, v31
	s_mov_b32 s7, 0x3fb8aa3b
	v_mul_f32_e32 v37, 0x3fb8aa3b, v17
	v_fma_f32 v38, v17, s7, -v37
	v_rndne_f32_e32 v39, v37
	v_fmac_f32_e32 v38, 0x32a5705f, v17
	v_sub_f32_e32 v37, v37, v39
	v_add_f32_e32 v37, v37, v38
	v_exp_f32_e32 v37, v37
	v_cvt_i32_f32_e32 v38, v39
	s_mov_b32 s7, 0xc2ce8ed0
	v_cmp_ngt_f32_e32 vcc, s7, v17
	s_mov_b32 s7, 0x42b17218
	v_ldexp_f32 v37, v37, v38
	v_cndmask_b32_e32 v37, 0, v37, vcc
	v_mov_b32_e32 v39, 0x7f800000
	v_cmp_nlt_f32_e32 vcc, s7, v17
	v_cndmask_b32_e32 v17, v39, v37, vcc
	v_add_f32_e32 v40, 1.0, v17
	v_cvt_f64_f32_e32 v[37:38], v40
	v_add_f32_e32 v41, -1.0, v40
	v_sub_f32_e32 v42, v41, v40
	v_sub_f32_e32 v41, v17, v41
	v_frexp_exp_i32_f64_e32 v37, v[37:38]
	v_add_f32_e32 v38, 1.0, v42
	v_add_f32_e32 v38, v41, v38
	v_frexp_mant_f32_e32 v41, v40
	s_mov_b32 s8, 0x3f2aaaab
	v_cmp_gt_f32_e32 vcc, s8, v41
	s_mov_b32 s8, 0x3f317218
	s_mov_b32 s7, 0x7f800000
	v_subbrev_co_u32_e32 v37, vcc, 0, v37, vcc
	v_sub_u32_e32 v41, 0, v37
	v_ldexp_f32 v40, v40, v41
	v_ldexp_f32 v38, v38, v41
	v_add_f32_e32 v41, -1.0, v40
	v_add_f32_e32 v48, 1.0, v40
	v_add_f32_e32 v42, 1.0, v41
	v_add_f32_e32 v49, -1.0, v48
	v_sub_f32_e32 v42, v40, v42
	v_sub_f32_e32 v40, v40, v49
	v_add_f32_e32 v42, v38, v42
	v_add_f32_e32 v38, v38, v40
	;; [unrolled: 1-line block ×3, first 2 shown]
	v_rcp_f32_e32 v49, v40
	v_add_f32_e32 v47, v41, v42
	v_sub_f32_e32 v41, v41, v47
	v_add_f32_e32 v41, v42, v41
	v_sub_f32_e32 v42, v48, v40
	v_add_f32_e32 v38, v38, v42
	v_mul_f32_e32 v42, v47, v49
	v_mul_f32_e32 v48, v40, v42
	v_fma_f32 v50, v42, v40, -v48
	v_fmac_f32_e32 v50, v42, v38
	v_add_f32_e32 v51, v48, v50
	v_sub_f32_e32 v52, v47, v51
	v_sub_f32_e32 v47, v47, v52
	;; [unrolled: 1-line block ×4, first 2 shown]
	v_add_f32_e32 v41, v41, v47
	v_sub_f32_e32 v47, v48, v50
	v_add_f32_e32 v41, v47, v41
	v_add_f32_e32 v47, v52, v41
	v_mul_f32_e32 v48, v49, v47
	v_mul_f32_e32 v50, v40, v48
	v_fma_f32 v40, v48, v40, -v50
	v_fmac_f32_e32 v40, v48, v38
	v_sub_f32_e32 v38, v52, v47
	v_add_f32_e32 v38, v41, v38
	v_add_f32_e32 v41, v50, v40
	v_sub_f32_e32 v51, v47, v41
	v_sub_f32_e32 v47, v47, v51
	;; [unrolled: 1-line block ×4, first 2 shown]
	v_add_f32_e32 v38, v38, v41
	v_sub_f32_e32 v40, v50, v40
	v_add_f32_e32 v38, v40, v38
	v_add_f32_e32 v40, v42, v48
	;; [unrolled: 1-line block ×3, first 2 shown]
	v_sub_f32_e32 v41, v40, v42
	v_mul_f32_e32 v38, v49, v38
	v_sub_f32_e32 v41, v48, v41
	v_add_f32_e32 v38, v41, v38
	v_cvt_f32_i32_e32 v37, v37
	v_add_f32_e32 v41, v40, v38
	v_mul_f32_e32 v42, v41, v41
	v_mov_b32_e32 v47, 0x3ecc95a3
	v_fmac_f32_e32 v47, 0x3e9b6dac, v42
	v_mov_b32_e32 v48, 0x3f2aaada
	v_fmac_f32_e32 v48, v42, v47
	v_mul_f32_e32 v47, 0x3f317218, v37
	v_fma_f32 v49, v37, s8, -v47
	v_fmac_f32_e32 v49, 0xb102e308, v37
	v_sub_f32_e32 v37, v41, v40
	v_sub_f32_e32 v37, v38, v37
	v_add_f32_e32 v38, v47, v49
	v_sub_f32_e32 v40, v38, v47
	v_ldexp_f32 v47, v41, 1
	v_mul_f32_e32 v41, v41, v42
	v_mul_f32_e32 v41, v41, v48
	v_add_f32_e32 v42, v47, v41
	v_sub_f32_e32 v47, v42, v47
	v_ldexp_f32 v37, v37, 1
	v_sub_f32_e32 v41, v41, v47
	v_add_f32_e32 v37, v37, v41
	v_add_f32_e32 v41, v42, v37
	v_sub_f32_e32 v42, v41, v42
	v_sub_f32_e32 v37, v37, v42
	v_add_f32_e32 v42, v38, v41
	v_sub_f32_e32 v47, v42, v38
	v_sub_f32_e32 v48, v42, v47
	;; [unrolled: 1-line block ×5, first 2 shown]
	v_add_f32_e32 v38, v41, v38
	v_add_f32_e32 v41, v40, v37
	v_sub_f32_e32 v47, v41, v40
	v_sub_f32_e32 v48, v41, v47
	;; [unrolled: 1-line block ×4, first 2 shown]
	v_add_f32_e32 v38, v41, v38
	v_add_f32_e32 v37, v37, v40
	;; [unrolled: 1-line block ×3, first 2 shown]
	v_sub_f32_e32 v41, v40, v42
	v_sub_f32_e32 v38, v38, v41
	v_add_f32_e32 v37, v37, v38
	v_add_f32_e32 v37, v40, v37
	v_cmp_neq_f32_e32 vcc, s7, v17
	s_mov_b32 s7, 0x33800000
	v_cndmask_b32_e32 v37, v39, v37, vcc
	v_cmp_lt_f32_e64 vcc, |v17|, s7
	v_cndmask_b32_e32 v17, v37, v17, vcc
	v_add_f32_e32 v17, v31, v17
	v_cvt_f16_f32_e32 v47, v17
	v_cvt_f32_f16_e32 v17, v47
	v_mov_b32_e32 v37, v47
.LBB420_267:
	s_or_b64 exec, exec, s[4:5]
	v_max_f32_e32 v31, v43, v43
	v_max_f32_e32 v39, v17, v17
	v_min_f32_e32 v38, v39, v31
	v_cmp_u_f16_e32 vcc, v47, v47
	v_max_f32_e32 v31, v39, v31
	v_cndmask_b32_e32 v38, v38, v17, vcc
	v_cndmask_b32_e32 v17, v31, v17, vcc
	v_cndmask_b32_e64 v38, v38, v43, s[52:53]
	v_cndmask_b32_e64 v31, v17, v43, s[52:53]
	v_cmp_neq_f32_e32 vcc, v38, v31
	v_cmp_class_f32_e64 s[4:5], v38, s6
	s_or_b64 s[6:7], vcc, s[4:5]
	v_mov_b32_e32 v17, v37
	s_and_saveexec_b64 s[4:5], s[6:7]
	s_cbranch_execz .LBB420_269
; %bb.268:
	v_sub_f32_e32 v17, v38, v31
	s_mov_b32 s6, 0x3fb8aa3b
	v_mul_f32_e32 v38, 0x3fb8aa3b, v17
	v_fma_f32 v39, v17, s6, -v38
	v_rndne_f32_e32 v40, v38
	v_fmac_f32_e32 v39, 0x32a5705f, v17
	v_sub_f32_e32 v38, v38, v40
	v_add_f32_e32 v38, v38, v39
	v_exp_f32_e32 v38, v38
	v_cvt_i32_f32_e32 v39, v40
	s_mov_b32 s6, 0xc2ce8ed0
	v_cmp_ngt_f32_e32 vcc, s6, v17
	s_mov_b32 s6, 0x42b17218
	v_ldexp_f32 v38, v38, v39
	v_cndmask_b32_e32 v38, 0, v38, vcc
	v_mov_b32_e32 v40, 0x7f800000
	v_cmp_nlt_f32_e32 vcc, s6, v17
	v_cndmask_b32_e32 v17, v40, v38, vcc
	v_add_f32_e32 v41, 1.0, v17
	v_cvt_f64_f32_e32 v[38:39], v41
	v_add_f32_e32 v42, -1.0, v41
	v_sub_f32_e32 v43, v42, v41
	v_sub_f32_e32 v42, v17, v42
	v_frexp_exp_i32_f64_e32 v38, v[38:39]
	v_add_f32_e32 v39, 1.0, v43
	v_add_f32_e32 v39, v42, v39
	v_frexp_mant_f32_e32 v42, v41
	s_mov_b32 s7, 0x3f2aaaab
	v_cmp_gt_f32_e32 vcc, s7, v42
	s_mov_b32 s7, 0x3f317218
	s_mov_b32 s6, 0x7f800000
	v_subbrev_co_u32_e32 v38, vcc, 0, v38, vcc
	v_sub_u32_e32 v42, 0, v38
	v_ldexp_f32 v41, v41, v42
	v_ldexp_f32 v39, v39, v42
	v_add_f32_e32 v42, -1.0, v41
	v_add_f32_e32 v48, 1.0, v41
	v_add_f32_e32 v43, 1.0, v42
	v_add_f32_e32 v49, -1.0, v48
	v_sub_f32_e32 v43, v41, v43
	v_sub_f32_e32 v41, v41, v49
	v_add_f32_e32 v43, v39, v43
	v_add_f32_e32 v39, v39, v41
	;; [unrolled: 1-line block ×3, first 2 shown]
	v_rcp_f32_e32 v49, v41
	v_add_f32_e32 v47, v42, v43
	v_sub_f32_e32 v42, v42, v47
	v_add_f32_e32 v42, v43, v42
	v_sub_f32_e32 v43, v48, v41
	v_add_f32_e32 v39, v39, v43
	v_mul_f32_e32 v43, v47, v49
	v_mul_f32_e32 v48, v41, v43
	v_fma_f32 v50, v43, v41, -v48
	v_fmac_f32_e32 v50, v43, v39
	v_add_f32_e32 v51, v48, v50
	v_sub_f32_e32 v52, v47, v51
	v_sub_f32_e32 v47, v47, v52
	;; [unrolled: 1-line block ×4, first 2 shown]
	v_add_f32_e32 v42, v42, v47
	v_sub_f32_e32 v47, v48, v50
	v_add_f32_e32 v42, v47, v42
	v_add_f32_e32 v47, v52, v42
	v_mul_f32_e32 v48, v49, v47
	v_mul_f32_e32 v50, v41, v48
	v_fma_f32 v41, v48, v41, -v50
	v_fmac_f32_e32 v41, v48, v39
	v_sub_f32_e32 v39, v52, v47
	v_add_f32_e32 v39, v42, v39
	v_add_f32_e32 v42, v50, v41
	v_sub_f32_e32 v51, v47, v42
	v_sub_f32_e32 v47, v47, v51
	;; [unrolled: 1-line block ×4, first 2 shown]
	v_add_f32_e32 v39, v39, v42
	v_sub_f32_e32 v41, v50, v41
	v_add_f32_e32 v39, v41, v39
	v_add_f32_e32 v41, v43, v48
	;; [unrolled: 1-line block ×3, first 2 shown]
	v_sub_f32_e32 v42, v41, v43
	v_mul_f32_e32 v39, v49, v39
	v_sub_f32_e32 v42, v48, v42
	v_add_f32_e32 v39, v42, v39
	v_cvt_f32_i32_e32 v38, v38
	v_add_f32_e32 v42, v41, v39
	v_mul_f32_e32 v43, v42, v42
	v_mov_b32_e32 v47, 0x3ecc95a3
	v_fmac_f32_e32 v47, 0x3e9b6dac, v43
	v_mov_b32_e32 v48, 0x3f2aaada
	v_fmac_f32_e32 v48, v43, v47
	v_mul_f32_e32 v47, 0x3f317218, v38
	v_fma_f32 v49, v38, s7, -v47
	v_fmac_f32_e32 v49, 0xb102e308, v38
	v_sub_f32_e32 v38, v42, v41
	v_sub_f32_e32 v38, v39, v38
	v_add_f32_e32 v39, v47, v49
	v_sub_f32_e32 v41, v39, v47
	v_ldexp_f32 v47, v42, 1
	v_mul_f32_e32 v42, v42, v43
	v_mul_f32_e32 v42, v42, v48
	v_add_f32_e32 v43, v47, v42
	v_sub_f32_e32 v47, v43, v47
	v_ldexp_f32 v38, v38, 1
	v_sub_f32_e32 v42, v42, v47
	v_add_f32_e32 v38, v38, v42
	v_add_f32_e32 v42, v43, v38
	v_sub_f32_e32 v43, v42, v43
	v_sub_f32_e32 v38, v38, v43
	v_add_f32_e32 v43, v39, v42
	v_sub_f32_e32 v47, v43, v39
	v_sub_f32_e32 v48, v43, v47
	;; [unrolled: 1-line block ×5, first 2 shown]
	v_add_f32_e32 v39, v42, v39
	v_add_f32_e32 v42, v41, v38
	v_sub_f32_e32 v47, v42, v41
	v_sub_f32_e32 v48, v42, v47
	;; [unrolled: 1-line block ×4, first 2 shown]
	v_add_f32_e32 v39, v42, v39
	v_add_f32_e32 v38, v38, v41
	;; [unrolled: 1-line block ×3, first 2 shown]
	v_sub_f32_e32 v42, v41, v43
	v_sub_f32_e32 v39, v39, v42
	v_add_f32_e32 v38, v38, v39
	v_add_f32_e32 v38, v41, v38
	v_cmp_neq_f32_e32 vcc, s6, v17
	s_mov_b32 s6, 0x33800000
	v_cndmask_b32_e32 v38, v40, v38, vcc
	v_cmp_lt_f32_e64 vcc, |v17|, s6
	v_cndmask_b32_e32 v17, v38, v17, vcc
	v_add_f32_e32 v17, v31, v17
	v_cvt_f16_f32_e32 v17, v17
.LBB420_269:
	s_or_b64 exec, exec, s[4:5]
	s_branch .LBB420_413
.LBB420_270:
	s_cmp_lg_u64 s[68:69], 0
	s_cselect_b64 s[4:5], -1, 0
	s_and_b64 s[6:7], s[58:59], s[4:5]
	v_mov_b32_e32 v13, v9
	s_and_saveexec_b64 s[4:5], s[6:7]
	s_cbranch_execz .LBB420_274
; %bb.271:
	v_mov_b32_e32 v13, 0
	global_load_ushort v13, v13, s[64:65]
	v_cvt_f32_f16_e32 v14, v9
	s_movk_i32 s6, 0x1f8
	s_waitcnt vmcnt(0)
	v_cvt_f32_f16_e32 v15, v13
	v_cmp_u_f16_e32 vcc, v13, v13
	v_min_f32_e32 v16, v15, v14
	v_max_f32_e32 v17, v15, v14
	v_cndmask_b32_e32 v16, v16, v15, vcc
	v_cndmask_b32_e32 v17, v17, v15, vcc
	v_cmp_u_f16_e32 vcc, v9, v9
	v_cndmask_b32_e32 v15, v16, v14, vcc
	v_cndmask_b32_e32 v14, v17, v14, vcc
	v_cmp_neq_f32_e32 vcc, v15, v14
	v_cmp_class_f32_e64 s[6:7], v15, s6
	s_or_b64 s[8:9], vcc, s[6:7]
	s_and_saveexec_b64 s[6:7], s[8:9]
	s_cbranch_execz .LBB420_273
; %bb.272:
	v_sub_f32_e32 v13, v15, v14
	s_mov_b32 s8, 0x3fb8aa3b
	v_mul_f32_e32 v15, 0x3fb8aa3b, v13
	v_fma_f32 v16, v13, s8, -v15
	v_rndne_f32_e32 v17, v15
	v_fmac_f32_e32 v16, 0x32a5705f, v13
	v_sub_f32_e32 v15, v15, v17
	v_add_f32_e32 v15, v15, v16
	v_exp_f32_e32 v15, v15
	v_cvt_i32_f32_e32 v16, v17
	s_mov_b32 s8, 0xc2ce8ed0
	v_cmp_ngt_f32_e32 vcc, s8, v13
	s_mov_b32 s8, 0x42b17218
	v_ldexp_f32 v15, v15, v16
	v_cndmask_b32_e32 v15, 0, v15, vcc
	v_mov_b32_e32 v17, 0x7f800000
	v_cmp_nlt_f32_e32 vcc, s8, v13
	v_cndmask_b32_e32 v13, v17, v15, vcc
	v_add_f32_e32 v18, 1.0, v13
	v_cvt_f64_f32_e32 v[15:16], v18
	v_add_f32_e32 v22, -1.0, v18
	v_sub_f32_e32 v23, v22, v18
	v_sub_f32_e32 v22, v13, v22
	v_frexp_exp_i32_f64_e32 v15, v[15:16]
	v_add_f32_e32 v16, 1.0, v23
	v_add_f32_e32 v16, v22, v16
	v_frexp_mant_f32_e32 v22, v18
	s_mov_b32 s9, 0x3f2aaaab
	v_cmp_gt_f32_e32 vcc, s9, v22
	s_mov_b32 s9, 0x3f317218
	s_mov_b32 s8, 0x7f800000
	v_subbrev_co_u32_e32 v15, vcc, 0, v15, vcc
	v_sub_u32_e32 v22, 0, v15
	v_ldexp_f32 v18, v18, v22
	v_ldexp_f32 v16, v16, v22
	v_add_f32_e32 v22, -1.0, v18
	v_add_f32_e32 v25, 1.0, v18
	v_add_f32_e32 v23, 1.0, v22
	v_add_f32_e32 v26, -1.0, v25
	v_sub_f32_e32 v23, v18, v23
	v_sub_f32_e32 v18, v18, v26
	v_add_f32_e32 v23, v16, v23
	v_add_f32_e32 v16, v16, v18
	;; [unrolled: 1-line block ×3, first 2 shown]
	v_rcp_f32_e32 v26, v18
	v_add_f32_e32 v24, v22, v23
	v_sub_f32_e32 v22, v22, v24
	v_add_f32_e32 v22, v23, v22
	v_sub_f32_e32 v23, v25, v18
	v_add_f32_e32 v16, v16, v23
	v_mul_f32_e32 v23, v24, v26
	v_mul_f32_e32 v25, v18, v23
	v_fma_f32 v27, v23, v18, -v25
	v_fmac_f32_e32 v27, v23, v16
	v_add_f32_e32 v28, v25, v27
	v_sub_f32_e32 v29, v24, v28
	v_sub_f32_e32 v24, v24, v29
	;; [unrolled: 1-line block ×4, first 2 shown]
	v_add_f32_e32 v22, v22, v24
	v_sub_f32_e32 v24, v25, v27
	v_add_f32_e32 v22, v24, v22
	v_add_f32_e32 v24, v29, v22
	v_mul_f32_e32 v25, v26, v24
	v_mul_f32_e32 v27, v18, v25
	v_fma_f32 v18, v25, v18, -v27
	v_fmac_f32_e32 v18, v25, v16
	v_sub_f32_e32 v16, v29, v24
	v_add_f32_e32 v16, v22, v16
	v_add_f32_e32 v22, v27, v18
	v_sub_f32_e32 v28, v24, v22
	v_sub_f32_e32 v24, v24, v28
	;; [unrolled: 1-line block ×4, first 2 shown]
	v_add_f32_e32 v16, v16, v22
	v_sub_f32_e32 v18, v27, v18
	v_add_f32_e32 v16, v18, v16
	v_add_f32_e32 v18, v23, v25
	;; [unrolled: 1-line block ×3, first 2 shown]
	v_sub_f32_e32 v22, v18, v23
	v_mul_f32_e32 v16, v26, v16
	v_sub_f32_e32 v22, v25, v22
	v_add_f32_e32 v16, v22, v16
	v_cvt_f32_i32_e32 v15, v15
	v_add_f32_e32 v22, v18, v16
	v_mul_f32_e32 v23, v22, v22
	v_mov_b32_e32 v24, 0x3ecc95a3
	v_fmac_f32_e32 v24, 0x3e9b6dac, v23
	v_mov_b32_e32 v25, 0x3f2aaada
	v_fmac_f32_e32 v25, v23, v24
	v_mul_f32_e32 v24, 0x3f317218, v15
	v_fma_f32 v26, v15, s9, -v24
	v_fmac_f32_e32 v26, 0xb102e308, v15
	v_sub_f32_e32 v15, v22, v18
	v_sub_f32_e32 v15, v16, v15
	v_add_f32_e32 v16, v24, v26
	v_sub_f32_e32 v18, v16, v24
	v_ldexp_f32 v24, v22, 1
	v_mul_f32_e32 v22, v22, v23
	v_mul_f32_e32 v22, v22, v25
	v_add_f32_e32 v23, v24, v22
	v_sub_f32_e32 v24, v23, v24
	v_ldexp_f32 v15, v15, 1
	v_sub_f32_e32 v22, v22, v24
	v_add_f32_e32 v15, v15, v22
	v_add_f32_e32 v22, v23, v15
	v_sub_f32_e32 v23, v22, v23
	v_sub_f32_e32 v15, v15, v23
	v_add_f32_e32 v23, v16, v22
	v_sub_f32_e32 v24, v23, v16
	v_sub_f32_e32 v25, v23, v24
	;; [unrolled: 1-line block ×5, first 2 shown]
	v_add_f32_e32 v16, v22, v16
	v_add_f32_e32 v22, v18, v15
	v_sub_f32_e32 v24, v22, v18
	v_sub_f32_e32 v25, v22, v24
	;; [unrolled: 1-line block ×4, first 2 shown]
	v_add_f32_e32 v16, v22, v16
	v_add_f32_e32 v15, v15, v18
	;; [unrolled: 1-line block ×3, first 2 shown]
	v_sub_f32_e32 v22, v18, v23
	v_sub_f32_e32 v16, v16, v22
	v_add_f32_e32 v15, v15, v16
	v_add_f32_e32 v15, v18, v15
	v_cmp_neq_f32_e32 vcc, s8, v13
	s_mov_b32 s8, 0x33800000
	v_cndmask_b32_e32 v15, v17, v15, vcc
	v_cmp_lt_f32_e64 vcc, |v13|, s8
	v_cndmask_b32_e32 v13, v15, v13, vcc
	v_add_f32_e32 v13, v14, v13
	v_cvt_f16_f32_e32 v13, v13
.LBB420_273:
	s_or_b64 exec, exec, s[6:7]
.LBB420_274:
	s_or_b64 exec, exec, s[4:5]
	v_cvt_f32_f16_e32 v17, v13
	v_cmp_u_f16_e64 s[52:53], v13, v13
	v_cmp_u_f16_sdwa vcc, v9, v9 src0_sel:WORD_1 src1_sel:WORD_1
	s_movk_i32 s8, 0x1f8
	v_min_f32_e32 v14, v17, v21
	v_max_f32_e32 v15, v17, v21
	v_cndmask_b32_e64 v16, v14, v17, s[52:53]
	v_cndmask_b32_e64 v9, v15, v17, s[52:53]
	v_cndmask_b32_e32 v16, v16, v21, vcc
	v_cndmask_b32_e32 v9, v9, v21, vcc
	v_cmp_neq_f32_e64 s[4:5], v16, v9
	v_cmp_class_f32_e64 s[6:7], v16, s8
	s_or_b64 s[4:5], s[4:5], s[6:7]
	v_mov_b32_e32 v32, v17
	v_mov_b32_e32 v18, v13
	s_and_saveexec_b64 s[6:7], s[4:5]
	s_cbranch_execz .LBB420_276
; %bb.275:
	v_sub_f32_e32 v16, v16, v9
	s_mov_b32 s4, 0x3fb8aa3b
	v_mul_f32_e32 v18, 0x3fb8aa3b, v16
	v_fma_f32 v22, v16, s4, -v18
	v_rndne_f32_e32 v23, v18
	v_fmac_f32_e32 v22, 0x32a5705f, v16
	v_sub_f32_e32 v18, v18, v23
	v_add_f32_e32 v18, v18, v22
	v_exp_f32_e32 v18, v18
	v_cvt_i32_f32_e32 v22, v23
	s_mov_b32 s4, 0xc2ce8ed0
	v_cmp_ngt_f32_e64 s[4:5], s4, v16
	v_mov_b32_e32 v24, 0x7f800000
	v_ldexp_f32 v18, v18, v22
	v_cndmask_b32_e64 v18, 0, v18, s[4:5]
	s_mov_b32 s4, 0x42b17218
	v_cmp_nlt_f32_e64 s[4:5], s4, v16
	v_cndmask_b32_e64 v16, v24, v18, s[4:5]
	v_add_f32_e32 v18, 1.0, v16
	v_cvt_f64_f32_e32 v[22:23], v18
	v_add_f32_e32 v25, -1.0, v18
	v_sub_f32_e32 v26, v25, v18
	v_sub_f32_e32 v25, v16, v25
	v_frexp_exp_i32_f64_e32 v22, v[22:23]
	v_add_f32_e32 v23, 1.0, v26
	v_add_f32_e32 v23, v25, v23
	v_frexp_mant_f32_e32 v25, v18
	s_mov_b32 s4, 0x3f2aaaab
	v_cmp_gt_f32_e64 s[4:5], s4, v25
	s_mov_b32 s9, 0x7f800000
	v_subbrev_co_u32_e64 v22, s[4:5], 0, v22, s[4:5]
	v_sub_u32_e32 v25, 0, v22
	v_ldexp_f32 v18, v18, v25
	v_ldexp_f32 v23, v23, v25
	v_add_f32_e32 v25, -1.0, v18
	v_add_f32_e32 v28, 1.0, v18
	v_add_f32_e32 v26, 1.0, v25
	v_add_f32_e32 v29, -1.0, v28
	v_sub_f32_e32 v26, v18, v26
	v_sub_f32_e32 v18, v18, v29
	v_add_f32_e32 v18, v23, v18
	v_add_f32_e32 v26, v23, v26
	;; [unrolled: 1-line block ×3, first 2 shown]
	v_rcp_f32_e32 v29, v23
	v_add_f32_e32 v27, v25, v26
	v_sub_f32_e32 v25, v25, v27
	v_add_f32_e32 v25, v26, v25
	v_sub_f32_e32 v26, v28, v23
	v_add_f32_e32 v18, v18, v26
	v_mul_f32_e32 v26, v27, v29
	v_mul_f32_e32 v28, v23, v26
	v_fma_f32 v30, v26, v23, -v28
	v_fmac_f32_e32 v30, v26, v18
	v_add_f32_e32 v31, v28, v30
	v_sub_f32_e32 v32, v27, v31
	v_sub_f32_e32 v27, v27, v32
	;; [unrolled: 1-line block ×4, first 2 shown]
	v_add_f32_e32 v25, v25, v27
	v_sub_f32_e32 v27, v28, v30
	v_add_f32_e32 v25, v27, v25
	v_add_f32_e32 v27, v32, v25
	v_mul_f32_e32 v28, v29, v27
	v_mul_f32_e32 v30, v23, v28
	v_fma_f32 v23, v28, v23, -v30
	v_fmac_f32_e32 v23, v28, v18
	v_sub_f32_e32 v18, v32, v27
	v_add_f32_e32 v18, v25, v18
	v_add_f32_e32 v25, v30, v23
	v_sub_f32_e32 v31, v27, v25
	v_sub_f32_e32 v27, v27, v31
	;; [unrolled: 1-line block ×4, first 2 shown]
	v_add_f32_e32 v18, v18, v25
	v_sub_f32_e32 v23, v30, v23
	v_add_f32_e32 v18, v23, v18
	v_add_f32_e32 v23, v26, v28
	;; [unrolled: 1-line block ×3, first 2 shown]
	v_sub_f32_e32 v25, v23, v26
	v_mul_f32_e32 v18, v29, v18
	v_sub_f32_e32 v25, v28, v25
	v_add_f32_e32 v18, v25, v18
	v_cvt_f32_i32_e32 v22, v22
	v_add_f32_e32 v25, v23, v18
	v_mul_f32_e32 v26, v25, v25
	v_mov_b32_e32 v27, 0x3ecc95a3
	v_fmac_f32_e32 v27, 0x3e9b6dac, v26
	v_mov_b32_e32 v28, 0x3f2aaada
	v_fmac_f32_e32 v28, v26, v27
	s_mov_b32 s4, 0x3f317218
	v_mul_f32_e32 v27, 0x3f317218, v22
	v_fma_f32 v29, v22, s4, -v27
	v_fmac_f32_e32 v29, 0xb102e308, v22
	v_sub_f32_e32 v22, v25, v23
	v_sub_f32_e32 v18, v18, v22
	v_add_f32_e32 v22, v27, v29
	v_sub_f32_e32 v23, v22, v27
	v_ldexp_f32 v27, v25, 1
	v_mul_f32_e32 v25, v25, v26
	v_mul_f32_e32 v25, v25, v28
	v_add_f32_e32 v26, v27, v25
	v_sub_f32_e32 v27, v26, v27
	v_ldexp_f32 v18, v18, 1
	v_sub_f32_e32 v25, v25, v27
	v_add_f32_e32 v18, v18, v25
	v_add_f32_e32 v25, v26, v18
	v_sub_f32_e32 v26, v25, v26
	v_sub_f32_e32 v18, v18, v26
	v_add_f32_e32 v26, v22, v25
	v_sub_f32_e32 v27, v26, v22
	v_sub_f32_e32 v28, v26, v27
	;; [unrolled: 1-line block ×5, first 2 shown]
	v_add_f32_e32 v22, v25, v22
	v_add_f32_e32 v25, v23, v18
	v_sub_f32_e32 v27, v25, v23
	v_sub_f32_e32 v28, v25, v27
	;; [unrolled: 1-line block ×4, first 2 shown]
	v_add_f32_e32 v22, v25, v22
	v_add_f32_e32 v18, v18, v23
	;; [unrolled: 1-line block ×3, first 2 shown]
	v_sub_f32_e32 v25, v23, v26
	v_sub_f32_e32 v22, v22, v25
	v_add_f32_e32 v18, v18, v22
	v_add_f32_e32 v18, v23, v18
	v_cmp_neq_f32_e64 s[4:5], s9, v16
	v_cndmask_b32_e64 v18, v24, v18, s[4:5]
	s_mov_b32 s4, 0x33800000
	v_cmp_lt_f32_e64 s[4:5], |v16|, s4
	v_cndmask_b32_e64 v16, v18, v16, s[4:5]
	v_add_f32_e32 v9, v9, v16
	v_cvt_f16_f32_e32 v18, v9
	v_cvt_f32_f16_e32 v32, v18
.LBB420_276:
	s_or_b64 exec, exec, s[6:7]
	v_cvt_f32_f16_e32 v9, v10
	v_max_f32_e32 v16, v32, v32
	v_cmp_u_f16_e64 s[4:5], v18, v18
	v_cmp_u_f16_e64 s[6:7], v10, v10
	v_min_f32_e32 v22, v16, v9
	v_max_f32_e32 v16, v16, v9
	v_cndmask_b32_e64 v22, v22, v32, s[4:5]
	v_cndmask_b32_e64 v16, v16, v32, s[4:5]
	;; [unrolled: 1-line block ×4, first 2 shown]
	v_cmp_neq_f32_e64 s[4:5], v22, v16
	v_cmp_class_f32_e64 s[8:9], v22, s8
	s_or_b64 s[4:5], s[4:5], s[8:9]
	s_and_saveexec_b64 s[8:9], s[4:5]
	s_cbranch_execz .LBB420_278
; %bb.277:
	v_sub_f32_e32 v18, v22, v16
	s_mov_b32 s4, 0x3fb8aa3b
	v_mul_f32_e32 v22, 0x3fb8aa3b, v18
	v_fma_f32 v23, v18, s4, -v22
	v_rndne_f32_e32 v24, v22
	v_fmac_f32_e32 v23, 0x32a5705f, v18
	v_sub_f32_e32 v22, v22, v24
	v_add_f32_e32 v22, v22, v23
	v_exp_f32_e32 v22, v22
	v_cvt_i32_f32_e32 v23, v24
	s_mov_b32 s4, 0xc2ce8ed0
	v_cmp_ngt_f32_e64 s[4:5], s4, v18
	v_mov_b32_e32 v24, 0x7f800000
	v_ldexp_f32 v22, v22, v23
	v_cndmask_b32_e64 v22, 0, v22, s[4:5]
	s_mov_b32 s4, 0x42b17218
	v_cmp_nlt_f32_e64 s[4:5], s4, v18
	v_cndmask_b32_e64 v18, v24, v22, s[4:5]
	v_add_f32_e32 v25, 1.0, v18
	v_cvt_f64_f32_e32 v[22:23], v25
	v_add_f32_e32 v26, -1.0, v25
	v_sub_f32_e32 v27, v26, v25
	v_sub_f32_e32 v26, v18, v26
	v_frexp_exp_i32_f64_e32 v22, v[22:23]
	v_add_f32_e32 v23, 1.0, v27
	v_add_f32_e32 v23, v26, v23
	v_frexp_mant_f32_e32 v26, v25
	s_mov_b32 s4, 0x3f2aaaab
	v_cmp_gt_f32_e64 s[4:5], s4, v26
	s_mov_b32 s10, 0x7f800000
	v_subbrev_co_u32_e64 v22, s[4:5], 0, v22, s[4:5]
	v_sub_u32_e32 v26, 0, v22
	v_ldexp_f32 v25, v25, v26
	v_ldexp_f32 v23, v23, v26
	v_add_f32_e32 v26, -1.0, v25
	v_add_f32_e32 v29, 1.0, v25
	v_add_f32_e32 v27, 1.0, v26
	v_add_f32_e32 v30, -1.0, v29
	v_sub_f32_e32 v27, v25, v27
	v_sub_f32_e32 v25, v25, v30
	v_add_f32_e32 v27, v23, v27
	v_add_f32_e32 v23, v23, v25
	;; [unrolled: 1-line block ×3, first 2 shown]
	v_rcp_f32_e32 v30, v25
	v_add_f32_e32 v28, v26, v27
	v_sub_f32_e32 v26, v26, v28
	v_add_f32_e32 v26, v27, v26
	v_sub_f32_e32 v27, v29, v25
	v_add_f32_e32 v23, v23, v27
	v_mul_f32_e32 v27, v28, v30
	v_mul_f32_e32 v29, v25, v27
	v_fma_f32 v31, v27, v25, -v29
	v_fmac_f32_e32 v31, v27, v23
	v_add_f32_e32 v32, v29, v31
	v_sub_f32_e32 v33, v28, v32
	v_sub_f32_e32 v28, v28, v33
	;; [unrolled: 1-line block ×4, first 2 shown]
	v_add_f32_e32 v26, v26, v28
	v_sub_f32_e32 v28, v29, v31
	v_add_f32_e32 v26, v28, v26
	v_add_f32_e32 v28, v33, v26
	v_mul_f32_e32 v29, v30, v28
	v_mul_f32_e32 v31, v25, v29
	v_fma_f32 v25, v29, v25, -v31
	v_fmac_f32_e32 v25, v29, v23
	v_sub_f32_e32 v23, v33, v28
	v_add_f32_e32 v23, v26, v23
	v_add_f32_e32 v26, v31, v25
	v_sub_f32_e32 v32, v28, v26
	v_sub_f32_e32 v28, v28, v32
	;; [unrolled: 1-line block ×4, first 2 shown]
	v_add_f32_e32 v23, v23, v26
	v_sub_f32_e32 v25, v31, v25
	v_add_f32_e32 v23, v25, v23
	v_add_f32_e32 v25, v27, v29
	;; [unrolled: 1-line block ×3, first 2 shown]
	v_sub_f32_e32 v26, v25, v27
	v_mul_f32_e32 v23, v30, v23
	v_sub_f32_e32 v26, v29, v26
	v_add_f32_e32 v23, v26, v23
	v_cvt_f32_i32_e32 v22, v22
	v_add_f32_e32 v26, v25, v23
	v_mul_f32_e32 v27, v26, v26
	v_mov_b32_e32 v28, 0x3ecc95a3
	v_fmac_f32_e32 v28, 0x3e9b6dac, v27
	v_mov_b32_e32 v29, 0x3f2aaada
	v_fmac_f32_e32 v29, v27, v28
	s_mov_b32 s4, 0x3f317218
	v_mul_f32_e32 v28, 0x3f317218, v22
	v_fma_f32 v30, v22, s4, -v28
	v_fmac_f32_e32 v30, 0xb102e308, v22
	v_sub_f32_e32 v22, v26, v25
	v_sub_f32_e32 v22, v23, v22
	v_add_f32_e32 v23, v28, v30
	v_sub_f32_e32 v25, v23, v28
	v_ldexp_f32 v28, v26, 1
	v_mul_f32_e32 v26, v26, v27
	v_mul_f32_e32 v26, v26, v29
	v_add_f32_e32 v27, v28, v26
	v_sub_f32_e32 v28, v27, v28
	v_ldexp_f32 v22, v22, 1
	v_sub_f32_e32 v26, v26, v28
	v_add_f32_e32 v22, v22, v26
	v_add_f32_e32 v26, v27, v22
	v_sub_f32_e32 v27, v26, v27
	v_sub_f32_e32 v22, v22, v27
	v_add_f32_e32 v27, v23, v26
	v_sub_f32_e32 v28, v27, v23
	v_sub_f32_e32 v29, v27, v28
	;; [unrolled: 1-line block ×5, first 2 shown]
	v_add_f32_e32 v23, v26, v23
	v_add_f32_e32 v26, v25, v22
	v_sub_f32_e32 v28, v26, v25
	v_sub_f32_e32 v29, v26, v28
	;; [unrolled: 1-line block ×4, first 2 shown]
	v_add_f32_e32 v23, v26, v23
	v_add_f32_e32 v22, v22, v25
	;; [unrolled: 1-line block ×3, first 2 shown]
	v_sub_f32_e32 v26, v25, v27
	v_sub_f32_e32 v23, v23, v26
	v_add_f32_e32 v22, v22, v23
	v_add_f32_e32 v22, v25, v22
	v_cmp_neq_f32_e64 s[4:5], s10, v18
	v_cndmask_b32_e64 v22, v24, v22, s[4:5]
	s_mov_b32 s4, 0x33800000
	v_cmp_lt_f32_e64 s[4:5], |v18|, s4
	v_cndmask_b32_e64 v18, v22, v18, s[4:5]
	v_add_f32_e32 v16, v16, v18
	v_cvt_f16_f32_e32 v18, v16
	v_cvt_f32_f16_e32 v32, v18
.LBB420_278:
	s_or_b64 exec, exec, s[8:9]
	v_cvt_f32_f16_sdwa v16, v10 dst_sel:DWORD dst_unused:UNUSED_PAD src0_sel:WORD_1
	v_max_f32_e32 v23, v32, v32
	v_cmp_u_f16_e64 s[4:5], v18, v18
	v_cmp_u_f16_sdwa s[8:9], v10, v10 src0_sel:WORD_1 src1_sel:WORD_1
	v_min_f32_e32 v22, v23, v16
	v_max_f32_e32 v10, v23, v16
	v_cndmask_b32_e64 v22, v22, v32, s[4:5]
	v_cndmask_b32_e64 v10, v10, v32, s[4:5]
	;; [unrolled: 1-line block ×4, first 2 shown]
	s_movk_i32 s12, 0x1f8
	v_cmp_neq_f32_e64 s[4:5], v22, v10
	v_cmp_class_f32_e64 s[10:11], v22, s12
	s_or_b64 s[4:5], s[4:5], s[10:11]
	s_and_saveexec_b64 s[10:11], s[4:5]
	s_cbranch_execz .LBB420_280
; %bb.279:
	v_sub_f32_e32 v18, v22, v10
	s_mov_b32 s4, 0x3fb8aa3b
	v_mul_f32_e32 v22, 0x3fb8aa3b, v18
	v_fma_f32 v23, v18, s4, -v22
	v_rndne_f32_e32 v24, v22
	v_fmac_f32_e32 v23, 0x32a5705f, v18
	v_sub_f32_e32 v22, v22, v24
	v_add_f32_e32 v22, v22, v23
	v_exp_f32_e32 v22, v22
	v_cvt_i32_f32_e32 v23, v24
	s_mov_b32 s4, 0xc2ce8ed0
	v_cmp_ngt_f32_e64 s[4:5], s4, v18
	v_mov_b32_e32 v24, 0x7f800000
	v_ldexp_f32 v22, v22, v23
	v_cndmask_b32_e64 v22, 0, v22, s[4:5]
	s_mov_b32 s4, 0x42b17218
	v_cmp_nlt_f32_e64 s[4:5], s4, v18
	v_cndmask_b32_e64 v18, v24, v22, s[4:5]
	v_add_f32_e32 v25, 1.0, v18
	v_cvt_f64_f32_e32 v[22:23], v25
	v_add_f32_e32 v26, -1.0, v25
	v_sub_f32_e32 v27, v26, v25
	v_sub_f32_e32 v26, v18, v26
	v_frexp_exp_i32_f64_e32 v22, v[22:23]
	v_add_f32_e32 v23, 1.0, v27
	v_add_f32_e32 v23, v26, v23
	v_frexp_mant_f32_e32 v26, v25
	s_mov_b32 s4, 0x3f2aaaab
	v_cmp_gt_f32_e64 s[4:5], s4, v26
	s_mov_b32 s13, 0x7f800000
	v_subbrev_co_u32_e64 v22, s[4:5], 0, v22, s[4:5]
	v_sub_u32_e32 v26, 0, v22
	v_ldexp_f32 v25, v25, v26
	v_ldexp_f32 v23, v23, v26
	v_add_f32_e32 v26, -1.0, v25
	v_add_f32_e32 v29, 1.0, v25
	v_add_f32_e32 v27, 1.0, v26
	v_add_f32_e32 v30, -1.0, v29
	v_sub_f32_e32 v27, v25, v27
	v_sub_f32_e32 v25, v25, v30
	v_add_f32_e32 v27, v23, v27
	v_add_f32_e32 v23, v23, v25
	;; [unrolled: 1-line block ×3, first 2 shown]
	v_rcp_f32_e32 v30, v25
	v_add_f32_e32 v28, v26, v27
	v_sub_f32_e32 v26, v26, v28
	v_add_f32_e32 v26, v27, v26
	v_sub_f32_e32 v27, v29, v25
	v_add_f32_e32 v23, v23, v27
	v_mul_f32_e32 v27, v28, v30
	v_mul_f32_e32 v29, v25, v27
	v_fma_f32 v31, v27, v25, -v29
	v_fmac_f32_e32 v31, v27, v23
	v_add_f32_e32 v32, v29, v31
	v_sub_f32_e32 v33, v28, v32
	v_sub_f32_e32 v28, v28, v33
	v_sub_f32_e32 v29, v32, v29
	v_sub_f32_e32 v28, v28, v32
	v_add_f32_e32 v26, v26, v28
	v_sub_f32_e32 v28, v29, v31
	v_add_f32_e32 v26, v28, v26
	v_add_f32_e32 v28, v33, v26
	v_mul_f32_e32 v29, v30, v28
	v_mul_f32_e32 v31, v25, v29
	v_fma_f32 v25, v29, v25, -v31
	v_fmac_f32_e32 v25, v29, v23
	v_sub_f32_e32 v23, v33, v28
	v_add_f32_e32 v23, v26, v23
	v_add_f32_e32 v26, v31, v25
	v_sub_f32_e32 v32, v28, v26
	v_sub_f32_e32 v28, v28, v32
	;; [unrolled: 1-line block ×4, first 2 shown]
	v_add_f32_e32 v23, v23, v26
	v_sub_f32_e32 v25, v31, v25
	v_add_f32_e32 v23, v25, v23
	v_add_f32_e32 v25, v27, v29
	;; [unrolled: 1-line block ×3, first 2 shown]
	v_sub_f32_e32 v26, v25, v27
	v_mul_f32_e32 v23, v30, v23
	v_sub_f32_e32 v26, v29, v26
	v_add_f32_e32 v23, v26, v23
	v_cvt_f32_i32_e32 v22, v22
	v_add_f32_e32 v26, v25, v23
	v_mul_f32_e32 v27, v26, v26
	v_mov_b32_e32 v28, 0x3ecc95a3
	v_fmac_f32_e32 v28, 0x3e9b6dac, v27
	v_mov_b32_e32 v29, 0x3f2aaada
	v_fmac_f32_e32 v29, v27, v28
	s_mov_b32 s4, 0x3f317218
	v_mul_f32_e32 v28, 0x3f317218, v22
	v_fma_f32 v30, v22, s4, -v28
	v_fmac_f32_e32 v30, 0xb102e308, v22
	v_sub_f32_e32 v22, v26, v25
	v_sub_f32_e32 v22, v23, v22
	v_add_f32_e32 v23, v28, v30
	v_sub_f32_e32 v25, v23, v28
	v_ldexp_f32 v28, v26, 1
	v_mul_f32_e32 v26, v26, v27
	v_mul_f32_e32 v26, v26, v29
	v_add_f32_e32 v27, v28, v26
	v_sub_f32_e32 v28, v27, v28
	v_ldexp_f32 v22, v22, 1
	v_sub_f32_e32 v26, v26, v28
	v_add_f32_e32 v22, v22, v26
	v_add_f32_e32 v26, v27, v22
	v_sub_f32_e32 v27, v26, v27
	v_sub_f32_e32 v22, v22, v27
	v_add_f32_e32 v27, v23, v26
	v_sub_f32_e32 v28, v27, v23
	v_sub_f32_e32 v29, v27, v28
	;; [unrolled: 1-line block ×5, first 2 shown]
	v_add_f32_e32 v23, v26, v23
	v_add_f32_e32 v26, v25, v22
	v_sub_f32_e32 v28, v26, v25
	v_sub_f32_e32 v29, v26, v28
	;; [unrolled: 1-line block ×4, first 2 shown]
	v_add_f32_e32 v23, v26, v23
	v_add_f32_e32 v22, v22, v25
	;; [unrolled: 1-line block ×3, first 2 shown]
	v_sub_f32_e32 v26, v25, v27
	v_sub_f32_e32 v23, v23, v26
	v_add_f32_e32 v22, v22, v23
	v_add_f32_e32 v22, v25, v22
	v_cmp_neq_f32_e64 s[4:5], s13, v18
	v_cndmask_b32_e64 v22, v24, v22, s[4:5]
	s_mov_b32 s4, 0x33800000
	v_cmp_lt_f32_e64 s[4:5], |v18|, s4
	v_cndmask_b32_e64 v18, v22, v18, s[4:5]
	v_add_f32_e32 v10, v10, v18
	v_cvt_f16_f32_e32 v18, v10
	v_cvt_f32_f16_e32 v32, v18
.LBB420_280:
	s_or_b64 exec, exec, s[10:11]
	v_cvt_f32_f16_e32 v10, v11
	v_max_f32_e32 v22, v32, v32
	v_cmp_u_f16_e64 s[4:5], v18, v18
	v_cmp_u_f16_e64 s[10:11], v11, v11
	v_min_f32_e32 v23, v22, v10
	v_max_f32_e32 v22, v22, v10
	v_cndmask_b32_e64 v23, v23, v32, s[4:5]
	v_cndmask_b32_e64 v22, v22, v32, s[4:5]
	;; [unrolled: 1-line block ×4, first 2 shown]
	v_cmp_neq_f32_e64 s[4:5], v23, v22
	v_cmp_class_f32_e64 s[12:13], v23, s12
	s_or_b64 s[4:5], s[4:5], s[12:13]
	s_and_saveexec_b64 s[12:13], s[4:5]
	s_cbranch_execz .LBB420_282
; %bb.281:
	v_sub_f32_e32 v18, v23, v22
	s_mov_b32 s4, 0x3fb8aa3b
	v_mul_f32_e32 v23, 0x3fb8aa3b, v18
	v_fma_f32 v24, v18, s4, -v23
	v_rndne_f32_e32 v25, v23
	v_fmac_f32_e32 v24, 0x32a5705f, v18
	v_sub_f32_e32 v23, v23, v25
	v_add_f32_e32 v23, v23, v24
	v_exp_f32_e32 v23, v23
	v_cvt_i32_f32_e32 v24, v25
	s_mov_b32 s4, 0xc2ce8ed0
	v_cmp_ngt_f32_e64 s[4:5], s4, v18
	v_mov_b32_e32 v25, 0x7f800000
	v_ldexp_f32 v23, v23, v24
	v_cndmask_b32_e64 v23, 0, v23, s[4:5]
	s_mov_b32 s4, 0x42b17218
	v_cmp_nlt_f32_e64 s[4:5], s4, v18
	v_cndmask_b32_e64 v18, v25, v23, s[4:5]
	v_add_f32_e32 v26, 1.0, v18
	v_cvt_f64_f32_e32 v[23:24], v26
	v_add_f32_e32 v27, -1.0, v26
	v_sub_f32_e32 v28, v27, v26
	v_sub_f32_e32 v27, v18, v27
	v_frexp_exp_i32_f64_e32 v23, v[23:24]
	v_add_f32_e32 v24, 1.0, v28
	v_add_f32_e32 v24, v27, v24
	v_frexp_mant_f32_e32 v27, v26
	s_mov_b32 s4, 0x3f2aaaab
	v_cmp_gt_f32_e64 s[4:5], s4, v27
	s_mov_b32 s14, 0x7f800000
	v_subbrev_co_u32_e64 v23, s[4:5], 0, v23, s[4:5]
	v_sub_u32_e32 v27, 0, v23
	v_ldexp_f32 v26, v26, v27
	v_ldexp_f32 v24, v24, v27
	v_add_f32_e32 v27, -1.0, v26
	v_add_f32_e32 v30, 1.0, v26
	v_add_f32_e32 v28, 1.0, v27
	v_add_f32_e32 v31, -1.0, v30
	v_sub_f32_e32 v28, v26, v28
	v_sub_f32_e32 v26, v26, v31
	v_add_f32_e32 v28, v24, v28
	v_add_f32_e32 v24, v24, v26
	;; [unrolled: 1-line block ×3, first 2 shown]
	v_rcp_f32_e32 v31, v26
	v_add_f32_e32 v29, v27, v28
	v_sub_f32_e32 v27, v27, v29
	v_add_f32_e32 v27, v28, v27
	v_sub_f32_e32 v28, v30, v26
	v_add_f32_e32 v24, v24, v28
	v_mul_f32_e32 v28, v29, v31
	v_mul_f32_e32 v30, v26, v28
	v_fma_f32 v32, v28, v26, -v30
	v_fmac_f32_e32 v32, v28, v24
	v_add_f32_e32 v33, v30, v32
	v_sub_f32_e32 v34, v29, v33
	v_sub_f32_e32 v29, v29, v34
	;; [unrolled: 1-line block ×4, first 2 shown]
	v_add_f32_e32 v27, v27, v29
	v_sub_f32_e32 v29, v30, v32
	v_add_f32_e32 v27, v29, v27
	v_add_f32_e32 v29, v34, v27
	v_mul_f32_e32 v30, v31, v29
	v_mul_f32_e32 v32, v26, v30
	v_fma_f32 v26, v30, v26, -v32
	v_fmac_f32_e32 v26, v30, v24
	v_sub_f32_e32 v24, v34, v29
	v_add_f32_e32 v24, v27, v24
	v_add_f32_e32 v27, v32, v26
	v_sub_f32_e32 v33, v29, v27
	v_sub_f32_e32 v29, v29, v33
	;; [unrolled: 1-line block ×4, first 2 shown]
	v_add_f32_e32 v24, v24, v27
	v_sub_f32_e32 v26, v32, v26
	v_add_f32_e32 v24, v26, v24
	v_add_f32_e32 v26, v28, v30
	;; [unrolled: 1-line block ×3, first 2 shown]
	v_sub_f32_e32 v27, v26, v28
	v_mul_f32_e32 v24, v31, v24
	v_sub_f32_e32 v27, v30, v27
	v_add_f32_e32 v24, v27, v24
	v_cvt_f32_i32_e32 v23, v23
	v_add_f32_e32 v27, v26, v24
	v_mul_f32_e32 v28, v27, v27
	v_mov_b32_e32 v29, 0x3ecc95a3
	v_fmac_f32_e32 v29, 0x3e9b6dac, v28
	v_mov_b32_e32 v30, 0x3f2aaada
	v_fmac_f32_e32 v30, v28, v29
	s_mov_b32 s4, 0x3f317218
	v_mul_f32_e32 v29, 0x3f317218, v23
	v_fma_f32 v31, v23, s4, -v29
	v_fmac_f32_e32 v31, 0xb102e308, v23
	v_sub_f32_e32 v23, v27, v26
	v_sub_f32_e32 v23, v24, v23
	v_add_f32_e32 v24, v29, v31
	v_sub_f32_e32 v26, v24, v29
	v_ldexp_f32 v29, v27, 1
	v_mul_f32_e32 v27, v27, v28
	v_mul_f32_e32 v27, v27, v30
	v_add_f32_e32 v28, v29, v27
	v_sub_f32_e32 v29, v28, v29
	v_ldexp_f32 v23, v23, 1
	v_sub_f32_e32 v27, v27, v29
	v_add_f32_e32 v23, v23, v27
	v_add_f32_e32 v27, v28, v23
	v_sub_f32_e32 v28, v27, v28
	v_sub_f32_e32 v23, v23, v28
	v_add_f32_e32 v28, v24, v27
	v_sub_f32_e32 v29, v28, v24
	v_sub_f32_e32 v30, v28, v29
	;; [unrolled: 1-line block ×5, first 2 shown]
	v_add_f32_e32 v24, v27, v24
	v_add_f32_e32 v27, v26, v23
	v_sub_f32_e32 v29, v27, v26
	v_sub_f32_e32 v30, v27, v29
	;; [unrolled: 1-line block ×4, first 2 shown]
	v_add_f32_e32 v24, v27, v24
	v_add_f32_e32 v23, v23, v26
	;; [unrolled: 1-line block ×3, first 2 shown]
	v_sub_f32_e32 v27, v26, v28
	v_sub_f32_e32 v24, v24, v27
	v_add_f32_e32 v23, v23, v24
	v_add_f32_e32 v23, v26, v23
	v_cmp_neq_f32_e64 s[4:5], s14, v18
	v_cndmask_b32_e64 v23, v25, v23, s[4:5]
	s_mov_b32 s4, 0x33800000
	v_cmp_lt_f32_e64 s[4:5], |v18|, s4
	v_cndmask_b32_e64 v18, v23, v18, s[4:5]
	v_add_f32_e32 v18, v22, v18
	v_cvt_f16_f32_e32 v18, v18
	v_cvt_f32_f16_e32 v32, v18
.LBB420_282:
	s_or_b64 exec, exec, s[12:13]
	v_cvt_f32_f16_sdwa v22, v11 dst_sel:DWORD dst_unused:UNUSED_PAD src0_sel:WORD_1
	v_max_f32_e32 v24, v32, v32
	v_cmp_u_f16_e64 s[4:5], v18, v18
	v_cmp_u_f16_sdwa s[12:13], v11, v11 src0_sel:WORD_1 src1_sel:WORD_1
	v_min_f32_e32 v23, v24, v22
	v_max_f32_e32 v11, v24, v22
	v_cndmask_b32_e64 v23, v23, v32, s[4:5]
	v_cndmask_b32_e64 v11, v11, v32, s[4:5]
	;; [unrolled: 1-line block ×4, first 2 shown]
	s_movk_i32 s16, 0x1f8
	v_cmp_neq_f32_e64 s[4:5], v23, v11
	v_cmp_class_f32_e64 s[14:15], v23, s16
	s_or_b64 s[4:5], s[4:5], s[14:15]
	s_and_saveexec_b64 s[14:15], s[4:5]
	s_cbranch_execz .LBB420_284
; %bb.283:
	v_sub_f32_e32 v18, v23, v11
	s_mov_b32 s4, 0x3fb8aa3b
	v_mul_f32_e32 v23, 0x3fb8aa3b, v18
	v_fma_f32 v24, v18, s4, -v23
	v_rndne_f32_e32 v25, v23
	v_fmac_f32_e32 v24, 0x32a5705f, v18
	v_sub_f32_e32 v23, v23, v25
	v_add_f32_e32 v23, v23, v24
	v_exp_f32_e32 v23, v23
	v_cvt_i32_f32_e32 v24, v25
	s_mov_b32 s4, 0xc2ce8ed0
	v_cmp_ngt_f32_e64 s[4:5], s4, v18
	v_mov_b32_e32 v25, 0x7f800000
	v_ldexp_f32 v23, v23, v24
	v_cndmask_b32_e64 v23, 0, v23, s[4:5]
	s_mov_b32 s4, 0x42b17218
	v_cmp_nlt_f32_e64 s[4:5], s4, v18
	v_cndmask_b32_e64 v18, v25, v23, s[4:5]
	v_add_f32_e32 v26, 1.0, v18
	v_cvt_f64_f32_e32 v[23:24], v26
	v_add_f32_e32 v27, -1.0, v26
	v_sub_f32_e32 v28, v27, v26
	v_sub_f32_e32 v27, v18, v27
	v_frexp_exp_i32_f64_e32 v23, v[23:24]
	v_add_f32_e32 v24, 1.0, v28
	v_add_f32_e32 v24, v27, v24
	v_frexp_mant_f32_e32 v27, v26
	s_mov_b32 s4, 0x3f2aaaab
	v_cmp_gt_f32_e64 s[4:5], s4, v27
	s_mov_b32 s17, 0x7f800000
	v_subbrev_co_u32_e64 v23, s[4:5], 0, v23, s[4:5]
	v_sub_u32_e32 v27, 0, v23
	v_ldexp_f32 v26, v26, v27
	v_ldexp_f32 v24, v24, v27
	v_add_f32_e32 v27, -1.0, v26
	v_add_f32_e32 v30, 1.0, v26
	v_add_f32_e32 v28, 1.0, v27
	v_add_f32_e32 v31, -1.0, v30
	v_sub_f32_e32 v28, v26, v28
	v_sub_f32_e32 v26, v26, v31
	v_add_f32_e32 v28, v24, v28
	v_add_f32_e32 v24, v24, v26
	;; [unrolled: 1-line block ×3, first 2 shown]
	v_rcp_f32_e32 v31, v26
	v_add_f32_e32 v29, v27, v28
	v_sub_f32_e32 v27, v27, v29
	v_add_f32_e32 v27, v28, v27
	v_sub_f32_e32 v28, v30, v26
	v_add_f32_e32 v24, v24, v28
	v_mul_f32_e32 v28, v29, v31
	v_mul_f32_e32 v30, v26, v28
	v_fma_f32 v32, v28, v26, -v30
	v_fmac_f32_e32 v32, v28, v24
	v_add_f32_e32 v33, v30, v32
	v_sub_f32_e32 v34, v29, v33
	v_sub_f32_e32 v29, v29, v34
	;; [unrolled: 1-line block ×4, first 2 shown]
	v_add_f32_e32 v27, v27, v29
	v_sub_f32_e32 v29, v30, v32
	v_add_f32_e32 v27, v29, v27
	v_add_f32_e32 v29, v34, v27
	v_mul_f32_e32 v30, v31, v29
	v_mul_f32_e32 v32, v26, v30
	v_fma_f32 v26, v30, v26, -v32
	v_fmac_f32_e32 v26, v30, v24
	v_sub_f32_e32 v24, v34, v29
	v_add_f32_e32 v24, v27, v24
	v_add_f32_e32 v27, v32, v26
	v_sub_f32_e32 v33, v29, v27
	v_sub_f32_e32 v29, v29, v33
	;; [unrolled: 1-line block ×4, first 2 shown]
	v_add_f32_e32 v24, v24, v27
	v_sub_f32_e32 v26, v32, v26
	v_add_f32_e32 v24, v26, v24
	v_add_f32_e32 v26, v28, v30
	;; [unrolled: 1-line block ×3, first 2 shown]
	v_sub_f32_e32 v27, v26, v28
	v_mul_f32_e32 v24, v31, v24
	v_sub_f32_e32 v27, v30, v27
	v_add_f32_e32 v24, v27, v24
	v_cvt_f32_i32_e32 v23, v23
	v_add_f32_e32 v27, v26, v24
	v_mul_f32_e32 v28, v27, v27
	v_mov_b32_e32 v29, 0x3ecc95a3
	v_fmac_f32_e32 v29, 0x3e9b6dac, v28
	v_mov_b32_e32 v30, 0x3f2aaada
	v_fmac_f32_e32 v30, v28, v29
	s_mov_b32 s4, 0x3f317218
	v_mul_f32_e32 v29, 0x3f317218, v23
	v_fma_f32 v31, v23, s4, -v29
	v_fmac_f32_e32 v31, 0xb102e308, v23
	v_sub_f32_e32 v23, v27, v26
	v_sub_f32_e32 v23, v24, v23
	v_add_f32_e32 v24, v29, v31
	v_sub_f32_e32 v26, v24, v29
	v_ldexp_f32 v29, v27, 1
	v_mul_f32_e32 v27, v27, v28
	v_mul_f32_e32 v27, v27, v30
	v_add_f32_e32 v28, v29, v27
	v_sub_f32_e32 v29, v28, v29
	v_ldexp_f32 v23, v23, 1
	v_sub_f32_e32 v27, v27, v29
	v_add_f32_e32 v23, v23, v27
	v_add_f32_e32 v27, v28, v23
	v_sub_f32_e32 v28, v27, v28
	v_sub_f32_e32 v23, v23, v28
	v_add_f32_e32 v28, v24, v27
	v_sub_f32_e32 v29, v28, v24
	v_sub_f32_e32 v30, v28, v29
	;; [unrolled: 1-line block ×5, first 2 shown]
	v_add_f32_e32 v24, v27, v24
	v_add_f32_e32 v27, v26, v23
	v_sub_f32_e32 v29, v27, v26
	v_sub_f32_e32 v30, v27, v29
	;; [unrolled: 1-line block ×4, first 2 shown]
	v_add_f32_e32 v24, v27, v24
	v_add_f32_e32 v23, v23, v26
	;; [unrolled: 1-line block ×3, first 2 shown]
	v_sub_f32_e32 v27, v26, v28
	v_sub_f32_e32 v24, v24, v27
	v_add_f32_e32 v23, v23, v24
	v_add_f32_e32 v23, v26, v23
	v_cmp_neq_f32_e64 s[4:5], s17, v18
	v_cndmask_b32_e64 v23, v25, v23, s[4:5]
	s_mov_b32 s4, 0x33800000
	v_cmp_lt_f32_e64 s[4:5], |v18|, s4
	v_cndmask_b32_e64 v18, v23, v18, s[4:5]
	v_add_f32_e32 v11, v11, v18
	v_cvt_f16_f32_e32 v18, v11
	v_cvt_f32_f16_e32 v32, v18
.LBB420_284:
	s_or_b64 exec, exec, s[14:15]
	v_cvt_f32_f16_e32 v11, v12
	v_max_f32_e32 v23, v32, v32
	v_cmp_u_f16_e64 s[4:5], v18, v18
	v_cmp_u_f16_e64 s[14:15], v12, v12
	v_min_f32_e32 v24, v23, v11
	v_max_f32_e32 v23, v23, v11
	v_cndmask_b32_e64 v24, v24, v32, s[4:5]
	v_cndmask_b32_e64 v23, v23, v32, s[4:5]
	;; [unrolled: 1-line block ×4, first 2 shown]
	v_cmp_neq_f32_e64 s[4:5], v24, v23
	v_cmp_class_f32_e64 s[16:17], v24, s16
	s_or_b64 s[4:5], s[4:5], s[16:17]
	s_and_saveexec_b64 s[16:17], s[4:5]
	s_cbranch_execz .LBB420_286
; %bb.285:
	v_sub_f32_e32 v18, v24, v23
	s_mov_b32 s4, 0x3fb8aa3b
	v_mul_f32_e32 v24, 0x3fb8aa3b, v18
	v_fma_f32 v25, v18, s4, -v24
	v_rndne_f32_e32 v26, v24
	v_fmac_f32_e32 v25, 0x32a5705f, v18
	v_sub_f32_e32 v24, v24, v26
	v_add_f32_e32 v24, v24, v25
	v_exp_f32_e32 v24, v24
	v_cvt_i32_f32_e32 v25, v26
	s_mov_b32 s4, 0xc2ce8ed0
	v_cmp_ngt_f32_e64 s[4:5], s4, v18
	v_mov_b32_e32 v26, 0x7f800000
	v_ldexp_f32 v24, v24, v25
	v_cndmask_b32_e64 v24, 0, v24, s[4:5]
	s_mov_b32 s4, 0x42b17218
	v_cmp_nlt_f32_e64 s[4:5], s4, v18
	v_cndmask_b32_e64 v18, v26, v24, s[4:5]
	v_add_f32_e32 v27, 1.0, v18
	v_cvt_f64_f32_e32 v[24:25], v27
	v_add_f32_e32 v28, -1.0, v27
	v_sub_f32_e32 v29, v28, v27
	v_sub_f32_e32 v28, v18, v28
	v_frexp_exp_i32_f64_e32 v24, v[24:25]
	v_add_f32_e32 v25, 1.0, v29
	v_add_f32_e32 v25, v28, v25
	v_frexp_mant_f32_e32 v28, v27
	s_mov_b32 s4, 0x3f2aaaab
	v_cmp_gt_f32_e64 s[4:5], s4, v28
	s_mov_b32 s18, 0x7f800000
	v_subbrev_co_u32_e64 v24, s[4:5], 0, v24, s[4:5]
	v_sub_u32_e32 v28, 0, v24
	v_ldexp_f32 v27, v27, v28
	v_ldexp_f32 v25, v25, v28
	v_add_f32_e32 v28, -1.0, v27
	v_add_f32_e32 v31, 1.0, v27
	v_add_f32_e32 v29, 1.0, v28
	v_add_f32_e32 v32, -1.0, v31
	v_sub_f32_e32 v29, v27, v29
	v_sub_f32_e32 v27, v27, v32
	v_add_f32_e32 v29, v25, v29
	v_add_f32_e32 v25, v25, v27
	;; [unrolled: 1-line block ×3, first 2 shown]
	v_rcp_f32_e32 v32, v27
	v_add_f32_e32 v30, v28, v29
	v_sub_f32_e32 v28, v28, v30
	v_add_f32_e32 v28, v29, v28
	v_sub_f32_e32 v29, v31, v27
	v_add_f32_e32 v25, v25, v29
	v_mul_f32_e32 v29, v30, v32
	v_mul_f32_e32 v31, v27, v29
	v_fma_f32 v33, v29, v27, -v31
	v_fmac_f32_e32 v33, v29, v25
	v_add_f32_e32 v34, v31, v33
	v_sub_f32_e32 v35, v30, v34
	v_sub_f32_e32 v30, v30, v35
	;; [unrolled: 1-line block ×4, first 2 shown]
	v_add_f32_e32 v28, v28, v30
	v_sub_f32_e32 v30, v31, v33
	v_add_f32_e32 v28, v30, v28
	v_add_f32_e32 v30, v35, v28
	v_mul_f32_e32 v31, v32, v30
	v_mul_f32_e32 v33, v27, v31
	v_fma_f32 v27, v31, v27, -v33
	v_fmac_f32_e32 v27, v31, v25
	v_sub_f32_e32 v25, v35, v30
	v_add_f32_e32 v25, v28, v25
	v_add_f32_e32 v28, v33, v27
	v_sub_f32_e32 v34, v30, v28
	v_sub_f32_e32 v30, v30, v34
	;; [unrolled: 1-line block ×4, first 2 shown]
	v_add_f32_e32 v25, v25, v28
	v_sub_f32_e32 v27, v33, v27
	v_add_f32_e32 v25, v27, v25
	v_add_f32_e32 v27, v29, v31
	;; [unrolled: 1-line block ×3, first 2 shown]
	v_sub_f32_e32 v28, v27, v29
	v_mul_f32_e32 v25, v32, v25
	v_sub_f32_e32 v28, v31, v28
	v_add_f32_e32 v25, v28, v25
	v_cvt_f32_i32_e32 v24, v24
	v_add_f32_e32 v28, v27, v25
	v_mul_f32_e32 v29, v28, v28
	v_mov_b32_e32 v30, 0x3ecc95a3
	v_fmac_f32_e32 v30, 0x3e9b6dac, v29
	v_mov_b32_e32 v31, 0x3f2aaada
	v_fmac_f32_e32 v31, v29, v30
	s_mov_b32 s4, 0x3f317218
	v_mul_f32_e32 v30, 0x3f317218, v24
	v_fma_f32 v32, v24, s4, -v30
	v_fmac_f32_e32 v32, 0xb102e308, v24
	v_sub_f32_e32 v24, v28, v27
	v_sub_f32_e32 v24, v25, v24
	v_add_f32_e32 v25, v30, v32
	v_sub_f32_e32 v27, v25, v30
	v_ldexp_f32 v30, v28, 1
	v_mul_f32_e32 v28, v28, v29
	v_mul_f32_e32 v28, v28, v31
	v_add_f32_e32 v29, v30, v28
	v_sub_f32_e32 v30, v29, v30
	v_ldexp_f32 v24, v24, 1
	v_sub_f32_e32 v28, v28, v30
	v_add_f32_e32 v24, v24, v28
	v_add_f32_e32 v28, v29, v24
	v_sub_f32_e32 v29, v28, v29
	v_sub_f32_e32 v24, v24, v29
	v_add_f32_e32 v29, v25, v28
	v_sub_f32_e32 v30, v29, v25
	v_sub_f32_e32 v31, v29, v30
	;; [unrolled: 1-line block ×5, first 2 shown]
	v_add_f32_e32 v25, v28, v25
	v_add_f32_e32 v28, v27, v24
	v_sub_f32_e32 v30, v28, v27
	v_sub_f32_e32 v31, v28, v30
	;; [unrolled: 1-line block ×4, first 2 shown]
	v_add_f32_e32 v25, v28, v25
	v_add_f32_e32 v24, v24, v27
	;; [unrolled: 1-line block ×3, first 2 shown]
	v_sub_f32_e32 v28, v27, v29
	v_sub_f32_e32 v25, v25, v28
	v_add_f32_e32 v24, v24, v25
	v_add_f32_e32 v24, v27, v24
	v_cmp_neq_f32_e64 s[4:5], s18, v18
	v_cndmask_b32_e64 v24, v26, v24, s[4:5]
	s_mov_b32 s4, 0x33800000
	v_cmp_lt_f32_e64 s[4:5], |v18|, s4
	v_cndmask_b32_e64 v18, v24, v18, s[4:5]
	v_add_f32_e32 v18, v23, v18
	v_cvt_f16_f32_e32 v18, v18
	v_cvt_f32_f16_e32 v32, v18
.LBB420_286:
	s_or_b64 exec, exec, s[16:17]
	v_cvt_f32_f16_sdwa v23, v12 dst_sel:DWORD dst_unused:UNUSED_PAD src0_sel:WORD_1
	v_max_f32_e32 v25, v32, v32
	v_cmp_u_f16_e64 s[4:5], v18, v18
	v_cmp_u_f16_sdwa s[16:17], v12, v12 src0_sel:WORD_1 src1_sel:WORD_1
	v_min_f32_e32 v24, v25, v23
	v_max_f32_e32 v12, v25, v23
	v_cndmask_b32_e64 v24, v24, v32, s[4:5]
	v_cndmask_b32_e64 v12, v12, v32, s[4:5]
	;; [unrolled: 1-line block ×4, first 2 shown]
	s_movk_i32 s20, 0x1f8
	v_cmp_neq_f32_e64 s[4:5], v24, v12
	v_cmp_class_f32_e64 s[18:19], v24, s20
	s_or_b64 s[4:5], s[4:5], s[18:19]
	s_and_saveexec_b64 s[18:19], s[4:5]
	s_cbranch_execz .LBB420_288
; %bb.287:
	v_sub_f32_e32 v18, v24, v12
	s_mov_b32 s4, 0x3fb8aa3b
	v_mul_f32_e32 v24, 0x3fb8aa3b, v18
	v_fma_f32 v25, v18, s4, -v24
	v_rndne_f32_e32 v26, v24
	v_fmac_f32_e32 v25, 0x32a5705f, v18
	v_sub_f32_e32 v24, v24, v26
	v_add_f32_e32 v24, v24, v25
	v_exp_f32_e32 v24, v24
	v_cvt_i32_f32_e32 v25, v26
	s_mov_b32 s4, 0xc2ce8ed0
	v_cmp_ngt_f32_e64 s[4:5], s4, v18
	v_mov_b32_e32 v26, 0x7f800000
	v_ldexp_f32 v24, v24, v25
	v_cndmask_b32_e64 v24, 0, v24, s[4:5]
	s_mov_b32 s4, 0x42b17218
	v_cmp_nlt_f32_e64 s[4:5], s4, v18
	v_cndmask_b32_e64 v18, v26, v24, s[4:5]
	v_add_f32_e32 v27, 1.0, v18
	v_cvt_f64_f32_e32 v[24:25], v27
	v_add_f32_e32 v28, -1.0, v27
	v_sub_f32_e32 v29, v28, v27
	v_sub_f32_e32 v28, v18, v28
	v_frexp_exp_i32_f64_e32 v24, v[24:25]
	v_add_f32_e32 v25, 1.0, v29
	v_add_f32_e32 v25, v28, v25
	v_frexp_mant_f32_e32 v28, v27
	s_mov_b32 s4, 0x3f2aaaab
	v_cmp_gt_f32_e64 s[4:5], s4, v28
	s_mov_b32 s21, 0x7f800000
	v_subbrev_co_u32_e64 v24, s[4:5], 0, v24, s[4:5]
	v_sub_u32_e32 v28, 0, v24
	v_ldexp_f32 v27, v27, v28
	v_ldexp_f32 v25, v25, v28
	v_add_f32_e32 v28, -1.0, v27
	v_add_f32_e32 v31, 1.0, v27
	v_add_f32_e32 v29, 1.0, v28
	v_add_f32_e32 v32, -1.0, v31
	v_sub_f32_e32 v29, v27, v29
	v_sub_f32_e32 v27, v27, v32
	v_add_f32_e32 v29, v25, v29
	v_add_f32_e32 v25, v25, v27
	;; [unrolled: 1-line block ×3, first 2 shown]
	v_rcp_f32_e32 v32, v27
	v_add_f32_e32 v30, v28, v29
	v_sub_f32_e32 v28, v28, v30
	v_add_f32_e32 v28, v29, v28
	v_sub_f32_e32 v29, v31, v27
	v_add_f32_e32 v25, v25, v29
	v_mul_f32_e32 v29, v30, v32
	v_mul_f32_e32 v31, v27, v29
	v_fma_f32 v33, v29, v27, -v31
	v_fmac_f32_e32 v33, v29, v25
	v_add_f32_e32 v34, v31, v33
	v_sub_f32_e32 v35, v30, v34
	v_sub_f32_e32 v30, v30, v35
	;; [unrolled: 1-line block ×4, first 2 shown]
	v_add_f32_e32 v28, v28, v30
	v_sub_f32_e32 v30, v31, v33
	v_add_f32_e32 v28, v30, v28
	v_add_f32_e32 v30, v35, v28
	v_mul_f32_e32 v31, v32, v30
	v_mul_f32_e32 v33, v27, v31
	v_fma_f32 v27, v31, v27, -v33
	v_fmac_f32_e32 v27, v31, v25
	v_sub_f32_e32 v25, v35, v30
	v_add_f32_e32 v25, v28, v25
	v_add_f32_e32 v28, v33, v27
	v_sub_f32_e32 v34, v30, v28
	v_sub_f32_e32 v30, v30, v34
	;; [unrolled: 1-line block ×4, first 2 shown]
	v_add_f32_e32 v25, v25, v28
	v_sub_f32_e32 v27, v33, v27
	v_add_f32_e32 v25, v27, v25
	v_add_f32_e32 v27, v29, v31
	;; [unrolled: 1-line block ×3, first 2 shown]
	v_sub_f32_e32 v28, v27, v29
	v_mul_f32_e32 v25, v32, v25
	v_sub_f32_e32 v28, v31, v28
	v_add_f32_e32 v25, v28, v25
	v_cvt_f32_i32_e32 v24, v24
	v_add_f32_e32 v28, v27, v25
	v_mul_f32_e32 v29, v28, v28
	v_mov_b32_e32 v30, 0x3ecc95a3
	v_fmac_f32_e32 v30, 0x3e9b6dac, v29
	v_mov_b32_e32 v31, 0x3f2aaada
	v_fmac_f32_e32 v31, v29, v30
	s_mov_b32 s4, 0x3f317218
	v_mul_f32_e32 v30, 0x3f317218, v24
	v_fma_f32 v32, v24, s4, -v30
	v_fmac_f32_e32 v32, 0xb102e308, v24
	v_sub_f32_e32 v24, v28, v27
	v_sub_f32_e32 v24, v25, v24
	v_add_f32_e32 v25, v30, v32
	v_sub_f32_e32 v27, v25, v30
	v_ldexp_f32 v30, v28, 1
	v_mul_f32_e32 v28, v28, v29
	v_mul_f32_e32 v28, v28, v31
	v_add_f32_e32 v29, v30, v28
	v_sub_f32_e32 v30, v29, v30
	v_ldexp_f32 v24, v24, 1
	v_sub_f32_e32 v28, v28, v30
	v_add_f32_e32 v24, v24, v28
	v_add_f32_e32 v28, v29, v24
	v_sub_f32_e32 v29, v28, v29
	v_sub_f32_e32 v24, v24, v29
	v_add_f32_e32 v29, v25, v28
	v_sub_f32_e32 v30, v29, v25
	v_sub_f32_e32 v31, v29, v30
	;; [unrolled: 1-line block ×5, first 2 shown]
	v_add_f32_e32 v25, v28, v25
	v_add_f32_e32 v28, v27, v24
	v_sub_f32_e32 v30, v28, v27
	v_sub_f32_e32 v31, v28, v30
	;; [unrolled: 1-line block ×4, first 2 shown]
	v_add_f32_e32 v25, v28, v25
	v_add_f32_e32 v24, v24, v27
	;; [unrolled: 1-line block ×3, first 2 shown]
	v_sub_f32_e32 v28, v27, v29
	v_sub_f32_e32 v25, v25, v28
	v_add_f32_e32 v24, v24, v25
	v_add_f32_e32 v24, v27, v24
	v_cmp_neq_f32_e64 s[4:5], s21, v18
	v_cndmask_b32_e64 v24, v26, v24, s[4:5]
	s_mov_b32 s4, 0x33800000
	v_cmp_lt_f32_e64 s[4:5], |v18|, s4
	v_cndmask_b32_e64 v18, v24, v18, s[4:5]
	v_add_f32_e32 v12, v12, v18
	v_cvt_f16_f32_e32 v18, v12
	v_cvt_f32_f16_e32 v32, v18
.LBB420_288:
	s_or_b64 exec, exec, s[18:19]
	v_cvt_f32_f16_e32 v12, v5
	v_max_f32_e32 v24, v32, v32
	v_cmp_u_f16_e64 s[4:5], v18, v18
	v_cmp_u_f16_e64 s[18:19], v5, v5
	v_min_f32_e32 v25, v24, v12
	v_max_f32_e32 v24, v24, v12
	v_cndmask_b32_e64 v25, v25, v32, s[4:5]
	v_cndmask_b32_e64 v24, v24, v32, s[4:5]
	;; [unrolled: 1-line block ×4, first 2 shown]
	v_cmp_neq_f32_e64 s[4:5], v25, v24
	v_cmp_class_f32_e64 s[20:21], v25, s20
	s_or_b64 s[4:5], s[4:5], s[20:21]
	s_and_saveexec_b64 s[20:21], s[4:5]
	s_cbranch_execz .LBB420_290
; %bb.289:
	v_sub_f32_e32 v18, v25, v24
	s_mov_b32 s4, 0x3fb8aa3b
	v_mul_f32_e32 v25, 0x3fb8aa3b, v18
	v_fma_f32 v26, v18, s4, -v25
	v_rndne_f32_e32 v27, v25
	v_fmac_f32_e32 v26, 0x32a5705f, v18
	v_sub_f32_e32 v25, v25, v27
	v_add_f32_e32 v25, v25, v26
	v_exp_f32_e32 v25, v25
	v_cvt_i32_f32_e32 v26, v27
	s_mov_b32 s4, 0xc2ce8ed0
	v_cmp_ngt_f32_e64 s[4:5], s4, v18
	v_mov_b32_e32 v27, 0x7f800000
	v_ldexp_f32 v25, v25, v26
	v_cndmask_b32_e64 v25, 0, v25, s[4:5]
	s_mov_b32 s4, 0x42b17218
	v_cmp_nlt_f32_e64 s[4:5], s4, v18
	v_cndmask_b32_e64 v18, v27, v25, s[4:5]
	v_add_f32_e32 v28, 1.0, v18
	v_cvt_f64_f32_e32 v[25:26], v28
	v_add_f32_e32 v29, -1.0, v28
	v_sub_f32_e32 v30, v29, v28
	v_sub_f32_e32 v29, v18, v29
	v_frexp_exp_i32_f64_e32 v25, v[25:26]
	v_add_f32_e32 v26, 1.0, v30
	v_add_f32_e32 v26, v29, v26
	v_frexp_mant_f32_e32 v29, v28
	s_mov_b32 s4, 0x3f2aaaab
	v_cmp_gt_f32_e64 s[4:5], s4, v29
	s_mov_b32 s22, 0x7f800000
	v_subbrev_co_u32_e64 v25, s[4:5], 0, v25, s[4:5]
	v_sub_u32_e32 v29, 0, v25
	v_ldexp_f32 v28, v28, v29
	v_ldexp_f32 v26, v26, v29
	v_add_f32_e32 v29, -1.0, v28
	v_add_f32_e32 v32, 1.0, v28
	v_add_f32_e32 v30, 1.0, v29
	v_add_f32_e32 v33, -1.0, v32
	v_sub_f32_e32 v30, v28, v30
	v_sub_f32_e32 v28, v28, v33
	v_add_f32_e32 v30, v26, v30
	v_add_f32_e32 v26, v26, v28
	;; [unrolled: 1-line block ×3, first 2 shown]
	v_rcp_f32_e32 v33, v28
	v_add_f32_e32 v31, v29, v30
	v_sub_f32_e32 v29, v29, v31
	v_add_f32_e32 v29, v30, v29
	v_sub_f32_e32 v30, v32, v28
	v_add_f32_e32 v26, v26, v30
	v_mul_f32_e32 v30, v31, v33
	v_mul_f32_e32 v32, v28, v30
	v_fma_f32 v34, v30, v28, -v32
	v_fmac_f32_e32 v34, v30, v26
	v_add_f32_e32 v35, v32, v34
	v_sub_f32_e32 v36, v31, v35
	v_sub_f32_e32 v31, v31, v36
	;; [unrolled: 1-line block ×4, first 2 shown]
	v_add_f32_e32 v29, v29, v31
	v_sub_f32_e32 v31, v32, v34
	v_add_f32_e32 v29, v31, v29
	v_add_f32_e32 v31, v36, v29
	v_mul_f32_e32 v32, v33, v31
	v_mul_f32_e32 v34, v28, v32
	v_fma_f32 v28, v32, v28, -v34
	v_fmac_f32_e32 v28, v32, v26
	v_sub_f32_e32 v26, v36, v31
	v_add_f32_e32 v26, v29, v26
	v_add_f32_e32 v29, v34, v28
	v_sub_f32_e32 v35, v31, v29
	v_sub_f32_e32 v31, v31, v35
	;; [unrolled: 1-line block ×4, first 2 shown]
	v_add_f32_e32 v26, v26, v29
	v_sub_f32_e32 v28, v34, v28
	v_add_f32_e32 v26, v28, v26
	v_add_f32_e32 v28, v30, v32
	;; [unrolled: 1-line block ×3, first 2 shown]
	v_sub_f32_e32 v29, v28, v30
	v_mul_f32_e32 v26, v33, v26
	v_sub_f32_e32 v29, v32, v29
	v_add_f32_e32 v26, v29, v26
	v_cvt_f32_i32_e32 v25, v25
	v_add_f32_e32 v29, v28, v26
	v_mul_f32_e32 v30, v29, v29
	v_mov_b32_e32 v31, 0x3ecc95a3
	v_fmac_f32_e32 v31, 0x3e9b6dac, v30
	v_mov_b32_e32 v32, 0x3f2aaada
	v_fmac_f32_e32 v32, v30, v31
	s_mov_b32 s4, 0x3f317218
	v_mul_f32_e32 v31, 0x3f317218, v25
	v_fma_f32 v33, v25, s4, -v31
	v_fmac_f32_e32 v33, 0xb102e308, v25
	v_sub_f32_e32 v25, v29, v28
	v_sub_f32_e32 v25, v26, v25
	v_add_f32_e32 v26, v31, v33
	v_sub_f32_e32 v28, v26, v31
	v_ldexp_f32 v31, v29, 1
	v_mul_f32_e32 v29, v29, v30
	v_mul_f32_e32 v29, v29, v32
	v_add_f32_e32 v30, v31, v29
	v_sub_f32_e32 v31, v30, v31
	v_ldexp_f32 v25, v25, 1
	v_sub_f32_e32 v29, v29, v31
	v_add_f32_e32 v25, v25, v29
	v_add_f32_e32 v29, v30, v25
	v_sub_f32_e32 v30, v29, v30
	v_sub_f32_e32 v25, v25, v30
	v_add_f32_e32 v30, v26, v29
	v_sub_f32_e32 v31, v30, v26
	v_sub_f32_e32 v32, v30, v31
	;; [unrolled: 1-line block ×5, first 2 shown]
	v_add_f32_e32 v26, v29, v26
	v_add_f32_e32 v29, v28, v25
	v_sub_f32_e32 v31, v29, v28
	v_sub_f32_e32 v32, v29, v31
	;; [unrolled: 1-line block ×4, first 2 shown]
	v_add_f32_e32 v26, v29, v26
	v_add_f32_e32 v25, v25, v28
	v_add_f32_e32 v28, v30, v26
	v_sub_f32_e32 v29, v28, v30
	v_sub_f32_e32 v26, v26, v29
	v_add_f32_e32 v25, v25, v26
	v_add_f32_e32 v25, v28, v25
	v_cmp_neq_f32_e64 s[4:5], s22, v18
	v_cndmask_b32_e64 v25, v27, v25, s[4:5]
	s_mov_b32 s4, 0x33800000
	v_cmp_lt_f32_e64 s[4:5], |v18|, s4
	v_cndmask_b32_e64 v18, v25, v18, s[4:5]
	v_add_f32_e32 v18, v24, v18
	v_cvt_f16_f32_e32 v18, v18
	v_cvt_f32_f16_e32 v32, v18
.LBB420_290:
	s_or_b64 exec, exec, s[20:21]
	v_cvt_f32_f16_sdwa v24, v5 dst_sel:DWORD dst_unused:UNUSED_PAD src0_sel:WORD_1
	v_max_f32_e32 v26, v32, v32
	v_cmp_u_f16_e64 s[4:5], v18, v18
	v_cmp_u_f16_sdwa s[20:21], v5, v5 src0_sel:WORD_1 src1_sel:WORD_1
	v_min_f32_e32 v25, v26, v24
	v_max_f32_e32 v5, v26, v24
	v_cndmask_b32_e64 v25, v25, v32, s[4:5]
	v_cndmask_b32_e64 v5, v5, v32, s[4:5]
	;; [unrolled: 1-line block ×4, first 2 shown]
	s_movk_i32 s24, 0x1f8
	v_cmp_neq_f32_e64 s[4:5], v25, v5
	v_cmp_class_f32_e64 s[22:23], v25, s24
	s_or_b64 s[4:5], s[4:5], s[22:23]
	s_and_saveexec_b64 s[22:23], s[4:5]
	s_cbranch_execz .LBB420_292
; %bb.291:
	v_sub_f32_e32 v18, v25, v5
	s_mov_b32 s4, 0x3fb8aa3b
	v_mul_f32_e32 v25, 0x3fb8aa3b, v18
	v_fma_f32 v26, v18, s4, -v25
	v_rndne_f32_e32 v27, v25
	v_fmac_f32_e32 v26, 0x32a5705f, v18
	v_sub_f32_e32 v25, v25, v27
	v_add_f32_e32 v25, v25, v26
	v_exp_f32_e32 v25, v25
	v_cvt_i32_f32_e32 v26, v27
	s_mov_b32 s4, 0xc2ce8ed0
	v_cmp_ngt_f32_e64 s[4:5], s4, v18
	v_mov_b32_e32 v27, 0x7f800000
	v_ldexp_f32 v25, v25, v26
	v_cndmask_b32_e64 v25, 0, v25, s[4:5]
	s_mov_b32 s4, 0x42b17218
	v_cmp_nlt_f32_e64 s[4:5], s4, v18
	v_cndmask_b32_e64 v18, v27, v25, s[4:5]
	v_add_f32_e32 v28, 1.0, v18
	v_cvt_f64_f32_e32 v[25:26], v28
	v_add_f32_e32 v29, -1.0, v28
	v_sub_f32_e32 v30, v29, v28
	v_sub_f32_e32 v29, v18, v29
	v_frexp_exp_i32_f64_e32 v25, v[25:26]
	v_add_f32_e32 v26, 1.0, v30
	v_add_f32_e32 v26, v29, v26
	v_frexp_mant_f32_e32 v29, v28
	s_mov_b32 s4, 0x3f2aaaab
	v_cmp_gt_f32_e64 s[4:5], s4, v29
	s_mov_b32 s25, 0x7f800000
	v_subbrev_co_u32_e64 v25, s[4:5], 0, v25, s[4:5]
	v_sub_u32_e32 v29, 0, v25
	v_ldexp_f32 v28, v28, v29
	v_ldexp_f32 v26, v26, v29
	v_add_f32_e32 v29, -1.0, v28
	v_add_f32_e32 v32, 1.0, v28
	v_add_f32_e32 v30, 1.0, v29
	v_add_f32_e32 v33, -1.0, v32
	v_sub_f32_e32 v30, v28, v30
	v_sub_f32_e32 v28, v28, v33
	v_add_f32_e32 v30, v26, v30
	v_add_f32_e32 v26, v26, v28
	;; [unrolled: 1-line block ×3, first 2 shown]
	v_rcp_f32_e32 v33, v28
	v_add_f32_e32 v31, v29, v30
	v_sub_f32_e32 v29, v29, v31
	v_add_f32_e32 v29, v30, v29
	v_sub_f32_e32 v30, v32, v28
	v_add_f32_e32 v26, v26, v30
	v_mul_f32_e32 v30, v31, v33
	v_mul_f32_e32 v32, v28, v30
	v_fma_f32 v34, v30, v28, -v32
	v_fmac_f32_e32 v34, v30, v26
	v_add_f32_e32 v35, v32, v34
	v_sub_f32_e32 v36, v31, v35
	v_sub_f32_e32 v31, v31, v36
	;; [unrolled: 1-line block ×4, first 2 shown]
	v_add_f32_e32 v29, v29, v31
	v_sub_f32_e32 v31, v32, v34
	v_add_f32_e32 v29, v31, v29
	v_add_f32_e32 v31, v36, v29
	v_mul_f32_e32 v32, v33, v31
	v_mul_f32_e32 v34, v28, v32
	v_fma_f32 v28, v32, v28, -v34
	v_fmac_f32_e32 v28, v32, v26
	v_sub_f32_e32 v26, v36, v31
	v_add_f32_e32 v26, v29, v26
	v_add_f32_e32 v29, v34, v28
	v_sub_f32_e32 v35, v31, v29
	v_sub_f32_e32 v31, v31, v35
	;; [unrolled: 1-line block ×4, first 2 shown]
	v_add_f32_e32 v26, v26, v29
	v_sub_f32_e32 v28, v34, v28
	v_add_f32_e32 v26, v28, v26
	v_add_f32_e32 v28, v30, v32
	v_add_f32_e32 v26, v35, v26
	v_sub_f32_e32 v29, v28, v30
	v_mul_f32_e32 v26, v33, v26
	v_sub_f32_e32 v29, v32, v29
	v_add_f32_e32 v26, v29, v26
	v_cvt_f32_i32_e32 v25, v25
	v_add_f32_e32 v29, v28, v26
	v_mul_f32_e32 v30, v29, v29
	v_mov_b32_e32 v31, 0x3ecc95a3
	v_fmac_f32_e32 v31, 0x3e9b6dac, v30
	v_mov_b32_e32 v32, 0x3f2aaada
	v_fmac_f32_e32 v32, v30, v31
	s_mov_b32 s4, 0x3f317218
	v_mul_f32_e32 v31, 0x3f317218, v25
	v_fma_f32 v33, v25, s4, -v31
	v_fmac_f32_e32 v33, 0xb102e308, v25
	v_sub_f32_e32 v25, v29, v28
	v_sub_f32_e32 v25, v26, v25
	v_add_f32_e32 v26, v31, v33
	v_sub_f32_e32 v28, v26, v31
	v_ldexp_f32 v31, v29, 1
	v_mul_f32_e32 v29, v29, v30
	v_mul_f32_e32 v29, v29, v32
	v_add_f32_e32 v30, v31, v29
	v_sub_f32_e32 v31, v30, v31
	v_ldexp_f32 v25, v25, 1
	v_sub_f32_e32 v29, v29, v31
	v_add_f32_e32 v25, v25, v29
	v_add_f32_e32 v29, v30, v25
	v_sub_f32_e32 v30, v29, v30
	v_sub_f32_e32 v25, v25, v30
	v_add_f32_e32 v30, v26, v29
	v_sub_f32_e32 v31, v30, v26
	v_sub_f32_e32 v32, v30, v31
	;; [unrolled: 1-line block ×5, first 2 shown]
	v_add_f32_e32 v26, v29, v26
	v_add_f32_e32 v29, v28, v25
	v_sub_f32_e32 v31, v29, v28
	v_sub_f32_e32 v32, v29, v31
	;; [unrolled: 1-line block ×4, first 2 shown]
	v_add_f32_e32 v26, v29, v26
	v_add_f32_e32 v25, v25, v28
	;; [unrolled: 1-line block ×3, first 2 shown]
	v_sub_f32_e32 v29, v28, v30
	v_sub_f32_e32 v26, v26, v29
	v_add_f32_e32 v25, v25, v26
	v_add_f32_e32 v25, v28, v25
	v_cmp_neq_f32_e64 s[4:5], s25, v18
	v_cndmask_b32_e64 v25, v27, v25, s[4:5]
	s_mov_b32 s4, 0x33800000
	v_cmp_lt_f32_e64 s[4:5], |v18|, s4
	v_cndmask_b32_e64 v18, v25, v18, s[4:5]
	v_add_f32_e32 v5, v5, v18
	v_cvt_f16_f32_e32 v18, v5
	v_cvt_f32_f16_e32 v32, v18
.LBB420_292:
	s_or_b64 exec, exec, s[22:23]
	v_cvt_f32_f16_e32 v5, v6
	v_max_f32_e32 v25, v32, v32
	v_cmp_u_f16_e64 s[4:5], v18, v18
	v_cmp_u_f16_e64 s[22:23], v6, v6
	v_min_f32_e32 v26, v25, v5
	v_max_f32_e32 v25, v25, v5
	v_cndmask_b32_e64 v26, v26, v32, s[4:5]
	v_cndmask_b32_e64 v25, v25, v32, s[4:5]
	;; [unrolled: 1-line block ×4, first 2 shown]
	v_cmp_neq_f32_e64 s[4:5], v26, v25
	v_cmp_class_f32_e64 s[24:25], v26, s24
	s_or_b64 s[4:5], s[4:5], s[24:25]
	s_and_saveexec_b64 s[24:25], s[4:5]
	s_cbranch_execz .LBB420_294
; %bb.293:
	v_sub_f32_e32 v18, v26, v25
	s_mov_b32 s4, 0x3fb8aa3b
	v_mul_f32_e32 v26, 0x3fb8aa3b, v18
	v_fma_f32 v27, v18, s4, -v26
	v_rndne_f32_e32 v28, v26
	v_fmac_f32_e32 v27, 0x32a5705f, v18
	v_sub_f32_e32 v26, v26, v28
	v_add_f32_e32 v26, v26, v27
	v_exp_f32_e32 v26, v26
	v_cvt_i32_f32_e32 v27, v28
	s_mov_b32 s4, 0xc2ce8ed0
	v_cmp_ngt_f32_e64 s[4:5], s4, v18
	v_mov_b32_e32 v28, 0x7f800000
	v_ldexp_f32 v26, v26, v27
	v_cndmask_b32_e64 v26, 0, v26, s[4:5]
	s_mov_b32 s4, 0x42b17218
	v_cmp_nlt_f32_e64 s[4:5], s4, v18
	v_cndmask_b32_e64 v18, v28, v26, s[4:5]
	v_add_f32_e32 v29, 1.0, v18
	v_cvt_f64_f32_e32 v[26:27], v29
	v_add_f32_e32 v30, -1.0, v29
	v_sub_f32_e32 v31, v30, v29
	v_sub_f32_e32 v30, v18, v30
	v_frexp_exp_i32_f64_e32 v26, v[26:27]
	v_add_f32_e32 v27, 1.0, v31
	v_add_f32_e32 v27, v30, v27
	v_frexp_mant_f32_e32 v30, v29
	s_mov_b32 s4, 0x3f2aaaab
	v_cmp_gt_f32_e64 s[4:5], s4, v30
	s_mov_b32 s26, 0x7f800000
	v_subbrev_co_u32_e64 v26, s[4:5], 0, v26, s[4:5]
	v_sub_u32_e32 v30, 0, v26
	v_ldexp_f32 v29, v29, v30
	v_ldexp_f32 v27, v27, v30
	v_add_f32_e32 v30, -1.0, v29
	v_add_f32_e32 v33, 1.0, v29
	v_add_f32_e32 v31, 1.0, v30
	v_add_f32_e32 v34, -1.0, v33
	v_sub_f32_e32 v31, v29, v31
	v_sub_f32_e32 v29, v29, v34
	v_add_f32_e32 v31, v27, v31
	v_add_f32_e32 v27, v27, v29
	;; [unrolled: 1-line block ×3, first 2 shown]
	v_rcp_f32_e32 v34, v29
	v_add_f32_e32 v32, v30, v31
	v_sub_f32_e32 v30, v30, v32
	v_add_f32_e32 v30, v31, v30
	v_sub_f32_e32 v31, v33, v29
	v_add_f32_e32 v27, v27, v31
	v_mul_f32_e32 v31, v32, v34
	v_mul_f32_e32 v33, v29, v31
	v_fma_f32 v35, v31, v29, -v33
	v_fmac_f32_e32 v35, v31, v27
	v_add_f32_e32 v36, v33, v35
	v_sub_f32_e32 v37, v32, v36
	v_sub_f32_e32 v32, v32, v37
	;; [unrolled: 1-line block ×4, first 2 shown]
	v_add_f32_e32 v30, v30, v32
	v_sub_f32_e32 v32, v33, v35
	v_add_f32_e32 v30, v32, v30
	v_add_f32_e32 v32, v37, v30
	v_mul_f32_e32 v33, v34, v32
	v_mul_f32_e32 v35, v29, v33
	v_fma_f32 v29, v33, v29, -v35
	v_fmac_f32_e32 v29, v33, v27
	v_sub_f32_e32 v27, v37, v32
	v_add_f32_e32 v27, v30, v27
	v_add_f32_e32 v30, v35, v29
	v_sub_f32_e32 v36, v32, v30
	v_sub_f32_e32 v32, v32, v36
	;; [unrolled: 1-line block ×4, first 2 shown]
	v_add_f32_e32 v27, v27, v30
	v_sub_f32_e32 v29, v35, v29
	v_add_f32_e32 v27, v29, v27
	v_add_f32_e32 v29, v31, v33
	;; [unrolled: 1-line block ×3, first 2 shown]
	v_sub_f32_e32 v30, v29, v31
	v_mul_f32_e32 v27, v34, v27
	v_sub_f32_e32 v30, v33, v30
	v_add_f32_e32 v27, v30, v27
	v_cvt_f32_i32_e32 v26, v26
	v_add_f32_e32 v30, v29, v27
	v_mul_f32_e32 v31, v30, v30
	v_mov_b32_e32 v32, 0x3ecc95a3
	v_fmac_f32_e32 v32, 0x3e9b6dac, v31
	v_mov_b32_e32 v33, 0x3f2aaada
	v_fmac_f32_e32 v33, v31, v32
	s_mov_b32 s4, 0x3f317218
	v_mul_f32_e32 v32, 0x3f317218, v26
	v_fma_f32 v34, v26, s4, -v32
	v_fmac_f32_e32 v34, 0xb102e308, v26
	v_sub_f32_e32 v26, v30, v29
	v_sub_f32_e32 v26, v27, v26
	v_add_f32_e32 v27, v32, v34
	v_sub_f32_e32 v29, v27, v32
	v_ldexp_f32 v32, v30, 1
	v_mul_f32_e32 v30, v30, v31
	v_mul_f32_e32 v30, v30, v33
	v_add_f32_e32 v31, v32, v30
	v_sub_f32_e32 v32, v31, v32
	v_ldexp_f32 v26, v26, 1
	v_sub_f32_e32 v30, v30, v32
	v_add_f32_e32 v26, v26, v30
	v_add_f32_e32 v30, v31, v26
	v_sub_f32_e32 v31, v30, v31
	v_sub_f32_e32 v26, v26, v31
	v_add_f32_e32 v31, v27, v30
	v_sub_f32_e32 v32, v31, v27
	v_sub_f32_e32 v33, v31, v32
	;; [unrolled: 1-line block ×5, first 2 shown]
	v_add_f32_e32 v27, v30, v27
	v_add_f32_e32 v30, v29, v26
	v_sub_f32_e32 v32, v30, v29
	v_sub_f32_e32 v33, v30, v32
	;; [unrolled: 1-line block ×4, first 2 shown]
	v_add_f32_e32 v27, v30, v27
	v_add_f32_e32 v26, v26, v29
	v_add_f32_e32 v29, v31, v27
	v_sub_f32_e32 v30, v29, v31
	v_sub_f32_e32 v27, v27, v30
	v_add_f32_e32 v26, v26, v27
	v_add_f32_e32 v26, v29, v26
	v_cmp_neq_f32_e64 s[4:5], s26, v18
	v_cndmask_b32_e64 v26, v28, v26, s[4:5]
	s_mov_b32 s4, 0x33800000
	v_cmp_lt_f32_e64 s[4:5], |v18|, s4
	v_cndmask_b32_e64 v18, v26, v18, s[4:5]
	v_add_f32_e32 v18, v25, v18
	v_cvt_f16_f32_e32 v18, v18
	v_cvt_f32_f16_e32 v32, v18
.LBB420_294:
	s_or_b64 exec, exec, s[24:25]
	v_cvt_f32_f16_sdwa v25, v6 dst_sel:DWORD dst_unused:UNUSED_PAD src0_sel:WORD_1
	v_max_f32_e32 v27, v32, v32
	v_cmp_u_f16_e64 s[4:5], v18, v18
	v_cmp_u_f16_sdwa s[24:25], v6, v6 src0_sel:WORD_1 src1_sel:WORD_1
	v_min_f32_e32 v26, v27, v25
	v_max_f32_e32 v6, v27, v25
	v_cndmask_b32_e64 v26, v26, v32, s[4:5]
	v_cndmask_b32_e64 v6, v6, v32, s[4:5]
	;; [unrolled: 1-line block ×4, first 2 shown]
	s_movk_i32 s28, 0x1f8
	v_cmp_neq_f32_e64 s[4:5], v26, v6
	v_cmp_class_f32_e64 s[26:27], v26, s28
	s_or_b64 s[4:5], s[4:5], s[26:27]
	s_and_saveexec_b64 s[26:27], s[4:5]
	s_cbranch_execz .LBB420_296
; %bb.295:
	v_sub_f32_e32 v18, v26, v6
	s_mov_b32 s4, 0x3fb8aa3b
	v_mul_f32_e32 v26, 0x3fb8aa3b, v18
	v_fma_f32 v27, v18, s4, -v26
	v_rndne_f32_e32 v28, v26
	v_fmac_f32_e32 v27, 0x32a5705f, v18
	v_sub_f32_e32 v26, v26, v28
	v_add_f32_e32 v26, v26, v27
	v_exp_f32_e32 v26, v26
	v_cvt_i32_f32_e32 v27, v28
	s_mov_b32 s4, 0xc2ce8ed0
	v_cmp_ngt_f32_e64 s[4:5], s4, v18
	v_mov_b32_e32 v28, 0x7f800000
	v_ldexp_f32 v26, v26, v27
	v_cndmask_b32_e64 v26, 0, v26, s[4:5]
	s_mov_b32 s4, 0x42b17218
	v_cmp_nlt_f32_e64 s[4:5], s4, v18
	v_cndmask_b32_e64 v18, v28, v26, s[4:5]
	v_add_f32_e32 v29, 1.0, v18
	v_cvt_f64_f32_e32 v[26:27], v29
	v_add_f32_e32 v30, -1.0, v29
	v_sub_f32_e32 v31, v30, v29
	v_sub_f32_e32 v30, v18, v30
	v_frexp_exp_i32_f64_e32 v26, v[26:27]
	v_add_f32_e32 v27, 1.0, v31
	v_add_f32_e32 v27, v30, v27
	v_frexp_mant_f32_e32 v30, v29
	s_mov_b32 s4, 0x3f2aaaab
	v_cmp_gt_f32_e64 s[4:5], s4, v30
	s_mov_b32 s29, 0x7f800000
	v_subbrev_co_u32_e64 v26, s[4:5], 0, v26, s[4:5]
	v_sub_u32_e32 v30, 0, v26
	v_ldexp_f32 v29, v29, v30
	v_ldexp_f32 v27, v27, v30
	v_add_f32_e32 v30, -1.0, v29
	v_add_f32_e32 v33, 1.0, v29
	v_add_f32_e32 v31, 1.0, v30
	v_add_f32_e32 v34, -1.0, v33
	v_sub_f32_e32 v31, v29, v31
	v_sub_f32_e32 v29, v29, v34
	v_add_f32_e32 v31, v27, v31
	v_add_f32_e32 v27, v27, v29
	;; [unrolled: 1-line block ×3, first 2 shown]
	v_rcp_f32_e32 v34, v29
	v_add_f32_e32 v32, v30, v31
	v_sub_f32_e32 v30, v30, v32
	v_add_f32_e32 v30, v31, v30
	v_sub_f32_e32 v31, v33, v29
	v_add_f32_e32 v27, v27, v31
	v_mul_f32_e32 v31, v32, v34
	v_mul_f32_e32 v33, v29, v31
	v_fma_f32 v35, v31, v29, -v33
	v_fmac_f32_e32 v35, v31, v27
	v_add_f32_e32 v36, v33, v35
	v_sub_f32_e32 v37, v32, v36
	v_sub_f32_e32 v32, v32, v37
	;; [unrolled: 1-line block ×4, first 2 shown]
	v_add_f32_e32 v30, v30, v32
	v_sub_f32_e32 v32, v33, v35
	v_add_f32_e32 v30, v32, v30
	v_add_f32_e32 v32, v37, v30
	v_mul_f32_e32 v33, v34, v32
	v_mul_f32_e32 v35, v29, v33
	v_fma_f32 v29, v33, v29, -v35
	v_fmac_f32_e32 v29, v33, v27
	v_sub_f32_e32 v27, v37, v32
	v_add_f32_e32 v27, v30, v27
	v_add_f32_e32 v30, v35, v29
	v_sub_f32_e32 v36, v32, v30
	v_sub_f32_e32 v32, v32, v36
	;; [unrolled: 1-line block ×4, first 2 shown]
	v_add_f32_e32 v27, v27, v30
	v_sub_f32_e32 v29, v35, v29
	v_add_f32_e32 v27, v29, v27
	v_add_f32_e32 v29, v31, v33
	;; [unrolled: 1-line block ×3, first 2 shown]
	v_sub_f32_e32 v30, v29, v31
	v_mul_f32_e32 v27, v34, v27
	v_sub_f32_e32 v30, v33, v30
	v_add_f32_e32 v27, v30, v27
	v_cvt_f32_i32_e32 v26, v26
	v_add_f32_e32 v30, v29, v27
	v_mul_f32_e32 v31, v30, v30
	v_mov_b32_e32 v32, 0x3ecc95a3
	v_fmac_f32_e32 v32, 0x3e9b6dac, v31
	v_mov_b32_e32 v33, 0x3f2aaada
	v_fmac_f32_e32 v33, v31, v32
	s_mov_b32 s4, 0x3f317218
	v_mul_f32_e32 v32, 0x3f317218, v26
	v_fma_f32 v34, v26, s4, -v32
	v_fmac_f32_e32 v34, 0xb102e308, v26
	v_sub_f32_e32 v26, v30, v29
	v_sub_f32_e32 v26, v27, v26
	v_add_f32_e32 v27, v32, v34
	v_sub_f32_e32 v29, v27, v32
	v_ldexp_f32 v32, v30, 1
	v_mul_f32_e32 v30, v30, v31
	v_mul_f32_e32 v30, v30, v33
	v_add_f32_e32 v31, v32, v30
	v_sub_f32_e32 v32, v31, v32
	v_ldexp_f32 v26, v26, 1
	v_sub_f32_e32 v30, v30, v32
	v_add_f32_e32 v26, v26, v30
	v_add_f32_e32 v30, v31, v26
	v_sub_f32_e32 v31, v30, v31
	v_sub_f32_e32 v26, v26, v31
	v_add_f32_e32 v31, v27, v30
	v_sub_f32_e32 v32, v31, v27
	v_sub_f32_e32 v33, v31, v32
	;; [unrolled: 1-line block ×5, first 2 shown]
	v_add_f32_e32 v27, v30, v27
	v_add_f32_e32 v30, v29, v26
	v_sub_f32_e32 v32, v30, v29
	v_sub_f32_e32 v33, v30, v32
	;; [unrolled: 1-line block ×4, first 2 shown]
	v_add_f32_e32 v27, v30, v27
	v_add_f32_e32 v26, v26, v29
	;; [unrolled: 1-line block ×3, first 2 shown]
	v_sub_f32_e32 v30, v29, v31
	v_sub_f32_e32 v27, v27, v30
	v_add_f32_e32 v26, v26, v27
	v_add_f32_e32 v26, v29, v26
	v_cmp_neq_f32_e64 s[4:5], s29, v18
	v_cndmask_b32_e64 v26, v28, v26, s[4:5]
	s_mov_b32 s4, 0x33800000
	v_cmp_lt_f32_e64 s[4:5], |v18|, s4
	v_cndmask_b32_e64 v18, v26, v18, s[4:5]
	v_add_f32_e32 v6, v6, v18
	v_cvt_f16_f32_e32 v18, v6
	v_cvt_f32_f16_e32 v32, v18
.LBB420_296:
	s_or_b64 exec, exec, s[26:27]
	v_cvt_f32_f16_e32 v6, v7
	v_max_f32_e32 v26, v32, v32
	v_cmp_u_f16_e64 s[4:5], v18, v18
	v_cmp_u_f16_e64 s[26:27], v7, v7
	v_min_f32_e32 v27, v26, v6
	v_max_f32_e32 v26, v26, v6
	v_cndmask_b32_e64 v27, v27, v32, s[4:5]
	v_cndmask_b32_e64 v26, v26, v32, s[4:5]
	;; [unrolled: 1-line block ×4, first 2 shown]
	v_cmp_neq_f32_e64 s[4:5], v27, v26
	v_cmp_class_f32_e64 s[28:29], v27, s28
	s_or_b64 s[4:5], s[4:5], s[28:29]
	s_and_saveexec_b64 s[28:29], s[4:5]
	s_cbranch_execz .LBB420_298
; %bb.297:
	v_sub_f32_e32 v18, v27, v26
	s_mov_b32 s4, 0x3fb8aa3b
	v_mul_f32_e32 v27, 0x3fb8aa3b, v18
	v_fma_f32 v28, v18, s4, -v27
	v_rndne_f32_e32 v29, v27
	v_fmac_f32_e32 v28, 0x32a5705f, v18
	v_sub_f32_e32 v27, v27, v29
	v_add_f32_e32 v27, v27, v28
	v_exp_f32_e32 v27, v27
	v_cvt_i32_f32_e32 v28, v29
	s_mov_b32 s4, 0xc2ce8ed0
	v_cmp_ngt_f32_e64 s[4:5], s4, v18
	v_mov_b32_e32 v29, 0x7f800000
	v_ldexp_f32 v27, v27, v28
	v_cndmask_b32_e64 v27, 0, v27, s[4:5]
	s_mov_b32 s4, 0x42b17218
	v_cmp_nlt_f32_e64 s[4:5], s4, v18
	v_cndmask_b32_e64 v18, v29, v27, s[4:5]
	v_add_f32_e32 v30, 1.0, v18
	v_cvt_f64_f32_e32 v[27:28], v30
	v_add_f32_e32 v31, -1.0, v30
	v_sub_f32_e32 v32, v31, v30
	v_sub_f32_e32 v31, v18, v31
	v_frexp_exp_i32_f64_e32 v27, v[27:28]
	v_add_f32_e32 v28, 1.0, v32
	v_add_f32_e32 v28, v31, v28
	v_frexp_mant_f32_e32 v31, v30
	s_mov_b32 s4, 0x3f2aaaab
	v_cmp_gt_f32_e64 s[4:5], s4, v31
	s_mov_b32 s30, 0x7f800000
	v_subbrev_co_u32_e64 v27, s[4:5], 0, v27, s[4:5]
	v_sub_u32_e32 v31, 0, v27
	v_ldexp_f32 v30, v30, v31
	v_ldexp_f32 v28, v28, v31
	v_add_f32_e32 v31, -1.0, v30
	v_add_f32_e32 v34, 1.0, v30
	v_add_f32_e32 v32, 1.0, v31
	v_add_f32_e32 v35, -1.0, v34
	v_sub_f32_e32 v32, v30, v32
	v_sub_f32_e32 v30, v30, v35
	v_add_f32_e32 v32, v28, v32
	v_add_f32_e32 v28, v28, v30
	;; [unrolled: 1-line block ×3, first 2 shown]
	v_rcp_f32_e32 v35, v30
	v_add_f32_e32 v33, v31, v32
	v_sub_f32_e32 v31, v31, v33
	v_add_f32_e32 v31, v32, v31
	v_sub_f32_e32 v32, v34, v30
	v_add_f32_e32 v28, v28, v32
	v_mul_f32_e32 v32, v33, v35
	v_mul_f32_e32 v34, v30, v32
	v_fma_f32 v36, v32, v30, -v34
	v_fmac_f32_e32 v36, v32, v28
	v_add_f32_e32 v37, v34, v36
	v_sub_f32_e32 v38, v33, v37
	v_sub_f32_e32 v33, v33, v38
	;; [unrolled: 1-line block ×4, first 2 shown]
	v_add_f32_e32 v31, v31, v33
	v_sub_f32_e32 v33, v34, v36
	v_add_f32_e32 v31, v33, v31
	v_add_f32_e32 v33, v38, v31
	v_mul_f32_e32 v34, v35, v33
	v_mul_f32_e32 v36, v30, v34
	v_fma_f32 v30, v34, v30, -v36
	v_fmac_f32_e32 v30, v34, v28
	v_sub_f32_e32 v28, v38, v33
	v_add_f32_e32 v28, v31, v28
	v_add_f32_e32 v31, v36, v30
	v_sub_f32_e32 v37, v33, v31
	v_sub_f32_e32 v33, v33, v37
	;; [unrolled: 1-line block ×4, first 2 shown]
	v_add_f32_e32 v28, v28, v31
	v_sub_f32_e32 v30, v36, v30
	v_add_f32_e32 v28, v30, v28
	v_add_f32_e32 v30, v32, v34
	;; [unrolled: 1-line block ×3, first 2 shown]
	v_sub_f32_e32 v31, v30, v32
	v_mul_f32_e32 v28, v35, v28
	v_sub_f32_e32 v31, v34, v31
	v_add_f32_e32 v28, v31, v28
	v_cvt_f32_i32_e32 v27, v27
	v_add_f32_e32 v31, v30, v28
	v_mul_f32_e32 v32, v31, v31
	v_mov_b32_e32 v33, 0x3ecc95a3
	v_fmac_f32_e32 v33, 0x3e9b6dac, v32
	v_mov_b32_e32 v34, 0x3f2aaada
	v_fmac_f32_e32 v34, v32, v33
	s_mov_b32 s4, 0x3f317218
	v_mul_f32_e32 v33, 0x3f317218, v27
	v_fma_f32 v35, v27, s4, -v33
	v_fmac_f32_e32 v35, 0xb102e308, v27
	v_sub_f32_e32 v27, v31, v30
	v_sub_f32_e32 v27, v28, v27
	v_add_f32_e32 v28, v33, v35
	v_sub_f32_e32 v30, v28, v33
	v_ldexp_f32 v33, v31, 1
	v_mul_f32_e32 v31, v31, v32
	v_mul_f32_e32 v31, v31, v34
	v_add_f32_e32 v32, v33, v31
	v_sub_f32_e32 v33, v32, v33
	v_ldexp_f32 v27, v27, 1
	v_sub_f32_e32 v31, v31, v33
	v_add_f32_e32 v27, v27, v31
	v_add_f32_e32 v31, v32, v27
	v_sub_f32_e32 v32, v31, v32
	v_sub_f32_e32 v27, v27, v32
	v_add_f32_e32 v32, v28, v31
	v_sub_f32_e32 v33, v32, v28
	v_sub_f32_e32 v34, v32, v33
	;; [unrolled: 1-line block ×5, first 2 shown]
	v_add_f32_e32 v28, v31, v28
	v_add_f32_e32 v31, v30, v27
	v_sub_f32_e32 v33, v31, v30
	v_sub_f32_e32 v34, v31, v33
	;; [unrolled: 1-line block ×4, first 2 shown]
	v_add_f32_e32 v28, v31, v28
	v_add_f32_e32 v27, v27, v30
	;; [unrolled: 1-line block ×3, first 2 shown]
	v_sub_f32_e32 v31, v30, v32
	v_sub_f32_e32 v28, v28, v31
	v_add_f32_e32 v27, v27, v28
	v_add_f32_e32 v27, v30, v27
	v_cmp_neq_f32_e64 s[4:5], s30, v18
	v_cndmask_b32_e64 v27, v29, v27, s[4:5]
	s_mov_b32 s4, 0x33800000
	v_cmp_lt_f32_e64 s[4:5], |v18|, s4
	v_cndmask_b32_e64 v18, v27, v18, s[4:5]
	v_add_f32_e32 v18, v26, v18
	v_cvt_f16_f32_e32 v18, v18
	v_cvt_f32_f16_e32 v32, v18
.LBB420_298:
	s_or_b64 exec, exec, s[28:29]
	v_cvt_f32_f16_sdwa v26, v7 dst_sel:DWORD dst_unused:UNUSED_PAD src0_sel:WORD_1
	v_max_f32_e32 v28, v32, v32
	v_cmp_u_f16_e64 s[4:5], v18, v18
	v_cmp_u_f16_sdwa s[28:29], v7, v7 src0_sel:WORD_1 src1_sel:WORD_1
	v_min_f32_e32 v27, v28, v26
	v_max_f32_e32 v7, v28, v26
	v_cndmask_b32_e64 v27, v27, v32, s[4:5]
	v_cndmask_b32_e64 v7, v7, v32, s[4:5]
	v_cndmask_b32_e64 v27, v27, v26, s[28:29]
	v_cndmask_b32_e64 v7, v7, v26, s[28:29]
	s_movk_i32 s34, 0x1f8
	v_cmp_neq_f32_e64 s[4:5], v27, v7
	v_cmp_class_f32_e64 s[30:31], v27, s34
	s_or_b64 s[4:5], s[4:5], s[30:31]
	s_and_saveexec_b64 s[30:31], s[4:5]
	s_cbranch_execz .LBB420_300
; %bb.299:
	v_sub_f32_e32 v18, v27, v7
	s_mov_b32 s4, 0x3fb8aa3b
	v_mul_f32_e32 v27, 0x3fb8aa3b, v18
	v_fma_f32 v28, v18, s4, -v27
	v_rndne_f32_e32 v29, v27
	v_fmac_f32_e32 v28, 0x32a5705f, v18
	v_sub_f32_e32 v27, v27, v29
	v_add_f32_e32 v27, v27, v28
	v_exp_f32_e32 v27, v27
	v_cvt_i32_f32_e32 v28, v29
	s_mov_b32 s4, 0xc2ce8ed0
	v_cmp_ngt_f32_e64 s[4:5], s4, v18
	v_mov_b32_e32 v29, 0x7f800000
	v_ldexp_f32 v27, v27, v28
	v_cndmask_b32_e64 v27, 0, v27, s[4:5]
	s_mov_b32 s4, 0x42b17218
	v_cmp_nlt_f32_e64 s[4:5], s4, v18
	v_cndmask_b32_e64 v18, v29, v27, s[4:5]
	v_add_f32_e32 v30, 1.0, v18
	v_cvt_f64_f32_e32 v[27:28], v30
	v_add_f32_e32 v31, -1.0, v30
	v_sub_f32_e32 v32, v31, v30
	v_sub_f32_e32 v31, v18, v31
	v_frexp_exp_i32_f64_e32 v27, v[27:28]
	v_add_f32_e32 v28, 1.0, v32
	v_add_f32_e32 v28, v31, v28
	v_frexp_mant_f32_e32 v31, v30
	s_mov_b32 s4, 0x3f2aaaab
	v_cmp_gt_f32_e64 s[4:5], s4, v31
	s_mov_b32 s35, 0x7f800000
	v_subbrev_co_u32_e64 v27, s[4:5], 0, v27, s[4:5]
	v_sub_u32_e32 v31, 0, v27
	v_ldexp_f32 v30, v30, v31
	v_ldexp_f32 v28, v28, v31
	v_add_f32_e32 v31, -1.0, v30
	v_add_f32_e32 v34, 1.0, v30
	v_add_f32_e32 v32, 1.0, v31
	v_add_f32_e32 v35, -1.0, v34
	v_sub_f32_e32 v32, v30, v32
	v_sub_f32_e32 v30, v30, v35
	v_add_f32_e32 v32, v28, v32
	v_add_f32_e32 v28, v28, v30
	;; [unrolled: 1-line block ×3, first 2 shown]
	v_rcp_f32_e32 v35, v30
	v_add_f32_e32 v33, v31, v32
	v_sub_f32_e32 v31, v31, v33
	v_add_f32_e32 v31, v32, v31
	v_sub_f32_e32 v32, v34, v30
	v_add_f32_e32 v28, v28, v32
	v_mul_f32_e32 v32, v33, v35
	v_mul_f32_e32 v34, v30, v32
	v_fma_f32 v36, v32, v30, -v34
	v_fmac_f32_e32 v36, v32, v28
	v_add_f32_e32 v37, v34, v36
	v_sub_f32_e32 v38, v33, v37
	v_sub_f32_e32 v33, v33, v38
	;; [unrolled: 1-line block ×4, first 2 shown]
	v_add_f32_e32 v31, v31, v33
	v_sub_f32_e32 v33, v34, v36
	v_add_f32_e32 v31, v33, v31
	v_add_f32_e32 v33, v38, v31
	v_mul_f32_e32 v34, v35, v33
	v_mul_f32_e32 v36, v30, v34
	v_fma_f32 v30, v34, v30, -v36
	v_fmac_f32_e32 v30, v34, v28
	v_sub_f32_e32 v28, v38, v33
	v_add_f32_e32 v28, v31, v28
	v_add_f32_e32 v31, v36, v30
	v_sub_f32_e32 v37, v33, v31
	v_sub_f32_e32 v33, v33, v37
	;; [unrolled: 1-line block ×4, first 2 shown]
	v_add_f32_e32 v28, v28, v31
	v_sub_f32_e32 v30, v36, v30
	v_add_f32_e32 v28, v30, v28
	v_add_f32_e32 v30, v32, v34
	;; [unrolled: 1-line block ×3, first 2 shown]
	v_sub_f32_e32 v31, v30, v32
	v_mul_f32_e32 v28, v35, v28
	v_sub_f32_e32 v31, v34, v31
	v_add_f32_e32 v28, v31, v28
	v_cvt_f32_i32_e32 v27, v27
	v_add_f32_e32 v31, v30, v28
	v_mul_f32_e32 v32, v31, v31
	v_mov_b32_e32 v33, 0x3ecc95a3
	v_fmac_f32_e32 v33, 0x3e9b6dac, v32
	v_mov_b32_e32 v34, 0x3f2aaada
	v_fmac_f32_e32 v34, v32, v33
	s_mov_b32 s4, 0x3f317218
	v_mul_f32_e32 v33, 0x3f317218, v27
	v_fma_f32 v35, v27, s4, -v33
	v_fmac_f32_e32 v35, 0xb102e308, v27
	v_sub_f32_e32 v27, v31, v30
	v_sub_f32_e32 v27, v28, v27
	v_add_f32_e32 v28, v33, v35
	v_sub_f32_e32 v30, v28, v33
	v_ldexp_f32 v33, v31, 1
	v_mul_f32_e32 v31, v31, v32
	v_mul_f32_e32 v31, v31, v34
	v_add_f32_e32 v32, v33, v31
	v_sub_f32_e32 v33, v32, v33
	v_ldexp_f32 v27, v27, 1
	v_sub_f32_e32 v31, v31, v33
	v_add_f32_e32 v27, v27, v31
	v_add_f32_e32 v31, v32, v27
	v_sub_f32_e32 v32, v31, v32
	v_sub_f32_e32 v27, v27, v32
	v_add_f32_e32 v32, v28, v31
	v_sub_f32_e32 v33, v32, v28
	v_sub_f32_e32 v34, v32, v33
	;; [unrolled: 1-line block ×5, first 2 shown]
	v_add_f32_e32 v28, v31, v28
	v_add_f32_e32 v31, v30, v27
	v_sub_f32_e32 v33, v31, v30
	v_sub_f32_e32 v34, v31, v33
	;; [unrolled: 1-line block ×4, first 2 shown]
	v_add_f32_e32 v28, v31, v28
	v_add_f32_e32 v27, v27, v30
	;; [unrolled: 1-line block ×3, first 2 shown]
	v_sub_f32_e32 v31, v30, v32
	v_sub_f32_e32 v28, v28, v31
	v_add_f32_e32 v27, v27, v28
	v_add_f32_e32 v27, v30, v27
	v_cmp_neq_f32_e64 s[4:5], s35, v18
	v_cndmask_b32_e64 v27, v29, v27, s[4:5]
	s_mov_b32 s4, 0x33800000
	v_cmp_lt_f32_e64 s[4:5], |v18|, s4
	v_cndmask_b32_e64 v18, v27, v18, s[4:5]
	v_add_f32_e32 v7, v7, v18
	v_cvt_f16_f32_e32 v18, v7
	v_cvt_f32_f16_e32 v32, v18
.LBB420_300:
	s_or_b64 exec, exec, s[30:31]
	v_cvt_f32_f16_e32 v7, v8
	v_max_f32_e32 v27, v32, v32
	v_cmp_u_f16_e64 s[4:5], v18, v18
	v_cmp_u_f16_e64 s[30:31], v8, v8
	v_min_f32_e32 v28, v27, v7
	v_max_f32_e32 v27, v27, v7
	v_cndmask_b32_e64 v28, v28, v32, s[4:5]
	v_cndmask_b32_e64 v27, v27, v32, s[4:5]
	;; [unrolled: 1-line block ×4, first 2 shown]
	v_cmp_neq_f32_e64 s[4:5], v28, v27
	v_cmp_class_f32_e64 s[34:35], v28, s34
	s_or_b64 s[4:5], s[4:5], s[34:35]
	s_and_saveexec_b64 s[34:35], s[4:5]
	s_cbranch_execz .LBB420_302
; %bb.301:
	v_sub_f32_e32 v18, v28, v27
	s_mov_b32 s4, 0x3fb8aa3b
	v_mul_f32_e32 v28, 0x3fb8aa3b, v18
	v_fma_f32 v29, v18, s4, -v28
	v_rndne_f32_e32 v30, v28
	v_fmac_f32_e32 v29, 0x32a5705f, v18
	v_sub_f32_e32 v28, v28, v30
	v_add_f32_e32 v28, v28, v29
	v_exp_f32_e32 v28, v28
	v_cvt_i32_f32_e32 v29, v30
	s_mov_b32 s4, 0xc2ce8ed0
	v_cmp_ngt_f32_e64 s[4:5], s4, v18
	v_mov_b32_e32 v30, 0x7f800000
	v_ldexp_f32 v28, v28, v29
	v_cndmask_b32_e64 v28, 0, v28, s[4:5]
	s_mov_b32 s4, 0x42b17218
	v_cmp_nlt_f32_e64 s[4:5], s4, v18
	v_cndmask_b32_e64 v18, v30, v28, s[4:5]
	v_add_f32_e32 v31, 1.0, v18
	v_cvt_f64_f32_e32 v[28:29], v31
	v_add_f32_e32 v32, -1.0, v31
	v_sub_f32_e32 v33, v32, v31
	v_sub_f32_e32 v32, v18, v32
	v_frexp_exp_i32_f64_e32 v28, v[28:29]
	v_add_f32_e32 v29, 1.0, v33
	v_add_f32_e32 v29, v32, v29
	v_frexp_mant_f32_e32 v32, v31
	s_mov_b32 s4, 0x3f2aaaab
	v_cmp_gt_f32_e64 s[4:5], s4, v32
	s_mov_b32 s36, 0x7f800000
	v_subbrev_co_u32_e64 v28, s[4:5], 0, v28, s[4:5]
	v_sub_u32_e32 v32, 0, v28
	v_ldexp_f32 v31, v31, v32
	v_ldexp_f32 v29, v29, v32
	v_add_f32_e32 v32, -1.0, v31
	v_add_f32_e32 v35, 1.0, v31
	v_add_f32_e32 v33, 1.0, v32
	v_add_f32_e32 v36, -1.0, v35
	v_sub_f32_e32 v33, v31, v33
	v_sub_f32_e32 v31, v31, v36
	v_add_f32_e32 v33, v29, v33
	v_add_f32_e32 v29, v29, v31
	;; [unrolled: 1-line block ×3, first 2 shown]
	v_rcp_f32_e32 v36, v31
	v_add_f32_e32 v34, v32, v33
	v_sub_f32_e32 v32, v32, v34
	v_add_f32_e32 v32, v33, v32
	v_sub_f32_e32 v33, v35, v31
	v_add_f32_e32 v29, v29, v33
	v_mul_f32_e32 v33, v34, v36
	v_mul_f32_e32 v35, v31, v33
	v_fma_f32 v37, v33, v31, -v35
	v_fmac_f32_e32 v37, v33, v29
	v_add_f32_e32 v38, v35, v37
	v_sub_f32_e32 v39, v34, v38
	v_sub_f32_e32 v34, v34, v39
	;; [unrolled: 1-line block ×4, first 2 shown]
	v_add_f32_e32 v32, v32, v34
	v_sub_f32_e32 v34, v35, v37
	v_add_f32_e32 v32, v34, v32
	v_add_f32_e32 v34, v39, v32
	v_mul_f32_e32 v35, v36, v34
	v_mul_f32_e32 v37, v31, v35
	v_fma_f32 v31, v35, v31, -v37
	v_fmac_f32_e32 v31, v35, v29
	v_sub_f32_e32 v29, v39, v34
	v_add_f32_e32 v29, v32, v29
	v_add_f32_e32 v32, v37, v31
	v_sub_f32_e32 v38, v34, v32
	v_sub_f32_e32 v34, v34, v38
	;; [unrolled: 1-line block ×4, first 2 shown]
	v_add_f32_e32 v29, v29, v32
	v_sub_f32_e32 v31, v37, v31
	v_add_f32_e32 v29, v31, v29
	v_add_f32_e32 v31, v33, v35
	;; [unrolled: 1-line block ×3, first 2 shown]
	v_sub_f32_e32 v32, v31, v33
	v_mul_f32_e32 v29, v36, v29
	v_sub_f32_e32 v32, v35, v32
	v_add_f32_e32 v29, v32, v29
	v_cvt_f32_i32_e32 v28, v28
	v_add_f32_e32 v32, v31, v29
	v_mul_f32_e32 v33, v32, v32
	v_mov_b32_e32 v34, 0x3ecc95a3
	v_fmac_f32_e32 v34, 0x3e9b6dac, v33
	v_mov_b32_e32 v35, 0x3f2aaada
	v_fmac_f32_e32 v35, v33, v34
	s_mov_b32 s4, 0x3f317218
	v_mul_f32_e32 v34, 0x3f317218, v28
	v_fma_f32 v36, v28, s4, -v34
	v_fmac_f32_e32 v36, 0xb102e308, v28
	v_sub_f32_e32 v28, v32, v31
	v_sub_f32_e32 v28, v29, v28
	v_add_f32_e32 v29, v34, v36
	v_sub_f32_e32 v31, v29, v34
	v_ldexp_f32 v34, v32, 1
	v_mul_f32_e32 v32, v32, v33
	v_mul_f32_e32 v32, v32, v35
	v_add_f32_e32 v33, v34, v32
	v_sub_f32_e32 v34, v33, v34
	v_ldexp_f32 v28, v28, 1
	v_sub_f32_e32 v32, v32, v34
	v_add_f32_e32 v28, v28, v32
	v_add_f32_e32 v32, v33, v28
	v_sub_f32_e32 v33, v32, v33
	v_sub_f32_e32 v28, v28, v33
	v_add_f32_e32 v33, v29, v32
	v_sub_f32_e32 v34, v33, v29
	v_sub_f32_e32 v35, v33, v34
	v_sub_f32_e32 v31, v36, v31
	v_sub_f32_e32 v29, v29, v35
	v_sub_f32_e32 v32, v32, v34
	v_add_f32_e32 v29, v32, v29
	v_add_f32_e32 v32, v31, v28
	v_sub_f32_e32 v34, v32, v31
	v_sub_f32_e32 v35, v32, v34
	;; [unrolled: 1-line block ×4, first 2 shown]
	v_add_f32_e32 v29, v32, v29
	v_add_f32_e32 v28, v28, v31
	;; [unrolled: 1-line block ×3, first 2 shown]
	v_sub_f32_e32 v32, v31, v33
	v_sub_f32_e32 v29, v29, v32
	v_add_f32_e32 v28, v28, v29
	v_add_f32_e32 v28, v31, v28
	v_cmp_neq_f32_e64 s[4:5], s36, v18
	v_cndmask_b32_e64 v28, v30, v28, s[4:5]
	s_mov_b32 s4, 0x33800000
	v_cmp_lt_f32_e64 s[4:5], |v18|, s4
	v_cndmask_b32_e64 v18, v28, v18, s[4:5]
	v_add_f32_e32 v18, v27, v18
	v_cvt_f16_f32_e32 v18, v18
	v_cvt_f32_f16_e32 v32, v18
.LBB420_302:
	s_or_b64 exec, exec, s[34:35]
	v_cvt_f32_f16_sdwa v27, v8 dst_sel:DWORD dst_unused:UNUSED_PAD src0_sel:WORD_1
	v_max_f32_e32 v29, v32, v32
	v_cmp_u_f16_e64 s[4:5], v18, v18
	v_cmp_u_f16_sdwa s[34:35], v8, v8 src0_sel:WORD_1 src1_sel:WORD_1
	v_min_f32_e32 v28, v29, v27
	v_max_f32_e32 v8, v29, v27
	v_cndmask_b32_e64 v28, v28, v32, s[4:5]
	v_cndmask_b32_e64 v8, v8, v32, s[4:5]
	;; [unrolled: 1-line block ×4, first 2 shown]
	s_movk_i32 s38, 0x1f8
	v_cmp_neq_f32_e64 s[4:5], v28, v8
	v_cmp_class_f32_e64 s[36:37], v28, s38
	s_or_b64 s[4:5], s[4:5], s[36:37]
	s_and_saveexec_b64 s[36:37], s[4:5]
	s_cbranch_execz .LBB420_304
; %bb.303:
	v_sub_f32_e32 v18, v28, v8
	s_mov_b32 s4, 0x3fb8aa3b
	v_mul_f32_e32 v28, 0x3fb8aa3b, v18
	v_fma_f32 v29, v18, s4, -v28
	v_rndne_f32_e32 v30, v28
	v_fmac_f32_e32 v29, 0x32a5705f, v18
	v_sub_f32_e32 v28, v28, v30
	v_add_f32_e32 v28, v28, v29
	v_exp_f32_e32 v28, v28
	v_cvt_i32_f32_e32 v29, v30
	s_mov_b32 s4, 0xc2ce8ed0
	v_cmp_ngt_f32_e64 s[4:5], s4, v18
	v_mov_b32_e32 v30, 0x7f800000
	v_ldexp_f32 v28, v28, v29
	v_cndmask_b32_e64 v28, 0, v28, s[4:5]
	s_mov_b32 s4, 0x42b17218
	v_cmp_nlt_f32_e64 s[4:5], s4, v18
	v_cndmask_b32_e64 v18, v30, v28, s[4:5]
	v_add_f32_e32 v31, 1.0, v18
	v_cvt_f64_f32_e32 v[28:29], v31
	v_add_f32_e32 v32, -1.0, v31
	v_sub_f32_e32 v33, v32, v31
	v_sub_f32_e32 v32, v18, v32
	v_frexp_exp_i32_f64_e32 v28, v[28:29]
	v_add_f32_e32 v29, 1.0, v33
	v_add_f32_e32 v29, v32, v29
	v_frexp_mant_f32_e32 v32, v31
	s_mov_b32 s4, 0x3f2aaaab
	v_cmp_gt_f32_e64 s[4:5], s4, v32
	s_mov_b32 s39, 0x7f800000
	v_subbrev_co_u32_e64 v28, s[4:5], 0, v28, s[4:5]
	v_sub_u32_e32 v32, 0, v28
	v_ldexp_f32 v31, v31, v32
	v_ldexp_f32 v29, v29, v32
	v_add_f32_e32 v32, -1.0, v31
	v_add_f32_e32 v35, 1.0, v31
	v_add_f32_e32 v33, 1.0, v32
	v_add_f32_e32 v36, -1.0, v35
	v_sub_f32_e32 v33, v31, v33
	v_sub_f32_e32 v31, v31, v36
	v_add_f32_e32 v33, v29, v33
	v_add_f32_e32 v29, v29, v31
	;; [unrolled: 1-line block ×3, first 2 shown]
	v_rcp_f32_e32 v36, v31
	v_add_f32_e32 v34, v32, v33
	v_sub_f32_e32 v32, v32, v34
	v_add_f32_e32 v32, v33, v32
	v_sub_f32_e32 v33, v35, v31
	v_add_f32_e32 v29, v29, v33
	v_mul_f32_e32 v33, v34, v36
	v_mul_f32_e32 v35, v31, v33
	v_fma_f32 v37, v33, v31, -v35
	v_fmac_f32_e32 v37, v33, v29
	v_add_f32_e32 v38, v35, v37
	v_sub_f32_e32 v39, v34, v38
	v_sub_f32_e32 v34, v34, v39
	;; [unrolled: 1-line block ×4, first 2 shown]
	v_add_f32_e32 v32, v32, v34
	v_sub_f32_e32 v34, v35, v37
	v_add_f32_e32 v32, v34, v32
	v_add_f32_e32 v34, v39, v32
	v_mul_f32_e32 v35, v36, v34
	v_mul_f32_e32 v37, v31, v35
	v_fma_f32 v31, v35, v31, -v37
	v_fmac_f32_e32 v31, v35, v29
	v_sub_f32_e32 v29, v39, v34
	v_add_f32_e32 v29, v32, v29
	v_add_f32_e32 v32, v37, v31
	v_sub_f32_e32 v38, v34, v32
	v_sub_f32_e32 v34, v34, v38
	;; [unrolled: 1-line block ×4, first 2 shown]
	v_add_f32_e32 v29, v29, v32
	v_sub_f32_e32 v31, v37, v31
	v_add_f32_e32 v29, v31, v29
	v_add_f32_e32 v31, v33, v35
	;; [unrolled: 1-line block ×3, first 2 shown]
	v_sub_f32_e32 v32, v31, v33
	v_mul_f32_e32 v29, v36, v29
	v_sub_f32_e32 v32, v35, v32
	v_add_f32_e32 v29, v32, v29
	v_cvt_f32_i32_e32 v28, v28
	v_add_f32_e32 v32, v31, v29
	v_mul_f32_e32 v33, v32, v32
	v_mov_b32_e32 v34, 0x3ecc95a3
	v_fmac_f32_e32 v34, 0x3e9b6dac, v33
	v_mov_b32_e32 v35, 0x3f2aaada
	v_fmac_f32_e32 v35, v33, v34
	s_mov_b32 s4, 0x3f317218
	v_mul_f32_e32 v34, 0x3f317218, v28
	v_fma_f32 v36, v28, s4, -v34
	v_fmac_f32_e32 v36, 0xb102e308, v28
	v_sub_f32_e32 v28, v32, v31
	v_sub_f32_e32 v28, v29, v28
	v_add_f32_e32 v29, v34, v36
	v_sub_f32_e32 v31, v29, v34
	v_ldexp_f32 v34, v32, 1
	v_mul_f32_e32 v32, v32, v33
	v_mul_f32_e32 v32, v32, v35
	v_add_f32_e32 v33, v34, v32
	v_sub_f32_e32 v34, v33, v34
	v_ldexp_f32 v28, v28, 1
	v_sub_f32_e32 v32, v32, v34
	v_add_f32_e32 v28, v28, v32
	v_add_f32_e32 v32, v33, v28
	v_sub_f32_e32 v33, v32, v33
	v_sub_f32_e32 v28, v28, v33
	v_add_f32_e32 v33, v29, v32
	v_sub_f32_e32 v34, v33, v29
	v_sub_f32_e32 v35, v33, v34
	;; [unrolled: 1-line block ×5, first 2 shown]
	v_add_f32_e32 v29, v32, v29
	v_add_f32_e32 v32, v31, v28
	v_sub_f32_e32 v34, v32, v31
	v_sub_f32_e32 v35, v32, v34
	;; [unrolled: 1-line block ×4, first 2 shown]
	v_add_f32_e32 v29, v32, v29
	v_add_f32_e32 v28, v28, v31
	;; [unrolled: 1-line block ×3, first 2 shown]
	v_sub_f32_e32 v32, v31, v33
	v_sub_f32_e32 v29, v29, v32
	v_add_f32_e32 v28, v28, v29
	v_add_f32_e32 v28, v31, v28
	v_cmp_neq_f32_e64 s[4:5], s39, v18
	v_cndmask_b32_e64 v28, v30, v28, s[4:5]
	s_mov_b32 s4, 0x33800000
	v_cmp_lt_f32_e64 s[4:5], |v18|, s4
	v_cndmask_b32_e64 v18, v28, v18, s[4:5]
	v_add_f32_e32 v8, v8, v18
	v_cvt_f16_f32_e32 v18, v8
	v_cvt_f32_f16_e32 v32, v18
.LBB420_304:
	s_or_b64 exec, exec, s[36:37]
	v_cvt_f32_f16_e32 v8, v1
	v_max_f32_e32 v28, v32, v32
	v_cmp_u_f16_e64 s[4:5], v18, v18
	v_cmp_u_f16_e64 s[36:37], v1, v1
	v_min_f32_e32 v29, v28, v8
	v_max_f32_e32 v28, v28, v8
	v_cndmask_b32_e64 v29, v29, v32, s[4:5]
	v_cndmask_b32_e64 v28, v28, v32, s[4:5]
	;; [unrolled: 1-line block ×4, first 2 shown]
	v_cmp_neq_f32_e64 s[4:5], v29, v28
	v_cmp_class_f32_e64 s[38:39], v29, s38
	s_or_b64 s[4:5], s[4:5], s[38:39]
	s_and_saveexec_b64 s[38:39], s[4:5]
	s_cbranch_execz .LBB420_306
; %bb.305:
	v_sub_f32_e32 v18, v29, v28
	s_mov_b32 s4, 0x3fb8aa3b
	v_mul_f32_e32 v29, 0x3fb8aa3b, v18
	v_fma_f32 v30, v18, s4, -v29
	v_rndne_f32_e32 v31, v29
	v_fmac_f32_e32 v30, 0x32a5705f, v18
	v_sub_f32_e32 v29, v29, v31
	v_add_f32_e32 v29, v29, v30
	v_exp_f32_e32 v29, v29
	v_cvt_i32_f32_e32 v30, v31
	s_mov_b32 s4, 0xc2ce8ed0
	v_cmp_ngt_f32_e64 s[4:5], s4, v18
	v_mov_b32_e32 v31, 0x7f800000
	v_ldexp_f32 v29, v29, v30
	v_cndmask_b32_e64 v29, 0, v29, s[4:5]
	s_mov_b32 s4, 0x42b17218
	v_cmp_nlt_f32_e64 s[4:5], s4, v18
	v_cndmask_b32_e64 v18, v31, v29, s[4:5]
	v_add_f32_e32 v32, 1.0, v18
	v_cvt_f64_f32_e32 v[29:30], v32
	v_add_f32_e32 v33, -1.0, v32
	v_sub_f32_e32 v34, v33, v32
	v_sub_f32_e32 v33, v18, v33
	v_frexp_exp_i32_f64_e32 v29, v[29:30]
	v_add_f32_e32 v30, 1.0, v34
	v_add_f32_e32 v30, v33, v30
	v_frexp_mant_f32_e32 v33, v32
	s_mov_b32 s4, 0x3f2aaaab
	v_cmp_gt_f32_e64 s[4:5], s4, v33
	s_mov_b32 s40, 0x7f800000
	v_subbrev_co_u32_e64 v29, s[4:5], 0, v29, s[4:5]
	v_sub_u32_e32 v33, 0, v29
	v_ldexp_f32 v32, v32, v33
	v_ldexp_f32 v30, v30, v33
	v_add_f32_e32 v33, -1.0, v32
	v_add_f32_e32 v36, 1.0, v32
	v_add_f32_e32 v34, 1.0, v33
	v_add_f32_e32 v37, -1.0, v36
	v_sub_f32_e32 v34, v32, v34
	v_sub_f32_e32 v32, v32, v37
	v_add_f32_e32 v34, v30, v34
	v_add_f32_e32 v30, v30, v32
	;; [unrolled: 1-line block ×3, first 2 shown]
	v_rcp_f32_e32 v37, v32
	v_add_f32_e32 v35, v33, v34
	v_sub_f32_e32 v33, v33, v35
	v_add_f32_e32 v33, v34, v33
	v_sub_f32_e32 v34, v36, v32
	v_add_f32_e32 v30, v30, v34
	v_mul_f32_e32 v34, v35, v37
	v_mul_f32_e32 v36, v32, v34
	v_fma_f32 v38, v34, v32, -v36
	v_fmac_f32_e32 v38, v34, v30
	v_add_f32_e32 v39, v36, v38
	v_sub_f32_e32 v40, v35, v39
	v_sub_f32_e32 v35, v35, v40
	;; [unrolled: 1-line block ×4, first 2 shown]
	v_add_f32_e32 v33, v33, v35
	v_sub_f32_e32 v35, v36, v38
	v_add_f32_e32 v33, v35, v33
	v_add_f32_e32 v35, v40, v33
	v_mul_f32_e32 v36, v37, v35
	v_mul_f32_e32 v38, v32, v36
	v_fma_f32 v32, v36, v32, -v38
	v_fmac_f32_e32 v32, v36, v30
	v_sub_f32_e32 v30, v40, v35
	v_add_f32_e32 v30, v33, v30
	v_add_f32_e32 v33, v38, v32
	v_sub_f32_e32 v39, v35, v33
	v_sub_f32_e32 v35, v35, v39
	v_sub_f32_e32 v38, v33, v38
	v_sub_f32_e32 v33, v35, v33
	v_add_f32_e32 v30, v30, v33
	v_sub_f32_e32 v32, v38, v32
	v_add_f32_e32 v30, v32, v30
	v_add_f32_e32 v32, v34, v36
	;; [unrolled: 1-line block ×3, first 2 shown]
	v_sub_f32_e32 v33, v32, v34
	v_mul_f32_e32 v30, v37, v30
	v_sub_f32_e32 v33, v36, v33
	v_add_f32_e32 v30, v33, v30
	v_cvt_f32_i32_e32 v29, v29
	v_add_f32_e32 v33, v32, v30
	v_mul_f32_e32 v34, v33, v33
	v_mov_b32_e32 v35, 0x3ecc95a3
	v_fmac_f32_e32 v35, 0x3e9b6dac, v34
	v_mov_b32_e32 v36, 0x3f2aaada
	v_fmac_f32_e32 v36, v34, v35
	s_mov_b32 s4, 0x3f317218
	v_mul_f32_e32 v35, 0x3f317218, v29
	v_fma_f32 v37, v29, s4, -v35
	v_fmac_f32_e32 v37, 0xb102e308, v29
	v_sub_f32_e32 v29, v33, v32
	v_sub_f32_e32 v29, v30, v29
	v_add_f32_e32 v30, v35, v37
	v_sub_f32_e32 v32, v30, v35
	v_ldexp_f32 v35, v33, 1
	v_mul_f32_e32 v33, v33, v34
	v_mul_f32_e32 v33, v33, v36
	v_add_f32_e32 v34, v35, v33
	v_sub_f32_e32 v35, v34, v35
	v_ldexp_f32 v29, v29, 1
	v_sub_f32_e32 v33, v33, v35
	v_add_f32_e32 v29, v29, v33
	v_add_f32_e32 v33, v34, v29
	v_sub_f32_e32 v34, v33, v34
	v_sub_f32_e32 v29, v29, v34
	v_add_f32_e32 v34, v30, v33
	v_sub_f32_e32 v35, v34, v30
	v_sub_f32_e32 v36, v34, v35
	;; [unrolled: 1-line block ×5, first 2 shown]
	v_add_f32_e32 v30, v33, v30
	v_add_f32_e32 v33, v32, v29
	v_sub_f32_e32 v35, v33, v32
	v_sub_f32_e32 v36, v33, v35
	;; [unrolled: 1-line block ×4, first 2 shown]
	v_add_f32_e32 v30, v33, v30
	v_add_f32_e32 v29, v29, v32
	;; [unrolled: 1-line block ×3, first 2 shown]
	v_sub_f32_e32 v33, v32, v34
	v_sub_f32_e32 v30, v30, v33
	v_add_f32_e32 v29, v29, v30
	v_add_f32_e32 v29, v32, v29
	v_cmp_neq_f32_e64 s[4:5], s40, v18
	v_cndmask_b32_e64 v29, v31, v29, s[4:5]
	s_mov_b32 s4, 0x33800000
	v_cmp_lt_f32_e64 s[4:5], |v18|, s4
	v_cndmask_b32_e64 v18, v29, v18, s[4:5]
	v_add_f32_e32 v18, v28, v18
	v_cvt_f16_f32_e32 v18, v18
	v_cvt_f32_f16_e32 v32, v18
.LBB420_306:
	s_or_b64 exec, exec, s[38:39]
	v_cvt_f32_f16_sdwa v28, v1 dst_sel:DWORD dst_unused:UNUSED_PAD src0_sel:WORD_1
	v_max_f32_e32 v30, v32, v32
	v_cmp_u_f16_e64 s[4:5], v18, v18
	v_cmp_u_f16_sdwa s[38:39], v1, v1 src0_sel:WORD_1 src1_sel:WORD_1
	v_min_f32_e32 v29, v30, v28
	v_max_f32_e32 v1, v30, v28
	v_cndmask_b32_e64 v29, v29, v32, s[4:5]
	v_cndmask_b32_e64 v1, v1, v32, s[4:5]
	;; [unrolled: 1-line block ×4, first 2 shown]
	s_movk_i32 s42, 0x1f8
	v_cmp_neq_f32_e64 s[4:5], v29, v1
	v_cmp_class_f32_e64 s[40:41], v29, s42
	s_or_b64 s[4:5], s[4:5], s[40:41]
	s_and_saveexec_b64 s[40:41], s[4:5]
	s_cbranch_execz .LBB420_308
; %bb.307:
	v_sub_f32_e32 v18, v29, v1
	s_mov_b32 s4, 0x3fb8aa3b
	v_mul_f32_e32 v29, 0x3fb8aa3b, v18
	v_fma_f32 v30, v18, s4, -v29
	v_rndne_f32_e32 v31, v29
	v_fmac_f32_e32 v30, 0x32a5705f, v18
	v_sub_f32_e32 v29, v29, v31
	v_add_f32_e32 v29, v29, v30
	v_exp_f32_e32 v29, v29
	v_cvt_i32_f32_e32 v30, v31
	s_mov_b32 s4, 0xc2ce8ed0
	v_cmp_ngt_f32_e64 s[4:5], s4, v18
	v_mov_b32_e32 v31, 0x7f800000
	v_ldexp_f32 v29, v29, v30
	v_cndmask_b32_e64 v29, 0, v29, s[4:5]
	s_mov_b32 s4, 0x42b17218
	v_cmp_nlt_f32_e64 s[4:5], s4, v18
	v_cndmask_b32_e64 v18, v31, v29, s[4:5]
	v_add_f32_e32 v32, 1.0, v18
	v_cvt_f64_f32_e32 v[29:30], v32
	v_add_f32_e32 v33, -1.0, v32
	v_sub_f32_e32 v34, v33, v32
	v_sub_f32_e32 v33, v18, v33
	v_frexp_exp_i32_f64_e32 v29, v[29:30]
	v_add_f32_e32 v30, 1.0, v34
	v_add_f32_e32 v30, v33, v30
	v_frexp_mant_f32_e32 v33, v32
	s_mov_b32 s4, 0x3f2aaaab
	v_cmp_gt_f32_e64 s[4:5], s4, v33
	s_mov_b32 s43, 0x7f800000
	v_subbrev_co_u32_e64 v29, s[4:5], 0, v29, s[4:5]
	v_sub_u32_e32 v33, 0, v29
	v_ldexp_f32 v32, v32, v33
	v_ldexp_f32 v30, v30, v33
	v_add_f32_e32 v33, -1.0, v32
	v_add_f32_e32 v36, 1.0, v32
	v_add_f32_e32 v34, 1.0, v33
	v_add_f32_e32 v37, -1.0, v36
	v_sub_f32_e32 v34, v32, v34
	v_sub_f32_e32 v32, v32, v37
	v_add_f32_e32 v34, v30, v34
	v_add_f32_e32 v30, v30, v32
	;; [unrolled: 1-line block ×3, first 2 shown]
	v_rcp_f32_e32 v37, v32
	v_add_f32_e32 v35, v33, v34
	v_sub_f32_e32 v33, v33, v35
	v_add_f32_e32 v33, v34, v33
	v_sub_f32_e32 v34, v36, v32
	v_add_f32_e32 v30, v30, v34
	v_mul_f32_e32 v34, v35, v37
	v_mul_f32_e32 v36, v32, v34
	v_fma_f32 v38, v34, v32, -v36
	v_fmac_f32_e32 v38, v34, v30
	v_add_f32_e32 v39, v36, v38
	v_sub_f32_e32 v40, v35, v39
	v_sub_f32_e32 v35, v35, v40
	;; [unrolled: 1-line block ×4, first 2 shown]
	v_add_f32_e32 v33, v33, v35
	v_sub_f32_e32 v35, v36, v38
	v_add_f32_e32 v33, v35, v33
	v_add_f32_e32 v35, v40, v33
	v_mul_f32_e32 v36, v37, v35
	v_mul_f32_e32 v38, v32, v36
	v_fma_f32 v32, v36, v32, -v38
	v_fmac_f32_e32 v32, v36, v30
	v_sub_f32_e32 v30, v40, v35
	v_add_f32_e32 v30, v33, v30
	v_add_f32_e32 v33, v38, v32
	v_sub_f32_e32 v39, v35, v33
	v_sub_f32_e32 v35, v35, v39
	;; [unrolled: 1-line block ×4, first 2 shown]
	v_add_f32_e32 v30, v30, v33
	v_sub_f32_e32 v32, v38, v32
	v_add_f32_e32 v30, v32, v30
	v_add_f32_e32 v32, v34, v36
	;; [unrolled: 1-line block ×3, first 2 shown]
	v_sub_f32_e32 v33, v32, v34
	v_mul_f32_e32 v30, v37, v30
	v_sub_f32_e32 v33, v36, v33
	v_add_f32_e32 v30, v33, v30
	v_cvt_f32_i32_e32 v29, v29
	v_add_f32_e32 v33, v32, v30
	v_mul_f32_e32 v34, v33, v33
	v_mov_b32_e32 v35, 0x3ecc95a3
	v_fmac_f32_e32 v35, 0x3e9b6dac, v34
	v_mov_b32_e32 v36, 0x3f2aaada
	v_fmac_f32_e32 v36, v34, v35
	s_mov_b32 s4, 0x3f317218
	v_mul_f32_e32 v35, 0x3f317218, v29
	v_fma_f32 v37, v29, s4, -v35
	v_fmac_f32_e32 v37, 0xb102e308, v29
	v_sub_f32_e32 v29, v33, v32
	v_sub_f32_e32 v29, v30, v29
	v_add_f32_e32 v30, v35, v37
	v_sub_f32_e32 v32, v30, v35
	v_ldexp_f32 v35, v33, 1
	v_mul_f32_e32 v33, v33, v34
	v_mul_f32_e32 v33, v33, v36
	v_add_f32_e32 v34, v35, v33
	v_sub_f32_e32 v35, v34, v35
	v_ldexp_f32 v29, v29, 1
	v_sub_f32_e32 v33, v33, v35
	v_add_f32_e32 v29, v29, v33
	v_add_f32_e32 v33, v34, v29
	v_sub_f32_e32 v34, v33, v34
	v_sub_f32_e32 v29, v29, v34
	v_add_f32_e32 v34, v30, v33
	v_sub_f32_e32 v35, v34, v30
	v_sub_f32_e32 v36, v34, v35
	;; [unrolled: 1-line block ×5, first 2 shown]
	v_add_f32_e32 v30, v33, v30
	v_add_f32_e32 v33, v32, v29
	v_sub_f32_e32 v35, v33, v32
	v_sub_f32_e32 v36, v33, v35
	v_sub_f32_e32 v32, v32, v36
	v_sub_f32_e32 v29, v29, v35
	v_add_f32_e32 v30, v33, v30
	v_add_f32_e32 v29, v29, v32
	;; [unrolled: 1-line block ×3, first 2 shown]
	v_sub_f32_e32 v33, v32, v34
	v_sub_f32_e32 v30, v30, v33
	v_add_f32_e32 v29, v29, v30
	v_add_f32_e32 v29, v32, v29
	v_cmp_neq_f32_e64 s[4:5], s43, v18
	v_cndmask_b32_e64 v29, v31, v29, s[4:5]
	s_mov_b32 s4, 0x33800000
	v_cmp_lt_f32_e64 s[4:5], |v18|, s4
	v_cndmask_b32_e64 v18, v29, v18, s[4:5]
	v_add_f32_e32 v1, v1, v18
	v_cvt_f16_f32_e32 v18, v1
	v_cvt_f32_f16_e32 v32, v18
.LBB420_308:
	s_or_b64 exec, exec, s[40:41]
	v_cvt_f32_f16_e32 v1, v2
	v_max_f32_e32 v29, v32, v32
	v_cmp_u_f16_e64 s[4:5], v18, v18
	v_cmp_u_f16_e64 s[40:41], v2, v2
	v_min_f32_e32 v30, v29, v1
	v_max_f32_e32 v29, v29, v1
	v_cndmask_b32_e64 v30, v30, v32, s[4:5]
	v_cndmask_b32_e64 v29, v29, v32, s[4:5]
	;; [unrolled: 1-line block ×4, first 2 shown]
	v_cmp_neq_f32_e64 s[4:5], v30, v29
	v_cmp_class_f32_e64 s[42:43], v30, s42
	s_or_b64 s[4:5], s[4:5], s[42:43]
	s_and_saveexec_b64 s[42:43], s[4:5]
	s_cbranch_execz .LBB420_310
; %bb.309:
	v_sub_f32_e32 v18, v30, v29
	s_mov_b32 s4, 0x3fb8aa3b
	v_mul_f32_e32 v30, 0x3fb8aa3b, v18
	v_fma_f32 v31, v18, s4, -v30
	v_rndne_f32_e32 v32, v30
	v_fmac_f32_e32 v31, 0x32a5705f, v18
	v_sub_f32_e32 v30, v30, v32
	v_add_f32_e32 v30, v30, v31
	v_exp_f32_e32 v30, v30
	v_cvt_i32_f32_e32 v31, v32
	s_mov_b32 s4, 0xc2ce8ed0
	v_cmp_ngt_f32_e64 s[4:5], s4, v18
	v_mov_b32_e32 v32, 0x7f800000
	v_ldexp_f32 v30, v30, v31
	v_cndmask_b32_e64 v30, 0, v30, s[4:5]
	s_mov_b32 s4, 0x42b17218
	v_cmp_nlt_f32_e64 s[4:5], s4, v18
	v_cndmask_b32_e64 v18, v32, v30, s[4:5]
	v_add_f32_e32 v33, 1.0, v18
	v_cvt_f64_f32_e32 v[30:31], v33
	v_add_f32_e32 v34, -1.0, v33
	v_sub_f32_e32 v35, v34, v33
	v_sub_f32_e32 v34, v18, v34
	v_frexp_exp_i32_f64_e32 v30, v[30:31]
	v_add_f32_e32 v31, 1.0, v35
	v_add_f32_e32 v31, v34, v31
	v_frexp_mant_f32_e32 v34, v33
	s_mov_b32 s4, 0x3f2aaaab
	v_cmp_gt_f32_e64 s[4:5], s4, v34
	s_mov_b32 s44, 0x7f800000
	v_subbrev_co_u32_e64 v30, s[4:5], 0, v30, s[4:5]
	v_sub_u32_e32 v34, 0, v30
	v_ldexp_f32 v33, v33, v34
	v_ldexp_f32 v31, v31, v34
	v_add_f32_e32 v34, -1.0, v33
	v_add_f32_e32 v37, 1.0, v33
	v_add_f32_e32 v35, 1.0, v34
	v_add_f32_e32 v38, -1.0, v37
	v_sub_f32_e32 v35, v33, v35
	v_sub_f32_e32 v33, v33, v38
	v_add_f32_e32 v35, v31, v35
	v_add_f32_e32 v31, v31, v33
	;; [unrolled: 1-line block ×3, first 2 shown]
	v_rcp_f32_e32 v38, v33
	v_add_f32_e32 v36, v34, v35
	v_sub_f32_e32 v34, v34, v36
	v_add_f32_e32 v34, v35, v34
	v_sub_f32_e32 v35, v37, v33
	v_add_f32_e32 v31, v31, v35
	v_mul_f32_e32 v35, v36, v38
	v_mul_f32_e32 v37, v33, v35
	v_fma_f32 v39, v35, v33, -v37
	v_fmac_f32_e32 v39, v35, v31
	v_add_f32_e32 v40, v37, v39
	v_sub_f32_e32 v41, v36, v40
	v_sub_f32_e32 v36, v36, v41
	;; [unrolled: 1-line block ×4, first 2 shown]
	v_add_f32_e32 v34, v34, v36
	v_sub_f32_e32 v36, v37, v39
	v_add_f32_e32 v34, v36, v34
	v_add_f32_e32 v36, v41, v34
	v_mul_f32_e32 v37, v38, v36
	v_mul_f32_e32 v39, v33, v37
	v_fma_f32 v33, v37, v33, -v39
	v_fmac_f32_e32 v33, v37, v31
	v_sub_f32_e32 v31, v41, v36
	v_add_f32_e32 v31, v34, v31
	v_add_f32_e32 v34, v39, v33
	v_sub_f32_e32 v40, v36, v34
	v_sub_f32_e32 v36, v36, v40
	;; [unrolled: 1-line block ×4, first 2 shown]
	v_add_f32_e32 v31, v31, v34
	v_sub_f32_e32 v33, v39, v33
	v_add_f32_e32 v31, v33, v31
	v_add_f32_e32 v33, v35, v37
	;; [unrolled: 1-line block ×3, first 2 shown]
	v_sub_f32_e32 v34, v33, v35
	v_mul_f32_e32 v31, v38, v31
	v_sub_f32_e32 v34, v37, v34
	v_add_f32_e32 v31, v34, v31
	v_cvt_f32_i32_e32 v30, v30
	v_add_f32_e32 v34, v33, v31
	v_mul_f32_e32 v35, v34, v34
	v_mov_b32_e32 v36, 0x3ecc95a3
	v_fmac_f32_e32 v36, 0x3e9b6dac, v35
	v_mov_b32_e32 v37, 0x3f2aaada
	v_fmac_f32_e32 v37, v35, v36
	s_mov_b32 s4, 0x3f317218
	v_mul_f32_e32 v36, 0x3f317218, v30
	v_fma_f32 v38, v30, s4, -v36
	v_fmac_f32_e32 v38, 0xb102e308, v30
	v_sub_f32_e32 v30, v34, v33
	v_sub_f32_e32 v30, v31, v30
	v_add_f32_e32 v31, v36, v38
	v_sub_f32_e32 v33, v31, v36
	v_ldexp_f32 v36, v34, 1
	v_mul_f32_e32 v34, v34, v35
	v_mul_f32_e32 v34, v34, v37
	v_add_f32_e32 v35, v36, v34
	v_sub_f32_e32 v36, v35, v36
	v_ldexp_f32 v30, v30, 1
	v_sub_f32_e32 v34, v34, v36
	v_add_f32_e32 v30, v30, v34
	v_add_f32_e32 v34, v35, v30
	v_sub_f32_e32 v35, v34, v35
	v_sub_f32_e32 v30, v30, v35
	v_add_f32_e32 v35, v31, v34
	v_sub_f32_e32 v36, v35, v31
	v_sub_f32_e32 v37, v35, v36
	;; [unrolled: 1-line block ×5, first 2 shown]
	v_add_f32_e32 v31, v34, v31
	v_add_f32_e32 v34, v33, v30
	v_sub_f32_e32 v36, v34, v33
	v_sub_f32_e32 v37, v34, v36
	;; [unrolled: 1-line block ×4, first 2 shown]
	v_add_f32_e32 v31, v34, v31
	v_add_f32_e32 v30, v30, v33
	;; [unrolled: 1-line block ×3, first 2 shown]
	v_sub_f32_e32 v34, v33, v35
	v_sub_f32_e32 v31, v31, v34
	v_add_f32_e32 v30, v30, v31
	v_add_f32_e32 v30, v33, v30
	v_cmp_neq_f32_e64 s[4:5], s44, v18
	v_cndmask_b32_e64 v30, v32, v30, s[4:5]
	s_mov_b32 s4, 0x33800000
	v_cmp_lt_f32_e64 s[4:5], |v18|, s4
	v_cndmask_b32_e64 v18, v30, v18, s[4:5]
	v_add_f32_e32 v18, v29, v18
	v_cvt_f16_f32_e32 v18, v18
	v_cvt_f32_f16_e32 v32, v18
.LBB420_310:
	s_or_b64 exec, exec, s[42:43]
	v_cvt_f32_f16_sdwa v29, v2 dst_sel:DWORD dst_unused:UNUSED_PAD src0_sel:WORD_1
	v_max_f32_e32 v31, v32, v32
	v_cmp_u_f16_e64 s[4:5], v18, v18
	v_cmp_u_f16_sdwa s[42:43], v2, v2 src0_sel:WORD_1 src1_sel:WORD_1
	v_min_f32_e32 v30, v31, v29
	v_max_f32_e32 v2, v31, v29
	v_cndmask_b32_e64 v30, v30, v32, s[4:5]
	v_cndmask_b32_e64 v2, v2, v32, s[4:5]
	;; [unrolled: 1-line block ×4, first 2 shown]
	s_movk_i32 s46, 0x1f8
	v_cmp_neq_f32_e64 s[4:5], v30, v2
	v_cmp_class_f32_e64 s[44:45], v30, s46
	s_or_b64 s[4:5], s[4:5], s[44:45]
	s_and_saveexec_b64 s[44:45], s[4:5]
	s_cbranch_execz .LBB420_312
; %bb.311:
	v_sub_f32_e32 v18, v30, v2
	s_mov_b32 s4, 0x3fb8aa3b
	v_mul_f32_e32 v30, 0x3fb8aa3b, v18
	v_fma_f32 v31, v18, s4, -v30
	v_rndne_f32_e32 v32, v30
	v_fmac_f32_e32 v31, 0x32a5705f, v18
	v_sub_f32_e32 v30, v30, v32
	v_add_f32_e32 v30, v30, v31
	v_exp_f32_e32 v30, v30
	v_cvt_i32_f32_e32 v31, v32
	s_mov_b32 s4, 0xc2ce8ed0
	v_cmp_ngt_f32_e64 s[4:5], s4, v18
	v_mov_b32_e32 v32, 0x7f800000
	v_ldexp_f32 v30, v30, v31
	v_cndmask_b32_e64 v30, 0, v30, s[4:5]
	s_mov_b32 s4, 0x42b17218
	v_cmp_nlt_f32_e64 s[4:5], s4, v18
	v_cndmask_b32_e64 v18, v32, v30, s[4:5]
	v_add_f32_e32 v33, 1.0, v18
	v_cvt_f64_f32_e32 v[30:31], v33
	v_add_f32_e32 v34, -1.0, v33
	v_sub_f32_e32 v35, v34, v33
	v_sub_f32_e32 v34, v18, v34
	v_frexp_exp_i32_f64_e32 v30, v[30:31]
	v_add_f32_e32 v31, 1.0, v35
	v_add_f32_e32 v31, v34, v31
	v_frexp_mant_f32_e32 v34, v33
	s_mov_b32 s4, 0x3f2aaaab
	v_cmp_gt_f32_e64 s[4:5], s4, v34
	s_mov_b32 s47, 0x7f800000
	v_subbrev_co_u32_e64 v30, s[4:5], 0, v30, s[4:5]
	v_sub_u32_e32 v34, 0, v30
	v_ldexp_f32 v33, v33, v34
	v_ldexp_f32 v31, v31, v34
	v_add_f32_e32 v34, -1.0, v33
	v_add_f32_e32 v37, 1.0, v33
	v_add_f32_e32 v35, 1.0, v34
	v_add_f32_e32 v38, -1.0, v37
	v_sub_f32_e32 v35, v33, v35
	v_sub_f32_e32 v33, v33, v38
	v_add_f32_e32 v35, v31, v35
	v_add_f32_e32 v31, v31, v33
	;; [unrolled: 1-line block ×3, first 2 shown]
	v_rcp_f32_e32 v38, v33
	v_add_f32_e32 v36, v34, v35
	v_sub_f32_e32 v34, v34, v36
	v_add_f32_e32 v34, v35, v34
	v_sub_f32_e32 v35, v37, v33
	v_add_f32_e32 v31, v31, v35
	v_mul_f32_e32 v35, v36, v38
	v_mul_f32_e32 v37, v33, v35
	v_fma_f32 v39, v35, v33, -v37
	v_fmac_f32_e32 v39, v35, v31
	v_add_f32_e32 v40, v37, v39
	v_sub_f32_e32 v41, v36, v40
	v_sub_f32_e32 v36, v36, v41
	v_sub_f32_e32 v37, v40, v37
	v_sub_f32_e32 v36, v36, v40
	v_add_f32_e32 v34, v34, v36
	v_sub_f32_e32 v36, v37, v39
	v_add_f32_e32 v34, v36, v34
	v_add_f32_e32 v36, v41, v34
	v_mul_f32_e32 v37, v38, v36
	v_mul_f32_e32 v39, v33, v37
	v_fma_f32 v33, v37, v33, -v39
	v_fmac_f32_e32 v33, v37, v31
	v_sub_f32_e32 v31, v41, v36
	v_add_f32_e32 v31, v34, v31
	v_add_f32_e32 v34, v39, v33
	v_sub_f32_e32 v40, v36, v34
	v_sub_f32_e32 v36, v36, v40
	;; [unrolled: 1-line block ×4, first 2 shown]
	v_add_f32_e32 v31, v31, v34
	v_sub_f32_e32 v33, v39, v33
	v_add_f32_e32 v31, v33, v31
	v_add_f32_e32 v33, v35, v37
	;; [unrolled: 1-line block ×3, first 2 shown]
	v_sub_f32_e32 v34, v33, v35
	v_mul_f32_e32 v31, v38, v31
	v_sub_f32_e32 v34, v37, v34
	v_add_f32_e32 v31, v34, v31
	v_cvt_f32_i32_e32 v30, v30
	v_add_f32_e32 v34, v33, v31
	v_mul_f32_e32 v35, v34, v34
	v_mov_b32_e32 v36, 0x3ecc95a3
	v_fmac_f32_e32 v36, 0x3e9b6dac, v35
	v_mov_b32_e32 v37, 0x3f2aaada
	v_fmac_f32_e32 v37, v35, v36
	s_mov_b32 s4, 0x3f317218
	v_mul_f32_e32 v36, 0x3f317218, v30
	v_fma_f32 v38, v30, s4, -v36
	v_fmac_f32_e32 v38, 0xb102e308, v30
	v_sub_f32_e32 v30, v34, v33
	v_sub_f32_e32 v30, v31, v30
	v_add_f32_e32 v31, v36, v38
	v_sub_f32_e32 v33, v31, v36
	v_ldexp_f32 v36, v34, 1
	v_mul_f32_e32 v34, v34, v35
	v_mul_f32_e32 v34, v34, v37
	v_add_f32_e32 v35, v36, v34
	v_sub_f32_e32 v36, v35, v36
	v_ldexp_f32 v30, v30, 1
	v_sub_f32_e32 v34, v34, v36
	v_add_f32_e32 v30, v30, v34
	v_add_f32_e32 v34, v35, v30
	v_sub_f32_e32 v35, v34, v35
	v_sub_f32_e32 v30, v30, v35
	v_add_f32_e32 v35, v31, v34
	v_sub_f32_e32 v36, v35, v31
	v_sub_f32_e32 v37, v35, v36
	;; [unrolled: 1-line block ×5, first 2 shown]
	v_add_f32_e32 v31, v34, v31
	v_add_f32_e32 v34, v33, v30
	v_sub_f32_e32 v36, v34, v33
	v_sub_f32_e32 v37, v34, v36
	;; [unrolled: 1-line block ×4, first 2 shown]
	v_add_f32_e32 v31, v34, v31
	v_add_f32_e32 v30, v30, v33
	;; [unrolled: 1-line block ×3, first 2 shown]
	v_sub_f32_e32 v34, v33, v35
	v_sub_f32_e32 v31, v31, v34
	v_add_f32_e32 v30, v30, v31
	v_add_f32_e32 v30, v33, v30
	v_cmp_neq_f32_e64 s[4:5], s47, v18
	v_cndmask_b32_e64 v30, v32, v30, s[4:5]
	s_mov_b32 s4, 0x33800000
	v_cmp_lt_f32_e64 s[4:5], |v18|, s4
	v_cndmask_b32_e64 v18, v30, v18, s[4:5]
	v_add_f32_e32 v2, v2, v18
	v_cvt_f16_f32_e32 v18, v2
	v_cvt_f32_f16_e32 v32, v18
.LBB420_312:
	s_or_b64 exec, exec, s[44:45]
	v_cvt_f32_f16_e32 v2, v3
	v_max_f32_e32 v30, v32, v32
	v_cmp_u_f16_e64 s[4:5], v18, v18
	v_cmp_u_f16_e64 s[44:45], v3, v3
	v_min_f32_e32 v31, v30, v2
	v_max_f32_e32 v30, v30, v2
	v_cndmask_b32_e64 v31, v31, v32, s[4:5]
	v_cndmask_b32_e64 v30, v30, v32, s[4:5]
	;; [unrolled: 1-line block ×4, first 2 shown]
	v_cmp_neq_f32_e64 s[4:5], v31, v30
	v_cmp_class_f32_e64 s[46:47], v31, s46
	s_or_b64 s[4:5], s[4:5], s[46:47]
	s_and_saveexec_b64 s[46:47], s[4:5]
	s_cbranch_execz .LBB420_314
; %bb.313:
	v_sub_f32_e32 v18, v31, v30
	s_mov_b32 s4, 0x3fb8aa3b
	v_mul_f32_e32 v31, 0x3fb8aa3b, v18
	v_fma_f32 v32, v18, s4, -v31
	v_rndne_f32_e32 v33, v31
	v_fmac_f32_e32 v32, 0x32a5705f, v18
	v_sub_f32_e32 v31, v31, v33
	v_add_f32_e32 v31, v31, v32
	v_exp_f32_e32 v31, v31
	v_cvt_i32_f32_e32 v32, v33
	s_mov_b32 s4, 0xc2ce8ed0
	v_cmp_ngt_f32_e64 s[4:5], s4, v18
	v_mov_b32_e32 v33, 0x7f800000
	v_ldexp_f32 v31, v31, v32
	v_cndmask_b32_e64 v31, 0, v31, s[4:5]
	s_mov_b32 s4, 0x42b17218
	v_cmp_nlt_f32_e64 s[4:5], s4, v18
	v_cndmask_b32_e64 v18, v33, v31, s[4:5]
	v_add_f32_e32 v34, 1.0, v18
	v_cvt_f64_f32_e32 v[31:32], v34
	v_add_f32_e32 v35, -1.0, v34
	v_sub_f32_e32 v36, v35, v34
	v_sub_f32_e32 v35, v18, v35
	v_frexp_exp_i32_f64_e32 v31, v[31:32]
	v_add_f32_e32 v32, 1.0, v36
	v_add_f32_e32 v32, v35, v32
	v_frexp_mant_f32_e32 v35, v34
	s_mov_b32 s4, 0x3f2aaaab
	v_cmp_gt_f32_e64 s[4:5], s4, v35
	s_mov_b32 s48, 0x7f800000
	v_subbrev_co_u32_e64 v31, s[4:5], 0, v31, s[4:5]
	v_sub_u32_e32 v35, 0, v31
	v_ldexp_f32 v34, v34, v35
	v_ldexp_f32 v32, v32, v35
	v_add_f32_e32 v35, -1.0, v34
	v_add_f32_e32 v38, 1.0, v34
	v_add_f32_e32 v36, 1.0, v35
	v_add_f32_e32 v39, -1.0, v38
	v_sub_f32_e32 v36, v34, v36
	v_sub_f32_e32 v34, v34, v39
	v_add_f32_e32 v36, v32, v36
	v_add_f32_e32 v32, v32, v34
	;; [unrolled: 1-line block ×3, first 2 shown]
	v_rcp_f32_e32 v39, v34
	v_add_f32_e32 v37, v35, v36
	v_sub_f32_e32 v35, v35, v37
	v_add_f32_e32 v35, v36, v35
	v_sub_f32_e32 v36, v38, v34
	v_add_f32_e32 v32, v32, v36
	v_mul_f32_e32 v36, v37, v39
	v_mul_f32_e32 v38, v34, v36
	v_fma_f32 v40, v36, v34, -v38
	v_fmac_f32_e32 v40, v36, v32
	v_add_f32_e32 v41, v38, v40
	v_sub_f32_e32 v42, v37, v41
	v_sub_f32_e32 v37, v37, v42
	;; [unrolled: 1-line block ×4, first 2 shown]
	v_add_f32_e32 v35, v35, v37
	v_sub_f32_e32 v37, v38, v40
	v_add_f32_e32 v35, v37, v35
	v_add_f32_e32 v37, v42, v35
	v_mul_f32_e32 v38, v39, v37
	v_mul_f32_e32 v40, v34, v38
	v_fma_f32 v34, v38, v34, -v40
	v_fmac_f32_e32 v34, v38, v32
	v_sub_f32_e32 v32, v42, v37
	v_add_f32_e32 v32, v35, v32
	v_add_f32_e32 v35, v40, v34
	v_sub_f32_e32 v41, v37, v35
	v_sub_f32_e32 v37, v37, v41
	;; [unrolled: 1-line block ×4, first 2 shown]
	v_add_f32_e32 v32, v32, v35
	v_sub_f32_e32 v34, v40, v34
	v_add_f32_e32 v32, v34, v32
	v_add_f32_e32 v34, v36, v38
	;; [unrolled: 1-line block ×3, first 2 shown]
	v_sub_f32_e32 v35, v34, v36
	v_mul_f32_e32 v32, v39, v32
	v_sub_f32_e32 v35, v38, v35
	v_add_f32_e32 v32, v35, v32
	v_cvt_f32_i32_e32 v31, v31
	v_add_f32_e32 v35, v34, v32
	v_mul_f32_e32 v36, v35, v35
	v_mov_b32_e32 v37, 0x3ecc95a3
	v_fmac_f32_e32 v37, 0x3e9b6dac, v36
	v_mov_b32_e32 v38, 0x3f2aaada
	v_fmac_f32_e32 v38, v36, v37
	s_mov_b32 s4, 0x3f317218
	v_mul_f32_e32 v37, 0x3f317218, v31
	v_fma_f32 v39, v31, s4, -v37
	v_fmac_f32_e32 v39, 0xb102e308, v31
	v_sub_f32_e32 v31, v35, v34
	v_sub_f32_e32 v31, v32, v31
	v_add_f32_e32 v32, v37, v39
	v_sub_f32_e32 v34, v32, v37
	v_ldexp_f32 v37, v35, 1
	v_mul_f32_e32 v35, v35, v36
	v_mul_f32_e32 v35, v35, v38
	v_add_f32_e32 v36, v37, v35
	v_sub_f32_e32 v37, v36, v37
	v_ldexp_f32 v31, v31, 1
	v_sub_f32_e32 v35, v35, v37
	v_add_f32_e32 v31, v31, v35
	v_add_f32_e32 v35, v36, v31
	v_sub_f32_e32 v36, v35, v36
	v_sub_f32_e32 v31, v31, v36
	v_add_f32_e32 v36, v32, v35
	v_sub_f32_e32 v37, v36, v32
	v_sub_f32_e32 v38, v36, v37
	v_sub_f32_e32 v34, v39, v34
	v_sub_f32_e32 v32, v32, v38
	v_sub_f32_e32 v35, v35, v37
	v_add_f32_e32 v32, v35, v32
	v_add_f32_e32 v35, v34, v31
	v_sub_f32_e32 v37, v35, v34
	v_sub_f32_e32 v38, v35, v37
	;; [unrolled: 1-line block ×4, first 2 shown]
	v_add_f32_e32 v32, v35, v32
	v_add_f32_e32 v31, v31, v34
	;; [unrolled: 1-line block ×3, first 2 shown]
	v_sub_f32_e32 v35, v34, v36
	v_sub_f32_e32 v32, v32, v35
	v_add_f32_e32 v31, v31, v32
	v_add_f32_e32 v31, v34, v31
	v_cmp_neq_f32_e64 s[4:5], s48, v18
	v_cndmask_b32_e64 v31, v33, v31, s[4:5]
	s_mov_b32 s4, 0x33800000
	v_cmp_lt_f32_e64 s[4:5], |v18|, s4
	v_cndmask_b32_e64 v18, v31, v18, s[4:5]
	v_add_f32_e32 v18, v30, v18
	v_cvt_f16_f32_e32 v18, v18
	v_cvt_f32_f16_e32 v32, v18
.LBB420_314:
	s_or_b64 exec, exec, s[46:47]
	v_cvt_f32_f16_sdwa v30, v3 dst_sel:DWORD dst_unused:UNUSED_PAD src0_sel:WORD_1
	v_max_f32_e32 v33, v32, v32
	v_cmp_u_f16_e64 s[4:5], v18, v18
	v_cmp_u_f16_sdwa s[46:47], v3, v3 src0_sel:WORD_1 src1_sel:WORD_1
	v_min_f32_e32 v31, v33, v30
	v_max_f32_e32 v3, v33, v30
	v_cndmask_b32_e64 v31, v31, v32, s[4:5]
	v_cndmask_b32_e64 v3, v3, v32, s[4:5]
	;; [unrolled: 1-line block ×4, first 2 shown]
	s_movk_i32 s50, 0x1f8
	v_cmp_neq_f32_e64 s[4:5], v31, v3
	v_cmp_class_f32_e64 s[48:49], v31, s50
	s_or_b64 s[4:5], s[4:5], s[48:49]
	s_and_saveexec_b64 s[48:49], s[4:5]
	s_cbranch_execz .LBB420_316
; %bb.315:
	v_sub_f32_e32 v18, v31, v3
	s_mov_b32 s4, 0x3fb8aa3b
	v_mul_f32_e32 v31, 0x3fb8aa3b, v18
	v_fma_f32 v32, v18, s4, -v31
	v_rndne_f32_e32 v33, v31
	v_fmac_f32_e32 v32, 0x32a5705f, v18
	v_sub_f32_e32 v31, v31, v33
	v_add_f32_e32 v31, v31, v32
	v_exp_f32_e32 v31, v31
	v_cvt_i32_f32_e32 v32, v33
	s_mov_b32 s4, 0xc2ce8ed0
	v_cmp_ngt_f32_e64 s[4:5], s4, v18
	v_mov_b32_e32 v33, 0x7f800000
	v_ldexp_f32 v31, v31, v32
	v_cndmask_b32_e64 v31, 0, v31, s[4:5]
	s_mov_b32 s4, 0x42b17218
	v_cmp_nlt_f32_e64 s[4:5], s4, v18
	v_cndmask_b32_e64 v18, v33, v31, s[4:5]
	v_add_f32_e32 v34, 1.0, v18
	v_cvt_f64_f32_e32 v[31:32], v34
	v_add_f32_e32 v35, -1.0, v34
	v_sub_f32_e32 v36, v35, v34
	v_sub_f32_e32 v35, v18, v35
	v_frexp_exp_i32_f64_e32 v31, v[31:32]
	v_add_f32_e32 v32, 1.0, v36
	v_add_f32_e32 v32, v35, v32
	v_frexp_mant_f32_e32 v35, v34
	s_mov_b32 s4, 0x3f2aaaab
	v_cmp_gt_f32_e64 s[4:5], s4, v35
	s_mov_b32 s51, 0x7f800000
	v_subbrev_co_u32_e64 v31, s[4:5], 0, v31, s[4:5]
	v_sub_u32_e32 v35, 0, v31
	v_ldexp_f32 v34, v34, v35
	v_ldexp_f32 v32, v32, v35
	v_add_f32_e32 v35, -1.0, v34
	v_add_f32_e32 v38, 1.0, v34
	v_add_f32_e32 v36, 1.0, v35
	v_add_f32_e32 v39, -1.0, v38
	v_sub_f32_e32 v36, v34, v36
	v_sub_f32_e32 v34, v34, v39
	v_add_f32_e32 v36, v32, v36
	v_add_f32_e32 v32, v32, v34
	;; [unrolled: 1-line block ×3, first 2 shown]
	v_rcp_f32_e32 v39, v34
	v_add_f32_e32 v37, v35, v36
	v_sub_f32_e32 v35, v35, v37
	v_add_f32_e32 v35, v36, v35
	v_sub_f32_e32 v36, v38, v34
	v_add_f32_e32 v32, v32, v36
	v_mul_f32_e32 v36, v37, v39
	v_mul_f32_e32 v38, v34, v36
	v_fma_f32 v40, v36, v34, -v38
	v_fmac_f32_e32 v40, v36, v32
	v_add_f32_e32 v41, v38, v40
	v_sub_f32_e32 v42, v37, v41
	v_sub_f32_e32 v37, v37, v42
	;; [unrolled: 1-line block ×4, first 2 shown]
	v_add_f32_e32 v35, v35, v37
	v_sub_f32_e32 v37, v38, v40
	v_add_f32_e32 v35, v37, v35
	v_add_f32_e32 v37, v42, v35
	v_mul_f32_e32 v38, v39, v37
	v_mul_f32_e32 v40, v34, v38
	v_fma_f32 v34, v38, v34, -v40
	v_fmac_f32_e32 v34, v38, v32
	v_sub_f32_e32 v32, v42, v37
	v_add_f32_e32 v32, v35, v32
	v_add_f32_e32 v35, v40, v34
	v_sub_f32_e32 v41, v37, v35
	v_sub_f32_e32 v37, v37, v41
	;; [unrolled: 1-line block ×4, first 2 shown]
	v_add_f32_e32 v32, v32, v35
	v_sub_f32_e32 v34, v40, v34
	v_add_f32_e32 v32, v34, v32
	v_add_f32_e32 v34, v36, v38
	;; [unrolled: 1-line block ×3, first 2 shown]
	v_sub_f32_e32 v35, v34, v36
	v_mul_f32_e32 v32, v39, v32
	v_sub_f32_e32 v35, v38, v35
	v_add_f32_e32 v32, v35, v32
	v_cvt_f32_i32_e32 v31, v31
	v_add_f32_e32 v35, v34, v32
	v_mul_f32_e32 v36, v35, v35
	v_mov_b32_e32 v37, 0x3ecc95a3
	v_fmac_f32_e32 v37, 0x3e9b6dac, v36
	v_mov_b32_e32 v38, 0x3f2aaada
	v_fmac_f32_e32 v38, v36, v37
	s_mov_b32 s4, 0x3f317218
	v_mul_f32_e32 v37, 0x3f317218, v31
	v_fma_f32 v39, v31, s4, -v37
	v_fmac_f32_e32 v39, 0xb102e308, v31
	v_sub_f32_e32 v31, v35, v34
	v_sub_f32_e32 v31, v32, v31
	v_add_f32_e32 v32, v37, v39
	v_sub_f32_e32 v34, v32, v37
	v_ldexp_f32 v37, v35, 1
	v_mul_f32_e32 v35, v35, v36
	v_mul_f32_e32 v35, v35, v38
	v_add_f32_e32 v36, v37, v35
	v_sub_f32_e32 v37, v36, v37
	v_ldexp_f32 v31, v31, 1
	v_sub_f32_e32 v35, v35, v37
	v_add_f32_e32 v31, v31, v35
	v_add_f32_e32 v35, v36, v31
	v_sub_f32_e32 v36, v35, v36
	v_sub_f32_e32 v31, v31, v36
	v_add_f32_e32 v36, v32, v35
	v_sub_f32_e32 v37, v36, v32
	v_sub_f32_e32 v38, v36, v37
	;; [unrolled: 1-line block ×5, first 2 shown]
	v_add_f32_e32 v32, v35, v32
	v_add_f32_e32 v35, v34, v31
	v_sub_f32_e32 v37, v35, v34
	v_sub_f32_e32 v38, v35, v37
	;; [unrolled: 1-line block ×4, first 2 shown]
	v_add_f32_e32 v32, v35, v32
	v_add_f32_e32 v31, v31, v34
	v_add_f32_e32 v34, v36, v32
	v_sub_f32_e32 v35, v34, v36
	v_sub_f32_e32 v32, v32, v35
	v_add_f32_e32 v31, v31, v32
	v_add_f32_e32 v31, v34, v31
	v_cmp_neq_f32_e64 s[4:5], s51, v18
	v_cndmask_b32_e64 v31, v33, v31, s[4:5]
	s_mov_b32 s4, 0x33800000
	v_cmp_lt_f32_e64 s[4:5], |v18|, s4
	v_cndmask_b32_e64 v18, v31, v18, s[4:5]
	v_add_f32_e32 v3, v3, v18
	v_cvt_f16_f32_e32 v18, v3
	v_cvt_f32_f16_e32 v32, v18
.LBB420_316:
	s_or_b64 exec, exec, s[48:49]
	v_cvt_f32_f16_e32 v3, v4
	v_max_f32_e32 v31, v32, v32
	v_cmp_u_f16_e64 s[4:5], v18, v18
	v_cmp_u_f16_e64 s[48:49], v4, v4
	v_min_f32_e32 v33, v31, v3
	v_max_f32_e32 v31, v31, v3
	v_cndmask_b32_e64 v33, v33, v32, s[4:5]
	v_cndmask_b32_e64 v31, v31, v32, s[4:5]
	;; [unrolled: 1-line block ×4, first 2 shown]
	v_cmp_neq_f32_e64 s[4:5], v33, v31
	v_cmp_class_f32_e64 s[50:51], v33, s50
	s_or_b64 s[4:5], s[4:5], s[50:51]
	s_and_saveexec_b64 s[50:51], s[4:5]
	s_cbranch_execz .LBB420_318
; %bb.317:
	v_sub_f32_e32 v18, v33, v31
	s_mov_b32 s4, 0x3fb8aa3b
	v_mul_f32_e32 v32, 0x3fb8aa3b, v18
	v_fma_f32 v33, v18, s4, -v32
	v_rndne_f32_e32 v34, v32
	v_fmac_f32_e32 v33, 0x32a5705f, v18
	v_sub_f32_e32 v32, v32, v34
	v_add_f32_e32 v32, v32, v33
	v_exp_f32_e32 v32, v32
	v_cvt_i32_f32_e32 v33, v34
	s_mov_b32 s4, 0xc2ce8ed0
	v_cmp_ngt_f32_e64 s[4:5], s4, v18
	v_mov_b32_e32 v34, 0x7f800000
	v_ldexp_f32 v32, v32, v33
	v_cndmask_b32_e64 v32, 0, v32, s[4:5]
	s_mov_b32 s4, 0x42b17218
	v_cmp_nlt_f32_e64 s[4:5], s4, v18
	v_cndmask_b32_e64 v18, v34, v32, s[4:5]
	v_add_f32_e32 v35, 1.0, v18
	v_cvt_f64_f32_e32 v[32:33], v35
	v_add_f32_e32 v36, -1.0, v35
	v_sub_f32_e32 v37, v36, v35
	v_sub_f32_e32 v36, v18, v36
	v_frexp_exp_i32_f64_e32 v32, v[32:33]
	v_add_f32_e32 v33, 1.0, v37
	v_add_f32_e32 v33, v36, v33
	v_frexp_mant_f32_e32 v36, v35
	s_mov_b32 s4, 0x3f2aaaab
	v_cmp_gt_f32_e64 s[4:5], s4, v36
	s_mov_b32 s54, 0x7f800000
	v_subbrev_co_u32_e64 v32, s[4:5], 0, v32, s[4:5]
	v_sub_u32_e32 v36, 0, v32
	v_ldexp_f32 v35, v35, v36
	v_ldexp_f32 v33, v33, v36
	v_add_f32_e32 v36, -1.0, v35
	v_add_f32_e32 v39, 1.0, v35
	v_add_f32_e32 v37, 1.0, v36
	v_add_f32_e32 v40, -1.0, v39
	v_sub_f32_e32 v37, v35, v37
	v_sub_f32_e32 v35, v35, v40
	v_add_f32_e32 v37, v33, v37
	v_add_f32_e32 v33, v33, v35
	;; [unrolled: 1-line block ×3, first 2 shown]
	v_rcp_f32_e32 v40, v35
	v_add_f32_e32 v38, v36, v37
	v_sub_f32_e32 v36, v36, v38
	v_add_f32_e32 v36, v37, v36
	v_sub_f32_e32 v37, v39, v35
	v_add_f32_e32 v33, v33, v37
	v_mul_f32_e32 v37, v38, v40
	v_mul_f32_e32 v39, v35, v37
	v_fma_f32 v41, v37, v35, -v39
	v_fmac_f32_e32 v41, v37, v33
	v_add_f32_e32 v42, v39, v41
	v_sub_f32_e32 v43, v38, v42
	v_sub_f32_e32 v38, v38, v43
	;; [unrolled: 1-line block ×4, first 2 shown]
	v_add_f32_e32 v36, v36, v38
	v_sub_f32_e32 v38, v39, v41
	v_add_f32_e32 v36, v38, v36
	v_add_f32_e32 v38, v43, v36
	v_mul_f32_e32 v39, v40, v38
	v_mul_f32_e32 v41, v35, v39
	v_fma_f32 v35, v39, v35, -v41
	v_fmac_f32_e32 v35, v39, v33
	v_sub_f32_e32 v33, v43, v38
	v_add_f32_e32 v33, v36, v33
	v_add_f32_e32 v36, v41, v35
	v_sub_f32_e32 v42, v38, v36
	v_sub_f32_e32 v38, v38, v42
	;; [unrolled: 1-line block ×4, first 2 shown]
	v_add_f32_e32 v33, v33, v36
	v_sub_f32_e32 v35, v41, v35
	v_add_f32_e32 v33, v35, v33
	v_add_f32_e32 v35, v37, v39
	;; [unrolled: 1-line block ×3, first 2 shown]
	v_sub_f32_e32 v36, v35, v37
	v_mul_f32_e32 v33, v40, v33
	v_sub_f32_e32 v36, v39, v36
	v_add_f32_e32 v33, v36, v33
	v_cvt_f32_i32_e32 v32, v32
	v_add_f32_e32 v36, v35, v33
	v_mul_f32_e32 v37, v36, v36
	v_mov_b32_e32 v38, 0x3ecc95a3
	v_fmac_f32_e32 v38, 0x3e9b6dac, v37
	v_mov_b32_e32 v39, 0x3f2aaada
	v_fmac_f32_e32 v39, v37, v38
	s_mov_b32 s4, 0x3f317218
	v_mul_f32_e32 v38, 0x3f317218, v32
	v_fma_f32 v40, v32, s4, -v38
	v_fmac_f32_e32 v40, 0xb102e308, v32
	v_sub_f32_e32 v32, v36, v35
	v_sub_f32_e32 v32, v33, v32
	v_add_f32_e32 v33, v38, v40
	v_sub_f32_e32 v35, v33, v38
	v_ldexp_f32 v38, v36, 1
	v_mul_f32_e32 v36, v36, v37
	v_mul_f32_e32 v36, v36, v39
	v_add_f32_e32 v37, v38, v36
	v_sub_f32_e32 v38, v37, v38
	v_ldexp_f32 v32, v32, 1
	v_sub_f32_e32 v36, v36, v38
	v_add_f32_e32 v32, v32, v36
	v_add_f32_e32 v36, v37, v32
	v_sub_f32_e32 v37, v36, v37
	v_sub_f32_e32 v32, v32, v37
	v_add_f32_e32 v37, v33, v36
	v_sub_f32_e32 v38, v37, v33
	v_sub_f32_e32 v39, v37, v38
	;; [unrolled: 1-line block ×5, first 2 shown]
	v_add_f32_e32 v33, v36, v33
	v_add_f32_e32 v36, v35, v32
	v_sub_f32_e32 v38, v36, v35
	v_sub_f32_e32 v39, v36, v38
	;; [unrolled: 1-line block ×4, first 2 shown]
	v_add_f32_e32 v33, v36, v33
	v_add_f32_e32 v32, v32, v35
	;; [unrolled: 1-line block ×3, first 2 shown]
	v_sub_f32_e32 v36, v35, v37
	v_sub_f32_e32 v33, v33, v36
	v_add_f32_e32 v32, v32, v33
	v_add_f32_e32 v32, v35, v32
	v_cmp_neq_f32_e64 s[4:5], s54, v18
	v_cndmask_b32_e64 v32, v34, v32, s[4:5]
	s_mov_b32 s4, 0x33800000
	v_cmp_lt_f32_e64 s[4:5], |v18|, s4
	v_cndmask_b32_e64 v18, v32, v18, s[4:5]
	v_add_f32_e32 v18, v31, v18
	v_cvt_f16_f32_e32 v18, v18
	v_cvt_f32_f16_e32 v32, v18
.LBB420_318:
	s_or_b64 exec, exec, s[50:51]
	v_cvt_f32_f16_sdwa v31, v4 dst_sel:DWORD dst_unused:UNUSED_PAD src0_sel:WORD_1
	v_max_f32_e32 v34, v32, v32
	v_cmp_u_f16_e64 s[4:5], v18, v18
	v_cmp_u_f16_sdwa s[50:51], v4, v4 src0_sel:WORD_1 src1_sel:WORD_1
	v_min_f32_e32 v33, v34, v31
	v_max_f32_e32 v4, v34, v31
	v_cndmask_b32_e64 v33, v33, v32, s[4:5]
	v_cndmask_b32_e64 v4, v4, v32, s[4:5]
	;; [unrolled: 1-line block ×4, first 2 shown]
	s_movk_i32 s54, 0x1f8
	v_cmp_neq_f32_e64 s[4:5], v33, v4
	v_cmp_class_f32_e64 s[54:55], v33, s54
	s_or_b64 s[4:5], s[4:5], s[54:55]
	s_and_saveexec_b64 s[54:55], s[4:5]
	s_cbranch_execz .LBB420_320
; %bb.319:
	v_sub_f32_e32 v18, v33, v4
	s_mov_b32 s4, 0x3fb8aa3b
	v_mul_f32_e32 v32, 0x3fb8aa3b, v18
	v_fma_f32 v33, v18, s4, -v32
	v_rndne_f32_e32 v34, v32
	v_fmac_f32_e32 v33, 0x32a5705f, v18
	v_sub_f32_e32 v32, v32, v34
	v_add_f32_e32 v32, v32, v33
	v_exp_f32_e32 v32, v32
	v_cvt_i32_f32_e32 v33, v34
	s_mov_b32 s4, 0xc2ce8ed0
	v_cmp_ngt_f32_e64 s[4:5], s4, v18
	v_mov_b32_e32 v34, 0x7f800000
	v_ldexp_f32 v32, v32, v33
	v_cndmask_b32_e64 v32, 0, v32, s[4:5]
	s_mov_b32 s4, 0x42b17218
	v_cmp_nlt_f32_e64 s[4:5], s4, v18
	v_cndmask_b32_e64 v18, v34, v32, s[4:5]
	v_add_f32_e32 v35, 1.0, v18
	v_cvt_f64_f32_e32 v[32:33], v35
	v_add_f32_e32 v36, -1.0, v35
	v_sub_f32_e32 v37, v36, v35
	v_sub_f32_e32 v36, v18, v36
	v_frexp_exp_i32_f64_e32 v32, v[32:33]
	v_add_f32_e32 v33, 1.0, v37
	v_add_f32_e32 v33, v36, v33
	v_frexp_mant_f32_e32 v36, v35
	s_mov_b32 s4, 0x3f2aaaab
	v_cmp_gt_f32_e64 s[4:5], s4, v36
	s_mov_b32 s56, 0x7f800000
	v_subbrev_co_u32_e64 v32, s[4:5], 0, v32, s[4:5]
	v_sub_u32_e32 v36, 0, v32
	v_ldexp_f32 v35, v35, v36
	v_ldexp_f32 v33, v33, v36
	v_add_f32_e32 v36, -1.0, v35
	v_add_f32_e32 v39, 1.0, v35
	v_add_f32_e32 v37, 1.0, v36
	v_add_f32_e32 v40, -1.0, v39
	v_sub_f32_e32 v37, v35, v37
	v_sub_f32_e32 v35, v35, v40
	v_add_f32_e32 v37, v33, v37
	v_add_f32_e32 v33, v33, v35
	v_add_f32_e32 v35, v39, v33
	v_rcp_f32_e32 v40, v35
	v_add_f32_e32 v38, v36, v37
	v_sub_f32_e32 v36, v36, v38
	v_add_f32_e32 v36, v37, v36
	v_sub_f32_e32 v37, v39, v35
	v_add_f32_e32 v33, v33, v37
	v_mul_f32_e32 v37, v38, v40
	v_mul_f32_e32 v39, v35, v37
	v_fma_f32 v41, v37, v35, -v39
	v_fmac_f32_e32 v41, v37, v33
	v_add_f32_e32 v42, v39, v41
	v_sub_f32_e32 v43, v38, v42
	v_sub_f32_e32 v38, v38, v43
	;; [unrolled: 1-line block ×4, first 2 shown]
	v_add_f32_e32 v36, v36, v38
	v_sub_f32_e32 v38, v39, v41
	v_add_f32_e32 v36, v38, v36
	v_add_f32_e32 v38, v43, v36
	v_mul_f32_e32 v39, v40, v38
	v_mul_f32_e32 v41, v35, v39
	v_fma_f32 v35, v39, v35, -v41
	v_fmac_f32_e32 v35, v39, v33
	v_sub_f32_e32 v33, v43, v38
	v_add_f32_e32 v33, v36, v33
	v_add_f32_e32 v36, v41, v35
	v_sub_f32_e32 v42, v38, v36
	v_sub_f32_e32 v38, v38, v42
	;; [unrolled: 1-line block ×4, first 2 shown]
	v_add_f32_e32 v33, v33, v36
	v_sub_f32_e32 v35, v41, v35
	v_add_f32_e32 v33, v35, v33
	v_add_f32_e32 v35, v37, v39
	;; [unrolled: 1-line block ×3, first 2 shown]
	v_sub_f32_e32 v36, v35, v37
	v_mul_f32_e32 v33, v40, v33
	v_sub_f32_e32 v36, v39, v36
	v_add_f32_e32 v33, v36, v33
	v_cvt_f32_i32_e32 v32, v32
	v_add_f32_e32 v36, v35, v33
	v_mul_f32_e32 v37, v36, v36
	v_mov_b32_e32 v38, 0x3ecc95a3
	v_fmac_f32_e32 v38, 0x3e9b6dac, v37
	v_mov_b32_e32 v39, 0x3f2aaada
	v_fmac_f32_e32 v39, v37, v38
	s_mov_b32 s4, 0x3f317218
	v_mul_f32_e32 v38, 0x3f317218, v32
	v_fma_f32 v40, v32, s4, -v38
	v_fmac_f32_e32 v40, 0xb102e308, v32
	v_sub_f32_e32 v32, v36, v35
	v_sub_f32_e32 v32, v33, v32
	v_add_f32_e32 v33, v38, v40
	v_sub_f32_e32 v35, v33, v38
	v_ldexp_f32 v38, v36, 1
	v_mul_f32_e32 v36, v36, v37
	v_mul_f32_e32 v36, v36, v39
	v_add_f32_e32 v37, v38, v36
	v_sub_f32_e32 v38, v37, v38
	v_ldexp_f32 v32, v32, 1
	v_sub_f32_e32 v36, v36, v38
	v_add_f32_e32 v32, v32, v36
	v_add_f32_e32 v36, v37, v32
	v_sub_f32_e32 v37, v36, v37
	v_sub_f32_e32 v32, v32, v37
	v_add_f32_e32 v37, v33, v36
	v_sub_f32_e32 v38, v37, v33
	v_sub_f32_e32 v39, v37, v38
	;; [unrolled: 1-line block ×5, first 2 shown]
	v_add_f32_e32 v33, v36, v33
	v_add_f32_e32 v36, v35, v32
	v_sub_f32_e32 v38, v36, v35
	v_sub_f32_e32 v39, v36, v38
	;; [unrolled: 1-line block ×4, first 2 shown]
	v_add_f32_e32 v33, v36, v33
	v_add_f32_e32 v32, v32, v35
	v_add_f32_e32 v35, v37, v33
	v_sub_f32_e32 v36, v35, v37
	v_sub_f32_e32 v33, v33, v36
	v_add_f32_e32 v32, v32, v33
	v_add_f32_e32 v32, v35, v32
	v_cmp_neq_f32_e64 s[4:5], s56, v18
	v_cndmask_b32_e64 v32, v34, v32, s[4:5]
	s_mov_b32 s4, 0x33800000
	v_cmp_lt_f32_e64 s[4:5], |v18|, s4
	v_cndmask_b32_e64 v18, v32, v18, s[4:5]
	v_add_f32_e32 v4, v4, v18
	v_cvt_f16_f32_e32 v18, v4
.LBB420_320:
	s_or_b64 exec, exec, s[54:55]
	v_lshrrev_b32_e32 v4, 4, v0
	v_and_b32_e32 v4, 14, v4
	v_lshl_add_u32 v4, v0, 1, v4
	v_cmp_gt_u32_e64 s[4:5], 64, v0
	ds_write_b16 v4, v18
	s_waitcnt lgkmcnt(0)
	s_barrier
	s_and_saveexec_b64 s[60:61], s[4:5]
	s_cbranch_execz .LBB420_360
; %bb.321:
	v_lshrrev_b32_e32 v4, 2, v0
	v_and_b32_e32 v4, 62, v4
	v_lshlrev_b32_e32 v32, 3, v0
	v_add_u32_e32 v4, v4, v32
	ds_read_u16 v35, v4
	ds_read_u16 v33, v4 offset:2
	s_movk_i32 s64, 0x1f8
	s_waitcnt lgkmcnt(1)
	v_cvt_f32_f16_e32 v32, v35
	s_waitcnt lgkmcnt(0)
	v_cvt_f32_f16_e32 v34, v33
	v_cmp_u_f16_e64 s[54:55], v35, v35
	v_cmp_u_f16_e64 s[4:5], v33, v33
	v_min_f32_e32 v36, v32, v34
	v_max_f32_e32 v37, v32, v34
	v_cndmask_b32_e64 v36, v36, v32, s[54:55]
	v_cndmask_b32_e64 v37, v37, v32, s[54:55]
	;; [unrolled: 1-line block ×4, first 2 shown]
	v_cmp_neq_f32_e64 s[4:5], v36, v33
	v_cmp_class_f32_e64 s[56:57], v36, s64
	s_or_b64 s[4:5], s[4:5], s[56:57]
	v_mov_b32_e32 v34, v32
	s_and_saveexec_b64 s[56:57], s[4:5]
	s_cbranch_execz .LBB420_323
; %bb.322:
	v_sub_f32_e32 v34, v36, v33
	s_mov_b32 s4, 0x3fb8aa3b
	v_mul_f32_e32 v35, 0x3fb8aa3b, v34
	v_fma_f32 v36, v34, s4, -v35
	v_rndne_f32_e32 v37, v35
	v_fmac_f32_e32 v36, 0x32a5705f, v34
	v_sub_f32_e32 v35, v35, v37
	v_add_f32_e32 v35, v35, v36
	v_exp_f32_e32 v35, v35
	v_cvt_i32_f32_e32 v36, v37
	s_mov_b32 s4, 0xc2ce8ed0
	v_cmp_ngt_f32_e64 s[4:5], s4, v34
	s_mov_b32 s65, 0x7f800000
	v_ldexp_f32 v35, v35, v36
	v_cndmask_b32_e64 v35, 0, v35, s[4:5]
	s_mov_b32 s4, 0x42b17218
	v_mov_b32_e32 v36, 0x7f800000
	v_cmp_nlt_f32_e64 s[4:5], s4, v34
	v_cndmask_b32_e64 v37, v36, v35, s[4:5]
	v_add_f32_e32 v38, 1.0, v37
	v_cvt_f64_f32_e32 v[34:35], v38
	v_add_f32_e32 v39, -1.0, v38
	v_sub_f32_e32 v40, v39, v38
	v_sub_f32_e32 v39, v37, v39
	v_frexp_exp_i32_f64_e32 v34, v[34:35]
	v_add_f32_e32 v35, 1.0, v40
	v_add_f32_e32 v35, v39, v35
	v_frexp_mant_f32_e32 v39, v38
	s_mov_b32 s4, 0x3f2aaaab
	v_cmp_gt_f32_e64 s[4:5], s4, v39
	v_subbrev_co_u32_e64 v34, s[4:5], 0, v34, s[4:5]
	v_sub_u32_e32 v39, 0, v34
	v_ldexp_f32 v38, v38, v39
	v_ldexp_f32 v35, v35, v39
	v_add_f32_e32 v39, -1.0, v38
	v_add_f32_e32 v42, 1.0, v38
	v_add_f32_e32 v40, 1.0, v39
	v_add_f32_e32 v43, -1.0, v42
	v_sub_f32_e32 v40, v38, v40
	v_sub_f32_e32 v38, v38, v43
	v_add_f32_e32 v40, v35, v40
	v_add_f32_e32 v35, v35, v38
	;; [unrolled: 1-line block ×3, first 2 shown]
	v_rcp_f32_e32 v43, v38
	v_add_f32_e32 v41, v39, v40
	v_sub_f32_e32 v39, v39, v41
	v_add_f32_e32 v39, v40, v39
	v_sub_f32_e32 v40, v42, v38
	v_add_f32_e32 v35, v35, v40
	v_mul_f32_e32 v40, v41, v43
	v_mul_f32_e32 v42, v38, v40
	v_fma_f32 v44, v40, v38, -v42
	v_fmac_f32_e32 v44, v40, v35
	v_add_f32_e32 v45, v42, v44
	v_sub_f32_e32 v46, v41, v45
	v_sub_f32_e32 v41, v41, v46
	;; [unrolled: 1-line block ×4, first 2 shown]
	v_add_f32_e32 v39, v39, v41
	v_sub_f32_e32 v41, v42, v44
	v_add_f32_e32 v39, v41, v39
	v_add_f32_e32 v41, v46, v39
	v_mul_f32_e32 v42, v43, v41
	v_mul_f32_e32 v44, v38, v42
	v_fma_f32 v38, v42, v38, -v44
	v_fmac_f32_e32 v38, v42, v35
	v_sub_f32_e32 v35, v46, v41
	v_add_f32_e32 v35, v39, v35
	v_add_f32_e32 v39, v44, v38
	v_sub_f32_e32 v45, v41, v39
	v_sub_f32_e32 v41, v41, v45
	;; [unrolled: 1-line block ×4, first 2 shown]
	v_add_f32_e32 v35, v35, v39
	v_sub_f32_e32 v38, v44, v38
	v_add_f32_e32 v35, v38, v35
	v_add_f32_e32 v38, v40, v42
	;; [unrolled: 1-line block ×3, first 2 shown]
	v_sub_f32_e32 v39, v38, v40
	v_mul_f32_e32 v35, v43, v35
	v_sub_f32_e32 v39, v42, v39
	v_add_f32_e32 v35, v39, v35
	v_cvt_f32_i32_e32 v34, v34
	v_add_f32_e32 v39, v38, v35
	v_mul_f32_e32 v40, v39, v39
	v_mov_b32_e32 v41, 0x3ecc95a3
	v_fmac_f32_e32 v41, 0x3e9b6dac, v40
	v_mov_b32_e32 v42, 0x3f2aaada
	v_fmac_f32_e32 v42, v40, v41
	s_mov_b32 s4, 0x3f317218
	v_mul_f32_e32 v41, 0x3f317218, v34
	v_fma_f32 v43, v34, s4, -v41
	v_fmac_f32_e32 v43, 0xb102e308, v34
	v_sub_f32_e32 v34, v39, v38
	v_sub_f32_e32 v34, v35, v34
	v_add_f32_e32 v35, v41, v43
	v_sub_f32_e32 v38, v35, v41
	v_ldexp_f32 v41, v39, 1
	v_mul_f32_e32 v39, v39, v40
	v_mul_f32_e32 v39, v39, v42
	v_add_f32_e32 v40, v41, v39
	v_sub_f32_e32 v41, v40, v41
	v_ldexp_f32 v34, v34, 1
	v_sub_f32_e32 v39, v39, v41
	v_add_f32_e32 v34, v34, v39
	v_add_f32_e32 v39, v40, v34
	v_sub_f32_e32 v40, v39, v40
	v_sub_f32_e32 v34, v34, v40
	v_add_f32_e32 v40, v35, v39
	v_sub_f32_e32 v41, v40, v35
	v_sub_f32_e32 v42, v40, v41
	;; [unrolled: 1-line block ×5, first 2 shown]
	v_add_f32_e32 v35, v39, v35
	v_add_f32_e32 v39, v38, v34
	v_sub_f32_e32 v41, v39, v38
	v_sub_f32_e32 v42, v39, v41
	;; [unrolled: 1-line block ×4, first 2 shown]
	v_add_f32_e32 v35, v39, v35
	v_add_f32_e32 v34, v34, v38
	;; [unrolled: 1-line block ×3, first 2 shown]
	v_sub_f32_e32 v39, v38, v40
	v_sub_f32_e32 v35, v35, v39
	v_add_f32_e32 v34, v34, v35
	v_add_f32_e32 v34, v38, v34
	v_cmp_neq_f32_e64 s[4:5], s65, v37
	v_cndmask_b32_e64 v34, v36, v34, s[4:5]
	s_mov_b32 s4, 0x33800000
	v_cmp_lt_f32_e64 s[4:5], |v37|, s4
	v_cndmask_b32_e64 v34, v34, v37, s[4:5]
	v_add_f32_e32 v33, v33, v34
	v_cvt_f16_f32_e32 v35, v33
	v_cvt_f32_f16_e32 v34, v35
.LBB420_323:
	s_or_b64 exec, exec, s[56:57]
	ds_read_u16 v33, v4 offset:4
	v_max_f32_e32 v36, v34, v34
	v_cmp_u_f16_e64 s[4:5], v35, v35
	s_waitcnt lgkmcnt(0)
	v_cvt_f32_f16_e32 v37, v33
	v_min_f32_e32 v38, v36, v37
	v_max_f32_e32 v36, v36, v37
	v_cndmask_b32_e64 v38, v38, v34, s[4:5]
	v_cndmask_b32_e64 v39, v36, v34, s[4:5]
	v_cmp_u_f16_e64 s[4:5], v33, v33
	v_cndmask_b32_e64 v36, v38, v37, s[4:5]
	v_cndmask_b32_e64 v33, v39, v37, s[4:5]
	v_cmp_neq_f32_e64 s[4:5], v36, v33
	v_cmp_class_f32_e64 s[56:57], v36, s64
	s_or_b64 s[4:5], s[4:5], s[56:57]
	s_and_saveexec_b64 s[56:57], s[4:5]
	s_cbranch_execz .LBB420_325
; %bb.324:
	v_sub_f32_e32 v34, v36, v33
	s_mov_b32 s4, 0x3fb8aa3b
	v_mul_f32_e32 v35, 0x3fb8aa3b, v34
	v_fma_f32 v36, v34, s4, -v35
	v_rndne_f32_e32 v37, v35
	v_fmac_f32_e32 v36, 0x32a5705f, v34
	v_sub_f32_e32 v35, v35, v37
	v_add_f32_e32 v35, v35, v36
	v_exp_f32_e32 v35, v35
	v_cvt_i32_f32_e32 v36, v37
	s_mov_b32 s4, 0xc2ce8ed0
	v_cmp_ngt_f32_e64 s[4:5], s4, v34
	s_mov_b32 s64, 0x7f800000
	v_ldexp_f32 v35, v35, v36
	v_cndmask_b32_e64 v35, 0, v35, s[4:5]
	s_mov_b32 s4, 0x42b17218
	v_mov_b32_e32 v36, 0x7f800000
	v_cmp_nlt_f32_e64 s[4:5], s4, v34
	v_cndmask_b32_e64 v37, v36, v35, s[4:5]
	v_add_f32_e32 v38, 1.0, v37
	v_cvt_f64_f32_e32 v[34:35], v38
	v_add_f32_e32 v39, -1.0, v38
	v_sub_f32_e32 v40, v39, v38
	v_sub_f32_e32 v39, v37, v39
	v_frexp_exp_i32_f64_e32 v34, v[34:35]
	v_add_f32_e32 v35, 1.0, v40
	v_add_f32_e32 v35, v39, v35
	v_frexp_mant_f32_e32 v39, v38
	s_mov_b32 s4, 0x3f2aaaab
	v_cmp_gt_f32_e64 s[4:5], s4, v39
	v_subbrev_co_u32_e64 v34, s[4:5], 0, v34, s[4:5]
	v_sub_u32_e32 v39, 0, v34
	v_ldexp_f32 v38, v38, v39
	v_ldexp_f32 v35, v35, v39
	v_add_f32_e32 v39, -1.0, v38
	v_add_f32_e32 v42, 1.0, v38
	v_add_f32_e32 v40, 1.0, v39
	v_add_f32_e32 v43, -1.0, v42
	v_sub_f32_e32 v40, v38, v40
	v_sub_f32_e32 v38, v38, v43
	v_add_f32_e32 v40, v35, v40
	v_add_f32_e32 v35, v35, v38
	;; [unrolled: 1-line block ×3, first 2 shown]
	v_rcp_f32_e32 v43, v38
	v_add_f32_e32 v41, v39, v40
	v_sub_f32_e32 v39, v39, v41
	v_add_f32_e32 v39, v40, v39
	v_sub_f32_e32 v40, v42, v38
	v_add_f32_e32 v35, v35, v40
	v_mul_f32_e32 v40, v41, v43
	v_mul_f32_e32 v42, v38, v40
	v_fma_f32 v44, v40, v38, -v42
	v_fmac_f32_e32 v44, v40, v35
	v_add_f32_e32 v45, v42, v44
	v_sub_f32_e32 v46, v41, v45
	v_sub_f32_e32 v41, v41, v46
	;; [unrolled: 1-line block ×4, first 2 shown]
	v_add_f32_e32 v39, v39, v41
	v_sub_f32_e32 v41, v42, v44
	v_add_f32_e32 v39, v41, v39
	v_add_f32_e32 v41, v46, v39
	v_mul_f32_e32 v42, v43, v41
	v_mul_f32_e32 v44, v38, v42
	v_fma_f32 v38, v42, v38, -v44
	v_fmac_f32_e32 v38, v42, v35
	v_sub_f32_e32 v35, v46, v41
	v_add_f32_e32 v35, v39, v35
	v_add_f32_e32 v39, v44, v38
	v_sub_f32_e32 v45, v41, v39
	v_sub_f32_e32 v41, v41, v45
	;; [unrolled: 1-line block ×4, first 2 shown]
	v_add_f32_e32 v35, v35, v39
	v_sub_f32_e32 v38, v44, v38
	v_add_f32_e32 v35, v38, v35
	v_add_f32_e32 v38, v40, v42
	;; [unrolled: 1-line block ×3, first 2 shown]
	v_sub_f32_e32 v39, v38, v40
	v_mul_f32_e32 v35, v43, v35
	v_sub_f32_e32 v39, v42, v39
	v_add_f32_e32 v35, v39, v35
	v_cvt_f32_i32_e32 v34, v34
	v_add_f32_e32 v39, v38, v35
	v_mul_f32_e32 v40, v39, v39
	v_mov_b32_e32 v41, 0x3ecc95a3
	v_fmac_f32_e32 v41, 0x3e9b6dac, v40
	v_mov_b32_e32 v42, 0x3f2aaada
	v_fmac_f32_e32 v42, v40, v41
	s_mov_b32 s4, 0x3f317218
	v_mul_f32_e32 v41, 0x3f317218, v34
	v_fma_f32 v43, v34, s4, -v41
	v_fmac_f32_e32 v43, 0xb102e308, v34
	v_sub_f32_e32 v34, v39, v38
	v_sub_f32_e32 v34, v35, v34
	v_add_f32_e32 v35, v41, v43
	v_sub_f32_e32 v38, v35, v41
	v_ldexp_f32 v41, v39, 1
	v_mul_f32_e32 v39, v39, v40
	v_mul_f32_e32 v39, v39, v42
	v_add_f32_e32 v40, v41, v39
	v_sub_f32_e32 v41, v40, v41
	v_ldexp_f32 v34, v34, 1
	v_sub_f32_e32 v39, v39, v41
	v_add_f32_e32 v34, v34, v39
	v_add_f32_e32 v39, v40, v34
	v_sub_f32_e32 v40, v39, v40
	v_sub_f32_e32 v34, v34, v40
	v_add_f32_e32 v40, v35, v39
	v_sub_f32_e32 v41, v40, v35
	v_sub_f32_e32 v42, v40, v41
	;; [unrolled: 1-line block ×5, first 2 shown]
	v_add_f32_e32 v35, v39, v35
	v_add_f32_e32 v39, v38, v34
	v_sub_f32_e32 v41, v39, v38
	v_sub_f32_e32 v42, v39, v41
	;; [unrolled: 1-line block ×4, first 2 shown]
	v_add_f32_e32 v35, v39, v35
	v_add_f32_e32 v34, v34, v38
	;; [unrolled: 1-line block ×3, first 2 shown]
	v_sub_f32_e32 v39, v38, v40
	v_sub_f32_e32 v35, v35, v39
	v_add_f32_e32 v34, v34, v35
	v_add_f32_e32 v34, v38, v34
	v_cmp_neq_f32_e64 s[4:5], s64, v37
	v_cndmask_b32_e64 v34, v36, v34, s[4:5]
	s_mov_b32 s4, 0x33800000
	v_cmp_lt_f32_e64 s[4:5], |v37|, s4
	v_cndmask_b32_e64 v34, v34, v37, s[4:5]
	v_add_f32_e32 v33, v33, v34
	v_cvt_f16_f32_e32 v35, v33
	v_cvt_f32_f16_e32 v34, v35
.LBB420_325:
	s_or_b64 exec, exec, s[56:57]
	ds_read_u16 v33, v4 offset:6
	v_max_f32_e32 v37, v34, v34
	v_cmp_u_f16_e64 s[4:5], v35, v35
	s_movk_i32 s56, 0x1f8
	s_waitcnt lgkmcnt(0)
	v_cvt_f32_f16_e32 v36, v33
	v_min_f32_e32 v38, v37, v36
	v_max_f32_e32 v37, v37, v36
	v_cndmask_b32_e64 v38, v38, v34, s[4:5]
	v_cndmask_b32_e64 v37, v37, v34, s[4:5]
	v_cmp_u_f16_e64 s[4:5], v33, v33
	v_cndmask_b32_e64 v34, v38, v36, s[4:5]
	v_cndmask_b32_e64 v33, v37, v36, s[4:5]
	v_cmp_neq_f32_e64 s[4:5], v34, v33
	v_cmp_class_f32_e64 s[56:57], v34, s56
	s_or_b64 s[4:5], s[4:5], s[56:57]
	s_and_saveexec_b64 s[56:57], s[4:5]
	s_cbranch_execz .LBB420_327
; %bb.326:
	v_sub_f32_e32 v34, v34, v33
	s_mov_b32 s4, 0x3fb8aa3b
	v_mul_f32_e32 v35, 0x3fb8aa3b, v34
	v_fma_f32 v36, v34, s4, -v35
	v_rndne_f32_e32 v37, v35
	v_fmac_f32_e32 v36, 0x32a5705f, v34
	v_sub_f32_e32 v35, v35, v37
	v_add_f32_e32 v35, v35, v36
	v_exp_f32_e32 v35, v35
	v_cvt_i32_f32_e32 v36, v37
	s_mov_b32 s4, 0xc2ce8ed0
	v_cmp_ngt_f32_e64 s[4:5], s4, v34
	s_mov_b32 s64, 0x7f800000
	v_ldexp_f32 v35, v35, v36
	v_cndmask_b32_e64 v35, 0, v35, s[4:5]
	s_mov_b32 s4, 0x42b17218
	v_mov_b32_e32 v36, 0x7f800000
	v_cmp_nlt_f32_e64 s[4:5], s4, v34
	v_cndmask_b32_e64 v37, v36, v35, s[4:5]
	v_add_f32_e32 v38, 1.0, v37
	v_cvt_f64_f32_e32 v[34:35], v38
	v_add_f32_e32 v39, -1.0, v38
	v_sub_f32_e32 v40, v39, v38
	v_sub_f32_e32 v39, v37, v39
	v_frexp_exp_i32_f64_e32 v34, v[34:35]
	v_add_f32_e32 v35, 1.0, v40
	v_add_f32_e32 v35, v39, v35
	v_frexp_mant_f32_e32 v39, v38
	s_mov_b32 s4, 0x3f2aaaab
	v_cmp_gt_f32_e64 s[4:5], s4, v39
	v_subbrev_co_u32_e64 v34, s[4:5], 0, v34, s[4:5]
	v_sub_u32_e32 v39, 0, v34
	v_ldexp_f32 v38, v38, v39
	v_ldexp_f32 v35, v35, v39
	v_add_f32_e32 v39, -1.0, v38
	v_add_f32_e32 v42, 1.0, v38
	v_add_f32_e32 v40, 1.0, v39
	v_add_f32_e32 v43, -1.0, v42
	v_sub_f32_e32 v40, v38, v40
	v_sub_f32_e32 v38, v38, v43
	v_add_f32_e32 v40, v35, v40
	v_add_f32_e32 v35, v35, v38
	;; [unrolled: 1-line block ×3, first 2 shown]
	v_rcp_f32_e32 v43, v38
	v_add_f32_e32 v41, v39, v40
	v_sub_f32_e32 v39, v39, v41
	v_add_f32_e32 v39, v40, v39
	v_sub_f32_e32 v40, v42, v38
	v_add_f32_e32 v35, v35, v40
	v_mul_f32_e32 v40, v41, v43
	v_mul_f32_e32 v42, v38, v40
	v_fma_f32 v44, v40, v38, -v42
	v_fmac_f32_e32 v44, v40, v35
	v_add_f32_e32 v45, v42, v44
	v_sub_f32_e32 v46, v41, v45
	v_sub_f32_e32 v41, v41, v46
	;; [unrolled: 1-line block ×4, first 2 shown]
	v_add_f32_e32 v39, v39, v41
	v_sub_f32_e32 v41, v42, v44
	v_add_f32_e32 v39, v41, v39
	v_add_f32_e32 v41, v46, v39
	v_mul_f32_e32 v42, v43, v41
	v_mul_f32_e32 v44, v38, v42
	v_fma_f32 v38, v42, v38, -v44
	v_fmac_f32_e32 v38, v42, v35
	v_sub_f32_e32 v35, v46, v41
	v_add_f32_e32 v35, v39, v35
	v_add_f32_e32 v39, v44, v38
	v_sub_f32_e32 v45, v41, v39
	v_sub_f32_e32 v41, v41, v45
	;; [unrolled: 1-line block ×4, first 2 shown]
	v_add_f32_e32 v35, v35, v39
	v_sub_f32_e32 v38, v44, v38
	v_add_f32_e32 v35, v38, v35
	v_add_f32_e32 v38, v40, v42
	;; [unrolled: 1-line block ×3, first 2 shown]
	v_sub_f32_e32 v39, v38, v40
	v_mul_f32_e32 v35, v43, v35
	v_sub_f32_e32 v39, v42, v39
	v_add_f32_e32 v35, v39, v35
	v_cvt_f32_i32_e32 v34, v34
	v_add_f32_e32 v39, v38, v35
	v_mul_f32_e32 v40, v39, v39
	v_mov_b32_e32 v41, 0x3ecc95a3
	v_fmac_f32_e32 v41, 0x3e9b6dac, v40
	v_mov_b32_e32 v42, 0x3f2aaada
	v_fmac_f32_e32 v42, v40, v41
	s_mov_b32 s4, 0x3f317218
	v_mul_f32_e32 v41, 0x3f317218, v34
	v_fma_f32 v43, v34, s4, -v41
	v_fmac_f32_e32 v43, 0xb102e308, v34
	v_sub_f32_e32 v34, v39, v38
	v_sub_f32_e32 v34, v35, v34
	v_add_f32_e32 v35, v41, v43
	v_sub_f32_e32 v38, v35, v41
	v_ldexp_f32 v41, v39, 1
	v_mul_f32_e32 v39, v39, v40
	v_mul_f32_e32 v39, v39, v42
	v_add_f32_e32 v40, v41, v39
	v_sub_f32_e32 v41, v40, v41
	v_ldexp_f32 v34, v34, 1
	v_sub_f32_e32 v39, v39, v41
	v_add_f32_e32 v34, v34, v39
	v_add_f32_e32 v39, v40, v34
	v_sub_f32_e32 v40, v39, v40
	v_sub_f32_e32 v34, v34, v40
	v_add_f32_e32 v40, v35, v39
	v_sub_f32_e32 v41, v40, v35
	v_sub_f32_e32 v42, v40, v41
	;; [unrolled: 1-line block ×5, first 2 shown]
	v_add_f32_e32 v35, v39, v35
	v_add_f32_e32 v39, v38, v34
	v_sub_f32_e32 v41, v39, v38
	v_sub_f32_e32 v42, v39, v41
	;; [unrolled: 1-line block ×4, first 2 shown]
	v_add_f32_e32 v35, v39, v35
	v_add_f32_e32 v34, v34, v38
	;; [unrolled: 1-line block ×3, first 2 shown]
	v_sub_f32_e32 v39, v38, v40
	v_sub_f32_e32 v35, v35, v39
	v_add_f32_e32 v34, v34, v35
	v_add_f32_e32 v34, v38, v34
	v_cmp_neq_f32_e64 s[4:5], s64, v37
	v_cndmask_b32_e64 v34, v36, v34, s[4:5]
	s_mov_b32 s4, 0x33800000
	v_cmp_lt_f32_e64 s[4:5], |v37|, s4
	v_cndmask_b32_e64 v34, v34, v37, s[4:5]
	v_add_f32_e32 v33, v33, v34
	v_cvt_f16_f32_e32 v35, v33
.LBB420_327:
	s_or_b64 exec, exec, s[56:57]
	v_mbcnt_lo_u32_b32 v33, -1, 0
	v_mbcnt_hi_u32_b32 v33, -1, v33
	v_and_b32_e32 v34, 15, v33
	v_and_b32_e32 v36, 0xffff, v35
	v_cmp_ne_u32_e64 s[4:5], 0, v34
	s_nop 0
	v_mov_b32_dpp v37, v36 row_shr:1 row_mask:0xf bank_mask:0xf
	s_and_saveexec_b64 s[56:57], s[4:5]
	s_xor_b64 s[64:65], exec, s[56:57]
	s_cbranch_execz .LBB420_331
; %bb.328:
	v_cvt_f32_f16_e32 v38, v37
	v_cvt_f32_f16_e32 v39, v35
	v_cmp_u_f16_e64 s[4:5], v37, v37
	v_cmp_u_f16_e64 s[56:57], v35, v35
	v_min_f32_e32 v36, v38, v39
	v_max_f32_e32 v35, v38, v39
	v_cndmask_b32_e64 v36, v36, v38, s[4:5]
	v_cndmask_b32_e64 v35, v35, v38, s[4:5]
	v_cndmask_b32_e64 v36, v36, v39, s[56:57]
	v_cndmask_b32_e64 v35, v35, v39, s[56:57]
	s_movk_i32 s56, 0x1f8
	v_cmp_neq_f32_e64 s[4:5], v36, v35
	v_cmp_class_f32_e64 s[56:57], v36, s56
	s_or_b64 s[4:5], s[4:5], s[56:57]
	s_and_saveexec_b64 s[56:57], s[4:5]
	s_cbranch_execz .LBB420_330
; %bb.329:
	v_sub_f32_e32 v36, v36, v35
	s_mov_b32 s4, 0x3fb8aa3b
	v_mul_f32_e32 v37, 0x3fb8aa3b, v36
	v_fma_f32 v38, v36, s4, -v37
	v_rndne_f32_e32 v39, v37
	v_fmac_f32_e32 v38, 0x32a5705f, v36
	v_sub_f32_e32 v37, v37, v39
	v_add_f32_e32 v37, v37, v38
	v_exp_f32_e32 v37, v37
	v_cvt_i32_f32_e32 v38, v39
	s_mov_b32 s4, 0xc2ce8ed0
	v_cmp_ngt_f32_e64 s[4:5], s4, v36
	s_mov_b32 s68, 0x7f800000
	v_ldexp_f32 v37, v37, v38
	v_cndmask_b32_e64 v37, 0, v37, s[4:5]
	s_mov_b32 s4, 0x42b17218
	v_mov_b32_e32 v38, 0x7f800000
	v_cmp_nlt_f32_e64 s[4:5], s4, v36
	v_cndmask_b32_e64 v39, v38, v37, s[4:5]
	v_add_f32_e32 v40, 1.0, v39
	v_cvt_f64_f32_e32 v[36:37], v40
	v_add_f32_e32 v41, -1.0, v40
	v_sub_f32_e32 v42, v41, v40
	v_sub_f32_e32 v41, v39, v41
	v_frexp_exp_i32_f64_e32 v36, v[36:37]
	v_add_f32_e32 v37, 1.0, v42
	v_add_f32_e32 v37, v41, v37
	v_frexp_mant_f32_e32 v41, v40
	s_mov_b32 s4, 0x3f2aaaab
	v_cmp_gt_f32_e64 s[4:5], s4, v41
	v_subbrev_co_u32_e64 v36, s[4:5], 0, v36, s[4:5]
	v_sub_u32_e32 v41, 0, v36
	v_ldexp_f32 v40, v40, v41
	v_ldexp_f32 v37, v37, v41
	v_add_f32_e32 v41, -1.0, v40
	v_add_f32_e32 v44, 1.0, v40
	v_add_f32_e32 v42, 1.0, v41
	v_add_f32_e32 v45, -1.0, v44
	v_sub_f32_e32 v42, v40, v42
	v_sub_f32_e32 v40, v40, v45
	v_add_f32_e32 v42, v37, v42
	v_add_f32_e32 v37, v37, v40
	;; [unrolled: 1-line block ×3, first 2 shown]
	v_rcp_f32_e32 v45, v40
	v_add_f32_e32 v43, v41, v42
	v_sub_f32_e32 v41, v41, v43
	v_add_f32_e32 v41, v42, v41
	v_sub_f32_e32 v42, v44, v40
	v_add_f32_e32 v37, v37, v42
	v_mul_f32_e32 v42, v43, v45
	v_mul_f32_e32 v44, v40, v42
	v_fma_f32 v46, v42, v40, -v44
	v_fmac_f32_e32 v46, v42, v37
	v_add_f32_e32 v47, v44, v46
	v_sub_f32_e32 v48, v43, v47
	v_sub_f32_e32 v43, v43, v48
	;; [unrolled: 1-line block ×4, first 2 shown]
	v_add_f32_e32 v41, v41, v43
	v_sub_f32_e32 v43, v44, v46
	v_add_f32_e32 v41, v43, v41
	v_add_f32_e32 v43, v48, v41
	v_mul_f32_e32 v44, v45, v43
	v_mul_f32_e32 v46, v40, v44
	v_fma_f32 v40, v44, v40, -v46
	v_fmac_f32_e32 v40, v44, v37
	v_sub_f32_e32 v37, v48, v43
	v_add_f32_e32 v37, v41, v37
	v_add_f32_e32 v41, v46, v40
	v_sub_f32_e32 v47, v43, v41
	v_sub_f32_e32 v43, v43, v47
	;; [unrolled: 1-line block ×4, first 2 shown]
	v_add_f32_e32 v37, v37, v41
	v_sub_f32_e32 v40, v46, v40
	v_add_f32_e32 v37, v40, v37
	v_add_f32_e32 v40, v42, v44
	;; [unrolled: 1-line block ×3, first 2 shown]
	v_sub_f32_e32 v41, v40, v42
	v_mul_f32_e32 v37, v45, v37
	v_sub_f32_e32 v41, v44, v41
	v_add_f32_e32 v37, v41, v37
	v_cvt_f32_i32_e32 v36, v36
	v_add_f32_e32 v41, v40, v37
	v_mul_f32_e32 v42, v41, v41
	v_mov_b32_e32 v43, 0x3ecc95a3
	v_fmac_f32_e32 v43, 0x3e9b6dac, v42
	v_mov_b32_e32 v44, 0x3f2aaada
	v_fmac_f32_e32 v44, v42, v43
	s_mov_b32 s4, 0x3f317218
	v_mul_f32_e32 v43, 0x3f317218, v36
	v_fma_f32 v45, v36, s4, -v43
	v_fmac_f32_e32 v45, 0xb102e308, v36
	v_sub_f32_e32 v36, v41, v40
	v_sub_f32_e32 v36, v37, v36
	v_add_f32_e32 v37, v43, v45
	v_sub_f32_e32 v40, v37, v43
	v_ldexp_f32 v43, v41, 1
	v_mul_f32_e32 v41, v41, v42
	v_mul_f32_e32 v41, v41, v44
	v_add_f32_e32 v42, v43, v41
	v_sub_f32_e32 v43, v42, v43
	v_ldexp_f32 v36, v36, 1
	v_sub_f32_e32 v41, v41, v43
	v_add_f32_e32 v36, v36, v41
	v_add_f32_e32 v41, v42, v36
	v_sub_f32_e32 v42, v41, v42
	v_sub_f32_e32 v36, v36, v42
	v_add_f32_e32 v42, v37, v41
	v_sub_f32_e32 v43, v42, v37
	v_sub_f32_e32 v44, v42, v43
	;; [unrolled: 1-line block ×5, first 2 shown]
	v_add_f32_e32 v37, v41, v37
	v_add_f32_e32 v41, v40, v36
	v_sub_f32_e32 v43, v41, v40
	v_sub_f32_e32 v44, v41, v43
	;; [unrolled: 1-line block ×4, first 2 shown]
	v_add_f32_e32 v37, v41, v37
	v_add_f32_e32 v36, v36, v40
	;; [unrolled: 1-line block ×3, first 2 shown]
	v_sub_f32_e32 v41, v40, v42
	v_sub_f32_e32 v37, v37, v41
	v_add_f32_e32 v36, v36, v37
	v_add_f32_e32 v36, v40, v36
	v_cmp_neq_f32_e64 s[4:5], s68, v39
	v_cndmask_b32_e64 v36, v38, v36, s[4:5]
	s_mov_b32 s4, 0x33800000
	v_cmp_lt_f32_e64 s[4:5], |v39|, s4
	v_cndmask_b32_e64 v36, v36, v39, s[4:5]
	v_add_f32_e32 v35, v35, v36
	v_cvt_f16_f32_e32 v37, v35
.LBB420_330:
	s_or_b64 exec, exec, s[56:57]
	v_and_b32_e32 v36, 0xffff, v37
	v_mov_b32_e32 v35, v37
.LBB420_331:
	s_or_b64 exec, exec, s[64:65]
	v_mov_b32_dpp v37, v36 row_shr:2 row_mask:0xf bank_mask:0xf
	v_cmp_lt_u32_e64 s[4:5], 1, v34
	s_and_saveexec_b64 s[64:65], s[4:5]
	s_cbranch_execz .LBB420_335
; %bb.332:
	v_cvt_f32_f16_e32 v38, v37
	v_cvt_f32_f16_e32 v39, v35
	v_cmp_u_f16_e64 s[4:5], v37, v37
	v_cmp_u_f16_e64 s[56:57], v35, v35
	v_min_f32_e32 v36, v38, v39
	v_max_f32_e32 v35, v38, v39
	v_cndmask_b32_e64 v36, v36, v38, s[4:5]
	v_cndmask_b32_e64 v35, v35, v38, s[4:5]
	;; [unrolled: 1-line block ×4, first 2 shown]
	s_movk_i32 s56, 0x1f8
	v_cmp_neq_f32_e64 s[4:5], v36, v35
	v_cmp_class_f32_e64 s[56:57], v36, s56
	s_or_b64 s[4:5], s[4:5], s[56:57]
	s_and_saveexec_b64 s[56:57], s[4:5]
	s_cbranch_execz .LBB420_334
; %bb.333:
	v_sub_f32_e32 v36, v36, v35
	s_mov_b32 s4, 0x3fb8aa3b
	v_mul_f32_e32 v37, 0x3fb8aa3b, v36
	v_fma_f32 v38, v36, s4, -v37
	v_rndne_f32_e32 v39, v37
	v_fmac_f32_e32 v38, 0x32a5705f, v36
	v_sub_f32_e32 v37, v37, v39
	v_add_f32_e32 v37, v37, v38
	v_exp_f32_e32 v37, v37
	v_cvt_i32_f32_e32 v38, v39
	s_mov_b32 s4, 0xc2ce8ed0
	v_cmp_ngt_f32_e64 s[4:5], s4, v36
	s_mov_b32 s68, 0x7f800000
	v_ldexp_f32 v37, v37, v38
	v_cndmask_b32_e64 v37, 0, v37, s[4:5]
	s_mov_b32 s4, 0x42b17218
	v_mov_b32_e32 v38, 0x7f800000
	v_cmp_nlt_f32_e64 s[4:5], s4, v36
	v_cndmask_b32_e64 v39, v38, v37, s[4:5]
	v_add_f32_e32 v40, 1.0, v39
	v_cvt_f64_f32_e32 v[36:37], v40
	v_add_f32_e32 v41, -1.0, v40
	v_sub_f32_e32 v42, v41, v40
	v_sub_f32_e32 v41, v39, v41
	v_frexp_exp_i32_f64_e32 v36, v[36:37]
	v_add_f32_e32 v37, 1.0, v42
	v_add_f32_e32 v37, v41, v37
	v_frexp_mant_f32_e32 v41, v40
	s_mov_b32 s4, 0x3f2aaaab
	v_cmp_gt_f32_e64 s[4:5], s4, v41
	v_subbrev_co_u32_e64 v36, s[4:5], 0, v36, s[4:5]
	v_sub_u32_e32 v41, 0, v36
	v_ldexp_f32 v40, v40, v41
	v_ldexp_f32 v37, v37, v41
	v_add_f32_e32 v41, -1.0, v40
	v_add_f32_e32 v44, 1.0, v40
	v_add_f32_e32 v42, 1.0, v41
	v_add_f32_e32 v45, -1.0, v44
	v_sub_f32_e32 v42, v40, v42
	v_sub_f32_e32 v40, v40, v45
	v_add_f32_e32 v42, v37, v42
	v_add_f32_e32 v37, v37, v40
	;; [unrolled: 1-line block ×3, first 2 shown]
	v_rcp_f32_e32 v45, v40
	v_add_f32_e32 v43, v41, v42
	v_sub_f32_e32 v41, v41, v43
	v_add_f32_e32 v41, v42, v41
	v_sub_f32_e32 v42, v44, v40
	v_add_f32_e32 v37, v37, v42
	v_mul_f32_e32 v42, v43, v45
	v_mul_f32_e32 v44, v40, v42
	v_fma_f32 v46, v42, v40, -v44
	v_fmac_f32_e32 v46, v42, v37
	v_add_f32_e32 v47, v44, v46
	v_sub_f32_e32 v48, v43, v47
	v_sub_f32_e32 v43, v43, v48
	;; [unrolled: 1-line block ×4, first 2 shown]
	v_add_f32_e32 v41, v41, v43
	v_sub_f32_e32 v43, v44, v46
	v_add_f32_e32 v41, v43, v41
	v_add_f32_e32 v43, v48, v41
	v_mul_f32_e32 v44, v45, v43
	v_mul_f32_e32 v46, v40, v44
	v_fma_f32 v40, v44, v40, -v46
	v_fmac_f32_e32 v40, v44, v37
	v_sub_f32_e32 v37, v48, v43
	v_add_f32_e32 v37, v41, v37
	v_add_f32_e32 v41, v46, v40
	v_sub_f32_e32 v47, v43, v41
	v_sub_f32_e32 v43, v43, v47
	;; [unrolled: 1-line block ×4, first 2 shown]
	v_add_f32_e32 v37, v37, v41
	v_sub_f32_e32 v40, v46, v40
	v_add_f32_e32 v37, v40, v37
	v_add_f32_e32 v40, v42, v44
	;; [unrolled: 1-line block ×3, first 2 shown]
	v_sub_f32_e32 v41, v40, v42
	v_mul_f32_e32 v37, v45, v37
	v_sub_f32_e32 v41, v44, v41
	v_add_f32_e32 v37, v41, v37
	v_cvt_f32_i32_e32 v36, v36
	v_add_f32_e32 v41, v40, v37
	v_mul_f32_e32 v42, v41, v41
	v_mov_b32_e32 v43, 0x3ecc95a3
	v_fmac_f32_e32 v43, 0x3e9b6dac, v42
	v_mov_b32_e32 v44, 0x3f2aaada
	v_fmac_f32_e32 v44, v42, v43
	s_mov_b32 s4, 0x3f317218
	v_mul_f32_e32 v43, 0x3f317218, v36
	v_fma_f32 v45, v36, s4, -v43
	v_fmac_f32_e32 v45, 0xb102e308, v36
	v_sub_f32_e32 v36, v41, v40
	v_sub_f32_e32 v36, v37, v36
	v_add_f32_e32 v37, v43, v45
	v_sub_f32_e32 v40, v37, v43
	v_ldexp_f32 v43, v41, 1
	v_mul_f32_e32 v41, v41, v42
	v_mul_f32_e32 v41, v41, v44
	v_add_f32_e32 v42, v43, v41
	v_sub_f32_e32 v43, v42, v43
	v_ldexp_f32 v36, v36, 1
	v_sub_f32_e32 v41, v41, v43
	v_add_f32_e32 v36, v36, v41
	v_add_f32_e32 v41, v42, v36
	v_sub_f32_e32 v42, v41, v42
	v_sub_f32_e32 v36, v36, v42
	v_add_f32_e32 v42, v37, v41
	v_sub_f32_e32 v43, v42, v37
	v_sub_f32_e32 v44, v42, v43
	v_sub_f32_e32 v40, v45, v40
	v_sub_f32_e32 v37, v37, v44
	v_sub_f32_e32 v41, v41, v43
	v_add_f32_e32 v37, v41, v37
	v_add_f32_e32 v41, v40, v36
	v_sub_f32_e32 v43, v41, v40
	v_sub_f32_e32 v44, v41, v43
	;; [unrolled: 1-line block ×4, first 2 shown]
	v_add_f32_e32 v37, v41, v37
	v_add_f32_e32 v36, v36, v40
	;; [unrolled: 1-line block ×3, first 2 shown]
	v_sub_f32_e32 v41, v40, v42
	v_sub_f32_e32 v37, v37, v41
	v_add_f32_e32 v36, v36, v37
	v_add_f32_e32 v36, v40, v36
	v_cmp_neq_f32_e64 s[4:5], s68, v39
	v_cndmask_b32_e64 v36, v38, v36, s[4:5]
	s_mov_b32 s4, 0x33800000
	v_cmp_lt_f32_e64 s[4:5], |v39|, s4
	v_cndmask_b32_e64 v36, v36, v39, s[4:5]
	v_add_f32_e32 v35, v35, v36
	v_cvt_f16_f32_e32 v37, v35
.LBB420_334:
	s_or_b64 exec, exec, s[56:57]
	v_and_b32_e32 v36, 0xffff, v37
	v_mov_b32_e32 v35, v37
.LBB420_335:
	s_or_b64 exec, exec, s[64:65]
	v_mov_b32_dpp v37, v36 row_shr:4 row_mask:0xf bank_mask:0xf
	v_cmp_lt_u32_e64 s[4:5], 3, v34
	s_and_saveexec_b64 s[64:65], s[4:5]
	s_cbranch_execz .LBB420_339
; %bb.336:
	v_cvt_f32_f16_e32 v38, v37
	v_cvt_f32_f16_e32 v39, v35
	v_cmp_u_f16_e64 s[4:5], v37, v37
	v_cmp_u_f16_e64 s[56:57], v35, v35
	v_min_f32_e32 v36, v38, v39
	v_max_f32_e32 v35, v38, v39
	v_cndmask_b32_e64 v36, v36, v38, s[4:5]
	v_cndmask_b32_e64 v35, v35, v38, s[4:5]
	;; [unrolled: 1-line block ×4, first 2 shown]
	s_movk_i32 s56, 0x1f8
	v_cmp_neq_f32_e64 s[4:5], v36, v35
	v_cmp_class_f32_e64 s[56:57], v36, s56
	s_or_b64 s[4:5], s[4:5], s[56:57]
	s_and_saveexec_b64 s[56:57], s[4:5]
	s_cbranch_execz .LBB420_338
; %bb.337:
	v_sub_f32_e32 v36, v36, v35
	s_mov_b32 s4, 0x3fb8aa3b
	v_mul_f32_e32 v37, 0x3fb8aa3b, v36
	v_fma_f32 v38, v36, s4, -v37
	v_rndne_f32_e32 v39, v37
	v_fmac_f32_e32 v38, 0x32a5705f, v36
	v_sub_f32_e32 v37, v37, v39
	v_add_f32_e32 v37, v37, v38
	v_exp_f32_e32 v37, v37
	v_cvt_i32_f32_e32 v38, v39
	s_mov_b32 s4, 0xc2ce8ed0
	v_cmp_ngt_f32_e64 s[4:5], s4, v36
	s_mov_b32 s68, 0x7f800000
	v_ldexp_f32 v37, v37, v38
	v_cndmask_b32_e64 v37, 0, v37, s[4:5]
	s_mov_b32 s4, 0x42b17218
	v_mov_b32_e32 v38, 0x7f800000
	v_cmp_nlt_f32_e64 s[4:5], s4, v36
	v_cndmask_b32_e64 v39, v38, v37, s[4:5]
	v_add_f32_e32 v40, 1.0, v39
	v_cvt_f64_f32_e32 v[36:37], v40
	v_add_f32_e32 v41, -1.0, v40
	v_sub_f32_e32 v42, v41, v40
	v_sub_f32_e32 v41, v39, v41
	v_frexp_exp_i32_f64_e32 v36, v[36:37]
	v_add_f32_e32 v37, 1.0, v42
	v_add_f32_e32 v37, v41, v37
	v_frexp_mant_f32_e32 v41, v40
	s_mov_b32 s4, 0x3f2aaaab
	v_cmp_gt_f32_e64 s[4:5], s4, v41
	v_subbrev_co_u32_e64 v36, s[4:5], 0, v36, s[4:5]
	v_sub_u32_e32 v41, 0, v36
	v_ldexp_f32 v40, v40, v41
	v_ldexp_f32 v37, v37, v41
	v_add_f32_e32 v41, -1.0, v40
	v_add_f32_e32 v44, 1.0, v40
	v_add_f32_e32 v42, 1.0, v41
	v_add_f32_e32 v45, -1.0, v44
	v_sub_f32_e32 v42, v40, v42
	v_sub_f32_e32 v40, v40, v45
	v_add_f32_e32 v42, v37, v42
	v_add_f32_e32 v37, v37, v40
	;; [unrolled: 1-line block ×3, first 2 shown]
	v_rcp_f32_e32 v45, v40
	v_add_f32_e32 v43, v41, v42
	v_sub_f32_e32 v41, v41, v43
	v_add_f32_e32 v41, v42, v41
	v_sub_f32_e32 v42, v44, v40
	v_add_f32_e32 v37, v37, v42
	v_mul_f32_e32 v42, v43, v45
	v_mul_f32_e32 v44, v40, v42
	v_fma_f32 v46, v42, v40, -v44
	v_fmac_f32_e32 v46, v42, v37
	v_add_f32_e32 v47, v44, v46
	v_sub_f32_e32 v48, v43, v47
	v_sub_f32_e32 v43, v43, v48
	;; [unrolled: 1-line block ×4, first 2 shown]
	v_add_f32_e32 v41, v41, v43
	v_sub_f32_e32 v43, v44, v46
	v_add_f32_e32 v41, v43, v41
	v_add_f32_e32 v43, v48, v41
	v_mul_f32_e32 v44, v45, v43
	v_mul_f32_e32 v46, v40, v44
	v_fma_f32 v40, v44, v40, -v46
	v_fmac_f32_e32 v40, v44, v37
	v_sub_f32_e32 v37, v48, v43
	v_add_f32_e32 v37, v41, v37
	v_add_f32_e32 v41, v46, v40
	v_sub_f32_e32 v47, v43, v41
	v_sub_f32_e32 v43, v43, v47
	;; [unrolled: 1-line block ×4, first 2 shown]
	v_add_f32_e32 v37, v37, v41
	v_sub_f32_e32 v40, v46, v40
	v_add_f32_e32 v37, v40, v37
	v_add_f32_e32 v40, v42, v44
	;; [unrolled: 1-line block ×3, first 2 shown]
	v_sub_f32_e32 v41, v40, v42
	v_mul_f32_e32 v37, v45, v37
	v_sub_f32_e32 v41, v44, v41
	v_add_f32_e32 v37, v41, v37
	v_cvt_f32_i32_e32 v36, v36
	v_add_f32_e32 v41, v40, v37
	v_mul_f32_e32 v42, v41, v41
	v_mov_b32_e32 v43, 0x3ecc95a3
	v_fmac_f32_e32 v43, 0x3e9b6dac, v42
	v_mov_b32_e32 v44, 0x3f2aaada
	v_fmac_f32_e32 v44, v42, v43
	s_mov_b32 s4, 0x3f317218
	v_mul_f32_e32 v43, 0x3f317218, v36
	v_fma_f32 v45, v36, s4, -v43
	v_fmac_f32_e32 v45, 0xb102e308, v36
	v_sub_f32_e32 v36, v41, v40
	v_sub_f32_e32 v36, v37, v36
	v_add_f32_e32 v37, v43, v45
	v_sub_f32_e32 v40, v37, v43
	v_ldexp_f32 v43, v41, 1
	v_mul_f32_e32 v41, v41, v42
	v_mul_f32_e32 v41, v41, v44
	v_add_f32_e32 v42, v43, v41
	v_sub_f32_e32 v43, v42, v43
	v_ldexp_f32 v36, v36, 1
	v_sub_f32_e32 v41, v41, v43
	v_add_f32_e32 v36, v36, v41
	v_add_f32_e32 v41, v42, v36
	v_sub_f32_e32 v42, v41, v42
	v_sub_f32_e32 v36, v36, v42
	v_add_f32_e32 v42, v37, v41
	v_sub_f32_e32 v43, v42, v37
	v_sub_f32_e32 v44, v42, v43
	;; [unrolled: 1-line block ×5, first 2 shown]
	v_add_f32_e32 v37, v41, v37
	v_add_f32_e32 v41, v40, v36
	v_sub_f32_e32 v43, v41, v40
	v_sub_f32_e32 v44, v41, v43
	;; [unrolled: 1-line block ×4, first 2 shown]
	v_add_f32_e32 v37, v41, v37
	v_add_f32_e32 v36, v36, v40
	v_add_f32_e32 v40, v42, v37
	v_sub_f32_e32 v41, v40, v42
	v_sub_f32_e32 v37, v37, v41
	v_add_f32_e32 v36, v36, v37
	v_add_f32_e32 v36, v40, v36
	v_cmp_neq_f32_e64 s[4:5], s68, v39
	v_cndmask_b32_e64 v36, v38, v36, s[4:5]
	s_mov_b32 s4, 0x33800000
	v_cmp_lt_f32_e64 s[4:5], |v39|, s4
	v_cndmask_b32_e64 v36, v36, v39, s[4:5]
	v_add_f32_e32 v35, v35, v36
	v_cvt_f16_f32_e32 v37, v35
.LBB420_338:
	s_or_b64 exec, exec, s[56:57]
	v_and_b32_e32 v36, 0xffff, v37
	v_mov_b32_e32 v35, v37
.LBB420_339:
	s_or_b64 exec, exec, s[64:65]
	v_mov_b32_dpp v37, v36 row_shr:8 row_mask:0xf bank_mask:0xf
	v_cmp_lt_u32_e64 s[4:5], 7, v34
	s_and_saveexec_b64 s[64:65], s[4:5]
	s_cbranch_execz .LBB420_343
; %bb.340:
	v_cvt_f32_f16_e32 v34, v37
	v_cvt_f32_f16_e32 v36, v35
	v_cmp_u_f16_e64 s[4:5], v37, v37
	v_cmp_u_f16_e64 s[56:57], v35, v35
	v_min_f32_e32 v38, v34, v36
	v_cndmask_b32_e64 v38, v38, v34, s[4:5]
	v_cndmask_b32_e64 v35, v38, v36, s[56:57]
	v_max_f32_e32 v38, v34, v36
	v_cndmask_b32_e64 v34, v38, v34, s[4:5]
	v_cndmask_b32_e64 v34, v34, v36, s[56:57]
	s_movk_i32 s56, 0x1f8
	v_cmp_neq_f32_e64 s[4:5], v35, v34
	v_cmp_class_f32_e64 s[56:57], v35, s56
	s_or_b64 s[4:5], s[4:5], s[56:57]
	s_and_saveexec_b64 s[56:57], s[4:5]
	s_cbranch_execz .LBB420_342
; %bb.341:
	v_sub_f32_e32 v35, v35, v34
	s_mov_b32 s4, 0x3fb8aa3b
	v_mul_f32_e32 v36, 0x3fb8aa3b, v35
	v_fma_f32 v37, v35, s4, -v36
	v_rndne_f32_e32 v38, v36
	v_fmac_f32_e32 v37, 0x32a5705f, v35
	v_sub_f32_e32 v36, v36, v38
	v_add_f32_e32 v36, v36, v37
	v_exp_f32_e32 v36, v36
	v_cvt_i32_f32_e32 v37, v38
	s_mov_b32 s4, 0xc2ce8ed0
	v_cmp_ngt_f32_e64 s[4:5], s4, v35
	s_mov_b32 s68, 0x7f800000
	v_ldexp_f32 v36, v36, v37
	v_cndmask_b32_e64 v36, 0, v36, s[4:5]
	s_mov_b32 s4, 0x42b17218
	v_mov_b32_e32 v37, 0x7f800000
	v_cmp_nlt_f32_e64 s[4:5], s4, v35
	v_cndmask_b32_e64 v38, v37, v36, s[4:5]
	v_add_f32_e32 v39, 1.0, v38
	v_cvt_f64_f32_e32 v[35:36], v39
	v_add_f32_e32 v40, -1.0, v39
	v_sub_f32_e32 v41, v40, v39
	v_sub_f32_e32 v40, v38, v40
	v_frexp_exp_i32_f64_e32 v35, v[35:36]
	v_add_f32_e32 v36, 1.0, v41
	v_add_f32_e32 v36, v40, v36
	v_frexp_mant_f32_e32 v40, v39
	s_mov_b32 s4, 0x3f2aaaab
	v_cmp_gt_f32_e64 s[4:5], s4, v40
	v_subbrev_co_u32_e64 v35, s[4:5], 0, v35, s[4:5]
	v_sub_u32_e32 v40, 0, v35
	v_ldexp_f32 v39, v39, v40
	v_ldexp_f32 v36, v36, v40
	v_add_f32_e32 v40, -1.0, v39
	v_add_f32_e32 v43, 1.0, v39
	v_add_f32_e32 v41, 1.0, v40
	v_add_f32_e32 v44, -1.0, v43
	v_sub_f32_e32 v41, v39, v41
	v_sub_f32_e32 v39, v39, v44
	v_add_f32_e32 v41, v36, v41
	v_add_f32_e32 v36, v36, v39
	;; [unrolled: 1-line block ×3, first 2 shown]
	v_rcp_f32_e32 v44, v39
	v_add_f32_e32 v42, v40, v41
	v_sub_f32_e32 v40, v40, v42
	v_add_f32_e32 v40, v41, v40
	v_sub_f32_e32 v41, v43, v39
	v_add_f32_e32 v36, v36, v41
	v_mul_f32_e32 v41, v42, v44
	v_mul_f32_e32 v43, v39, v41
	v_fma_f32 v45, v41, v39, -v43
	v_fmac_f32_e32 v45, v41, v36
	v_add_f32_e32 v46, v43, v45
	v_sub_f32_e32 v47, v42, v46
	v_sub_f32_e32 v42, v42, v47
	v_sub_f32_e32 v43, v46, v43
	v_sub_f32_e32 v42, v42, v46
	v_add_f32_e32 v40, v40, v42
	v_sub_f32_e32 v42, v43, v45
	v_add_f32_e32 v40, v42, v40
	v_add_f32_e32 v42, v47, v40
	v_mul_f32_e32 v43, v44, v42
	v_mul_f32_e32 v45, v39, v43
	v_fma_f32 v39, v43, v39, -v45
	v_fmac_f32_e32 v39, v43, v36
	v_sub_f32_e32 v36, v47, v42
	v_add_f32_e32 v36, v40, v36
	v_add_f32_e32 v40, v45, v39
	v_sub_f32_e32 v46, v42, v40
	v_sub_f32_e32 v42, v42, v46
	;; [unrolled: 1-line block ×4, first 2 shown]
	v_add_f32_e32 v36, v36, v40
	v_sub_f32_e32 v39, v45, v39
	v_add_f32_e32 v36, v39, v36
	v_add_f32_e32 v39, v41, v43
	;; [unrolled: 1-line block ×3, first 2 shown]
	v_sub_f32_e32 v40, v39, v41
	v_mul_f32_e32 v36, v44, v36
	v_sub_f32_e32 v40, v43, v40
	v_add_f32_e32 v36, v40, v36
	v_cvt_f32_i32_e32 v35, v35
	v_add_f32_e32 v40, v39, v36
	v_mul_f32_e32 v41, v40, v40
	v_mov_b32_e32 v42, 0x3ecc95a3
	v_fmac_f32_e32 v42, 0x3e9b6dac, v41
	v_mov_b32_e32 v43, 0x3f2aaada
	v_fmac_f32_e32 v43, v41, v42
	s_mov_b32 s4, 0x3f317218
	v_mul_f32_e32 v42, 0x3f317218, v35
	v_fma_f32 v44, v35, s4, -v42
	v_fmac_f32_e32 v44, 0xb102e308, v35
	v_sub_f32_e32 v35, v40, v39
	v_sub_f32_e32 v35, v36, v35
	v_add_f32_e32 v36, v42, v44
	v_sub_f32_e32 v39, v36, v42
	v_ldexp_f32 v42, v40, 1
	v_mul_f32_e32 v40, v40, v41
	v_mul_f32_e32 v40, v40, v43
	v_add_f32_e32 v41, v42, v40
	v_sub_f32_e32 v42, v41, v42
	v_ldexp_f32 v35, v35, 1
	v_sub_f32_e32 v40, v40, v42
	v_add_f32_e32 v35, v35, v40
	v_add_f32_e32 v40, v41, v35
	v_sub_f32_e32 v41, v40, v41
	v_sub_f32_e32 v35, v35, v41
	v_add_f32_e32 v41, v36, v40
	v_sub_f32_e32 v42, v41, v36
	v_sub_f32_e32 v43, v41, v42
	;; [unrolled: 1-line block ×5, first 2 shown]
	v_add_f32_e32 v36, v40, v36
	v_add_f32_e32 v40, v39, v35
	v_sub_f32_e32 v42, v40, v39
	v_sub_f32_e32 v43, v40, v42
	;; [unrolled: 1-line block ×4, first 2 shown]
	v_add_f32_e32 v36, v40, v36
	v_add_f32_e32 v35, v35, v39
	v_add_f32_e32 v39, v41, v36
	v_sub_f32_e32 v40, v39, v41
	v_sub_f32_e32 v36, v36, v40
	v_add_f32_e32 v35, v35, v36
	v_add_f32_e32 v35, v39, v35
	v_cmp_neq_f32_e64 s[4:5], s68, v38
	v_cndmask_b32_e64 v35, v37, v35, s[4:5]
	s_mov_b32 s4, 0x33800000
	v_cmp_lt_f32_e64 s[4:5], |v38|, s4
	v_cndmask_b32_e64 v35, v35, v38, s[4:5]
	v_add_f32_e32 v34, v34, v35
	v_cvt_f16_f32_e32 v37, v34
.LBB420_342:
	s_or_b64 exec, exec, s[56:57]
	v_and_b32_e32 v36, 0xffff, v37
	v_mov_b32_e32 v35, v37
.LBB420_343:
	s_or_b64 exec, exec, s[64:65]
	v_and_b32_e32 v34, 16, v33
	v_mov_b32_dpp v37, v36 row_bcast:15 row_mask:0xf bank_mask:0xf
	v_cmp_ne_u32_e64 s[4:5], 0, v34
	s_and_saveexec_b64 s[64:65], s[4:5]
	s_cbranch_execz .LBB420_347
; %bb.344:
	v_cvt_f32_f16_e32 v34, v37
	v_cvt_f32_f16_e32 v36, v35
	v_cmp_u_f16_e64 s[4:5], v37, v37
	v_cmp_u_f16_e64 s[56:57], v35, v35
	v_min_f32_e32 v38, v34, v36
	v_cndmask_b32_e64 v38, v38, v34, s[4:5]
	v_cndmask_b32_e64 v35, v38, v36, s[56:57]
	v_max_f32_e32 v38, v34, v36
	v_cndmask_b32_e64 v34, v38, v34, s[4:5]
	v_cndmask_b32_e64 v34, v34, v36, s[56:57]
	s_movk_i32 s56, 0x1f8
	v_cmp_neq_f32_e64 s[4:5], v35, v34
	v_cmp_class_f32_e64 s[56:57], v35, s56
	s_or_b64 s[4:5], s[4:5], s[56:57]
	s_and_saveexec_b64 s[56:57], s[4:5]
	s_cbranch_execz .LBB420_346
; %bb.345:
	v_sub_f32_e32 v35, v35, v34
	s_mov_b32 s4, 0x3fb8aa3b
	v_mul_f32_e32 v36, 0x3fb8aa3b, v35
	v_fma_f32 v37, v35, s4, -v36
	v_rndne_f32_e32 v38, v36
	v_fmac_f32_e32 v37, 0x32a5705f, v35
	v_sub_f32_e32 v36, v36, v38
	v_add_f32_e32 v36, v36, v37
	v_exp_f32_e32 v36, v36
	v_cvt_i32_f32_e32 v37, v38
	s_mov_b32 s4, 0xc2ce8ed0
	v_cmp_ngt_f32_e64 s[4:5], s4, v35
	s_mov_b32 s68, 0x7f800000
	v_ldexp_f32 v36, v36, v37
	v_cndmask_b32_e64 v36, 0, v36, s[4:5]
	s_mov_b32 s4, 0x42b17218
	v_mov_b32_e32 v37, 0x7f800000
	v_cmp_nlt_f32_e64 s[4:5], s4, v35
	v_cndmask_b32_e64 v38, v37, v36, s[4:5]
	v_add_f32_e32 v39, 1.0, v38
	v_cvt_f64_f32_e32 v[35:36], v39
	v_add_f32_e32 v40, -1.0, v39
	v_sub_f32_e32 v41, v40, v39
	v_sub_f32_e32 v40, v38, v40
	v_frexp_exp_i32_f64_e32 v35, v[35:36]
	v_add_f32_e32 v36, 1.0, v41
	v_add_f32_e32 v36, v40, v36
	v_frexp_mant_f32_e32 v40, v39
	s_mov_b32 s4, 0x3f2aaaab
	v_cmp_gt_f32_e64 s[4:5], s4, v40
	v_subbrev_co_u32_e64 v35, s[4:5], 0, v35, s[4:5]
	v_sub_u32_e32 v40, 0, v35
	v_ldexp_f32 v39, v39, v40
	v_ldexp_f32 v36, v36, v40
	v_add_f32_e32 v40, -1.0, v39
	v_add_f32_e32 v43, 1.0, v39
	v_add_f32_e32 v41, 1.0, v40
	v_add_f32_e32 v44, -1.0, v43
	v_sub_f32_e32 v41, v39, v41
	v_sub_f32_e32 v39, v39, v44
	v_add_f32_e32 v41, v36, v41
	v_add_f32_e32 v36, v36, v39
	;; [unrolled: 1-line block ×3, first 2 shown]
	v_rcp_f32_e32 v44, v39
	v_add_f32_e32 v42, v40, v41
	v_sub_f32_e32 v40, v40, v42
	v_add_f32_e32 v40, v41, v40
	v_sub_f32_e32 v41, v43, v39
	v_add_f32_e32 v36, v36, v41
	v_mul_f32_e32 v41, v42, v44
	v_mul_f32_e32 v43, v39, v41
	v_fma_f32 v45, v41, v39, -v43
	v_fmac_f32_e32 v45, v41, v36
	v_add_f32_e32 v46, v43, v45
	v_sub_f32_e32 v47, v42, v46
	v_sub_f32_e32 v42, v42, v47
	;; [unrolled: 1-line block ×4, first 2 shown]
	v_add_f32_e32 v40, v40, v42
	v_sub_f32_e32 v42, v43, v45
	v_add_f32_e32 v40, v42, v40
	v_add_f32_e32 v42, v47, v40
	v_mul_f32_e32 v43, v44, v42
	v_mul_f32_e32 v45, v39, v43
	v_fma_f32 v39, v43, v39, -v45
	v_fmac_f32_e32 v39, v43, v36
	v_sub_f32_e32 v36, v47, v42
	v_add_f32_e32 v36, v40, v36
	v_add_f32_e32 v40, v45, v39
	v_sub_f32_e32 v46, v42, v40
	v_sub_f32_e32 v42, v42, v46
	;; [unrolled: 1-line block ×4, first 2 shown]
	v_add_f32_e32 v36, v36, v40
	v_sub_f32_e32 v39, v45, v39
	v_add_f32_e32 v36, v39, v36
	v_add_f32_e32 v39, v41, v43
	;; [unrolled: 1-line block ×3, first 2 shown]
	v_sub_f32_e32 v40, v39, v41
	v_mul_f32_e32 v36, v44, v36
	v_sub_f32_e32 v40, v43, v40
	v_add_f32_e32 v36, v40, v36
	v_cvt_f32_i32_e32 v35, v35
	v_add_f32_e32 v40, v39, v36
	v_mul_f32_e32 v41, v40, v40
	v_mov_b32_e32 v42, 0x3ecc95a3
	v_fmac_f32_e32 v42, 0x3e9b6dac, v41
	v_mov_b32_e32 v43, 0x3f2aaada
	v_fmac_f32_e32 v43, v41, v42
	s_mov_b32 s4, 0x3f317218
	v_mul_f32_e32 v42, 0x3f317218, v35
	v_fma_f32 v44, v35, s4, -v42
	v_fmac_f32_e32 v44, 0xb102e308, v35
	v_sub_f32_e32 v35, v40, v39
	v_sub_f32_e32 v35, v36, v35
	v_add_f32_e32 v36, v42, v44
	v_sub_f32_e32 v39, v36, v42
	v_ldexp_f32 v42, v40, 1
	v_mul_f32_e32 v40, v40, v41
	v_mul_f32_e32 v40, v40, v43
	v_add_f32_e32 v41, v42, v40
	v_sub_f32_e32 v42, v41, v42
	v_ldexp_f32 v35, v35, 1
	v_sub_f32_e32 v40, v40, v42
	v_add_f32_e32 v35, v35, v40
	v_add_f32_e32 v40, v41, v35
	v_sub_f32_e32 v41, v40, v41
	v_sub_f32_e32 v35, v35, v41
	v_add_f32_e32 v41, v36, v40
	v_sub_f32_e32 v42, v41, v36
	v_sub_f32_e32 v43, v41, v42
	;; [unrolled: 1-line block ×5, first 2 shown]
	v_add_f32_e32 v36, v40, v36
	v_add_f32_e32 v40, v39, v35
	v_sub_f32_e32 v42, v40, v39
	v_sub_f32_e32 v43, v40, v42
	;; [unrolled: 1-line block ×4, first 2 shown]
	v_add_f32_e32 v36, v40, v36
	v_add_f32_e32 v35, v35, v39
	;; [unrolled: 1-line block ×3, first 2 shown]
	v_sub_f32_e32 v40, v39, v41
	v_sub_f32_e32 v36, v36, v40
	v_add_f32_e32 v35, v35, v36
	v_add_f32_e32 v35, v39, v35
	v_cmp_neq_f32_e64 s[4:5], s68, v38
	v_cndmask_b32_e64 v35, v37, v35, s[4:5]
	s_mov_b32 s4, 0x33800000
	v_cmp_lt_f32_e64 s[4:5], |v38|, s4
	v_cndmask_b32_e64 v35, v35, v38, s[4:5]
	v_add_f32_e32 v34, v34, v35
	v_cvt_f16_f32_e32 v37, v34
.LBB420_346:
	s_or_b64 exec, exec, s[56:57]
	v_and_b32_e32 v36, 0xffff, v37
	v_mov_b32_e32 v35, v37
.LBB420_347:
	s_or_b64 exec, exec, s[64:65]
	v_mov_b32_dpp v36, v36 row_bcast:31 row_mask:0xf bank_mask:0xf
	v_cmp_lt_u32_e64 s[4:5], 31, v33
	s_and_saveexec_b64 s[64:65], s[4:5]
	s_cbranch_execz .LBB420_351
; %bb.348:
	v_cvt_f32_f16_e32 v34, v36
	v_cvt_f32_f16_e32 v37, v35
	v_cmp_u_f16_e64 s[4:5], v36, v36
	v_cmp_u_f16_e64 s[56:57], v35, v35
	v_min_f32_e32 v38, v34, v37
	v_cndmask_b32_e64 v38, v38, v34, s[4:5]
	v_cndmask_b32_e64 v35, v38, v37, s[56:57]
	v_max_f32_e32 v38, v34, v37
	v_cndmask_b32_e64 v34, v38, v34, s[4:5]
	v_cndmask_b32_e64 v34, v34, v37, s[56:57]
	s_movk_i32 s56, 0x1f8
	v_cmp_neq_f32_e64 s[4:5], v35, v34
	v_cmp_class_f32_e64 s[56:57], v35, s56
	s_or_b64 s[4:5], s[4:5], s[56:57]
	s_and_saveexec_b64 s[56:57], s[4:5]
	s_cbranch_execz .LBB420_350
; %bb.349:
	v_sub_f32_e32 v35, v35, v34
	s_mov_b32 s4, 0x3fb8aa3b
	v_mul_f32_e32 v36, 0x3fb8aa3b, v35
	v_fma_f32 v37, v35, s4, -v36
	v_rndne_f32_e32 v38, v36
	v_fmac_f32_e32 v37, 0x32a5705f, v35
	v_sub_f32_e32 v36, v36, v38
	v_add_f32_e32 v36, v36, v37
	v_exp_f32_e32 v36, v36
	v_cvt_i32_f32_e32 v37, v38
	s_mov_b32 s4, 0xc2ce8ed0
	v_cmp_ngt_f32_e64 s[4:5], s4, v35
	s_mov_b32 s68, 0x7f800000
	v_ldexp_f32 v36, v36, v37
	v_cndmask_b32_e64 v36, 0, v36, s[4:5]
	s_mov_b32 s4, 0x42b17218
	v_mov_b32_e32 v37, 0x7f800000
	v_cmp_nlt_f32_e64 s[4:5], s4, v35
	v_cndmask_b32_e64 v38, v37, v36, s[4:5]
	v_add_f32_e32 v39, 1.0, v38
	v_cvt_f64_f32_e32 v[35:36], v39
	v_add_f32_e32 v40, -1.0, v39
	v_sub_f32_e32 v41, v40, v39
	v_sub_f32_e32 v40, v38, v40
	v_frexp_exp_i32_f64_e32 v35, v[35:36]
	v_add_f32_e32 v36, 1.0, v41
	v_add_f32_e32 v36, v40, v36
	v_frexp_mant_f32_e32 v40, v39
	s_mov_b32 s4, 0x3f2aaaab
	v_cmp_gt_f32_e64 s[4:5], s4, v40
	v_subbrev_co_u32_e64 v35, s[4:5], 0, v35, s[4:5]
	v_sub_u32_e32 v40, 0, v35
	v_ldexp_f32 v39, v39, v40
	v_ldexp_f32 v36, v36, v40
	v_add_f32_e32 v40, -1.0, v39
	v_add_f32_e32 v43, 1.0, v39
	v_add_f32_e32 v41, 1.0, v40
	v_add_f32_e32 v44, -1.0, v43
	v_sub_f32_e32 v41, v39, v41
	v_sub_f32_e32 v39, v39, v44
	v_add_f32_e32 v41, v36, v41
	v_add_f32_e32 v36, v36, v39
	v_add_f32_e32 v39, v43, v36
	v_rcp_f32_e32 v44, v39
	v_add_f32_e32 v42, v40, v41
	v_sub_f32_e32 v40, v40, v42
	v_add_f32_e32 v40, v41, v40
	v_sub_f32_e32 v41, v43, v39
	v_add_f32_e32 v36, v36, v41
	v_mul_f32_e32 v41, v42, v44
	v_mul_f32_e32 v43, v39, v41
	v_fma_f32 v45, v41, v39, -v43
	v_fmac_f32_e32 v45, v41, v36
	v_add_f32_e32 v46, v43, v45
	v_sub_f32_e32 v47, v42, v46
	v_sub_f32_e32 v42, v42, v47
	;; [unrolled: 1-line block ×4, first 2 shown]
	v_add_f32_e32 v40, v40, v42
	v_sub_f32_e32 v42, v43, v45
	v_add_f32_e32 v40, v42, v40
	v_add_f32_e32 v42, v47, v40
	v_mul_f32_e32 v43, v44, v42
	v_mul_f32_e32 v45, v39, v43
	v_fma_f32 v39, v43, v39, -v45
	v_fmac_f32_e32 v39, v43, v36
	v_sub_f32_e32 v36, v47, v42
	v_add_f32_e32 v36, v40, v36
	v_add_f32_e32 v40, v45, v39
	v_sub_f32_e32 v46, v42, v40
	v_sub_f32_e32 v42, v42, v46
	;; [unrolled: 1-line block ×4, first 2 shown]
	v_add_f32_e32 v36, v36, v40
	v_sub_f32_e32 v39, v45, v39
	v_add_f32_e32 v36, v39, v36
	v_add_f32_e32 v39, v41, v43
	;; [unrolled: 1-line block ×3, first 2 shown]
	v_sub_f32_e32 v40, v39, v41
	v_mul_f32_e32 v36, v44, v36
	v_sub_f32_e32 v40, v43, v40
	v_add_f32_e32 v36, v40, v36
	v_cvt_f32_i32_e32 v35, v35
	v_add_f32_e32 v40, v39, v36
	v_mul_f32_e32 v41, v40, v40
	v_mov_b32_e32 v42, 0x3ecc95a3
	v_fmac_f32_e32 v42, 0x3e9b6dac, v41
	v_mov_b32_e32 v43, 0x3f2aaada
	v_fmac_f32_e32 v43, v41, v42
	s_mov_b32 s4, 0x3f317218
	v_mul_f32_e32 v42, 0x3f317218, v35
	v_fma_f32 v44, v35, s4, -v42
	v_fmac_f32_e32 v44, 0xb102e308, v35
	v_sub_f32_e32 v35, v40, v39
	v_sub_f32_e32 v35, v36, v35
	v_add_f32_e32 v36, v42, v44
	v_sub_f32_e32 v39, v36, v42
	v_ldexp_f32 v42, v40, 1
	v_mul_f32_e32 v40, v40, v41
	v_mul_f32_e32 v40, v40, v43
	v_add_f32_e32 v41, v42, v40
	v_sub_f32_e32 v42, v41, v42
	v_ldexp_f32 v35, v35, 1
	v_sub_f32_e32 v40, v40, v42
	v_add_f32_e32 v35, v35, v40
	v_add_f32_e32 v40, v41, v35
	v_sub_f32_e32 v41, v40, v41
	v_sub_f32_e32 v35, v35, v41
	v_add_f32_e32 v41, v36, v40
	v_sub_f32_e32 v42, v41, v36
	v_sub_f32_e32 v43, v41, v42
	;; [unrolled: 1-line block ×5, first 2 shown]
	v_add_f32_e32 v36, v40, v36
	v_add_f32_e32 v40, v39, v35
	v_sub_f32_e32 v42, v40, v39
	v_sub_f32_e32 v43, v40, v42
	v_sub_f32_e32 v39, v39, v43
	v_sub_f32_e32 v35, v35, v42
	v_add_f32_e32 v36, v40, v36
	v_add_f32_e32 v35, v35, v39
	;; [unrolled: 1-line block ×3, first 2 shown]
	v_sub_f32_e32 v40, v39, v41
	v_sub_f32_e32 v36, v36, v40
	v_add_f32_e32 v35, v35, v36
	v_add_f32_e32 v35, v39, v35
	v_cmp_neq_f32_e64 s[4:5], s68, v38
	v_cndmask_b32_e64 v35, v37, v35, s[4:5]
	s_mov_b32 s4, 0x33800000
	v_cmp_lt_f32_e64 s[4:5], |v38|, s4
	v_cndmask_b32_e64 v35, v35, v38, s[4:5]
	v_add_f32_e32 v34, v34, v35
	v_cvt_f16_f32_e32 v36, v34
.LBB420_350:
	s_or_b64 exec, exec, s[56:57]
	v_mov_b32_e32 v35, v36
.LBB420_351:
	s_or_b64 exec, exec, s[64:65]
	v_add_u32_e32 v34, -1, v33
	v_and_b32_e32 v36, 64, v33
	v_cmp_lt_i32_e64 s[4:5], v34, v36
	v_cndmask_b32_e64 v33, v34, v33, s[4:5]
	v_lshlrev_b32_e32 v33, 2, v33
	v_and_b32_e32 v34, 0xffff, v35
	ds_bpermute_b32 v33, v33, v34
	v_max_f32_e32 v35, v32, v32
	s_movk_i32 s56, 0x1f8
	s_waitcnt lgkmcnt(0)
	v_cvt_f32_f16_e32 v34, v33
	v_cmp_u_f16_e64 s[4:5], v33, v33
	v_min_f32_e32 v36, v34, v35
	v_max_f32_e32 v35, v34, v35
	v_cndmask_b32_e64 v36, v36, v34, s[4:5]
	v_cndmask_b32_e64 v35, v35, v34, s[4:5]
	;; [unrolled: 1-line block ×4, first 2 shown]
	v_cmp_neq_f32_e64 s[4:5], v34, v32
	v_cmp_class_f32_e64 s[54:55], v34, s56
	s_or_b64 s[4:5], s[4:5], s[54:55]
	s_and_saveexec_b64 s[54:55], s[4:5]
	s_cbranch_execz .LBB420_353
; %bb.352:
	v_sub_f32_e32 v33, v34, v32
	s_mov_b32 s4, 0x3fb8aa3b
	v_mul_f32_e32 v34, 0x3fb8aa3b, v33
	v_fma_f32 v35, v33, s4, -v34
	v_rndne_f32_e32 v36, v34
	v_fmac_f32_e32 v35, 0x32a5705f, v33
	v_sub_f32_e32 v34, v34, v36
	v_add_f32_e32 v34, v34, v35
	v_exp_f32_e32 v34, v34
	v_cvt_i32_f32_e32 v35, v36
	s_mov_b32 s4, 0xc2ce8ed0
	v_cmp_ngt_f32_e64 s[4:5], s4, v33
	s_mov_b32 s57, 0x7f800000
	v_ldexp_f32 v34, v34, v35
	v_cndmask_b32_e64 v34, 0, v34, s[4:5]
	s_mov_b32 s4, 0x42b17218
	v_mov_b32_e32 v35, 0x7f800000
	v_cmp_nlt_f32_e64 s[4:5], s4, v33
	v_cndmask_b32_e64 v36, v35, v34, s[4:5]
	v_add_f32_e32 v37, 1.0, v36
	v_cvt_f64_f32_e32 v[33:34], v37
	v_add_f32_e32 v38, -1.0, v37
	v_sub_f32_e32 v39, v38, v37
	v_sub_f32_e32 v38, v36, v38
	v_frexp_exp_i32_f64_e32 v33, v[33:34]
	v_add_f32_e32 v34, 1.0, v39
	v_add_f32_e32 v34, v38, v34
	v_frexp_mant_f32_e32 v38, v37
	s_mov_b32 s4, 0x3f2aaaab
	v_cmp_gt_f32_e64 s[4:5], s4, v38
	v_subbrev_co_u32_e64 v33, s[4:5], 0, v33, s[4:5]
	v_sub_u32_e32 v38, 0, v33
	v_ldexp_f32 v37, v37, v38
	v_ldexp_f32 v34, v34, v38
	v_add_f32_e32 v38, -1.0, v37
	v_add_f32_e32 v41, 1.0, v37
	v_add_f32_e32 v39, 1.0, v38
	v_add_f32_e32 v42, -1.0, v41
	v_sub_f32_e32 v39, v37, v39
	v_sub_f32_e32 v37, v37, v42
	v_add_f32_e32 v39, v34, v39
	v_add_f32_e32 v34, v34, v37
	;; [unrolled: 1-line block ×3, first 2 shown]
	v_rcp_f32_e32 v42, v37
	v_add_f32_e32 v40, v38, v39
	v_sub_f32_e32 v38, v38, v40
	v_add_f32_e32 v38, v39, v38
	v_sub_f32_e32 v39, v41, v37
	v_add_f32_e32 v34, v34, v39
	v_mul_f32_e32 v39, v40, v42
	v_mul_f32_e32 v41, v37, v39
	v_fma_f32 v43, v39, v37, -v41
	v_fmac_f32_e32 v43, v39, v34
	v_add_f32_e32 v44, v41, v43
	v_sub_f32_e32 v45, v40, v44
	v_sub_f32_e32 v40, v40, v45
	;; [unrolled: 1-line block ×4, first 2 shown]
	v_add_f32_e32 v38, v38, v40
	v_sub_f32_e32 v40, v41, v43
	v_add_f32_e32 v38, v40, v38
	v_add_f32_e32 v40, v45, v38
	v_mul_f32_e32 v41, v42, v40
	v_mul_f32_e32 v43, v37, v41
	v_fma_f32 v37, v41, v37, -v43
	v_fmac_f32_e32 v37, v41, v34
	v_sub_f32_e32 v34, v45, v40
	v_add_f32_e32 v34, v38, v34
	v_add_f32_e32 v38, v43, v37
	v_sub_f32_e32 v44, v40, v38
	v_sub_f32_e32 v40, v40, v44
	;; [unrolled: 1-line block ×4, first 2 shown]
	v_add_f32_e32 v34, v34, v38
	v_sub_f32_e32 v37, v43, v37
	v_add_f32_e32 v34, v37, v34
	v_add_f32_e32 v37, v39, v41
	v_add_f32_e32 v34, v44, v34
	v_sub_f32_e32 v38, v37, v39
	v_mul_f32_e32 v34, v42, v34
	v_sub_f32_e32 v38, v41, v38
	v_add_f32_e32 v34, v38, v34
	v_cvt_f32_i32_e32 v33, v33
	v_add_f32_e32 v38, v37, v34
	v_mul_f32_e32 v39, v38, v38
	v_mov_b32_e32 v40, 0x3ecc95a3
	v_fmac_f32_e32 v40, 0x3e9b6dac, v39
	v_mov_b32_e32 v41, 0x3f2aaada
	v_fmac_f32_e32 v41, v39, v40
	s_mov_b32 s4, 0x3f317218
	v_mul_f32_e32 v40, 0x3f317218, v33
	v_fma_f32 v42, v33, s4, -v40
	v_fmac_f32_e32 v42, 0xb102e308, v33
	v_sub_f32_e32 v33, v38, v37
	v_sub_f32_e32 v33, v34, v33
	v_add_f32_e32 v34, v40, v42
	v_sub_f32_e32 v37, v34, v40
	v_ldexp_f32 v40, v38, 1
	v_mul_f32_e32 v38, v38, v39
	v_mul_f32_e32 v38, v38, v41
	v_add_f32_e32 v39, v40, v38
	v_sub_f32_e32 v40, v39, v40
	v_ldexp_f32 v33, v33, 1
	v_sub_f32_e32 v38, v38, v40
	v_add_f32_e32 v33, v33, v38
	v_add_f32_e32 v38, v39, v33
	v_sub_f32_e32 v39, v38, v39
	v_sub_f32_e32 v33, v33, v39
	v_add_f32_e32 v39, v34, v38
	v_sub_f32_e32 v40, v39, v34
	v_sub_f32_e32 v41, v39, v40
	;; [unrolled: 1-line block ×5, first 2 shown]
	v_add_f32_e32 v34, v38, v34
	v_add_f32_e32 v38, v37, v33
	v_sub_f32_e32 v40, v38, v37
	v_sub_f32_e32 v41, v38, v40
	;; [unrolled: 1-line block ×4, first 2 shown]
	v_add_f32_e32 v34, v38, v34
	v_add_f32_e32 v33, v33, v37
	;; [unrolled: 1-line block ×3, first 2 shown]
	v_sub_f32_e32 v38, v37, v39
	v_sub_f32_e32 v34, v34, v38
	v_add_f32_e32 v33, v33, v34
	v_add_f32_e32 v33, v37, v33
	v_cmp_neq_f32_e64 s[4:5], s57, v36
	v_cndmask_b32_e64 v33, v35, v33, s[4:5]
	s_mov_b32 s4, 0x33800000
	v_cmp_lt_f32_e64 s[4:5], |v36|, s4
	v_cndmask_b32_e64 v33, v33, v36, s[4:5]
	v_add_f32_e32 v32, v32, v33
	v_cvt_f16_f32_e32 v33, v32
.LBB420_353:
	s_or_b64 exec, exec, s[54:55]
	v_cndmask_b32_e64 v32, v33, v18, s[58:59]
	; wave barrier
	ds_write_b16 v4, v32
	; wave barrier
	ds_read_u16 v18, v4 offset:2
	v_cvt_f32_f16_e32 v33, v32
	v_cmp_u_f16_e64 s[4:5], v32, v32
	s_waitcnt lgkmcnt(0)
	v_cvt_f32_f16_e32 v35, v18
	v_cmp_u_f16_e64 s[54:55], v18, v18
	v_min_f32_e32 v34, v33, v35
	v_max_f32_e32 v18, v33, v35
	v_cndmask_b32_e64 v34, v34, v33, s[4:5]
	v_cndmask_b32_e64 v18, v18, v33, s[4:5]
	;; [unrolled: 1-line block ×4, first 2 shown]
	v_cmp_neq_f32_e64 s[4:5], v34, v18
	v_cmp_class_f32_e64 s[54:55], v34, s56
	s_or_b64 s[4:5], s[4:5], s[54:55]
	s_and_saveexec_b64 s[54:55], s[4:5]
	s_cbranch_execz .LBB420_355
; %bb.354:
	v_sub_f32_e32 v32, v34, v18
	s_mov_b32 s4, 0x3fb8aa3b
	v_mul_f32_e32 v33, 0x3fb8aa3b, v32
	v_fma_f32 v34, v32, s4, -v33
	v_rndne_f32_e32 v35, v33
	v_fmac_f32_e32 v34, 0x32a5705f, v32
	v_sub_f32_e32 v33, v33, v35
	v_add_f32_e32 v33, v33, v34
	v_exp_f32_e32 v33, v33
	v_cvt_i32_f32_e32 v34, v35
	s_mov_b32 s4, 0xc2ce8ed0
	v_cmp_ngt_f32_e64 s[4:5], s4, v32
	s_mov_b32 s56, 0x7f800000
	v_ldexp_f32 v33, v33, v34
	v_cndmask_b32_e64 v33, 0, v33, s[4:5]
	s_mov_b32 s4, 0x42b17218
	v_mov_b32_e32 v34, 0x7f800000
	v_cmp_nlt_f32_e64 s[4:5], s4, v32
	v_cndmask_b32_e64 v35, v34, v33, s[4:5]
	v_add_f32_e32 v36, 1.0, v35
	v_cvt_f64_f32_e32 v[32:33], v36
	v_add_f32_e32 v37, -1.0, v36
	v_sub_f32_e32 v38, v37, v36
	v_sub_f32_e32 v37, v35, v37
	v_frexp_exp_i32_f64_e32 v32, v[32:33]
	v_add_f32_e32 v33, 1.0, v38
	v_add_f32_e32 v33, v37, v33
	v_frexp_mant_f32_e32 v37, v36
	s_mov_b32 s4, 0x3f2aaaab
	v_cmp_gt_f32_e64 s[4:5], s4, v37
	v_subbrev_co_u32_e64 v32, s[4:5], 0, v32, s[4:5]
	v_sub_u32_e32 v37, 0, v32
	v_ldexp_f32 v36, v36, v37
	v_ldexp_f32 v33, v33, v37
	v_add_f32_e32 v37, -1.0, v36
	v_add_f32_e32 v40, 1.0, v36
	v_add_f32_e32 v38, 1.0, v37
	v_add_f32_e32 v41, -1.0, v40
	v_sub_f32_e32 v38, v36, v38
	v_sub_f32_e32 v36, v36, v41
	v_add_f32_e32 v38, v33, v38
	v_add_f32_e32 v33, v33, v36
	v_add_f32_e32 v36, v40, v33
	v_rcp_f32_e32 v41, v36
	v_add_f32_e32 v39, v37, v38
	v_sub_f32_e32 v37, v37, v39
	v_add_f32_e32 v37, v38, v37
	v_sub_f32_e32 v38, v40, v36
	v_add_f32_e32 v33, v33, v38
	v_mul_f32_e32 v38, v39, v41
	v_mul_f32_e32 v40, v36, v38
	v_fma_f32 v42, v38, v36, -v40
	v_fmac_f32_e32 v42, v38, v33
	v_add_f32_e32 v43, v40, v42
	v_sub_f32_e32 v44, v39, v43
	v_sub_f32_e32 v39, v39, v44
	;; [unrolled: 1-line block ×4, first 2 shown]
	v_add_f32_e32 v37, v37, v39
	v_sub_f32_e32 v39, v40, v42
	v_add_f32_e32 v37, v39, v37
	v_add_f32_e32 v39, v44, v37
	v_mul_f32_e32 v40, v41, v39
	v_mul_f32_e32 v42, v36, v40
	v_fma_f32 v36, v40, v36, -v42
	v_fmac_f32_e32 v36, v40, v33
	v_sub_f32_e32 v33, v44, v39
	v_add_f32_e32 v33, v37, v33
	v_add_f32_e32 v37, v42, v36
	v_sub_f32_e32 v43, v39, v37
	v_sub_f32_e32 v39, v39, v43
	;; [unrolled: 1-line block ×4, first 2 shown]
	v_add_f32_e32 v33, v33, v37
	v_sub_f32_e32 v36, v42, v36
	v_add_f32_e32 v33, v36, v33
	v_add_f32_e32 v36, v38, v40
	;; [unrolled: 1-line block ×3, first 2 shown]
	v_sub_f32_e32 v37, v36, v38
	v_mul_f32_e32 v33, v41, v33
	v_sub_f32_e32 v37, v40, v37
	v_add_f32_e32 v33, v37, v33
	v_cvt_f32_i32_e32 v32, v32
	v_add_f32_e32 v37, v36, v33
	v_mul_f32_e32 v38, v37, v37
	v_mov_b32_e32 v39, 0x3ecc95a3
	v_fmac_f32_e32 v39, 0x3e9b6dac, v38
	v_mov_b32_e32 v40, 0x3f2aaada
	v_fmac_f32_e32 v40, v38, v39
	s_mov_b32 s4, 0x3f317218
	v_mul_f32_e32 v39, 0x3f317218, v32
	v_fma_f32 v41, v32, s4, -v39
	v_fmac_f32_e32 v41, 0xb102e308, v32
	v_sub_f32_e32 v32, v37, v36
	v_sub_f32_e32 v32, v33, v32
	v_add_f32_e32 v33, v39, v41
	v_sub_f32_e32 v36, v33, v39
	v_ldexp_f32 v39, v37, 1
	v_mul_f32_e32 v37, v37, v38
	v_mul_f32_e32 v37, v37, v40
	v_add_f32_e32 v38, v39, v37
	v_sub_f32_e32 v39, v38, v39
	v_ldexp_f32 v32, v32, 1
	v_sub_f32_e32 v37, v37, v39
	v_add_f32_e32 v32, v32, v37
	v_add_f32_e32 v37, v38, v32
	v_sub_f32_e32 v38, v37, v38
	v_sub_f32_e32 v32, v32, v38
	v_add_f32_e32 v38, v33, v37
	v_sub_f32_e32 v39, v38, v33
	v_sub_f32_e32 v40, v38, v39
	;; [unrolled: 1-line block ×5, first 2 shown]
	v_add_f32_e32 v33, v37, v33
	v_add_f32_e32 v37, v36, v32
	v_sub_f32_e32 v39, v37, v36
	v_sub_f32_e32 v40, v37, v39
	;; [unrolled: 1-line block ×4, first 2 shown]
	v_add_f32_e32 v33, v37, v33
	v_add_f32_e32 v32, v32, v36
	;; [unrolled: 1-line block ×3, first 2 shown]
	v_sub_f32_e32 v37, v36, v38
	v_sub_f32_e32 v33, v33, v37
	v_add_f32_e32 v32, v32, v33
	v_add_f32_e32 v32, v36, v32
	v_cmp_neq_f32_e64 s[4:5], s56, v35
	v_cndmask_b32_e64 v32, v34, v32, s[4:5]
	s_mov_b32 s4, 0x33800000
	v_cmp_lt_f32_e64 s[4:5], |v35|, s4
	v_cndmask_b32_e64 v32, v32, v35, s[4:5]
	v_add_f32_e32 v18, v18, v32
	v_cvt_f16_f32_e32 v32, v18
	v_cvt_f32_f16_e32 v33, v32
.LBB420_355:
	s_or_b64 exec, exec, s[54:55]
	ds_read_u16 v18, v4 offset:4
	v_max_f32_e32 v34, v33, v33
	v_cmp_u_f16_e64 s[4:5], v32, v32
	s_movk_i32 s56, 0x1f8
	ds_write_b16 v4, v32 offset:2
	s_waitcnt lgkmcnt(1)
	v_cvt_f32_f16_e32 v35, v18
	v_min_f32_e32 v36, v34, v35
	v_max_f32_e32 v34, v34, v35
	v_cndmask_b32_e64 v36, v36, v33, s[4:5]
	v_cndmask_b32_e64 v37, v34, v33, s[4:5]
	v_cmp_u_f16_e64 s[4:5], v18, v18
	v_cndmask_b32_e64 v34, v36, v35, s[4:5]
	v_cndmask_b32_e64 v18, v37, v35, s[4:5]
	v_cmp_neq_f32_e64 s[4:5], v34, v18
	v_cmp_class_f32_e64 s[54:55], v34, s56
	s_or_b64 s[4:5], s[4:5], s[54:55]
	s_and_saveexec_b64 s[54:55], s[4:5]
	s_cbranch_execz .LBB420_357
; %bb.356:
	v_sub_f32_e32 v32, v34, v18
	s_mov_b32 s4, 0x3fb8aa3b
	v_mul_f32_e32 v33, 0x3fb8aa3b, v32
	v_fma_f32 v34, v32, s4, -v33
	v_rndne_f32_e32 v35, v33
	v_fmac_f32_e32 v34, 0x32a5705f, v32
	v_sub_f32_e32 v33, v33, v35
	v_add_f32_e32 v33, v33, v34
	v_exp_f32_e32 v33, v33
	v_cvt_i32_f32_e32 v34, v35
	s_mov_b32 s4, 0xc2ce8ed0
	v_cmp_ngt_f32_e64 s[4:5], s4, v32
	s_mov_b32 s57, 0x7f800000
	v_ldexp_f32 v33, v33, v34
	v_cndmask_b32_e64 v33, 0, v33, s[4:5]
	s_mov_b32 s4, 0x42b17218
	v_mov_b32_e32 v34, 0x7f800000
	v_cmp_nlt_f32_e64 s[4:5], s4, v32
	v_cndmask_b32_e64 v35, v34, v33, s[4:5]
	v_add_f32_e32 v36, 1.0, v35
	v_cvt_f64_f32_e32 v[32:33], v36
	v_add_f32_e32 v37, -1.0, v36
	v_sub_f32_e32 v38, v37, v36
	v_sub_f32_e32 v37, v35, v37
	v_frexp_exp_i32_f64_e32 v32, v[32:33]
	v_add_f32_e32 v33, 1.0, v38
	v_add_f32_e32 v33, v37, v33
	v_frexp_mant_f32_e32 v37, v36
	s_mov_b32 s4, 0x3f2aaaab
	v_cmp_gt_f32_e64 s[4:5], s4, v37
	v_subbrev_co_u32_e64 v32, s[4:5], 0, v32, s[4:5]
	v_sub_u32_e32 v37, 0, v32
	v_ldexp_f32 v36, v36, v37
	v_ldexp_f32 v33, v33, v37
	v_add_f32_e32 v37, -1.0, v36
	v_add_f32_e32 v40, 1.0, v36
	v_add_f32_e32 v38, 1.0, v37
	v_add_f32_e32 v41, -1.0, v40
	v_sub_f32_e32 v38, v36, v38
	v_sub_f32_e32 v36, v36, v41
	v_add_f32_e32 v38, v33, v38
	v_add_f32_e32 v33, v33, v36
	;; [unrolled: 1-line block ×3, first 2 shown]
	v_rcp_f32_e32 v41, v36
	v_add_f32_e32 v39, v37, v38
	v_sub_f32_e32 v37, v37, v39
	v_add_f32_e32 v37, v38, v37
	v_sub_f32_e32 v38, v40, v36
	v_add_f32_e32 v33, v33, v38
	v_mul_f32_e32 v38, v39, v41
	v_mul_f32_e32 v40, v36, v38
	v_fma_f32 v42, v38, v36, -v40
	v_fmac_f32_e32 v42, v38, v33
	v_add_f32_e32 v43, v40, v42
	v_sub_f32_e32 v44, v39, v43
	v_sub_f32_e32 v39, v39, v44
	;; [unrolled: 1-line block ×4, first 2 shown]
	v_add_f32_e32 v37, v37, v39
	v_sub_f32_e32 v39, v40, v42
	v_add_f32_e32 v37, v39, v37
	v_add_f32_e32 v39, v44, v37
	v_mul_f32_e32 v40, v41, v39
	v_mul_f32_e32 v42, v36, v40
	v_fma_f32 v36, v40, v36, -v42
	v_fmac_f32_e32 v36, v40, v33
	v_sub_f32_e32 v33, v44, v39
	v_add_f32_e32 v33, v37, v33
	v_add_f32_e32 v37, v42, v36
	v_sub_f32_e32 v43, v39, v37
	v_sub_f32_e32 v39, v39, v43
	;; [unrolled: 1-line block ×4, first 2 shown]
	v_add_f32_e32 v33, v33, v37
	v_sub_f32_e32 v36, v42, v36
	v_add_f32_e32 v33, v36, v33
	v_add_f32_e32 v36, v38, v40
	v_add_f32_e32 v33, v43, v33
	v_sub_f32_e32 v37, v36, v38
	v_mul_f32_e32 v33, v41, v33
	v_sub_f32_e32 v37, v40, v37
	v_add_f32_e32 v33, v37, v33
	v_cvt_f32_i32_e32 v32, v32
	v_add_f32_e32 v37, v36, v33
	v_mul_f32_e32 v38, v37, v37
	v_mov_b32_e32 v39, 0x3ecc95a3
	v_fmac_f32_e32 v39, 0x3e9b6dac, v38
	v_mov_b32_e32 v40, 0x3f2aaada
	v_fmac_f32_e32 v40, v38, v39
	s_mov_b32 s4, 0x3f317218
	v_mul_f32_e32 v39, 0x3f317218, v32
	v_fma_f32 v41, v32, s4, -v39
	v_fmac_f32_e32 v41, 0xb102e308, v32
	v_sub_f32_e32 v32, v37, v36
	v_sub_f32_e32 v32, v33, v32
	v_add_f32_e32 v33, v39, v41
	v_sub_f32_e32 v36, v33, v39
	v_ldexp_f32 v39, v37, 1
	v_mul_f32_e32 v37, v37, v38
	v_mul_f32_e32 v37, v37, v40
	v_add_f32_e32 v38, v39, v37
	v_sub_f32_e32 v39, v38, v39
	v_ldexp_f32 v32, v32, 1
	v_sub_f32_e32 v37, v37, v39
	v_add_f32_e32 v32, v32, v37
	v_add_f32_e32 v37, v38, v32
	v_sub_f32_e32 v38, v37, v38
	v_sub_f32_e32 v32, v32, v38
	v_add_f32_e32 v38, v33, v37
	v_sub_f32_e32 v39, v38, v33
	v_sub_f32_e32 v40, v38, v39
	;; [unrolled: 1-line block ×5, first 2 shown]
	v_add_f32_e32 v33, v37, v33
	v_add_f32_e32 v37, v36, v32
	v_sub_f32_e32 v39, v37, v36
	v_sub_f32_e32 v40, v37, v39
	;; [unrolled: 1-line block ×4, first 2 shown]
	v_add_f32_e32 v33, v37, v33
	v_add_f32_e32 v32, v32, v36
	;; [unrolled: 1-line block ×3, first 2 shown]
	v_sub_f32_e32 v37, v36, v38
	v_sub_f32_e32 v33, v33, v37
	v_add_f32_e32 v32, v32, v33
	v_add_f32_e32 v32, v36, v32
	v_cmp_neq_f32_e64 s[4:5], s57, v35
	v_cndmask_b32_e64 v32, v34, v32, s[4:5]
	s_mov_b32 s4, 0x33800000
	v_cmp_lt_f32_e64 s[4:5], |v35|, s4
	v_cndmask_b32_e64 v32, v32, v35, s[4:5]
	v_add_f32_e32 v18, v18, v32
	v_cvt_f16_f32_e32 v32, v18
	v_cvt_f32_f16_e32 v33, v32
.LBB420_357:
	s_or_b64 exec, exec, s[54:55]
	ds_read_u16 v18, v4 offset:6
	v_max_f32_e32 v35, v33, v33
	v_cmp_u_f16_e64 s[4:5], v32, v32
	ds_write_b16 v4, v32 offset:4
	s_waitcnt lgkmcnt(1)
	v_cvt_f32_f16_e32 v34, v18
	v_min_f32_e32 v36, v35, v34
	v_max_f32_e32 v35, v35, v34
	v_cndmask_b32_e64 v36, v36, v33, s[4:5]
	v_cndmask_b32_e64 v35, v35, v33, s[4:5]
	v_cmp_u_f16_e64 s[4:5], v18, v18
	v_cndmask_b32_e64 v33, v36, v34, s[4:5]
	v_cndmask_b32_e64 v18, v35, v34, s[4:5]
	v_cmp_neq_f32_e64 s[4:5], v33, v18
	v_cmp_class_f32_e64 s[54:55], v33, s56
	s_or_b64 s[4:5], s[4:5], s[54:55]
	s_and_saveexec_b64 s[54:55], s[4:5]
	s_cbranch_execz .LBB420_359
; %bb.358:
	v_sub_f32_e32 v32, v33, v18
	s_mov_b32 s4, 0x3fb8aa3b
	v_mul_f32_e32 v33, 0x3fb8aa3b, v32
	v_fma_f32 v34, v32, s4, -v33
	v_rndne_f32_e32 v35, v33
	v_fmac_f32_e32 v34, 0x32a5705f, v32
	v_sub_f32_e32 v33, v33, v35
	v_add_f32_e32 v33, v33, v34
	v_exp_f32_e32 v33, v33
	v_cvt_i32_f32_e32 v34, v35
	s_mov_b32 s4, 0xc2ce8ed0
	v_cmp_ngt_f32_e64 s[4:5], s4, v32
	s_mov_b32 s56, 0x7f800000
	v_ldexp_f32 v33, v33, v34
	v_cndmask_b32_e64 v33, 0, v33, s[4:5]
	s_mov_b32 s4, 0x42b17218
	v_mov_b32_e32 v34, 0x7f800000
	v_cmp_nlt_f32_e64 s[4:5], s4, v32
	v_cndmask_b32_e64 v35, v34, v33, s[4:5]
	v_add_f32_e32 v36, 1.0, v35
	v_cvt_f64_f32_e32 v[32:33], v36
	v_add_f32_e32 v37, -1.0, v36
	v_sub_f32_e32 v38, v37, v36
	v_sub_f32_e32 v37, v35, v37
	v_frexp_exp_i32_f64_e32 v32, v[32:33]
	v_add_f32_e32 v33, 1.0, v38
	v_add_f32_e32 v33, v37, v33
	v_frexp_mant_f32_e32 v37, v36
	s_mov_b32 s4, 0x3f2aaaab
	v_cmp_gt_f32_e64 s[4:5], s4, v37
	v_subbrev_co_u32_e64 v32, s[4:5], 0, v32, s[4:5]
	v_sub_u32_e32 v37, 0, v32
	v_ldexp_f32 v36, v36, v37
	v_ldexp_f32 v33, v33, v37
	v_add_f32_e32 v37, -1.0, v36
	v_add_f32_e32 v40, 1.0, v36
	v_add_f32_e32 v38, 1.0, v37
	v_add_f32_e32 v41, -1.0, v40
	v_sub_f32_e32 v38, v36, v38
	v_sub_f32_e32 v36, v36, v41
	v_add_f32_e32 v38, v33, v38
	v_add_f32_e32 v33, v33, v36
	;; [unrolled: 1-line block ×3, first 2 shown]
	v_rcp_f32_e32 v41, v36
	v_add_f32_e32 v39, v37, v38
	v_sub_f32_e32 v37, v37, v39
	v_add_f32_e32 v37, v38, v37
	v_sub_f32_e32 v38, v40, v36
	v_add_f32_e32 v33, v33, v38
	v_mul_f32_e32 v38, v39, v41
	v_mul_f32_e32 v40, v36, v38
	v_fma_f32 v42, v38, v36, -v40
	v_fmac_f32_e32 v42, v38, v33
	v_add_f32_e32 v43, v40, v42
	v_sub_f32_e32 v44, v39, v43
	v_sub_f32_e32 v39, v39, v44
	v_sub_f32_e32 v40, v43, v40
	v_sub_f32_e32 v39, v39, v43
	v_add_f32_e32 v37, v37, v39
	v_sub_f32_e32 v39, v40, v42
	v_add_f32_e32 v37, v39, v37
	v_add_f32_e32 v39, v44, v37
	v_mul_f32_e32 v40, v41, v39
	v_mul_f32_e32 v42, v36, v40
	v_fma_f32 v36, v40, v36, -v42
	v_fmac_f32_e32 v36, v40, v33
	v_sub_f32_e32 v33, v44, v39
	v_add_f32_e32 v33, v37, v33
	v_add_f32_e32 v37, v42, v36
	v_sub_f32_e32 v43, v39, v37
	v_sub_f32_e32 v39, v39, v43
	;; [unrolled: 1-line block ×4, first 2 shown]
	v_add_f32_e32 v33, v33, v37
	v_sub_f32_e32 v36, v42, v36
	v_add_f32_e32 v33, v36, v33
	v_add_f32_e32 v36, v38, v40
	;; [unrolled: 1-line block ×3, first 2 shown]
	v_sub_f32_e32 v37, v36, v38
	v_mul_f32_e32 v33, v41, v33
	v_sub_f32_e32 v37, v40, v37
	v_add_f32_e32 v33, v37, v33
	v_cvt_f32_i32_e32 v32, v32
	v_add_f32_e32 v37, v36, v33
	v_mul_f32_e32 v38, v37, v37
	v_mov_b32_e32 v39, 0x3ecc95a3
	v_fmac_f32_e32 v39, 0x3e9b6dac, v38
	v_mov_b32_e32 v40, 0x3f2aaada
	v_fmac_f32_e32 v40, v38, v39
	s_mov_b32 s4, 0x3f317218
	v_mul_f32_e32 v39, 0x3f317218, v32
	v_fma_f32 v41, v32, s4, -v39
	v_fmac_f32_e32 v41, 0xb102e308, v32
	v_sub_f32_e32 v32, v37, v36
	v_sub_f32_e32 v32, v33, v32
	v_add_f32_e32 v33, v39, v41
	v_sub_f32_e32 v36, v33, v39
	v_ldexp_f32 v39, v37, 1
	v_mul_f32_e32 v37, v37, v38
	v_mul_f32_e32 v37, v37, v40
	v_add_f32_e32 v38, v39, v37
	v_sub_f32_e32 v39, v38, v39
	v_ldexp_f32 v32, v32, 1
	v_sub_f32_e32 v37, v37, v39
	v_add_f32_e32 v32, v32, v37
	v_add_f32_e32 v37, v38, v32
	v_sub_f32_e32 v38, v37, v38
	v_sub_f32_e32 v32, v32, v38
	v_add_f32_e32 v38, v33, v37
	v_sub_f32_e32 v39, v38, v33
	v_sub_f32_e32 v40, v38, v39
	;; [unrolled: 1-line block ×5, first 2 shown]
	v_add_f32_e32 v33, v37, v33
	v_add_f32_e32 v37, v36, v32
	v_sub_f32_e32 v39, v37, v36
	v_sub_f32_e32 v40, v37, v39
	;; [unrolled: 1-line block ×4, first 2 shown]
	v_add_f32_e32 v33, v37, v33
	v_add_f32_e32 v32, v32, v36
	;; [unrolled: 1-line block ×3, first 2 shown]
	v_sub_f32_e32 v37, v36, v38
	v_sub_f32_e32 v33, v33, v37
	v_add_f32_e32 v32, v32, v33
	v_add_f32_e32 v32, v36, v32
	v_cmp_neq_f32_e64 s[4:5], s56, v35
	v_cndmask_b32_e64 v32, v34, v32, s[4:5]
	s_mov_b32 s4, 0x33800000
	v_cmp_lt_f32_e64 s[4:5], |v35|, s4
	v_cndmask_b32_e64 v32, v32, v35, s[4:5]
	v_add_f32_e32 v18, v18, v32
	v_cvt_f16_f32_e32 v32, v18
.LBB420_359:
	s_or_b64 exec, exec, s[54:55]
	ds_write_b16 v4, v32 offset:6
.LBB420_360:
	s_or_b64 exec, exec, s[60:61]
	v_mov_b32_e32 v4, v13
	s_waitcnt lgkmcnt(0)
	s_barrier
	s_and_saveexec_b64 s[4:5], s[2:3]
	s_cbranch_execz .LBB420_364
; %bb.361:
	v_add_u32_e32 v4, -1, v0
	v_lshrrev_b32_e32 v13, 4, v4
	v_and_b32_e32 v13, 0xffffffe, v13
	v_lshl_add_u32 v4, v4, 1, v13
	ds_read_u16 v13, v4
	v_max_f32_e32 v4, v17, v17
	s_movk_i32 s54, 0x1f8
	s_waitcnt lgkmcnt(0)
	v_cvt_f32_f16_e32 v18, v13
	v_cmp_u_f16_e64 s[2:3], v13, v13
	v_min_f32_e32 v14, v18, v4
	v_max_f32_e32 v4, v18, v4
	v_cndmask_b32_e64 v14, v14, v18, s[2:3]
	v_cndmask_b32_e64 v4, v4, v18, s[2:3]
	;; [unrolled: 1-line block ×4, first 2 shown]
	v_cmp_neq_f32_e64 s[2:3], v14, v4
	v_cmp_class_f32_e64 s[52:53], v14, s54
	s_or_b64 s[2:3], s[2:3], s[52:53]
	s_and_saveexec_b64 s[52:53], s[2:3]
	s_cbranch_execz .LBB420_363
; %bb.362:
	v_sub_f32_e32 v13, v14, v4
	s_mov_b32 s2, 0x3fb8aa3b
	v_mul_f32_e32 v14, 0x3fb8aa3b, v13
	v_fma_f32 v15, v13, s2, -v14
	v_rndne_f32_e32 v17, v14
	v_fmac_f32_e32 v15, 0x32a5705f, v13
	v_sub_f32_e32 v14, v14, v17
	v_add_f32_e32 v14, v14, v15
	v_exp_f32_e32 v14, v14
	v_cvt_i32_f32_e32 v15, v17
	s_mov_b32 s2, 0xc2ce8ed0
	v_cmp_ngt_f32_e64 s[2:3], s2, v13
	s_mov_b32 s54, 0x7f800000
	v_ldexp_f32 v14, v14, v15
	v_cndmask_b32_e64 v14, 0, v14, s[2:3]
	s_mov_b32 s2, 0x42b17218
	v_mov_b32_e32 v15, 0x7f800000
	v_cmp_nlt_f32_e64 s[2:3], s2, v13
	v_cndmask_b32_e64 v17, v15, v14, s[2:3]
	v_add_f32_e32 v18, 1.0, v17
	v_cvt_f64_f32_e32 v[13:14], v18
	v_add_f32_e32 v32, -1.0, v18
	v_sub_f32_e32 v33, v32, v18
	v_sub_f32_e32 v32, v17, v32
	v_frexp_exp_i32_f64_e32 v13, v[13:14]
	v_add_f32_e32 v14, 1.0, v33
	v_add_f32_e32 v14, v32, v14
	v_frexp_mant_f32_e32 v32, v18
	s_mov_b32 s2, 0x3f2aaaab
	v_cmp_gt_f32_e64 s[2:3], s2, v32
	v_subbrev_co_u32_e64 v13, s[2:3], 0, v13, s[2:3]
	v_sub_u32_e32 v32, 0, v13
	v_ldexp_f32 v18, v18, v32
	v_ldexp_f32 v14, v14, v32
	v_add_f32_e32 v32, -1.0, v18
	v_add_f32_e32 v35, 1.0, v18
	v_add_f32_e32 v33, 1.0, v32
	v_add_f32_e32 v36, -1.0, v35
	v_sub_f32_e32 v33, v18, v33
	v_sub_f32_e32 v18, v18, v36
	v_add_f32_e32 v33, v14, v33
	v_add_f32_e32 v14, v14, v18
	;; [unrolled: 1-line block ×3, first 2 shown]
	v_rcp_f32_e32 v36, v18
	v_add_f32_e32 v34, v32, v33
	v_sub_f32_e32 v32, v32, v34
	v_add_f32_e32 v32, v33, v32
	v_sub_f32_e32 v33, v35, v18
	v_add_f32_e32 v14, v14, v33
	v_mul_f32_e32 v33, v34, v36
	v_mul_f32_e32 v35, v18, v33
	v_fma_f32 v37, v33, v18, -v35
	v_fmac_f32_e32 v37, v33, v14
	v_add_f32_e32 v38, v35, v37
	v_sub_f32_e32 v39, v34, v38
	v_sub_f32_e32 v34, v34, v39
	;; [unrolled: 1-line block ×4, first 2 shown]
	v_add_f32_e32 v32, v32, v34
	v_sub_f32_e32 v34, v35, v37
	v_add_f32_e32 v32, v34, v32
	v_add_f32_e32 v34, v39, v32
	v_mul_f32_e32 v35, v36, v34
	v_mul_f32_e32 v37, v18, v35
	v_fma_f32 v18, v35, v18, -v37
	v_fmac_f32_e32 v18, v35, v14
	v_sub_f32_e32 v14, v39, v34
	v_add_f32_e32 v14, v32, v14
	v_add_f32_e32 v32, v37, v18
	v_sub_f32_e32 v38, v34, v32
	v_sub_f32_e32 v34, v34, v38
	;; [unrolled: 1-line block ×4, first 2 shown]
	v_add_f32_e32 v14, v14, v32
	v_sub_f32_e32 v18, v37, v18
	v_add_f32_e32 v14, v18, v14
	v_add_f32_e32 v18, v33, v35
	;; [unrolled: 1-line block ×3, first 2 shown]
	v_sub_f32_e32 v32, v18, v33
	v_mul_f32_e32 v14, v36, v14
	v_sub_f32_e32 v32, v35, v32
	v_add_f32_e32 v14, v32, v14
	v_cvt_f32_i32_e32 v13, v13
	v_add_f32_e32 v32, v18, v14
	v_mul_f32_e32 v33, v32, v32
	v_mov_b32_e32 v34, 0x3ecc95a3
	v_fmac_f32_e32 v34, 0x3e9b6dac, v33
	v_mov_b32_e32 v35, 0x3f2aaada
	v_fmac_f32_e32 v35, v33, v34
	s_mov_b32 s2, 0x3f317218
	v_mul_f32_e32 v34, 0x3f317218, v13
	v_fma_f32 v36, v13, s2, -v34
	v_fmac_f32_e32 v36, 0xb102e308, v13
	v_sub_f32_e32 v13, v32, v18
	v_sub_f32_e32 v13, v14, v13
	v_add_f32_e32 v14, v34, v36
	v_sub_f32_e32 v18, v14, v34
	v_ldexp_f32 v34, v32, 1
	v_mul_f32_e32 v32, v32, v33
	v_mul_f32_e32 v32, v32, v35
	v_add_f32_e32 v33, v34, v32
	v_sub_f32_e32 v34, v33, v34
	v_ldexp_f32 v13, v13, 1
	v_sub_f32_e32 v32, v32, v34
	v_add_f32_e32 v13, v13, v32
	v_add_f32_e32 v32, v33, v13
	v_sub_f32_e32 v33, v32, v33
	v_sub_f32_e32 v13, v13, v33
	v_add_f32_e32 v33, v14, v32
	v_sub_f32_e32 v34, v33, v14
	v_sub_f32_e32 v35, v33, v34
	;; [unrolled: 1-line block ×5, first 2 shown]
	v_add_f32_e32 v14, v32, v14
	v_add_f32_e32 v32, v18, v13
	v_sub_f32_e32 v34, v32, v18
	v_sub_f32_e32 v35, v32, v34
	;; [unrolled: 1-line block ×4, first 2 shown]
	v_add_f32_e32 v14, v32, v14
	v_add_f32_e32 v13, v13, v18
	;; [unrolled: 1-line block ×3, first 2 shown]
	v_sub_f32_e32 v32, v18, v33
	v_sub_f32_e32 v14, v14, v32
	v_add_f32_e32 v13, v13, v14
	v_add_f32_e32 v13, v18, v13
	v_cmp_neq_f32_e64 s[2:3], s54, v17
	v_cndmask_b32_e64 v13, v15, v13, s[2:3]
	s_mov_b32 s2, 0x33800000
	v_cmp_lt_f32_e64 s[2:3], |v17|, s2
	v_cndmask_b32_e64 v13, v13, v17, s[2:3]
	v_add_f32_e32 v4, v4, v13
	v_cvt_f16_f32_e32 v13, v4
	v_cvt_f32_f16_e32 v18, v13
.LBB420_363:
	s_or_b64 exec, exec, s[52:53]
	v_max_f32_e32 v4, v21, v21
	v_max_f32_e32 v15, v18, v18
	v_min_f32_e32 v14, v15, v4
	v_max_f32_e32 v15, v15, v4
	v_mov_b32_e32 v4, v13
	v_mov_b32_e32 v17, v18
	;;#ASMSTART
	;;#ASMEND
.LBB420_364:
	s_or_b64 exec, exec, s[4:5]
	v_cmp_u_f16_e64 s[2:3], v4, v4
	v_cndmask_b32_e64 v14, v14, v17, s[2:3]
	v_cndmask_b32_e32 v18, v14, v21, vcc
	v_cndmask_b32_e64 v14, v15, v17, s[2:3]
	v_cndmask_b32_e32 v15, v14, v21, vcc
	s_movk_i32 s4, 0x1f8
	v_cmp_neq_f32_e32 vcc, v18, v15
	v_cmp_class_f32_e64 s[2:3], v18, s4
	s_or_b64 s[52:53], vcc, s[2:3]
	v_mov_b32_e32 v14, v13
	s_and_saveexec_b64 s[2:3], s[52:53]
	s_cbranch_execz .LBB420_366
; %bb.365:
	v_sub_f32_e32 v4, v18, v15
	s_mov_b32 s5, 0x3fb8aa3b
	v_mul_f32_e32 v14, 0x3fb8aa3b, v4
	v_fma_f32 v17, v4, s5, -v14
	v_rndne_f32_e32 v18, v14
	v_fmac_f32_e32 v17, 0x32a5705f, v4
	v_sub_f32_e32 v14, v14, v18
	v_add_f32_e32 v14, v14, v17
	v_exp_f32_e32 v14, v14
	v_cvt_i32_f32_e32 v17, v18
	s_mov_b32 s5, 0xc2ce8ed0
	v_cmp_ngt_f32_e32 vcc, s5, v4
	s_mov_b32 s5, 0x42b17218
	v_ldexp_f32 v14, v14, v17
	v_cndmask_b32_e32 v14, 0, v14, vcc
	v_mov_b32_e32 v21, 0x7f800000
	v_cmp_nlt_f32_e32 vcc, s5, v4
	v_cndmask_b32_e32 v4, v21, v14, vcc
	v_add_f32_e32 v14, 1.0, v4
	v_cvt_f64_f32_e32 v[17:18], v14
	v_add_f32_e32 v32, -1.0, v14
	v_sub_f32_e32 v33, v32, v14
	v_sub_f32_e32 v32, v4, v32
	v_frexp_exp_i32_f64_e32 v17, v[17:18]
	v_add_f32_e32 v18, 1.0, v33
	v_add_f32_e32 v18, v32, v18
	v_frexp_mant_f32_e32 v32, v14
	s_mov_b32 s52, 0x3f2aaaab
	v_cmp_gt_f32_e32 vcc, s52, v32
	s_mov_b32 s52, 0x3f317218
	s_mov_b32 s5, 0x7f800000
	v_subbrev_co_u32_e32 v17, vcc, 0, v17, vcc
	v_sub_u32_e32 v32, 0, v17
	v_ldexp_f32 v14, v14, v32
	v_ldexp_f32 v18, v18, v32
	v_add_f32_e32 v32, -1.0, v14
	v_add_f32_e32 v35, 1.0, v14
	v_add_f32_e32 v33, 1.0, v32
	v_add_f32_e32 v36, -1.0, v35
	v_sub_f32_e32 v33, v14, v33
	v_sub_f32_e32 v14, v14, v36
	v_add_f32_e32 v14, v18, v14
	v_add_f32_e32 v33, v18, v33
	;; [unrolled: 1-line block ×3, first 2 shown]
	v_rcp_f32_e32 v36, v18
	v_add_f32_e32 v34, v32, v33
	v_sub_f32_e32 v32, v32, v34
	v_add_f32_e32 v32, v33, v32
	v_sub_f32_e32 v33, v35, v18
	v_add_f32_e32 v14, v14, v33
	v_mul_f32_e32 v33, v34, v36
	v_mul_f32_e32 v35, v18, v33
	v_fma_f32 v37, v33, v18, -v35
	v_fmac_f32_e32 v37, v33, v14
	v_add_f32_e32 v38, v35, v37
	v_sub_f32_e32 v39, v34, v38
	v_sub_f32_e32 v34, v34, v39
	;; [unrolled: 1-line block ×4, first 2 shown]
	v_add_f32_e32 v32, v32, v34
	v_sub_f32_e32 v34, v35, v37
	v_add_f32_e32 v32, v34, v32
	v_add_f32_e32 v34, v39, v32
	v_mul_f32_e32 v35, v36, v34
	v_mul_f32_e32 v37, v18, v35
	v_fma_f32 v18, v35, v18, -v37
	v_fmac_f32_e32 v18, v35, v14
	v_sub_f32_e32 v14, v39, v34
	v_add_f32_e32 v14, v32, v14
	v_add_f32_e32 v32, v37, v18
	v_sub_f32_e32 v38, v34, v32
	v_sub_f32_e32 v34, v34, v38
	;; [unrolled: 1-line block ×4, first 2 shown]
	v_add_f32_e32 v14, v14, v32
	v_sub_f32_e32 v18, v37, v18
	v_add_f32_e32 v14, v18, v14
	v_add_f32_e32 v18, v33, v35
	;; [unrolled: 1-line block ×3, first 2 shown]
	v_sub_f32_e32 v32, v18, v33
	v_mul_f32_e32 v14, v36, v14
	v_sub_f32_e32 v32, v35, v32
	v_add_f32_e32 v14, v32, v14
	v_cvt_f32_i32_e32 v17, v17
	v_add_f32_e32 v32, v18, v14
	v_mul_f32_e32 v33, v32, v32
	v_mov_b32_e32 v34, 0x3ecc95a3
	v_fmac_f32_e32 v34, 0x3e9b6dac, v33
	v_mov_b32_e32 v35, 0x3f2aaada
	v_fmac_f32_e32 v35, v33, v34
	v_mul_f32_e32 v34, 0x3f317218, v17
	v_fma_f32 v36, v17, s52, -v34
	v_fmac_f32_e32 v36, 0xb102e308, v17
	v_sub_f32_e32 v17, v32, v18
	v_sub_f32_e32 v14, v14, v17
	v_add_f32_e32 v17, v34, v36
	v_sub_f32_e32 v18, v17, v34
	v_ldexp_f32 v34, v32, 1
	v_mul_f32_e32 v32, v32, v33
	v_mul_f32_e32 v32, v32, v35
	v_add_f32_e32 v33, v34, v32
	v_sub_f32_e32 v34, v33, v34
	v_ldexp_f32 v14, v14, 1
	v_sub_f32_e32 v32, v32, v34
	v_add_f32_e32 v14, v14, v32
	v_add_f32_e32 v32, v33, v14
	v_sub_f32_e32 v33, v32, v33
	v_sub_f32_e32 v14, v14, v33
	v_add_f32_e32 v33, v17, v32
	v_sub_f32_e32 v34, v33, v17
	v_sub_f32_e32 v35, v33, v34
	;; [unrolled: 1-line block ×5, first 2 shown]
	v_add_f32_e32 v17, v32, v17
	v_add_f32_e32 v32, v18, v14
	v_sub_f32_e32 v34, v32, v18
	v_sub_f32_e32 v35, v32, v34
	;; [unrolled: 1-line block ×4, first 2 shown]
	v_add_f32_e32 v17, v32, v17
	v_add_f32_e32 v14, v14, v18
	;; [unrolled: 1-line block ×3, first 2 shown]
	v_sub_f32_e32 v32, v18, v33
	v_sub_f32_e32 v17, v17, v32
	v_add_f32_e32 v14, v14, v17
	v_add_f32_e32 v14, v18, v14
	v_cmp_neq_f32_e32 vcc, s5, v4
	s_mov_b32 s5, 0x33800000
	v_cndmask_b32_e32 v14, v21, v14, vcc
	v_cmp_lt_f32_e64 vcc, |v4|, s5
	v_cndmask_b32_e32 v4, v14, v4, vcc
	v_add_f32_e32 v4, v15, v4
	v_cvt_f16_f32_e32 v4, v4
	v_cvt_f32_f16_e32 v17, v4
	v_mov_b32_e32 v14, v4
.LBB420_366:
	s_or_b64 exec, exec, s[2:3]
	v_max_f32_e32 v15, v9, v9
	v_max_f32_e32 v21, v17, v17
	v_min_f32_e32 v18, v21, v15
	v_cmp_u_f16_e32 vcc, v4, v4
	v_max_f32_e32 v15, v21, v15
	v_cndmask_b32_e32 v18, v18, v17, vcc
	v_cndmask_b32_e32 v15, v15, v17, vcc
	v_cndmask_b32_e64 v18, v18, v9, s[6:7]
	v_cndmask_b32_e64 v9, v15, v9, s[6:7]
	v_cmp_neq_f32_e32 vcc, v18, v9
	v_cmp_class_f32_e64 s[2:3], v18, s4
	s_or_b64 s[4:5], vcc, s[2:3]
	v_mov_b32_e32 v15, v14
	s_and_saveexec_b64 s[2:3], s[4:5]
	s_cbranch_execz .LBB420_368
; %bb.367:
	v_sub_f32_e32 v4, v18, v9
	s_mov_b32 s4, 0x3fb8aa3b
	v_mul_f32_e32 v15, 0x3fb8aa3b, v4
	v_fma_f32 v17, v4, s4, -v15
	v_rndne_f32_e32 v18, v15
	v_fmac_f32_e32 v17, 0x32a5705f, v4
	v_sub_f32_e32 v15, v15, v18
	v_add_f32_e32 v15, v15, v17
	v_exp_f32_e32 v15, v15
	v_cvt_i32_f32_e32 v17, v18
	s_mov_b32 s4, 0xc2ce8ed0
	v_cmp_ngt_f32_e32 vcc, s4, v4
	s_mov_b32 s4, 0x42b17218
	v_ldexp_f32 v15, v15, v17
	v_cndmask_b32_e32 v15, 0, v15, vcc
	v_mov_b32_e32 v21, 0x7f800000
	v_cmp_nlt_f32_e32 vcc, s4, v4
	v_cndmask_b32_e32 v4, v21, v15, vcc
	v_add_f32_e32 v15, 1.0, v4
	v_cvt_f64_f32_e32 v[17:18], v15
	v_add_f32_e32 v32, -1.0, v15
	v_sub_f32_e32 v33, v32, v15
	v_sub_f32_e32 v32, v4, v32
	v_frexp_exp_i32_f64_e32 v17, v[17:18]
	v_add_f32_e32 v18, 1.0, v33
	v_add_f32_e32 v18, v32, v18
	v_frexp_mant_f32_e32 v32, v15
	s_mov_b32 s5, 0x3f2aaaab
	v_cmp_gt_f32_e32 vcc, s5, v32
	s_mov_b32 s5, 0x3f317218
	s_mov_b32 s4, 0x7f800000
	v_subbrev_co_u32_e32 v17, vcc, 0, v17, vcc
	v_sub_u32_e32 v32, 0, v17
	v_ldexp_f32 v15, v15, v32
	v_ldexp_f32 v18, v18, v32
	v_add_f32_e32 v32, -1.0, v15
	v_add_f32_e32 v35, 1.0, v15
	v_add_f32_e32 v33, 1.0, v32
	v_add_f32_e32 v36, -1.0, v35
	v_sub_f32_e32 v33, v15, v33
	v_sub_f32_e32 v15, v15, v36
	v_add_f32_e32 v15, v18, v15
	v_add_f32_e32 v33, v18, v33
	;; [unrolled: 1-line block ×3, first 2 shown]
	v_rcp_f32_e32 v36, v18
	v_add_f32_e32 v34, v32, v33
	v_sub_f32_e32 v32, v32, v34
	v_add_f32_e32 v32, v33, v32
	v_sub_f32_e32 v33, v35, v18
	v_add_f32_e32 v15, v15, v33
	v_mul_f32_e32 v33, v34, v36
	v_mul_f32_e32 v35, v18, v33
	v_fma_f32 v37, v33, v18, -v35
	v_fmac_f32_e32 v37, v33, v15
	v_add_f32_e32 v38, v35, v37
	v_sub_f32_e32 v39, v34, v38
	v_sub_f32_e32 v34, v34, v39
	;; [unrolled: 1-line block ×4, first 2 shown]
	v_add_f32_e32 v32, v32, v34
	v_sub_f32_e32 v34, v35, v37
	v_add_f32_e32 v32, v34, v32
	v_add_f32_e32 v34, v39, v32
	v_mul_f32_e32 v35, v36, v34
	v_mul_f32_e32 v37, v18, v35
	v_fma_f32 v18, v35, v18, -v37
	v_fmac_f32_e32 v18, v35, v15
	v_sub_f32_e32 v15, v39, v34
	v_add_f32_e32 v15, v32, v15
	v_add_f32_e32 v32, v37, v18
	v_sub_f32_e32 v38, v34, v32
	v_sub_f32_e32 v34, v34, v38
	;; [unrolled: 1-line block ×4, first 2 shown]
	v_add_f32_e32 v15, v15, v32
	v_sub_f32_e32 v18, v37, v18
	v_add_f32_e32 v15, v18, v15
	v_add_f32_e32 v18, v33, v35
	;; [unrolled: 1-line block ×3, first 2 shown]
	v_sub_f32_e32 v32, v18, v33
	v_mul_f32_e32 v15, v36, v15
	v_sub_f32_e32 v32, v35, v32
	v_add_f32_e32 v15, v32, v15
	v_cvt_f32_i32_e32 v17, v17
	v_add_f32_e32 v32, v18, v15
	v_mul_f32_e32 v33, v32, v32
	v_mov_b32_e32 v34, 0x3ecc95a3
	v_fmac_f32_e32 v34, 0x3e9b6dac, v33
	v_mov_b32_e32 v35, 0x3f2aaada
	v_fmac_f32_e32 v35, v33, v34
	v_mul_f32_e32 v34, 0x3f317218, v17
	v_fma_f32 v36, v17, s5, -v34
	v_fmac_f32_e32 v36, 0xb102e308, v17
	v_sub_f32_e32 v17, v32, v18
	v_sub_f32_e32 v15, v15, v17
	v_add_f32_e32 v17, v34, v36
	v_sub_f32_e32 v18, v17, v34
	v_ldexp_f32 v34, v32, 1
	v_mul_f32_e32 v32, v32, v33
	v_mul_f32_e32 v32, v32, v35
	v_add_f32_e32 v33, v34, v32
	v_sub_f32_e32 v34, v33, v34
	v_ldexp_f32 v15, v15, 1
	v_sub_f32_e32 v32, v32, v34
	v_add_f32_e32 v15, v15, v32
	v_add_f32_e32 v32, v33, v15
	v_sub_f32_e32 v33, v32, v33
	v_sub_f32_e32 v15, v15, v33
	v_add_f32_e32 v33, v17, v32
	v_sub_f32_e32 v34, v33, v17
	v_sub_f32_e32 v35, v33, v34
	;; [unrolled: 1-line block ×5, first 2 shown]
	v_add_f32_e32 v17, v32, v17
	v_add_f32_e32 v32, v18, v15
	v_sub_f32_e32 v34, v32, v18
	v_sub_f32_e32 v35, v32, v34
	;; [unrolled: 1-line block ×4, first 2 shown]
	v_add_f32_e32 v17, v32, v17
	v_add_f32_e32 v15, v15, v18
	;; [unrolled: 1-line block ×3, first 2 shown]
	v_sub_f32_e32 v32, v18, v33
	v_sub_f32_e32 v17, v17, v32
	v_add_f32_e32 v15, v15, v17
	v_add_f32_e32 v15, v18, v15
	v_cmp_neq_f32_e32 vcc, s4, v4
	s_mov_b32 s4, 0x33800000
	v_cndmask_b32_e32 v15, v21, v15, vcc
	v_cmp_lt_f32_e64 vcc, |v4|, s4
	v_cndmask_b32_e32 v4, v15, v4, vcc
	v_add_f32_e32 v4, v9, v4
	v_cvt_f16_f32_e32 v4, v4
	v_cvt_f32_f16_e32 v17, v4
	v_mov_b32_e32 v15, v4
.LBB420_368:
	s_or_b64 exec, exec, s[2:3]
	v_max_f32_e32 v9, v16, v16
	v_max_f32_e32 v21, v17, v17
	v_min_f32_e32 v18, v21, v9
	v_cmp_u_f16_e32 vcc, v4, v4
	v_max_f32_e32 v9, v21, v9
	v_cndmask_b32_e32 v18, v18, v17, vcc
	v_cndmask_b32_e32 v9, v9, v17, vcc
	v_cndmask_b32_e64 v18, v18, v16, s[8:9]
	v_cndmask_b32_e64 v9, v9, v16, s[8:9]
	s_movk_i32 s4, 0x1f8
	v_cmp_neq_f32_e32 vcc, v18, v9
	v_cmp_class_f32_e64 s[2:3], v18, s4
	s_or_b64 s[6:7], vcc, s[2:3]
	v_mov_b32_e32 v16, v15
	s_and_saveexec_b64 s[2:3], s[6:7]
	s_cbranch_execz .LBB420_370
; %bb.369:
	v_sub_f32_e32 v4, v18, v9
	s_mov_b32 s5, 0x3fb8aa3b
	v_mul_f32_e32 v16, 0x3fb8aa3b, v4
	v_fma_f32 v17, v4, s5, -v16
	v_rndne_f32_e32 v18, v16
	v_fmac_f32_e32 v17, 0x32a5705f, v4
	v_sub_f32_e32 v16, v16, v18
	v_add_f32_e32 v16, v16, v17
	v_exp_f32_e32 v16, v16
	v_cvt_i32_f32_e32 v17, v18
	s_mov_b32 s5, 0xc2ce8ed0
	v_cmp_ngt_f32_e32 vcc, s5, v4
	s_mov_b32 s5, 0x42b17218
	v_ldexp_f32 v16, v16, v17
	v_cndmask_b32_e32 v16, 0, v16, vcc
	v_mov_b32_e32 v18, 0x7f800000
	v_cmp_nlt_f32_e32 vcc, s5, v4
	v_cndmask_b32_e32 v4, v18, v16, vcc
	v_add_f32_e32 v21, 1.0, v4
	v_cvt_f64_f32_e32 v[16:17], v21
	v_add_f32_e32 v32, -1.0, v21
	v_sub_f32_e32 v33, v32, v21
	v_sub_f32_e32 v32, v4, v32
	v_frexp_exp_i32_f64_e32 v16, v[16:17]
	v_add_f32_e32 v17, 1.0, v33
	v_add_f32_e32 v17, v32, v17
	v_frexp_mant_f32_e32 v32, v21
	s_mov_b32 s6, 0x3f2aaaab
	v_cmp_gt_f32_e32 vcc, s6, v32
	s_mov_b32 s6, 0x3f317218
	s_mov_b32 s5, 0x7f800000
	v_subbrev_co_u32_e32 v16, vcc, 0, v16, vcc
	v_sub_u32_e32 v32, 0, v16
	v_ldexp_f32 v21, v21, v32
	v_ldexp_f32 v17, v17, v32
	v_add_f32_e32 v32, -1.0, v21
	v_add_f32_e32 v35, 1.0, v21
	v_add_f32_e32 v33, 1.0, v32
	v_add_f32_e32 v36, -1.0, v35
	v_sub_f32_e32 v33, v21, v33
	v_sub_f32_e32 v21, v21, v36
	v_add_f32_e32 v33, v17, v33
	v_add_f32_e32 v17, v17, v21
	;; [unrolled: 1-line block ×3, first 2 shown]
	v_rcp_f32_e32 v36, v21
	v_add_f32_e32 v34, v32, v33
	v_sub_f32_e32 v32, v32, v34
	v_add_f32_e32 v32, v33, v32
	v_sub_f32_e32 v33, v35, v21
	v_add_f32_e32 v17, v17, v33
	v_mul_f32_e32 v33, v34, v36
	v_mul_f32_e32 v35, v21, v33
	v_fma_f32 v37, v33, v21, -v35
	v_fmac_f32_e32 v37, v33, v17
	v_add_f32_e32 v38, v35, v37
	v_sub_f32_e32 v39, v34, v38
	v_sub_f32_e32 v34, v34, v39
	v_sub_f32_e32 v35, v38, v35
	v_sub_f32_e32 v34, v34, v38
	v_add_f32_e32 v32, v32, v34
	v_sub_f32_e32 v34, v35, v37
	v_add_f32_e32 v32, v34, v32
	v_add_f32_e32 v34, v39, v32
	v_mul_f32_e32 v35, v36, v34
	v_mul_f32_e32 v37, v21, v35
	v_fma_f32 v21, v35, v21, -v37
	v_fmac_f32_e32 v21, v35, v17
	v_sub_f32_e32 v17, v39, v34
	v_add_f32_e32 v17, v32, v17
	v_add_f32_e32 v32, v37, v21
	v_sub_f32_e32 v38, v34, v32
	v_sub_f32_e32 v34, v34, v38
	;; [unrolled: 1-line block ×4, first 2 shown]
	v_add_f32_e32 v17, v17, v32
	v_sub_f32_e32 v21, v37, v21
	v_add_f32_e32 v17, v21, v17
	v_add_f32_e32 v21, v33, v35
	;; [unrolled: 1-line block ×3, first 2 shown]
	v_sub_f32_e32 v32, v21, v33
	v_mul_f32_e32 v17, v36, v17
	v_sub_f32_e32 v32, v35, v32
	v_add_f32_e32 v17, v32, v17
	v_cvt_f32_i32_e32 v16, v16
	v_add_f32_e32 v32, v21, v17
	v_mul_f32_e32 v33, v32, v32
	v_mov_b32_e32 v34, 0x3ecc95a3
	v_fmac_f32_e32 v34, 0x3e9b6dac, v33
	v_mov_b32_e32 v35, 0x3f2aaada
	v_fmac_f32_e32 v35, v33, v34
	v_mul_f32_e32 v34, 0x3f317218, v16
	v_fma_f32 v36, v16, s6, -v34
	v_fmac_f32_e32 v36, 0xb102e308, v16
	v_sub_f32_e32 v16, v32, v21
	v_sub_f32_e32 v16, v17, v16
	v_add_f32_e32 v17, v34, v36
	v_sub_f32_e32 v21, v17, v34
	v_ldexp_f32 v34, v32, 1
	v_mul_f32_e32 v32, v32, v33
	v_mul_f32_e32 v32, v32, v35
	v_add_f32_e32 v33, v34, v32
	v_sub_f32_e32 v34, v33, v34
	v_ldexp_f32 v16, v16, 1
	v_sub_f32_e32 v32, v32, v34
	v_add_f32_e32 v16, v16, v32
	v_add_f32_e32 v32, v33, v16
	v_sub_f32_e32 v33, v32, v33
	v_sub_f32_e32 v16, v16, v33
	v_add_f32_e32 v33, v17, v32
	v_sub_f32_e32 v34, v33, v17
	v_sub_f32_e32 v35, v33, v34
	;; [unrolled: 1-line block ×5, first 2 shown]
	v_add_f32_e32 v17, v32, v17
	v_add_f32_e32 v32, v21, v16
	v_sub_f32_e32 v34, v32, v21
	v_sub_f32_e32 v35, v32, v34
	v_sub_f32_e32 v21, v21, v35
	v_sub_f32_e32 v16, v16, v34
	v_add_f32_e32 v17, v32, v17
	v_add_f32_e32 v16, v16, v21
	;; [unrolled: 1-line block ×3, first 2 shown]
	v_sub_f32_e32 v32, v21, v33
	v_sub_f32_e32 v17, v17, v32
	v_add_f32_e32 v16, v16, v17
	v_add_f32_e32 v16, v21, v16
	v_cmp_neq_f32_e32 vcc, s5, v4
	s_mov_b32 s5, 0x33800000
	v_cndmask_b32_e32 v16, v18, v16, vcc
	v_cmp_lt_f32_e64 vcc, |v4|, s5
	v_cndmask_b32_e32 v4, v16, v4, vcc
	v_add_f32_e32 v4, v9, v4
	v_cvt_f16_f32_e32 v4, v4
	v_cvt_f32_f16_e32 v17, v4
	v_mov_b32_e32 v16, v4
.LBB420_370:
	s_or_b64 exec, exec, s[2:3]
	v_max_f32_e32 v9, v10, v10
	v_max_f32_e32 v18, v17, v17
	v_min_f32_e32 v21, v18, v9
	v_cmp_u_f16_e32 vcc, v4, v4
	v_max_f32_e32 v9, v18, v9
	v_cndmask_b32_e32 v21, v21, v17, vcc
	v_cndmask_b32_e32 v9, v9, v17, vcc
	v_cndmask_b32_e64 v21, v21, v10, s[10:11]
	v_cndmask_b32_e64 v9, v9, v10, s[10:11]
	v_cmp_neq_f32_e32 vcc, v21, v9
	v_cmp_class_f32_e64 s[2:3], v21, s4
	s_or_b64 s[4:5], vcc, s[2:3]
	v_mov_b32_e32 v18, v16
	s_and_saveexec_b64 s[2:3], s[4:5]
	s_cbranch_execz .LBB420_372
; %bb.371:
	v_sub_f32_e32 v4, v21, v9
	s_mov_b32 s4, 0x3fb8aa3b
	v_mul_f32_e32 v10, 0x3fb8aa3b, v4
	v_fma_f32 v17, v4, s4, -v10
	v_rndne_f32_e32 v18, v10
	v_fmac_f32_e32 v17, 0x32a5705f, v4
	v_sub_f32_e32 v10, v10, v18
	v_add_f32_e32 v10, v10, v17
	v_exp_f32_e32 v10, v10
	v_cvt_i32_f32_e32 v17, v18
	s_mov_b32 s4, 0xc2ce8ed0
	v_cmp_ngt_f32_e32 vcc, s4, v4
	s_mov_b32 s4, 0x42b17218
	v_ldexp_f32 v10, v10, v17
	v_cndmask_b32_e32 v10, 0, v10, vcc
	v_mov_b32_e32 v21, 0x7f800000
	v_cmp_nlt_f32_e32 vcc, s4, v4
	v_cndmask_b32_e32 v4, v21, v10, vcc
	v_add_f32_e32 v10, 1.0, v4
	v_cvt_f64_f32_e32 v[17:18], v10
	v_add_f32_e32 v32, -1.0, v10
	v_sub_f32_e32 v33, v32, v10
	v_sub_f32_e32 v32, v4, v32
	v_frexp_exp_i32_f64_e32 v17, v[17:18]
	v_add_f32_e32 v18, 1.0, v33
	v_add_f32_e32 v18, v32, v18
	v_frexp_mant_f32_e32 v32, v10
	s_mov_b32 s5, 0x3f2aaaab
	v_cmp_gt_f32_e32 vcc, s5, v32
	s_mov_b32 s5, 0x3f317218
	s_mov_b32 s4, 0x7f800000
	v_subbrev_co_u32_e32 v17, vcc, 0, v17, vcc
	v_sub_u32_e32 v32, 0, v17
	v_ldexp_f32 v10, v10, v32
	v_ldexp_f32 v18, v18, v32
	v_add_f32_e32 v32, -1.0, v10
	v_add_f32_e32 v35, 1.0, v10
	v_add_f32_e32 v33, 1.0, v32
	v_add_f32_e32 v36, -1.0, v35
	v_sub_f32_e32 v33, v10, v33
	v_sub_f32_e32 v10, v10, v36
	v_add_f32_e32 v10, v18, v10
	v_add_f32_e32 v33, v18, v33
	;; [unrolled: 1-line block ×3, first 2 shown]
	v_rcp_f32_e32 v36, v18
	v_add_f32_e32 v34, v32, v33
	v_sub_f32_e32 v32, v32, v34
	v_add_f32_e32 v32, v33, v32
	v_sub_f32_e32 v33, v35, v18
	v_add_f32_e32 v10, v10, v33
	v_mul_f32_e32 v33, v34, v36
	v_mul_f32_e32 v35, v18, v33
	v_fma_f32 v37, v33, v18, -v35
	v_fmac_f32_e32 v37, v33, v10
	v_add_f32_e32 v38, v35, v37
	v_sub_f32_e32 v39, v34, v38
	v_sub_f32_e32 v34, v34, v39
	;; [unrolled: 1-line block ×4, first 2 shown]
	v_add_f32_e32 v32, v32, v34
	v_sub_f32_e32 v34, v35, v37
	v_add_f32_e32 v32, v34, v32
	v_add_f32_e32 v34, v39, v32
	v_mul_f32_e32 v35, v36, v34
	v_mul_f32_e32 v37, v18, v35
	v_fma_f32 v18, v35, v18, -v37
	v_fmac_f32_e32 v18, v35, v10
	v_sub_f32_e32 v10, v39, v34
	v_add_f32_e32 v10, v32, v10
	v_add_f32_e32 v32, v37, v18
	v_sub_f32_e32 v38, v34, v32
	v_sub_f32_e32 v34, v34, v38
	;; [unrolled: 1-line block ×4, first 2 shown]
	v_add_f32_e32 v10, v10, v32
	v_sub_f32_e32 v18, v37, v18
	v_add_f32_e32 v10, v18, v10
	v_add_f32_e32 v18, v33, v35
	;; [unrolled: 1-line block ×3, first 2 shown]
	v_sub_f32_e32 v32, v18, v33
	v_mul_f32_e32 v10, v36, v10
	v_sub_f32_e32 v32, v35, v32
	v_add_f32_e32 v10, v32, v10
	v_cvt_f32_i32_e32 v17, v17
	v_add_f32_e32 v32, v18, v10
	v_mul_f32_e32 v33, v32, v32
	v_mov_b32_e32 v34, 0x3ecc95a3
	v_fmac_f32_e32 v34, 0x3e9b6dac, v33
	v_mov_b32_e32 v35, 0x3f2aaada
	v_fmac_f32_e32 v35, v33, v34
	v_mul_f32_e32 v34, 0x3f317218, v17
	v_fma_f32 v36, v17, s5, -v34
	v_fmac_f32_e32 v36, 0xb102e308, v17
	v_sub_f32_e32 v17, v32, v18
	v_sub_f32_e32 v10, v10, v17
	v_add_f32_e32 v17, v34, v36
	v_sub_f32_e32 v18, v17, v34
	v_ldexp_f32 v34, v32, 1
	v_mul_f32_e32 v32, v32, v33
	v_mul_f32_e32 v32, v32, v35
	v_add_f32_e32 v33, v34, v32
	v_sub_f32_e32 v34, v33, v34
	v_ldexp_f32 v10, v10, 1
	v_sub_f32_e32 v32, v32, v34
	v_add_f32_e32 v10, v10, v32
	v_add_f32_e32 v32, v33, v10
	v_sub_f32_e32 v33, v32, v33
	v_sub_f32_e32 v10, v10, v33
	v_add_f32_e32 v33, v17, v32
	v_sub_f32_e32 v34, v33, v17
	v_sub_f32_e32 v35, v33, v34
	;; [unrolled: 1-line block ×5, first 2 shown]
	v_add_f32_e32 v17, v32, v17
	v_add_f32_e32 v32, v18, v10
	v_sub_f32_e32 v34, v32, v18
	v_sub_f32_e32 v35, v32, v34
	;; [unrolled: 1-line block ×4, first 2 shown]
	v_add_f32_e32 v17, v32, v17
	v_add_f32_e32 v10, v10, v18
	;; [unrolled: 1-line block ×3, first 2 shown]
	v_sub_f32_e32 v32, v18, v33
	v_sub_f32_e32 v17, v17, v32
	v_add_f32_e32 v10, v10, v17
	v_add_f32_e32 v10, v18, v10
	v_cmp_neq_f32_e32 vcc, s4, v4
	s_mov_b32 s4, 0x33800000
	v_cndmask_b32_e32 v10, v21, v10, vcc
	v_cmp_lt_f32_e64 vcc, |v4|, s4
	v_cndmask_b32_e32 v4, v10, v4, vcc
	v_add_f32_e32 v4, v9, v4
	v_cvt_f16_f32_e32 v4, v4
	v_cvt_f32_f16_e32 v17, v4
	v_mov_b32_e32 v18, v4
.LBB420_372:
	s_or_b64 exec, exec, s[2:3]
	v_max_f32_e32 v9, v22, v22
	v_max_f32_e32 v21, v17, v17
	v_min_f32_e32 v10, v21, v9
	v_cmp_u_f16_e32 vcc, v4, v4
	v_max_f32_e32 v9, v21, v9
	v_cndmask_b32_e32 v10, v10, v17, vcc
	v_cndmask_b32_e32 v9, v9, v17, vcc
	v_cndmask_b32_e64 v10, v10, v22, s[12:13]
	v_cndmask_b32_e64 v9, v9, v22, s[12:13]
	s_movk_i32 s4, 0x1f8
	v_cmp_neq_f32_e32 vcc, v10, v9
	v_cmp_class_f32_e64 s[2:3], v10, s4
	s_or_b64 s[6:7], vcc, s[2:3]
	v_mov_b32_e32 v22, v18
	s_and_saveexec_b64 s[2:3], s[6:7]
	s_cbranch_execz .LBB420_374
; %bb.373:
	v_sub_f32_e32 v4, v10, v9
	s_mov_b32 s5, 0x3fb8aa3b
	v_mul_f32_e32 v10, 0x3fb8aa3b, v4
	v_fma_f32 v17, v4, s5, -v10
	v_rndne_f32_e32 v21, v10
	v_fmac_f32_e32 v17, 0x32a5705f, v4
	v_sub_f32_e32 v10, v10, v21
	v_add_f32_e32 v10, v10, v17
	v_exp_f32_e32 v10, v10
	v_cvt_i32_f32_e32 v17, v21
	s_mov_b32 s5, 0xc2ce8ed0
	v_cmp_ngt_f32_e32 vcc, s5, v4
	s_mov_b32 s5, 0x42b17218
	v_ldexp_f32 v10, v10, v17
	v_cndmask_b32_e32 v10, 0, v10, vcc
	v_mov_b32_e32 v17, 0x7f800000
	v_cmp_nlt_f32_e32 vcc, s5, v4
	v_cndmask_b32_e32 v4, v17, v10, vcc
	v_add_f32_e32 v10, 1.0, v4
	v_cvt_f64_f32_e32 v[21:22], v10
	v_add_f32_e32 v32, -1.0, v10
	v_sub_f32_e32 v33, v32, v10
	v_sub_f32_e32 v32, v4, v32
	v_frexp_exp_i32_f64_e32 v21, v[21:22]
	v_add_f32_e32 v22, 1.0, v33
	v_add_f32_e32 v22, v32, v22
	v_frexp_mant_f32_e32 v32, v10
	s_mov_b32 s6, 0x3f2aaaab
	v_cmp_gt_f32_e32 vcc, s6, v32
	s_mov_b32 s6, 0x3f317218
	s_mov_b32 s5, 0x7f800000
	v_subbrev_co_u32_e32 v21, vcc, 0, v21, vcc
	v_sub_u32_e32 v32, 0, v21
	v_ldexp_f32 v10, v10, v32
	v_ldexp_f32 v22, v22, v32
	v_add_f32_e32 v32, -1.0, v10
	v_add_f32_e32 v35, 1.0, v10
	v_add_f32_e32 v33, 1.0, v32
	v_add_f32_e32 v36, -1.0, v35
	v_sub_f32_e32 v33, v10, v33
	v_sub_f32_e32 v10, v10, v36
	v_add_f32_e32 v10, v22, v10
	v_add_f32_e32 v33, v22, v33
	;; [unrolled: 1-line block ×3, first 2 shown]
	v_rcp_f32_e32 v36, v22
	v_add_f32_e32 v34, v32, v33
	v_sub_f32_e32 v32, v32, v34
	v_add_f32_e32 v32, v33, v32
	v_sub_f32_e32 v33, v35, v22
	v_add_f32_e32 v10, v10, v33
	v_mul_f32_e32 v33, v34, v36
	v_mul_f32_e32 v35, v22, v33
	v_fma_f32 v37, v33, v22, -v35
	v_fmac_f32_e32 v37, v33, v10
	v_add_f32_e32 v38, v35, v37
	v_sub_f32_e32 v39, v34, v38
	v_sub_f32_e32 v34, v34, v39
	;; [unrolled: 1-line block ×4, first 2 shown]
	v_add_f32_e32 v32, v32, v34
	v_sub_f32_e32 v34, v35, v37
	v_add_f32_e32 v32, v34, v32
	v_add_f32_e32 v34, v39, v32
	v_mul_f32_e32 v35, v36, v34
	v_mul_f32_e32 v37, v22, v35
	v_fma_f32 v22, v35, v22, -v37
	v_fmac_f32_e32 v22, v35, v10
	v_sub_f32_e32 v10, v39, v34
	v_add_f32_e32 v10, v32, v10
	v_add_f32_e32 v32, v37, v22
	v_sub_f32_e32 v38, v34, v32
	v_sub_f32_e32 v34, v34, v38
	;; [unrolled: 1-line block ×4, first 2 shown]
	v_add_f32_e32 v10, v10, v32
	v_sub_f32_e32 v22, v37, v22
	v_add_f32_e32 v10, v22, v10
	v_add_f32_e32 v22, v33, v35
	;; [unrolled: 1-line block ×3, first 2 shown]
	v_sub_f32_e32 v32, v22, v33
	v_mul_f32_e32 v10, v36, v10
	v_sub_f32_e32 v32, v35, v32
	v_add_f32_e32 v10, v32, v10
	v_cvt_f32_i32_e32 v21, v21
	v_add_f32_e32 v32, v22, v10
	v_mul_f32_e32 v33, v32, v32
	v_mov_b32_e32 v34, 0x3ecc95a3
	v_fmac_f32_e32 v34, 0x3e9b6dac, v33
	v_mov_b32_e32 v35, 0x3f2aaada
	v_fmac_f32_e32 v35, v33, v34
	v_mul_f32_e32 v34, 0x3f317218, v21
	v_fma_f32 v36, v21, s6, -v34
	v_fmac_f32_e32 v36, 0xb102e308, v21
	v_sub_f32_e32 v21, v32, v22
	v_sub_f32_e32 v10, v10, v21
	v_add_f32_e32 v21, v34, v36
	v_sub_f32_e32 v22, v21, v34
	v_ldexp_f32 v34, v32, 1
	v_mul_f32_e32 v32, v32, v33
	v_mul_f32_e32 v32, v32, v35
	v_add_f32_e32 v33, v34, v32
	v_sub_f32_e32 v34, v33, v34
	v_ldexp_f32 v10, v10, 1
	v_sub_f32_e32 v32, v32, v34
	v_add_f32_e32 v10, v10, v32
	v_add_f32_e32 v32, v33, v10
	v_sub_f32_e32 v33, v32, v33
	v_sub_f32_e32 v10, v10, v33
	v_add_f32_e32 v33, v21, v32
	v_sub_f32_e32 v34, v33, v21
	v_sub_f32_e32 v35, v33, v34
	;; [unrolled: 1-line block ×5, first 2 shown]
	v_add_f32_e32 v21, v32, v21
	v_add_f32_e32 v32, v22, v10
	v_sub_f32_e32 v34, v32, v22
	v_sub_f32_e32 v35, v32, v34
	v_sub_f32_e32 v22, v22, v35
	v_sub_f32_e32 v10, v10, v34
	v_add_f32_e32 v21, v32, v21
	v_add_f32_e32 v10, v10, v22
	;; [unrolled: 1-line block ×3, first 2 shown]
	v_sub_f32_e32 v32, v22, v33
	v_sub_f32_e32 v21, v21, v32
	v_add_f32_e32 v10, v10, v21
	v_add_f32_e32 v10, v22, v10
	v_cmp_neq_f32_e32 vcc, s5, v4
	s_mov_b32 s5, 0x33800000
	v_cndmask_b32_e32 v10, v17, v10, vcc
	v_cmp_lt_f32_e64 vcc, |v4|, s5
	v_cndmask_b32_e32 v4, v10, v4, vcc
	v_add_f32_e32 v4, v9, v4
	v_cvt_f16_f32_e32 v4, v4
	v_cvt_f32_f16_e32 v17, v4
	v_mov_b32_e32 v22, v4
.LBB420_374:
	s_or_b64 exec, exec, s[2:3]
	v_max_f32_e32 v9, v11, v11
	v_max_f32_e32 v21, v17, v17
	v_min_f32_e32 v10, v21, v9
	v_cmp_u_f16_e32 vcc, v4, v4
	v_max_f32_e32 v9, v21, v9
	v_cndmask_b32_e32 v10, v10, v17, vcc
	v_cndmask_b32_e32 v9, v9, v17, vcc
	v_cndmask_b32_e64 v10, v10, v11, s[14:15]
	v_cndmask_b32_e64 v9, v9, v11, s[14:15]
	v_cmp_neq_f32_e32 vcc, v10, v9
	v_cmp_class_f32_e64 s[2:3], v10, s4
	s_or_b64 s[4:5], vcc, s[2:3]
	v_mov_b32_e32 v44, v22
	s_and_saveexec_b64 s[2:3], s[4:5]
	s_cbranch_execz .LBB420_376
; %bb.375:
	v_sub_f32_e32 v4, v10, v9
	s_mov_b32 s4, 0x3fb8aa3b
	v_mul_f32_e32 v10, 0x3fb8aa3b, v4
	v_fma_f32 v11, v4, s4, -v10
	v_rndne_f32_e32 v17, v10
	v_fmac_f32_e32 v11, 0x32a5705f, v4
	v_sub_f32_e32 v10, v10, v17
	v_add_f32_e32 v10, v10, v11
	v_exp_f32_e32 v10, v10
	v_cvt_i32_f32_e32 v11, v17
	s_mov_b32 s4, 0xc2ce8ed0
	v_cmp_ngt_f32_e32 vcc, s4, v4
	s_mov_b32 s4, 0x42b17218
	v_ldexp_f32 v10, v10, v11
	v_cndmask_b32_e32 v10, 0, v10, vcc
	v_mov_b32_e32 v17, 0x7f800000
	v_cmp_nlt_f32_e32 vcc, s4, v4
	v_cndmask_b32_e32 v4, v17, v10, vcc
	v_add_f32_e32 v21, 1.0, v4
	v_cvt_f64_f32_e32 v[10:11], v21
	v_add_f32_e32 v32, -1.0, v21
	v_sub_f32_e32 v33, v32, v21
	v_sub_f32_e32 v32, v4, v32
	v_frexp_exp_i32_f64_e32 v10, v[10:11]
	v_add_f32_e32 v11, 1.0, v33
	v_add_f32_e32 v11, v32, v11
	v_frexp_mant_f32_e32 v32, v21
	s_mov_b32 s5, 0x3f2aaaab
	v_cmp_gt_f32_e32 vcc, s5, v32
	s_mov_b32 s5, 0x3f317218
	s_mov_b32 s4, 0x7f800000
	v_subbrev_co_u32_e32 v10, vcc, 0, v10, vcc
	v_sub_u32_e32 v32, 0, v10
	v_ldexp_f32 v21, v21, v32
	v_ldexp_f32 v11, v11, v32
	v_add_f32_e32 v32, -1.0, v21
	v_add_f32_e32 v35, 1.0, v21
	v_add_f32_e32 v33, 1.0, v32
	v_add_f32_e32 v36, -1.0, v35
	v_sub_f32_e32 v33, v21, v33
	v_sub_f32_e32 v21, v21, v36
	v_add_f32_e32 v33, v11, v33
	v_add_f32_e32 v11, v11, v21
	;; [unrolled: 1-line block ×3, first 2 shown]
	v_rcp_f32_e32 v36, v21
	v_add_f32_e32 v34, v32, v33
	v_sub_f32_e32 v32, v32, v34
	v_add_f32_e32 v32, v33, v32
	v_sub_f32_e32 v33, v35, v21
	v_add_f32_e32 v11, v11, v33
	v_mul_f32_e32 v33, v34, v36
	v_mul_f32_e32 v35, v21, v33
	v_fma_f32 v37, v33, v21, -v35
	v_fmac_f32_e32 v37, v33, v11
	v_add_f32_e32 v38, v35, v37
	v_sub_f32_e32 v39, v34, v38
	v_sub_f32_e32 v34, v34, v39
	;; [unrolled: 1-line block ×4, first 2 shown]
	v_add_f32_e32 v32, v32, v34
	v_sub_f32_e32 v34, v35, v37
	v_add_f32_e32 v32, v34, v32
	v_add_f32_e32 v34, v39, v32
	v_mul_f32_e32 v35, v36, v34
	v_mul_f32_e32 v37, v21, v35
	v_fma_f32 v21, v35, v21, -v37
	v_fmac_f32_e32 v21, v35, v11
	v_sub_f32_e32 v11, v39, v34
	v_add_f32_e32 v11, v32, v11
	v_add_f32_e32 v32, v37, v21
	v_sub_f32_e32 v38, v34, v32
	v_sub_f32_e32 v34, v34, v38
	;; [unrolled: 1-line block ×4, first 2 shown]
	v_add_f32_e32 v11, v11, v32
	v_sub_f32_e32 v21, v37, v21
	v_add_f32_e32 v11, v21, v11
	v_add_f32_e32 v21, v33, v35
	;; [unrolled: 1-line block ×3, first 2 shown]
	v_sub_f32_e32 v32, v21, v33
	v_mul_f32_e32 v11, v36, v11
	v_sub_f32_e32 v32, v35, v32
	v_add_f32_e32 v11, v32, v11
	v_cvt_f32_i32_e32 v10, v10
	v_add_f32_e32 v32, v21, v11
	v_mul_f32_e32 v33, v32, v32
	v_mov_b32_e32 v34, 0x3ecc95a3
	v_fmac_f32_e32 v34, 0x3e9b6dac, v33
	v_mov_b32_e32 v35, 0x3f2aaada
	v_fmac_f32_e32 v35, v33, v34
	v_mul_f32_e32 v34, 0x3f317218, v10
	v_fma_f32 v36, v10, s5, -v34
	v_fmac_f32_e32 v36, 0xb102e308, v10
	v_sub_f32_e32 v10, v32, v21
	v_sub_f32_e32 v10, v11, v10
	v_add_f32_e32 v11, v34, v36
	v_sub_f32_e32 v21, v11, v34
	v_ldexp_f32 v34, v32, 1
	v_mul_f32_e32 v32, v32, v33
	v_mul_f32_e32 v32, v32, v35
	v_add_f32_e32 v33, v34, v32
	v_sub_f32_e32 v34, v33, v34
	v_ldexp_f32 v10, v10, 1
	v_sub_f32_e32 v32, v32, v34
	v_add_f32_e32 v10, v10, v32
	v_add_f32_e32 v32, v33, v10
	v_sub_f32_e32 v33, v32, v33
	v_sub_f32_e32 v10, v10, v33
	v_add_f32_e32 v33, v11, v32
	v_sub_f32_e32 v34, v33, v11
	v_sub_f32_e32 v35, v33, v34
	;; [unrolled: 1-line block ×5, first 2 shown]
	v_add_f32_e32 v11, v32, v11
	v_add_f32_e32 v32, v21, v10
	v_sub_f32_e32 v34, v32, v21
	v_sub_f32_e32 v35, v32, v34
	;; [unrolled: 1-line block ×4, first 2 shown]
	v_add_f32_e32 v11, v32, v11
	v_add_f32_e32 v10, v10, v21
	;; [unrolled: 1-line block ×3, first 2 shown]
	v_sub_f32_e32 v32, v21, v33
	v_sub_f32_e32 v11, v11, v32
	v_add_f32_e32 v10, v10, v11
	v_add_f32_e32 v10, v21, v10
	v_cmp_neq_f32_e32 vcc, s4, v4
	s_mov_b32 s4, 0x33800000
	v_cndmask_b32_e32 v10, v17, v10, vcc
	v_cmp_lt_f32_e64 vcc, |v4|, s4
	v_cndmask_b32_e32 v4, v10, v4, vcc
	v_add_f32_e32 v4, v9, v4
	v_cvt_f16_f32_e32 v4, v4
	v_cvt_f32_f16_e32 v17, v4
	v_mov_b32_e32 v44, v4
.LBB420_376:
	s_or_b64 exec, exec, s[2:3]
	v_max_f32_e32 v9, v23, v23
	v_max_f32_e32 v11, v17, v17
	v_min_f32_e32 v10, v11, v9
	v_cmp_u_f16_e32 vcc, v4, v4
	v_max_f32_e32 v9, v11, v9
	v_cndmask_b32_e32 v10, v10, v17, vcc
	v_cndmask_b32_e32 v9, v9, v17, vcc
	v_cndmask_b32_e64 v10, v10, v23, s[16:17]
	v_cndmask_b32_e64 v9, v9, v23, s[16:17]
	s_movk_i32 s4, 0x1f8
	v_cmp_neq_f32_e32 vcc, v10, v9
	v_cmp_class_f32_e64 s[2:3], v10, s4
	s_or_b64 s[6:7], vcc, s[2:3]
	v_mov_b32_e32 v23, v44
	s_and_saveexec_b64 s[2:3], s[6:7]
	s_cbranch_execz .LBB420_378
; %bb.377:
	v_sub_f32_e32 v4, v10, v9
	s_mov_b32 s5, 0x3fb8aa3b
	v_mul_f32_e32 v10, 0x3fb8aa3b, v4
	v_fma_f32 v11, v4, s5, -v10
	v_rndne_f32_e32 v17, v10
	v_fmac_f32_e32 v11, 0x32a5705f, v4
	v_sub_f32_e32 v10, v10, v17
	v_add_f32_e32 v10, v10, v11
	v_exp_f32_e32 v10, v10
	v_cvt_i32_f32_e32 v11, v17
	s_mov_b32 s5, 0xc2ce8ed0
	v_cmp_ngt_f32_e32 vcc, s5, v4
	s_mov_b32 s5, 0x42b17218
	v_ldexp_f32 v10, v10, v11
	v_cndmask_b32_e32 v10, 0, v10, vcc
	v_mov_b32_e32 v17, 0x7f800000
	v_cmp_nlt_f32_e32 vcc, s5, v4
	v_cndmask_b32_e32 v4, v17, v10, vcc
	v_add_f32_e32 v21, 1.0, v4
	v_cvt_f64_f32_e32 v[10:11], v21
	v_add_f32_e32 v23, -1.0, v21
	v_sub_f32_e32 v32, v23, v21
	v_sub_f32_e32 v23, v4, v23
	v_frexp_exp_i32_f64_e32 v10, v[10:11]
	v_add_f32_e32 v11, 1.0, v32
	v_add_f32_e32 v11, v23, v11
	v_frexp_mant_f32_e32 v23, v21
	s_mov_b32 s6, 0x3f2aaaab
	v_cmp_gt_f32_e32 vcc, s6, v23
	s_mov_b32 s6, 0x3f317218
	s_mov_b32 s5, 0x7f800000
	v_subbrev_co_u32_e32 v10, vcc, 0, v10, vcc
	v_sub_u32_e32 v23, 0, v10
	v_ldexp_f32 v21, v21, v23
	v_ldexp_f32 v11, v11, v23
	v_add_f32_e32 v23, -1.0, v21
	v_add_f32_e32 v34, 1.0, v21
	v_add_f32_e32 v32, 1.0, v23
	v_add_f32_e32 v35, -1.0, v34
	v_sub_f32_e32 v32, v21, v32
	v_sub_f32_e32 v21, v21, v35
	v_add_f32_e32 v32, v11, v32
	v_add_f32_e32 v11, v11, v21
	;; [unrolled: 1-line block ×3, first 2 shown]
	v_rcp_f32_e32 v35, v21
	v_add_f32_e32 v33, v23, v32
	v_sub_f32_e32 v23, v23, v33
	v_add_f32_e32 v23, v32, v23
	v_sub_f32_e32 v32, v34, v21
	v_add_f32_e32 v11, v11, v32
	v_mul_f32_e32 v32, v33, v35
	v_mul_f32_e32 v34, v21, v32
	v_fma_f32 v36, v32, v21, -v34
	v_fmac_f32_e32 v36, v32, v11
	v_add_f32_e32 v37, v34, v36
	v_sub_f32_e32 v38, v33, v37
	v_sub_f32_e32 v33, v33, v38
	;; [unrolled: 1-line block ×4, first 2 shown]
	v_add_f32_e32 v23, v23, v33
	v_sub_f32_e32 v33, v34, v36
	v_add_f32_e32 v23, v33, v23
	v_add_f32_e32 v33, v38, v23
	v_mul_f32_e32 v34, v35, v33
	v_mul_f32_e32 v36, v21, v34
	v_fma_f32 v21, v34, v21, -v36
	v_fmac_f32_e32 v21, v34, v11
	v_sub_f32_e32 v11, v38, v33
	v_add_f32_e32 v11, v23, v11
	v_add_f32_e32 v23, v36, v21
	v_sub_f32_e32 v37, v33, v23
	v_sub_f32_e32 v33, v33, v37
	v_sub_f32_e32 v36, v23, v36
	v_sub_f32_e32 v23, v33, v23
	v_add_f32_e32 v11, v11, v23
	v_sub_f32_e32 v21, v36, v21
	v_add_f32_e32 v11, v21, v11
	v_add_f32_e32 v21, v32, v34
	;; [unrolled: 1-line block ×3, first 2 shown]
	v_sub_f32_e32 v23, v21, v32
	v_mul_f32_e32 v11, v35, v11
	v_sub_f32_e32 v23, v34, v23
	v_add_f32_e32 v11, v23, v11
	v_cvt_f32_i32_e32 v10, v10
	v_add_f32_e32 v23, v21, v11
	v_mul_f32_e32 v32, v23, v23
	v_mov_b32_e32 v33, 0x3ecc95a3
	v_fmac_f32_e32 v33, 0x3e9b6dac, v32
	v_mov_b32_e32 v34, 0x3f2aaada
	v_fmac_f32_e32 v34, v32, v33
	v_mul_f32_e32 v33, 0x3f317218, v10
	v_fma_f32 v35, v10, s6, -v33
	v_fmac_f32_e32 v35, 0xb102e308, v10
	v_sub_f32_e32 v10, v23, v21
	v_sub_f32_e32 v10, v11, v10
	v_add_f32_e32 v11, v33, v35
	v_sub_f32_e32 v21, v11, v33
	v_ldexp_f32 v33, v23, 1
	v_mul_f32_e32 v23, v23, v32
	v_mul_f32_e32 v23, v23, v34
	v_add_f32_e32 v32, v33, v23
	v_sub_f32_e32 v33, v32, v33
	v_ldexp_f32 v10, v10, 1
	v_sub_f32_e32 v23, v23, v33
	v_add_f32_e32 v10, v10, v23
	v_add_f32_e32 v23, v32, v10
	v_sub_f32_e32 v32, v23, v32
	v_sub_f32_e32 v10, v10, v32
	v_add_f32_e32 v32, v11, v23
	v_sub_f32_e32 v33, v32, v11
	v_sub_f32_e32 v34, v32, v33
	;; [unrolled: 1-line block ×5, first 2 shown]
	v_add_f32_e32 v11, v23, v11
	v_add_f32_e32 v23, v21, v10
	v_sub_f32_e32 v33, v23, v21
	v_sub_f32_e32 v34, v23, v33
	;; [unrolled: 1-line block ×4, first 2 shown]
	v_add_f32_e32 v11, v23, v11
	v_add_f32_e32 v10, v10, v21
	;; [unrolled: 1-line block ×3, first 2 shown]
	v_sub_f32_e32 v23, v21, v32
	v_sub_f32_e32 v11, v11, v23
	v_add_f32_e32 v10, v10, v11
	v_add_f32_e32 v10, v21, v10
	v_cmp_neq_f32_e32 vcc, s5, v4
	s_mov_b32 s5, 0x33800000
	v_cndmask_b32_e32 v10, v17, v10, vcc
	v_cmp_lt_f32_e64 vcc, |v4|, s5
	v_cndmask_b32_e32 v4, v10, v4, vcc
	v_add_f32_e32 v4, v9, v4
	v_cvt_f16_f32_e32 v4, v4
	v_cvt_f32_f16_e32 v17, v4
	v_mov_b32_e32 v23, v4
.LBB420_378:
	s_or_b64 exec, exec, s[2:3]
	v_max_f32_e32 v9, v12, v12
	v_max_f32_e32 v11, v17, v17
	v_min_f32_e32 v10, v11, v9
	v_cmp_u_f16_e32 vcc, v4, v4
	v_max_f32_e32 v9, v11, v9
	v_cndmask_b32_e32 v10, v10, v17, vcc
	v_cndmask_b32_e32 v9, v9, v17, vcc
	v_cndmask_b32_e64 v10, v10, v12, s[18:19]
	v_cndmask_b32_e64 v9, v9, v12, s[18:19]
	v_cmp_neq_f32_e32 vcc, v10, v9
	v_cmp_class_f32_e64 s[2:3], v10, s4
	s_or_b64 s[4:5], vcc, s[2:3]
	v_mov_b32_e32 v45, v23
	s_and_saveexec_b64 s[2:3], s[4:5]
	s_cbranch_execz .LBB420_380
; %bb.379:
	v_sub_f32_e32 v4, v10, v9
	s_mov_b32 s4, 0x3fb8aa3b
	v_mul_f32_e32 v10, 0x3fb8aa3b, v4
	v_fma_f32 v11, v4, s4, -v10
	v_rndne_f32_e32 v12, v10
	v_fmac_f32_e32 v11, 0x32a5705f, v4
	v_sub_f32_e32 v10, v10, v12
	v_add_f32_e32 v10, v10, v11
	v_exp_f32_e32 v10, v10
	v_cvt_i32_f32_e32 v11, v12
	s_mov_b32 s4, 0xc2ce8ed0
	v_cmp_ngt_f32_e32 vcc, s4, v4
	s_mov_b32 s4, 0x42b17218
	v_ldexp_f32 v10, v10, v11
	v_cndmask_b32_e32 v10, 0, v10, vcc
	v_mov_b32_e32 v12, 0x7f800000
	v_cmp_nlt_f32_e32 vcc, s4, v4
	v_cndmask_b32_e32 v4, v12, v10, vcc
	v_add_f32_e32 v17, 1.0, v4
	v_cvt_f64_f32_e32 v[10:11], v17
	v_add_f32_e32 v21, -1.0, v17
	v_sub_f32_e32 v32, v21, v17
	v_sub_f32_e32 v21, v4, v21
	v_frexp_exp_i32_f64_e32 v10, v[10:11]
	v_add_f32_e32 v11, 1.0, v32
	v_add_f32_e32 v11, v21, v11
	v_frexp_mant_f32_e32 v21, v17
	s_mov_b32 s5, 0x3f2aaaab
	v_cmp_gt_f32_e32 vcc, s5, v21
	s_mov_b32 s5, 0x3f317218
	s_mov_b32 s4, 0x7f800000
	v_subbrev_co_u32_e32 v10, vcc, 0, v10, vcc
	v_sub_u32_e32 v21, 0, v10
	v_ldexp_f32 v17, v17, v21
	v_ldexp_f32 v11, v11, v21
	v_add_f32_e32 v21, -1.0, v17
	v_add_f32_e32 v34, 1.0, v17
	v_add_f32_e32 v32, 1.0, v21
	v_add_f32_e32 v35, -1.0, v34
	v_sub_f32_e32 v32, v17, v32
	v_sub_f32_e32 v17, v17, v35
	v_add_f32_e32 v32, v11, v32
	v_add_f32_e32 v11, v11, v17
	;; [unrolled: 1-line block ×3, first 2 shown]
	v_rcp_f32_e32 v35, v17
	v_add_f32_e32 v33, v21, v32
	v_sub_f32_e32 v21, v21, v33
	v_add_f32_e32 v21, v32, v21
	v_sub_f32_e32 v32, v34, v17
	v_add_f32_e32 v11, v11, v32
	v_mul_f32_e32 v32, v33, v35
	v_mul_f32_e32 v34, v17, v32
	v_fma_f32 v36, v32, v17, -v34
	v_fmac_f32_e32 v36, v32, v11
	v_add_f32_e32 v37, v34, v36
	v_sub_f32_e32 v38, v33, v37
	v_sub_f32_e32 v33, v33, v38
	;; [unrolled: 1-line block ×4, first 2 shown]
	v_add_f32_e32 v21, v21, v33
	v_sub_f32_e32 v33, v34, v36
	v_add_f32_e32 v21, v33, v21
	v_add_f32_e32 v33, v38, v21
	v_mul_f32_e32 v34, v35, v33
	v_mul_f32_e32 v36, v17, v34
	v_fma_f32 v17, v34, v17, -v36
	v_fmac_f32_e32 v17, v34, v11
	v_sub_f32_e32 v11, v38, v33
	v_add_f32_e32 v11, v21, v11
	v_add_f32_e32 v21, v36, v17
	v_sub_f32_e32 v37, v33, v21
	v_sub_f32_e32 v33, v33, v37
	;; [unrolled: 1-line block ×4, first 2 shown]
	v_add_f32_e32 v11, v11, v21
	v_sub_f32_e32 v17, v36, v17
	v_add_f32_e32 v11, v17, v11
	v_add_f32_e32 v17, v32, v34
	;; [unrolled: 1-line block ×3, first 2 shown]
	v_sub_f32_e32 v21, v17, v32
	v_mul_f32_e32 v11, v35, v11
	v_sub_f32_e32 v21, v34, v21
	v_add_f32_e32 v11, v21, v11
	v_cvt_f32_i32_e32 v10, v10
	v_add_f32_e32 v21, v17, v11
	v_mul_f32_e32 v32, v21, v21
	v_mov_b32_e32 v33, 0x3ecc95a3
	v_fmac_f32_e32 v33, 0x3e9b6dac, v32
	v_mov_b32_e32 v34, 0x3f2aaada
	v_fmac_f32_e32 v34, v32, v33
	v_mul_f32_e32 v33, 0x3f317218, v10
	v_fma_f32 v35, v10, s5, -v33
	v_fmac_f32_e32 v35, 0xb102e308, v10
	v_sub_f32_e32 v10, v21, v17
	v_sub_f32_e32 v10, v11, v10
	v_add_f32_e32 v11, v33, v35
	v_sub_f32_e32 v17, v11, v33
	v_ldexp_f32 v33, v21, 1
	v_mul_f32_e32 v21, v21, v32
	v_mul_f32_e32 v21, v21, v34
	v_add_f32_e32 v32, v33, v21
	v_sub_f32_e32 v33, v32, v33
	v_ldexp_f32 v10, v10, 1
	v_sub_f32_e32 v21, v21, v33
	v_add_f32_e32 v10, v10, v21
	v_add_f32_e32 v21, v32, v10
	v_sub_f32_e32 v32, v21, v32
	v_sub_f32_e32 v10, v10, v32
	v_add_f32_e32 v32, v11, v21
	v_sub_f32_e32 v33, v32, v11
	v_sub_f32_e32 v34, v32, v33
	;; [unrolled: 1-line block ×5, first 2 shown]
	v_add_f32_e32 v11, v21, v11
	v_add_f32_e32 v21, v17, v10
	v_sub_f32_e32 v33, v21, v17
	v_sub_f32_e32 v34, v21, v33
	;; [unrolled: 1-line block ×4, first 2 shown]
	v_add_f32_e32 v11, v21, v11
	v_add_f32_e32 v10, v10, v17
	;; [unrolled: 1-line block ×3, first 2 shown]
	v_sub_f32_e32 v21, v17, v32
	v_sub_f32_e32 v11, v11, v21
	v_add_f32_e32 v10, v10, v11
	v_add_f32_e32 v10, v17, v10
	v_cmp_neq_f32_e32 vcc, s4, v4
	s_mov_b32 s4, 0x33800000
	v_cndmask_b32_e32 v10, v12, v10, vcc
	v_cmp_lt_f32_e64 vcc, |v4|, s4
	v_cndmask_b32_e32 v4, v10, v4, vcc
	v_add_f32_e32 v4, v9, v4
	v_cvt_f16_f32_e32 v4, v4
	v_cvt_f32_f16_e32 v17, v4
	v_mov_b32_e32 v45, v4
.LBB420_380:
	s_or_b64 exec, exec, s[2:3]
	v_max_f32_e32 v9, v24, v24
	v_max_f32_e32 v11, v17, v17
	v_min_f32_e32 v10, v11, v9
	v_cmp_u_f16_e32 vcc, v4, v4
	v_max_f32_e32 v9, v11, v9
	v_cndmask_b32_e32 v10, v10, v17, vcc
	v_cndmask_b32_e32 v9, v9, v17, vcc
	v_cndmask_b32_e64 v10, v10, v24, s[20:21]
	v_cndmask_b32_e64 v9, v9, v24, s[20:21]
	s_movk_i32 s4, 0x1f8
	v_cmp_neq_f32_e32 vcc, v10, v9
	v_cmp_class_f32_e64 s[2:3], v10, s4
	s_or_b64 s[6:7], vcc, s[2:3]
	v_mov_b32_e32 v24, v45
	s_and_saveexec_b64 s[2:3], s[6:7]
	s_cbranch_execz .LBB420_382
; %bb.381:
	v_sub_f32_e32 v4, v10, v9
	s_mov_b32 s5, 0x3fb8aa3b
	v_mul_f32_e32 v10, 0x3fb8aa3b, v4
	v_fma_f32 v11, v4, s5, -v10
	v_rndne_f32_e32 v12, v10
	v_fmac_f32_e32 v11, 0x32a5705f, v4
	v_sub_f32_e32 v10, v10, v12
	v_add_f32_e32 v10, v10, v11
	v_exp_f32_e32 v10, v10
	v_cvt_i32_f32_e32 v11, v12
	s_mov_b32 s5, 0xc2ce8ed0
	v_cmp_ngt_f32_e32 vcc, s5, v4
	s_mov_b32 s5, 0x42b17218
	v_ldexp_f32 v10, v10, v11
	v_cndmask_b32_e32 v10, 0, v10, vcc
	v_mov_b32_e32 v12, 0x7f800000
	v_cmp_nlt_f32_e32 vcc, s5, v4
	v_cndmask_b32_e32 v4, v12, v10, vcc
	v_add_f32_e32 v17, 1.0, v4
	v_cvt_f64_f32_e32 v[10:11], v17
	v_add_f32_e32 v21, -1.0, v17
	v_sub_f32_e32 v24, v21, v17
	v_sub_f32_e32 v21, v4, v21
	v_frexp_exp_i32_f64_e32 v10, v[10:11]
	v_add_f32_e32 v11, 1.0, v24
	v_add_f32_e32 v11, v21, v11
	v_frexp_mant_f32_e32 v21, v17
	s_mov_b32 s6, 0x3f2aaaab
	v_cmp_gt_f32_e32 vcc, s6, v21
	s_mov_b32 s6, 0x3f317218
	s_mov_b32 s5, 0x7f800000
	v_subbrev_co_u32_e32 v10, vcc, 0, v10, vcc
	v_sub_u32_e32 v21, 0, v10
	v_ldexp_f32 v17, v17, v21
	v_ldexp_f32 v11, v11, v21
	v_add_f32_e32 v21, -1.0, v17
	v_add_f32_e32 v33, 1.0, v17
	v_add_f32_e32 v24, 1.0, v21
	v_add_f32_e32 v34, -1.0, v33
	v_sub_f32_e32 v24, v17, v24
	v_sub_f32_e32 v17, v17, v34
	v_add_f32_e32 v24, v11, v24
	v_add_f32_e32 v11, v11, v17
	;; [unrolled: 1-line block ×3, first 2 shown]
	v_rcp_f32_e32 v34, v17
	v_add_f32_e32 v32, v21, v24
	v_sub_f32_e32 v21, v21, v32
	v_add_f32_e32 v21, v24, v21
	v_sub_f32_e32 v24, v33, v17
	v_add_f32_e32 v11, v11, v24
	v_mul_f32_e32 v24, v32, v34
	v_mul_f32_e32 v33, v17, v24
	v_fma_f32 v35, v24, v17, -v33
	v_fmac_f32_e32 v35, v24, v11
	v_add_f32_e32 v36, v33, v35
	v_sub_f32_e32 v37, v32, v36
	v_sub_f32_e32 v32, v32, v37
	;; [unrolled: 1-line block ×4, first 2 shown]
	v_add_f32_e32 v21, v21, v32
	v_sub_f32_e32 v32, v33, v35
	v_add_f32_e32 v21, v32, v21
	v_add_f32_e32 v32, v37, v21
	v_mul_f32_e32 v33, v34, v32
	v_mul_f32_e32 v35, v17, v33
	v_fma_f32 v17, v33, v17, -v35
	v_fmac_f32_e32 v17, v33, v11
	v_sub_f32_e32 v11, v37, v32
	v_add_f32_e32 v11, v21, v11
	v_add_f32_e32 v21, v35, v17
	v_sub_f32_e32 v36, v32, v21
	v_sub_f32_e32 v32, v32, v36
	;; [unrolled: 1-line block ×4, first 2 shown]
	v_add_f32_e32 v11, v11, v21
	v_sub_f32_e32 v17, v35, v17
	v_add_f32_e32 v11, v17, v11
	v_add_f32_e32 v17, v24, v33
	;; [unrolled: 1-line block ×3, first 2 shown]
	v_sub_f32_e32 v21, v17, v24
	v_mul_f32_e32 v11, v34, v11
	v_sub_f32_e32 v21, v33, v21
	v_add_f32_e32 v11, v21, v11
	v_cvt_f32_i32_e32 v10, v10
	v_add_f32_e32 v21, v17, v11
	v_mul_f32_e32 v24, v21, v21
	v_mov_b32_e32 v32, 0x3ecc95a3
	v_fmac_f32_e32 v32, 0x3e9b6dac, v24
	v_mov_b32_e32 v33, 0x3f2aaada
	v_fmac_f32_e32 v33, v24, v32
	v_mul_f32_e32 v32, 0x3f317218, v10
	v_fma_f32 v34, v10, s6, -v32
	v_fmac_f32_e32 v34, 0xb102e308, v10
	v_sub_f32_e32 v10, v21, v17
	v_sub_f32_e32 v10, v11, v10
	v_add_f32_e32 v11, v32, v34
	v_sub_f32_e32 v17, v11, v32
	v_ldexp_f32 v32, v21, 1
	v_mul_f32_e32 v21, v21, v24
	v_mul_f32_e32 v21, v21, v33
	v_add_f32_e32 v24, v32, v21
	v_sub_f32_e32 v32, v24, v32
	v_ldexp_f32 v10, v10, 1
	v_sub_f32_e32 v21, v21, v32
	v_add_f32_e32 v10, v10, v21
	v_add_f32_e32 v21, v24, v10
	v_sub_f32_e32 v24, v21, v24
	v_sub_f32_e32 v10, v10, v24
	v_add_f32_e32 v24, v11, v21
	v_sub_f32_e32 v32, v24, v11
	v_sub_f32_e32 v33, v24, v32
	v_sub_f32_e32 v17, v34, v17
	v_sub_f32_e32 v11, v11, v33
	v_sub_f32_e32 v21, v21, v32
	v_add_f32_e32 v11, v21, v11
	v_add_f32_e32 v21, v17, v10
	v_sub_f32_e32 v32, v21, v17
	v_sub_f32_e32 v33, v21, v32
	;; [unrolled: 1-line block ×4, first 2 shown]
	v_add_f32_e32 v11, v21, v11
	v_add_f32_e32 v10, v10, v17
	;; [unrolled: 1-line block ×3, first 2 shown]
	v_sub_f32_e32 v21, v17, v24
	v_sub_f32_e32 v11, v11, v21
	v_add_f32_e32 v10, v10, v11
	v_add_f32_e32 v10, v17, v10
	v_cmp_neq_f32_e32 vcc, s5, v4
	s_mov_b32 s5, 0x33800000
	v_cndmask_b32_e32 v10, v12, v10, vcc
	v_cmp_lt_f32_e64 vcc, |v4|, s5
	v_cndmask_b32_e32 v4, v10, v4, vcc
	v_add_f32_e32 v4, v9, v4
	v_cvt_f16_f32_e32 v4, v4
	v_cvt_f32_f16_e32 v17, v4
	v_mov_b32_e32 v24, v4
.LBB420_382:
	s_or_b64 exec, exec, s[2:3]
	v_max_f32_e32 v10, v5, v5
	v_max_f32_e32 v11, v17, v17
	v_min_f32_e32 v9, v11, v10
	v_cmp_u_f16_e32 vcc, v4, v4
	v_max_f32_e32 v10, v11, v10
	v_cndmask_b32_e32 v9, v9, v17, vcc
	v_cndmask_b32_e32 v10, v10, v17, vcc
	v_cndmask_b32_e64 v9, v9, v5, s[22:23]
	v_cndmask_b32_e64 v5, v10, v5, s[22:23]
	v_cmp_neq_f32_e32 vcc, v9, v5
	v_cmp_class_f32_e64 s[2:3], v9, s4
	s_or_b64 s[4:5], vcc, s[2:3]
	v_mov_b32_e32 v46, v24
	s_and_saveexec_b64 s[2:3], s[4:5]
	s_cbranch_execz .LBB420_384
; %bb.383:
	v_sub_f32_e32 v4, v9, v5
	s_mov_b32 s4, 0x3fb8aa3b
	v_mul_f32_e32 v9, 0x3fb8aa3b, v4
	v_fma_f32 v10, v4, s4, -v9
	v_rndne_f32_e32 v11, v9
	v_fmac_f32_e32 v10, 0x32a5705f, v4
	v_sub_f32_e32 v9, v9, v11
	v_add_f32_e32 v9, v9, v10
	v_exp_f32_e32 v9, v9
	v_cvt_i32_f32_e32 v10, v11
	s_mov_b32 s4, 0xc2ce8ed0
	v_cmp_ngt_f32_e32 vcc, s4, v4
	s_mov_b32 s4, 0x42b17218
	v_ldexp_f32 v9, v9, v10
	v_cndmask_b32_e32 v9, 0, v9, vcc
	v_mov_b32_e32 v11, 0x7f800000
	v_cmp_nlt_f32_e32 vcc, s4, v4
	v_cndmask_b32_e32 v4, v11, v9, vcc
	v_add_f32_e32 v12, 1.0, v4
	v_cvt_f64_f32_e32 v[9:10], v12
	v_add_f32_e32 v17, -1.0, v12
	v_sub_f32_e32 v21, v17, v12
	v_sub_f32_e32 v17, v4, v17
	v_frexp_exp_i32_f64_e32 v9, v[9:10]
	v_add_f32_e32 v10, 1.0, v21
	v_add_f32_e32 v10, v17, v10
	v_frexp_mant_f32_e32 v17, v12
	s_mov_b32 s5, 0x3f2aaaab
	v_cmp_gt_f32_e32 vcc, s5, v17
	s_mov_b32 s5, 0x3f317218
	s_mov_b32 s4, 0x7f800000
	v_subbrev_co_u32_e32 v9, vcc, 0, v9, vcc
	v_sub_u32_e32 v17, 0, v9
	v_ldexp_f32 v12, v12, v17
	v_ldexp_f32 v10, v10, v17
	v_add_f32_e32 v17, -1.0, v12
	v_add_f32_e32 v33, 1.0, v12
	v_add_f32_e32 v21, 1.0, v17
	v_add_f32_e32 v34, -1.0, v33
	v_sub_f32_e32 v21, v12, v21
	v_sub_f32_e32 v12, v12, v34
	v_add_f32_e32 v21, v10, v21
	v_add_f32_e32 v10, v10, v12
	;; [unrolled: 1-line block ×3, first 2 shown]
	v_rcp_f32_e32 v34, v12
	v_add_f32_e32 v32, v17, v21
	v_sub_f32_e32 v17, v17, v32
	v_add_f32_e32 v17, v21, v17
	v_sub_f32_e32 v21, v33, v12
	v_add_f32_e32 v10, v10, v21
	v_mul_f32_e32 v21, v32, v34
	v_mul_f32_e32 v33, v12, v21
	v_fma_f32 v35, v21, v12, -v33
	v_fmac_f32_e32 v35, v21, v10
	v_add_f32_e32 v36, v33, v35
	v_sub_f32_e32 v37, v32, v36
	v_sub_f32_e32 v32, v32, v37
	;; [unrolled: 1-line block ×4, first 2 shown]
	v_add_f32_e32 v17, v17, v32
	v_sub_f32_e32 v32, v33, v35
	v_add_f32_e32 v17, v32, v17
	v_add_f32_e32 v32, v37, v17
	v_mul_f32_e32 v33, v34, v32
	v_mul_f32_e32 v35, v12, v33
	v_fma_f32 v12, v33, v12, -v35
	v_fmac_f32_e32 v12, v33, v10
	v_sub_f32_e32 v10, v37, v32
	v_add_f32_e32 v10, v17, v10
	v_add_f32_e32 v17, v35, v12
	v_sub_f32_e32 v36, v32, v17
	v_sub_f32_e32 v32, v32, v36
	;; [unrolled: 1-line block ×4, first 2 shown]
	v_add_f32_e32 v10, v10, v17
	v_sub_f32_e32 v12, v35, v12
	v_add_f32_e32 v10, v12, v10
	v_add_f32_e32 v12, v21, v33
	;; [unrolled: 1-line block ×3, first 2 shown]
	v_sub_f32_e32 v17, v12, v21
	v_mul_f32_e32 v10, v34, v10
	v_sub_f32_e32 v17, v33, v17
	v_add_f32_e32 v10, v17, v10
	v_cvt_f32_i32_e32 v9, v9
	v_add_f32_e32 v17, v12, v10
	v_mul_f32_e32 v21, v17, v17
	v_mov_b32_e32 v32, 0x3ecc95a3
	v_fmac_f32_e32 v32, 0x3e9b6dac, v21
	v_mov_b32_e32 v33, 0x3f2aaada
	v_fmac_f32_e32 v33, v21, v32
	v_mul_f32_e32 v32, 0x3f317218, v9
	v_fma_f32 v34, v9, s5, -v32
	v_fmac_f32_e32 v34, 0xb102e308, v9
	v_sub_f32_e32 v9, v17, v12
	v_sub_f32_e32 v9, v10, v9
	v_add_f32_e32 v10, v32, v34
	v_sub_f32_e32 v12, v10, v32
	v_ldexp_f32 v32, v17, 1
	v_mul_f32_e32 v17, v17, v21
	v_mul_f32_e32 v17, v17, v33
	v_add_f32_e32 v21, v32, v17
	v_sub_f32_e32 v32, v21, v32
	v_ldexp_f32 v9, v9, 1
	v_sub_f32_e32 v17, v17, v32
	v_add_f32_e32 v9, v9, v17
	v_add_f32_e32 v17, v21, v9
	v_sub_f32_e32 v21, v17, v21
	v_sub_f32_e32 v9, v9, v21
	v_add_f32_e32 v21, v10, v17
	v_sub_f32_e32 v32, v21, v10
	v_sub_f32_e32 v33, v21, v32
	;; [unrolled: 1-line block ×5, first 2 shown]
	v_add_f32_e32 v10, v17, v10
	v_add_f32_e32 v17, v12, v9
	v_sub_f32_e32 v32, v17, v12
	v_sub_f32_e32 v33, v17, v32
	;; [unrolled: 1-line block ×4, first 2 shown]
	v_add_f32_e32 v10, v17, v10
	v_add_f32_e32 v9, v9, v12
	;; [unrolled: 1-line block ×3, first 2 shown]
	v_sub_f32_e32 v17, v12, v21
	v_sub_f32_e32 v10, v10, v17
	v_add_f32_e32 v9, v9, v10
	v_add_f32_e32 v9, v12, v9
	v_cmp_neq_f32_e32 vcc, s4, v4
	s_mov_b32 s4, 0x33800000
	v_cndmask_b32_e32 v9, v11, v9, vcc
	v_cmp_lt_f32_e64 vcc, |v4|, s4
	v_cndmask_b32_e32 v4, v9, v4, vcc
	v_add_f32_e32 v4, v5, v4
	v_cvt_f16_f32_e32 v4, v4
	v_cvt_f32_f16_e32 v17, v4
	v_mov_b32_e32 v46, v4
.LBB420_384:
	s_or_b64 exec, exec, s[2:3]
	v_max_f32_e32 v5, v25, v25
	v_max_f32_e32 v10, v17, v17
	v_min_f32_e32 v9, v10, v5
	v_cmp_u_f16_e32 vcc, v4, v4
	v_max_f32_e32 v5, v10, v5
	v_cndmask_b32_e32 v9, v9, v17, vcc
	v_cndmask_b32_e32 v5, v5, v17, vcc
	v_cndmask_b32_e64 v9, v9, v25, s[24:25]
	v_cndmask_b32_e64 v5, v5, v25, s[24:25]
	s_movk_i32 s4, 0x1f8
	v_cmp_neq_f32_e32 vcc, v9, v5
	v_cmp_class_f32_e64 s[2:3], v9, s4
	s_or_b64 s[6:7], vcc, s[2:3]
	v_mov_b32_e32 v25, v46
	s_and_saveexec_b64 s[2:3], s[6:7]
	s_cbranch_execz .LBB420_386
; %bb.385:
	v_sub_f32_e32 v4, v9, v5
	s_mov_b32 s5, 0x3fb8aa3b
	v_mul_f32_e32 v9, 0x3fb8aa3b, v4
	v_fma_f32 v10, v4, s5, -v9
	v_rndne_f32_e32 v11, v9
	v_fmac_f32_e32 v10, 0x32a5705f, v4
	v_sub_f32_e32 v9, v9, v11
	v_add_f32_e32 v9, v9, v10
	v_exp_f32_e32 v9, v9
	v_cvt_i32_f32_e32 v10, v11
	s_mov_b32 s5, 0xc2ce8ed0
	v_cmp_ngt_f32_e32 vcc, s5, v4
	s_mov_b32 s5, 0x42b17218
	v_ldexp_f32 v9, v9, v10
	v_cndmask_b32_e32 v9, 0, v9, vcc
	v_mov_b32_e32 v11, 0x7f800000
	v_cmp_nlt_f32_e32 vcc, s5, v4
	v_cndmask_b32_e32 v4, v11, v9, vcc
	v_add_f32_e32 v12, 1.0, v4
	v_cvt_f64_f32_e32 v[9:10], v12
	v_add_f32_e32 v17, -1.0, v12
	v_sub_f32_e32 v21, v17, v12
	v_sub_f32_e32 v17, v4, v17
	v_frexp_exp_i32_f64_e32 v9, v[9:10]
	v_add_f32_e32 v10, 1.0, v21
	v_add_f32_e32 v10, v17, v10
	v_frexp_mant_f32_e32 v17, v12
	s_mov_b32 s6, 0x3f2aaaab
	v_cmp_gt_f32_e32 vcc, s6, v17
	s_mov_b32 s6, 0x3f317218
	s_mov_b32 s5, 0x7f800000
	v_subbrev_co_u32_e32 v9, vcc, 0, v9, vcc
	v_sub_u32_e32 v17, 0, v9
	v_ldexp_f32 v12, v12, v17
	v_ldexp_f32 v10, v10, v17
	v_add_f32_e32 v17, -1.0, v12
	v_add_f32_e32 v32, 1.0, v12
	v_add_f32_e32 v21, 1.0, v17
	v_add_f32_e32 v33, -1.0, v32
	v_sub_f32_e32 v21, v12, v21
	v_sub_f32_e32 v12, v12, v33
	v_add_f32_e32 v21, v10, v21
	v_add_f32_e32 v10, v10, v12
	;; [unrolled: 1-line block ×3, first 2 shown]
	v_rcp_f32_e32 v33, v12
	v_add_f32_e32 v25, v17, v21
	v_sub_f32_e32 v17, v17, v25
	v_add_f32_e32 v17, v21, v17
	v_sub_f32_e32 v21, v32, v12
	v_add_f32_e32 v10, v10, v21
	v_mul_f32_e32 v21, v25, v33
	v_mul_f32_e32 v32, v12, v21
	v_fma_f32 v34, v21, v12, -v32
	v_fmac_f32_e32 v34, v21, v10
	v_add_f32_e32 v35, v32, v34
	v_sub_f32_e32 v36, v25, v35
	v_sub_f32_e32 v25, v25, v36
	;; [unrolled: 1-line block ×4, first 2 shown]
	v_add_f32_e32 v17, v17, v25
	v_sub_f32_e32 v25, v32, v34
	v_add_f32_e32 v17, v25, v17
	v_add_f32_e32 v25, v36, v17
	v_mul_f32_e32 v32, v33, v25
	v_mul_f32_e32 v34, v12, v32
	v_fma_f32 v12, v32, v12, -v34
	v_fmac_f32_e32 v12, v32, v10
	v_sub_f32_e32 v10, v36, v25
	v_add_f32_e32 v10, v17, v10
	v_add_f32_e32 v17, v34, v12
	v_sub_f32_e32 v35, v25, v17
	v_sub_f32_e32 v25, v25, v35
	;; [unrolled: 1-line block ×4, first 2 shown]
	v_add_f32_e32 v10, v10, v17
	v_sub_f32_e32 v12, v34, v12
	v_add_f32_e32 v10, v12, v10
	v_add_f32_e32 v12, v21, v32
	;; [unrolled: 1-line block ×3, first 2 shown]
	v_sub_f32_e32 v17, v12, v21
	v_mul_f32_e32 v10, v33, v10
	v_sub_f32_e32 v17, v32, v17
	v_add_f32_e32 v10, v17, v10
	v_cvt_f32_i32_e32 v9, v9
	v_add_f32_e32 v17, v12, v10
	v_mul_f32_e32 v21, v17, v17
	v_mov_b32_e32 v25, 0x3ecc95a3
	v_fmac_f32_e32 v25, 0x3e9b6dac, v21
	v_mov_b32_e32 v32, 0x3f2aaada
	v_fmac_f32_e32 v32, v21, v25
	v_mul_f32_e32 v25, 0x3f317218, v9
	v_fma_f32 v33, v9, s6, -v25
	v_fmac_f32_e32 v33, 0xb102e308, v9
	v_sub_f32_e32 v9, v17, v12
	v_sub_f32_e32 v9, v10, v9
	v_add_f32_e32 v10, v25, v33
	v_sub_f32_e32 v12, v10, v25
	v_ldexp_f32 v25, v17, 1
	v_mul_f32_e32 v17, v17, v21
	v_mul_f32_e32 v17, v17, v32
	v_add_f32_e32 v21, v25, v17
	v_sub_f32_e32 v25, v21, v25
	v_ldexp_f32 v9, v9, 1
	v_sub_f32_e32 v17, v17, v25
	v_add_f32_e32 v9, v9, v17
	v_add_f32_e32 v17, v21, v9
	v_sub_f32_e32 v21, v17, v21
	v_sub_f32_e32 v9, v9, v21
	v_add_f32_e32 v21, v10, v17
	v_sub_f32_e32 v25, v21, v10
	v_sub_f32_e32 v32, v21, v25
	;; [unrolled: 1-line block ×5, first 2 shown]
	v_add_f32_e32 v10, v17, v10
	v_add_f32_e32 v17, v12, v9
	v_sub_f32_e32 v25, v17, v12
	v_sub_f32_e32 v32, v17, v25
	;; [unrolled: 1-line block ×4, first 2 shown]
	v_add_f32_e32 v10, v17, v10
	v_add_f32_e32 v9, v9, v12
	;; [unrolled: 1-line block ×3, first 2 shown]
	v_sub_f32_e32 v17, v12, v21
	v_sub_f32_e32 v10, v10, v17
	v_add_f32_e32 v9, v9, v10
	v_add_f32_e32 v9, v12, v9
	v_cmp_neq_f32_e32 vcc, s5, v4
	s_mov_b32 s5, 0x33800000
	v_cndmask_b32_e32 v9, v11, v9, vcc
	v_cmp_lt_f32_e64 vcc, |v4|, s5
	v_cndmask_b32_e32 v4, v9, v4, vcc
	v_add_f32_e32 v4, v5, v4
	v_cvt_f16_f32_e32 v4, v4
	v_cvt_f32_f16_e32 v17, v4
	v_mov_b32_e32 v25, v4
.LBB420_386:
	s_or_b64 exec, exec, s[2:3]
	v_max_f32_e32 v5, v6, v6
	v_max_f32_e32 v10, v17, v17
	v_min_f32_e32 v9, v10, v5
	v_cmp_u_f16_e32 vcc, v4, v4
	v_max_f32_e32 v5, v10, v5
	v_cndmask_b32_e32 v9, v9, v17, vcc
	v_cndmask_b32_e32 v5, v5, v17, vcc
	v_cndmask_b32_e64 v9, v9, v6, s[26:27]
	v_cndmask_b32_e64 v5, v5, v6, s[26:27]
	v_cmp_neq_f32_e32 vcc, v9, v5
	v_cmp_class_f32_e64 s[2:3], v9, s4
	s_or_b64 s[4:5], vcc, s[2:3]
	v_mov_b32_e32 v32, v25
	s_and_saveexec_b64 s[2:3], s[4:5]
	s_cbranch_execz .LBB420_388
; %bb.387:
	v_sub_f32_e32 v4, v9, v5
	s_mov_b32 s4, 0x3fb8aa3b
	v_mul_f32_e32 v6, 0x3fb8aa3b, v4
	v_fma_f32 v9, v4, s4, -v6
	v_rndne_f32_e32 v10, v6
	v_fmac_f32_e32 v9, 0x32a5705f, v4
	v_sub_f32_e32 v6, v6, v10
	v_add_f32_e32 v6, v6, v9
	v_exp_f32_e32 v6, v6
	v_cvt_i32_f32_e32 v9, v10
	s_mov_b32 s4, 0xc2ce8ed0
	v_cmp_ngt_f32_e32 vcc, s4, v4
	s_mov_b32 s4, 0x42b17218
	v_ldexp_f32 v6, v6, v9
	v_cndmask_b32_e32 v6, 0, v6, vcc
	v_mov_b32_e32 v11, 0x7f800000
	v_cmp_nlt_f32_e32 vcc, s4, v4
	v_cndmask_b32_e32 v4, v11, v6, vcc
	v_add_f32_e32 v6, 1.0, v4
	v_cvt_f64_f32_e32 v[9:10], v6
	v_add_f32_e32 v12, -1.0, v6
	v_sub_f32_e32 v17, v12, v6
	v_sub_f32_e32 v12, v4, v12
	v_frexp_exp_i32_f64_e32 v9, v[9:10]
	v_add_f32_e32 v10, 1.0, v17
	v_add_f32_e32 v10, v12, v10
	v_frexp_mant_f32_e32 v12, v6
	s_mov_b32 s5, 0x3f2aaaab
	v_cmp_gt_f32_e32 vcc, s5, v12
	s_mov_b32 s5, 0x3f317218
	s_mov_b32 s4, 0x7f800000
	v_subbrev_co_u32_e32 v9, vcc, 0, v9, vcc
	v_sub_u32_e32 v12, 0, v9
	v_ldexp_f32 v6, v6, v12
	v_ldexp_f32 v10, v10, v12
	v_add_f32_e32 v12, -1.0, v6
	v_add_f32_e32 v32, 1.0, v6
	v_add_f32_e32 v17, 1.0, v12
	v_add_f32_e32 v33, -1.0, v32
	v_sub_f32_e32 v17, v6, v17
	v_sub_f32_e32 v6, v6, v33
	v_add_f32_e32 v6, v10, v6
	v_add_f32_e32 v17, v10, v17
	;; [unrolled: 1-line block ×3, first 2 shown]
	v_rcp_f32_e32 v33, v10
	v_add_f32_e32 v21, v12, v17
	v_sub_f32_e32 v12, v12, v21
	v_add_f32_e32 v12, v17, v12
	v_sub_f32_e32 v17, v32, v10
	v_add_f32_e32 v6, v6, v17
	v_mul_f32_e32 v17, v21, v33
	v_mul_f32_e32 v32, v10, v17
	v_fma_f32 v34, v17, v10, -v32
	v_fmac_f32_e32 v34, v17, v6
	v_add_f32_e32 v35, v32, v34
	v_sub_f32_e32 v36, v21, v35
	v_sub_f32_e32 v21, v21, v36
	;; [unrolled: 1-line block ×4, first 2 shown]
	v_add_f32_e32 v12, v12, v21
	v_sub_f32_e32 v21, v32, v34
	v_add_f32_e32 v12, v21, v12
	v_add_f32_e32 v21, v36, v12
	v_mul_f32_e32 v32, v33, v21
	v_mul_f32_e32 v34, v10, v32
	v_fma_f32 v10, v32, v10, -v34
	v_fmac_f32_e32 v10, v32, v6
	v_sub_f32_e32 v6, v36, v21
	v_add_f32_e32 v6, v12, v6
	v_add_f32_e32 v12, v34, v10
	v_sub_f32_e32 v35, v21, v12
	v_sub_f32_e32 v21, v21, v35
	;; [unrolled: 1-line block ×4, first 2 shown]
	v_add_f32_e32 v6, v6, v12
	v_sub_f32_e32 v10, v34, v10
	v_add_f32_e32 v6, v10, v6
	v_add_f32_e32 v10, v17, v32
	;; [unrolled: 1-line block ×3, first 2 shown]
	v_sub_f32_e32 v12, v10, v17
	v_mul_f32_e32 v6, v33, v6
	v_sub_f32_e32 v12, v32, v12
	v_add_f32_e32 v6, v12, v6
	v_cvt_f32_i32_e32 v9, v9
	v_add_f32_e32 v12, v10, v6
	v_mul_f32_e32 v17, v12, v12
	v_mov_b32_e32 v21, 0x3ecc95a3
	v_fmac_f32_e32 v21, 0x3e9b6dac, v17
	v_mov_b32_e32 v32, 0x3f2aaada
	v_fmac_f32_e32 v32, v17, v21
	v_mul_f32_e32 v21, 0x3f317218, v9
	v_fma_f32 v33, v9, s5, -v21
	v_fmac_f32_e32 v33, 0xb102e308, v9
	v_sub_f32_e32 v9, v12, v10
	v_sub_f32_e32 v6, v6, v9
	v_add_f32_e32 v9, v21, v33
	v_sub_f32_e32 v10, v9, v21
	v_ldexp_f32 v21, v12, 1
	v_mul_f32_e32 v12, v12, v17
	v_mul_f32_e32 v12, v12, v32
	v_add_f32_e32 v17, v21, v12
	v_sub_f32_e32 v21, v17, v21
	v_ldexp_f32 v6, v6, 1
	v_sub_f32_e32 v12, v12, v21
	v_add_f32_e32 v6, v6, v12
	v_add_f32_e32 v12, v17, v6
	v_sub_f32_e32 v17, v12, v17
	v_sub_f32_e32 v6, v6, v17
	v_add_f32_e32 v17, v9, v12
	v_sub_f32_e32 v21, v17, v9
	v_sub_f32_e32 v32, v17, v21
	;; [unrolled: 1-line block ×5, first 2 shown]
	v_add_f32_e32 v9, v12, v9
	v_add_f32_e32 v12, v10, v6
	v_sub_f32_e32 v21, v12, v10
	v_sub_f32_e32 v32, v12, v21
	;; [unrolled: 1-line block ×4, first 2 shown]
	v_add_f32_e32 v9, v12, v9
	v_add_f32_e32 v6, v6, v10
	;; [unrolled: 1-line block ×3, first 2 shown]
	v_sub_f32_e32 v12, v10, v17
	v_sub_f32_e32 v9, v9, v12
	v_add_f32_e32 v6, v6, v9
	v_add_f32_e32 v6, v10, v6
	v_cmp_neq_f32_e32 vcc, s4, v4
	s_mov_b32 s4, 0x33800000
	v_cndmask_b32_e32 v6, v11, v6, vcc
	v_cmp_lt_f32_e64 vcc, |v4|, s4
	v_cndmask_b32_e32 v4, v6, v4, vcc
	v_add_f32_e32 v4, v5, v4
	v_cvt_f16_f32_e32 v4, v4
	v_cvt_f32_f16_e32 v17, v4
	v_mov_b32_e32 v32, v4
.LBB420_388:
	s_or_b64 exec, exec, s[2:3]
	v_max_f32_e32 v5, v26, v26
	v_max_f32_e32 v9, v17, v17
	v_min_f32_e32 v6, v9, v5
	v_cmp_u_f16_e32 vcc, v4, v4
	v_max_f32_e32 v5, v9, v5
	v_cndmask_b32_e32 v6, v6, v17, vcc
	v_cndmask_b32_e32 v5, v5, v17, vcc
	v_cndmask_b32_e64 v6, v6, v26, s[28:29]
	v_cndmask_b32_e64 v5, v5, v26, s[28:29]
	s_movk_i32 s4, 0x1f8
	v_cmp_neq_f32_e32 vcc, v6, v5
	v_cmp_class_f32_e64 s[2:3], v6, s4
	s_or_b64 s[6:7], vcc, s[2:3]
	v_mov_b32_e32 v26, v32
	s_and_saveexec_b64 s[2:3], s[6:7]
	s_cbranch_execz .LBB420_390
; %bb.389:
	v_sub_f32_e32 v4, v6, v5
	s_mov_b32 s5, 0x3fb8aa3b
	v_mul_f32_e32 v6, 0x3fb8aa3b, v4
	v_fma_f32 v9, v4, s5, -v6
	v_rndne_f32_e32 v10, v6
	v_fmac_f32_e32 v9, 0x32a5705f, v4
	v_sub_f32_e32 v6, v6, v10
	v_add_f32_e32 v6, v6, v9
	v_exp_f32_e32 v6, v6
	v_cvt_i32_f32_e32 v9, v10
	s_mov_b32 s5, 0xc2ce8ed0
	v_cmp_ngt_f32_e32 vcc, s5, v4
	s_mov_b32 s5, 0x42b17218
	v_ldexp_f32 v6, v6, v9
	v_cndmask_b32_e32 v6, 0, v6, vcc
	v_mov_b32_e32 v11, 0x7f800000
	v_cmp_nlt_f32_e32 vcc, s5, v4
	v_cndmask_b32_e32 v4, v11, v6, vcc
	v_add_f32_e32 v6, 1.0, v4
	v_cvt_f64_f32_e32 v[9:10], v6
	v_add_f32_e32 v12, -1.0, v6
	v_sub_f32_e32 v17, v12, v6
	v_sub_f32_e32 v12, v4, v12
	v_frexp_exp_i32_f64_e32 v9, v[9:10]
	v_add_f32_e32 v10, 1.0, v17
	v_add_f32_e32 v10, v12, v10
	v_frexp_mant_f32_e32 v12, v6
	s_mov_b32 s6, 0x3f2aaaab
	v_cmp_gt_f32_e32 vcc, s6, v12
	s_mov_b32 s6, 0x3f317218
	s_mov_b32 s5, 0x7f800000
	v_subbrev_co_u32_e32 v9, vcc, 0, v9, vcc
	v_sub_u32_e32 v12, 0, v9
	v_ldexp_f32 v6, v6, v12
	v_ldexp_f32 v10, v10, v12
	v_add_f32_e32 v12, -1.0, v6
	v_add_f32_e32 v26, 1.0, v6
	v_add_f32_e32 v17, 1.0, v12
	v_add_f32_e32 v33, -1.0, v26
	v_sub_f32_e32 v17, v6, v17
	v_sub_f32_e32 v6, v6, v33
	v_add_f32_e32 v6, v10, v6
	v_add_f32_e32 v17, v10, v17
	;; [unrolled: 1-line block ×3, first 2 shown]
	v_rcp_f32_e32 v33, v10
	v_add_f32_e32 v21, v12, v17
	v_sub_f32_e32 v12, v12, v21
	v_add_f32_e32 v12, v17, v12
	v_sub_f32_e32 v17, v26, v10
	v_add_f32_e32 v6, v6, v17
	v_mul_f32_e32 v17, v21, v33
	v_mul_f32_e32 v26, v10, v17
	v_fma_f32 v34, v17, v10, -v26
	v_fmac_f32_e32 v34, v17, v6
	v_add_f32_e32 v35, v26, v34
	v_sub_f32_e32 v36, v21, v35
	v_sub_f32_e32 v21, v21, v36
	;; [unrolled: 1-line block ×4, first 2 shown]
	v_add_f32_e32 v12, v12, v21
	v_sub_f32_e32 v21, v26, v34
	v_add_f32_e32 v12, v21, v12
	v_add_f32_e32 v21, v36, v12
	v_mul_f32_e32 v26, v33, v21
	v_mul_f32_e32 v34, v10, v26
	v_fma_f32 v10, v26, v10, -v34
	v_fmac_f32_e32 v10, v26, v6
	v_sub_f32_e32 v6, v36, v21
	v_add_f32_e32 v6, v12, v6
	v_add_f32_e32 v12, v34, v10
	v_sub_f32_e32 v35, v21, v12
	v_sub_f32_e32 v21, v21, v35
	;; [unrolled: 1-line block ×4, first 2 shown]
	v_add_f32_e32 v6, v6, v12
	v_sub_f32_e32 v10, v34, v10
	v_add_f32_e32 v6, v10, v6
	v_add_f32_e32 v10, v17, v26
	;; [unrolled: 1-line block ×3, first 2 shown]
	v_sub_f32_e32 v12, v10, v17
	v_mul_f32_e32 v6, v33, v6
	v_sub_f32_e32 v12, v26, v12
	v_add_f32_e32 v6, v12, v6
	v_cvt_f32_i32_e32 v9, v9
	v_add_f32_e32 v12, v10, v6
	v_mul_f32_e32 v17, v12, v12
	v_mov_b32_e32 v21, 0x3ecc95a3
	v_fmac_f32_e32 v21, 0x3e9b6dac, v17
	v_mov_b32_e32 v26, 0x3f2aaada
	v_fmac_f32_e32 v26, v17, v21
	v_mul_f32_e32 v21, 0x3f317218, v9
	v_fma_f32 v33, v9, s6, -v21
	v_fmac_f32_e32 v33, 0xb102e308, v9
	v_sub_f32_e32 v9, v12, v10
	v_sub_f32_e32 v6, v6, v9
	v_add_f32_e32 v9, v21, v33
	v_sub_f32_e32 v10, v9, v21
	v_ldexp_f32 v21, v12, 1
	v_mul_f32_e32 v12, v12, v17
	v_mul_f32_e32 v12, v12, v26
	v_add_f32_e32 v17, v21, v12
	v_sub_f32_e32 v21, v17, v21
	v_ldexp_f32 v6, v6, 1
	v_sub_f32_e32 v12, v12, v21
	v_add_f32_e32 v6, v6, v12
	v_add_f32_e32 v12, v17, v6
	v_sub_f32_e32 v17, v12, v17
	v_sub_f32_e32 v6, v6, v17
	v_add_f32_e32 v17, v9, v12
	v_sub_f32_e32 v21, v17, v9
	v_sub_f32_e32 v26, v17, v21
	;; [unrolled: 1-line block ×5, first 2 shown]
	v_add_f32_e32 v9, v12, v9
	v_add_f32_e32 v12, v10, v6
	v_sub_f32_e32 v21, v12, v10
	v_sub_f32_e32 v26, v12, v21
	;; [unrolled: 1-line block ×4, first 2 shown]
	v_add_f32_e32 v9, v12, v9
	v_add_f32_e32 v6, v6, v10
	;; [unrolled: 1-line block ×3, first 2 shown]
	v_sub_f32_e32 v12, v10, v17
	v_sub_f32_e32 v9, v9, v12
	v_add_f32_e32 v6, v6, v9
	v_add_f32_e32 v6, v10, v6
	v_cmp_neq_f32_e32 vcc, s5, v4
	s_mov_b32 s5, 0x33800000
	v_cndmask_b32_e32 v6, v11, v6, vcc
	v_cmp_lt_f32_e64 vcc, |v4|, s5
	v_cndmask_b32_e32 v4, v6, v4, vcc
	v_add_f32_e32 v4, v5, v4
	v_cvt_f16_f32_e32 v4, v4
	v_cvt_f32_f16_e32 v17, v4
	v_mov_b32_e32 v26, v4
.LBB420_390:
	s_or_b64 exec, exec, s[2:3]
	v_max_f32_e32 v5, v7, v7
	v_max_f32_e32 v9, v17, v17
	v_min_f32_e32 v6, v9, v5
	v_cmp_u_f16_e32 vcc, v4, v4
	v_max_f32_e32 v5, v9, v5
	v_cndmask_b32_e32 v6, v6, v17, vcc
	v_cndmask_b32_e32 v5, v5, v17, vcc
	v_cndmask_b32_e64 v6, v6, v7, s[30:31]
	v_cndmask_b32_e64 v5, v5, v7, s[30:31]
	v_cmp_neq_f32_e32 vcc, v6, v5
	v_cmp_class_f32_e64 s[2:3], v6, s4
	s_or_b64 s[4:5], vcc, s[2:3]
	v_mov_b32_e32 v33, v26
	s_and_saveexec_b64 s[2:3], s[4:5]
	s_cbranch_execz .LBB420_392
; %bb.391:
	v_sub_f32_e32 v4, v6, v5
	s_mov_b32 s4, 0x3fb8aa3b
	v_mul_f32_e32 v6, 0x3fb8aa3b, v4
	v_fma_f32 v7, v4, s4, -v6
	v_rndne_f32_e32 v9, v6
	v_fmac_f32_e32 v7, 0x32a5705f, v4
	v_sub_f32_e32 v6, v6, v9
	v_add_f32_e32 v6, v6, v7
	v_exp_f32_e32 v6, v6
	v_cvt_i32_f32_e32 v7, v9
	s_mov_b32 s4, 0xc2ce8ed0
	v_cmp_ngt_f32_e32 vcc, s4, v4
	s_mov_b32 s4, 0x42b17218
	v_ldexp_f32 v6, v6, v7
	v_cndmask_b32_e32 v6, 0, v6, vcc
	v_mov_b32_e32 v9, 0x7f800000
	v_cmp_nlt_f32_e32 vcc, s4, v4
	v_cndmask_b32_e32 v4, v9, v6, vcc
	v_add_f32_e32 v10, 1.0, v4
	v_cvt_f64_f32_e32 v[6:7], v10
	v_add_f32_e32 v11, -1.0, v10
	v_sub_f32_e32 v12, v11, v10
	v_sub_f32_e32 v11, v4, v11
	v_frexp_exp_i32_f64_e32 v6, v[6:7]
	v_add_f32_e32 v7, 1.0, v12
	v_add_f32_e32 v7, v11, v7
	v_frexp_mant_f32_e32 v11, v10
	s_mov_b32 s5, 0x3f2aaaab
	v_cmp_gt_f32_e32 vcc, s5, v11
	s_mov_b32 s5, 0x3f317218
	s_mov_b32 s4, 0x7f800000
	v_subbrev_co_u32_e32 v6, vcc, 0, v6, vcc
	v_sub_u32_e32 v11, 0, v6
	v_ldexp_f32 v10, v10, v11
	v_ldexp_f32 v7, v7, v11
	v_add_f32_e32 v11, -1.0, v10
	v_add_f32_e32 v21, 1.0, v10
	v_add_f32_e32 v12, 1.0, v11
	v_add_f32_e32 v33, -1.0, v21
	v_sub_f32_e32 v12, v10, v12
	v_sub_f32_e32 v10, v10, v33
	v_add_f32_e32 v12, v7, v12
	v_add_f32_e32 v7, v7, v10
	;; [unrolled: 1-line block ×3, first 2 shown]
	v_rcp_f32_e32 v33, v10
	v_add_f32_e32 v17, v11, v12
	v_sub_f32_e32 v11, v11, v17
	v_add_f32_e32 v11, v12, v11
	v_sub_f32_e32 v12, v21, v10
	v_add_f32_e32 v7, v7, v12
	v_mul_f32_e32 v12, v17, v33
	v_mul_f32_e32 v21, v10, v12
	v_fma_f32 v34, v12, v10, -v21
	v_fmac_f32_e32 v34, v12, v7
	v_add_f32_e32 v35, v21, v34
	v_sub_f32_e32 v36, v17, v35
	v_sub_f32_e32 v17, v17, v36
	;; [unrolled: 1-line block ×4, first 2 shown]
	v_add_f32_e32 v11, v11, v17
	v_sub_f32_e32 v17, v21, v34
	v_add_f32_e32 v11, v17, v11
	v_add_f32_e32 v17, v36, v11
	v_mul_f32_e32 v21, v33, v17
	v_mul_f32_e32 v34, v10, v21
	v_fma_f32 v10, v21, v10, -v34
	v_fmac_f32_e32 v10, v21, v7
	v_sub_f32_e32 v7, v36, v17
	v_add_f32_e32 v7, v11, v7
	v_add_f32_e32 v11, v34, v10
	v_sub_f32_e32 v35, v17, v11
	v_sub_f32_e32 v17, v17, v35
	;; [unrolled: 1-line block ×4, first 2 shown]
	v_add_f32_e32 v7, v7, v11
	v_sub_f32_e32 v10, v34, v10
	v_add_f32_e32 v7, v10, v7
	v_add_f32_e32 v10, v12, v21
	;; [unrolled: 1-line block ×3, first 2 shown]
	v_sub_f32_e32 v11, v10, v12
	v_mul_f32_e32 v7, v33, v7
	v_sub_f32_e32 v11, v21, v11
	v_add_f32_e32 v7, v11, v7
	v_cvt_f32_i32_e32 v6, v6
	v_add_f32_e32 v11, v10, v7
	v_mul_f32_e32 v12, v11, v11
	v_mov_b32_e32 v17, 0x3ecc95a3
	v_fmac_f32_e32 v17, 0x3e9b6dac, v12
	v_mov_b32_e32 v21, 0x3f2aaada
	v_fmac_f32_e32 v21, v12, v17
	v_mul_f32_e32 v17, 0x3f317218, v6
	v_fma_f32 v33, v6, s5, -v17
	v_fmac_f32_e32 v33, 0xb102e308, v6
	v_sub_f32_e32 v6, v11, v10
	v_sub_f32_e32 v6, v7, v6
	v_add_f32_e32 v7, v17, v33
	v_sub_f32_e32 v10, v7, v17
	v_ldexp_f32 v17, v11, 1
	v_mul_f32_e32 v11, v11, v12
	v_mul_f32_e32 v11, v11, v21
	v_add_f32_e32 v12, v17, v11
	v_sub_f32_e32 v17, v12, v17
	v_ldexp_f32 v6, v6, 1
	v_sub_f32_e32 v11, v11, v17
	v_add_f32_e32 v6, v6, v11
	v_add_f32_e32 v11, v12, v6
	v_sub_f32_e32 v12, v11, v12
	v_sub_f32_e32 v6, v6, v12
	v_add_f32_e32 v12, v7, v11
	v_sub_f32_e32 v17, v12, v7
	v_sub_f32_e32 v21, v12, v17
	;; [unrolled: 1-line block ×5, first 2 shown]
	v_add_f32_e32 v7, v11, v7
	v_add_f32_e32 v11, v10, v6
	v_sub_f32_e32 v17, v11, v10
	v_sub_f32_e32 v21, v11, v17
	v_sub_f32_e32 v10, v10, v21
	v_sub_f32_e32 v6, v6, v17
	v_add_f32_e32 v7, v11, v7
	v_add_f32_e32 v6, v6, v10
	;; [unrolled: 1-line block ×3, first 2 shown]
	v_sub_f32_e32 v11, v10, v12
	v_sub_f32_e32 v7, v7, v11
	v_add_f32_e32 v6, v6, v7
	v_add_f32_e32 v6, v10, v6
	v_cmp_neq_f32_e32 vcc, s4, v4
	s_mov_b32 s4, 0x33800000
	v_cndmask_b32_e32 v6, v9, v6, vcc
	v_cmp_lt_f32_e64 vcc, |v4|, s4
	v_cndmask_b32_e32 v4, v6, v4, vcc
	v_add_f32_e32 v4, v5, v4
	v_cvt_f16_f32_e32 v4, v4
	v_cvt_f32_f16_e32 v17, v4
	v_mov_b32_e32 v33, v4
.LBB420_392:
	s_or_b64 exec, exec, s[2:3]
	v_max_f32_e32 v5, v27, v27
	v_max_f32_e32 v7, v17, v17
	v_min_f32_e32 v6, v7, v5
	v_cmp_u_f16_e32 vcc, v4, v4
	v_max_f32_e32 v5, v7, v5
	v_cndmask_b32_e32 v6, v6, v17, vcc
	v_cndmask_b32_e32 v5, v5, v17, vcc
	v_cndmask_b32_e64 v6, v6, v27, s[34:35]
	v_cndmask_b32_e64 v5, v5, v27, s[34:35]
	s_movk_i32 s4, 0x1f8
	v_cmp_neq_f32_e32 vcc, v6, v5
	v_cmp_class_f32_e64 s[2:3], v6, s4
	s_or_b64 s[6:7], vcc, s[2:3]
	v_mov_b32_e32 v27, v33
	s_and_saveexec_b64 s[2:3], s[6:7]
	s_cbranch_execz .LBB420_394
; %bb.393:
	v_sub_f32_e32 v4, v6, v5
	s_mov_b32 s5, 0x3fb8aa3b
	v_mul_f32_e32 v6, 0x3fb8aa3b, v4
	v_fma_f32 v7, v4, s5, -v6
	v_rndne_f32_e32 v9, v6
	v_fmac_f32_e32 v7, 0x32a5705f, v4
	v_sub_f32_e32 v6, v6, v9
	v_add_f32_e32 v6, v6, v7
	v_exp_f32_e32 v6, v6
	v_cvt_i32_f32_e32 v7, v9
	s_mov_b32 s5, 0xc2ce8ed0
	v_cmp_ngt_f32_e32 vcc, s5, v4
	s_mov_b32 s5, 0x42b17218
	v_ldexp_f32 v6, v6, v7
	v_cndmask_b32_e32 v6, 0, v6, vcc
	v_mov_b32_e32 v9, 0x7f800000
	v_cmp_nlt_f32_e32 vcc, s5, v4
	v_cndmask_b32_e32 v4, v9, v6, vcc
	v_add_f32_e32 v10, 1.0, v4
	v_cvt_f64_f32_e32 v[6:7], v10
	v_add_f32_e32 v11, -1.0, v10
	v_sub_f32_e32 v12, v11, v10
	v_sub_f32_e32 v11, v4, v11
	v_frexp_exp_i32_f64_e32 v6, v[6:7]
	v_add_f32_e32 v7, 1.0, v12
	v_add_f32_e32 v7, v11, v7
	v_frexp_mant_f32_e32 v11, v10
	s_mov_b32 s6, 0x3f2aaaab
	v_cmp_gt_f32_e32 vcc, s6, v11
	s_mov_b32 s6, 0x3f317218
	s_mov_b32 s5, 0x7f800000
	v_subbrev_co_u32_e32 v6, vcc, 0, v6, vcc
	v_sub_u32_e32 v11, 0, v6
	v_ldexp_f32 v10, v10, v11
	v_ldexp_f32 v7, v7, v11
	v_add_f32_e32 v11, -1.0, v10
	v_add_f32_e32 v21, 1.0, v10
	v_add_f32_e32 v12, 1.0, v11
	v_add_f32_e32 v27, -1.0, v21
	v_sub_f32_e32 v12, v10, v12
	v_sub_f32_e32 v10, v10, v27
	v_add_f32_e32 v12, v7, v12
	v_add_f32_e32 v7, v7, v10
	;; [unrolled: 1-line block ×3, first 2 shown]
	v_rcp_f32_e32 v27, v10
	v_add_f32_e32 v17, v11, v12
	v_sub_f32_e32 v11, v11, v17
	v_add_f32_e32 v11, v12, v11
	v_sub_f32_e32 v12, v21, v10
	v_add_f32_e32 v7, v7, v12
	v_mul_f32_e32 v12, v17, v27
	v_mul_f32_e32 v21, v10, v12
	v_fma_f32 v34, v12, v10, -v21
	v_fmac_f32_e32 v34, v12, v7
	v_add_f32_e32 v35, v21, v34
	v_sub_f32_e32 v36, v17, v35
	v_sub_f32_e32 v17, v17, v36
	v_sub_f32_e32 v21, v35, v21
	v_sub_f32_e32 v17, v17, v35
	v_add_f32_e32 v11, v11, v17
	v_sub_f32_e32 v17, v21, v34
	v_add_f32_e32 v11, v17, v11
	v_add_f32_e32 v17, v36, v11
	v_mul_f32_e32 v21, v27, v17
	v_mul_f32_e32 v34, v10, v21
	v_fma_f32 v10, v21, v10, -v34
	v_fmac_f32_e32 v10, v21, v7
	v_sub_f32_e32 v7, v36, v17
	v_add_f32_e32 v7, v11, v7
	v_add_f32_e32 v11, v34, v10
	v_sub_f32_e32 v35, v17, v11
	v_sub_f32_e32 v17, v17, v35
	v_sub_f32_e32 v34, v11, v34
	v_sub_f32_e32 v11, v17, v11
	v_add_f32_e32 v7, v7, v11
	v_sub_f32_e32 v10, v34, v10
	v_add_f32_e32 v7, v10, v7
	v_add_f32_e32 v10, v12, v21
	v_add_f32_e32 v7, v35, v7
	v_sub_f32_e32 v11, v10, v12
	v_mul_f32_e32 v7, v27, v7
	v_sub_f32_e32 v11, v21, v11
	v_add_f32_e32 v7, v11, v7
	v_cvt_f32_i32_e32 v6, v6
	v_add_f32_e32 v11, v10, v7
	v_mul_f32_e32 v12, v11, v11
	v_mov_b32_e32 v17, 0x3ecc95a3
	v_fmac_f32_e32 v17, 0x3e9b6dac, v12
	v_mov_b32_e32 v21, 0x3f2aaada
	v_fmac_f32_e32 v21, v12, v17
	v_mul_f32_e32 v17, 0x3f317218, v6
	v_fma_f32 v27, v6, s6, -v17
	v_fmac_f32_e32 v27, 0xb102e308, v6
	v_sub_f32_e32 v6, v11, v10
	v_sub_f32_e32 v6, v7, v6
	v_add_f32_e32 v7, v17, v27
	v_sub_f32_e32 v10, v7, v17
	v_ldexp_f32 v17, v11, 1
	v_mul_f32_e32 v11, v11, v12
	v_mul_f32_e32 v11, v11, v21
	v_add_f32_e32 v12, v17, v11
	v_sub_f32_e32 v17, v12, v17
	v_ldexp_f32 v6, v6, 1
	v_sub_f32_e32 v11, v11, v17
	v_add_f32_e32 v6, v6, v11
	v_add_f32_e32 v11, v12, v6
	v_sub_f32_e32 v12, v11, v12
	v_sub_f32_e32 v6, v6, v12
	v_add_f32_e32 v12, v7, v11
	v_sub_f32_e32 v17, v12, v7
	v_sub_f32_e32 v21, v12, v17
	;; [unrolled: 1-line block ×5, first 2 shown]
	v_add_f32_e32 v7, v11, v7
	v_add_f32_e32 v11, v10, v6
	v_sub_f32_e32 v17, v11, v10
	v_sub_f32_e32 v21, v11, v17
	v_sub_f32_e32 v10, v10, v21
	v_sub_f32_e32 v6, v6, v17
	v_add_f32_e32 v7, v11, v7
	v_add_f32_e32 v6, v6, v10
	;; [unrolled: 1-line block ×3, first 2 shown]
	v_sub_f32_e32 v11, v10, v12
	v_sub_f32_e32 v7, v7, v11
	v_add_f32_e32 v6, v6, v7
	v_add_f32_e32 v6, v10, v6
	v_cmp_neq_f32_e32 vcc, s5, v4
	s_mov_b32 s5, 0x33800000
	v_cndmask_b32_e32 v6, v9, v6, vcc
	v_cmp_lt_f32_e64 vcc, |v4|, s5
	v_cndmask_b32_e32 v4, v6, v4, vcc
	v_add_f32_e32 v4, v5, v4
	v_cvt_f16_f32_e32 v4, v4
	v_cvt_f32_f16_e32 v17, v4
	v_mov_b32_e32 v27, v4
.LBB420_394:
	s_or_b64 exec, exec, s[2:3]
	v_max_f32_e32 v5, v8, v8
	v_max_f32_e32 v7, v17, v17
	v_min_f32_e32 v6, v7, v5
	v_cmp_u_f16_e32 vcc, v4, v4
	v_max_f32_e32 v5, v7, v5
	v_cndmask_b32_e32 v6, v6, v17, vcc
	v_cndmask_b32_e32 v5, v5, v17, vcc
	v_cndmask_b32_e64 v6, v6, v8, s[36:37]
	v_cndmask_b32_e64 v5, v5, v8, s[36:37]
	v_cmp_neq_f32_e32 vcc, v6, v5
	v_cmp_class_f32_e64 s[2:3], v6, s4
	s_or_b64 s[4:5], vcc, s[2:3]
	v_mov_b32_e32 v34, v27
	s_and_saveexec_b64 s[2:3], s[4:5]
	s_cbranch_execz .LBB420_396
; %bb.395:
	v_sub_f32_e32 v4, v6, v5
	s_mov_b32 s4, 0x3fb8aa3b
	v_mul_f32_e32 v6, 0x3fb8aa3b, v4
	v_fma_f32 v7, v4, s4, -v6
	v_rndne_f32_e32 v8, v6
	v_fmac_f32_e32 v7, 0x32a5705f, v4
	v_sub_f32_e32 v6, v6, v8
	v_add_f32_e32 v6, v6, v7
	v_exp_f32_e32 v6, v6
	v_cvt_i32_f32_e32 v7, v8
	s_mov_b32 s4, 0xc2ce8ed0
	v_cmp_ngt_f32_e32 vcc, s4, v4
	s_mov_b32 s4, 0x42b17218
	v_ldexp_f32 v6, v6, v7
	v_cndmask_b32_e32 v6, 0, v6, vcc
	v_mov_b32_e32 v8, 0x7f800000
	v_cmp_nlt_f32_e32 vcc, s4, v4
	v_cndmask_b32_e32 v4, v8, v6, vcc
	v_add_f32_e32 v9, 1.0, v4
	v_cvt_f64_f32_e32 v[6:7], v9
	v_add_f32_e32 v10, -1.0, v9
	v_sub_f32_e32 v11, v10, v9
	v_sub_f32_e32 v10, v4, v10
	v_frexp_exp_i32_f64_e32 v6, v[6:7]
	v_add_f32_e32 v7, 1.0, v11
	v_add_f32_e32 v7, v10, v7
	v_frexp_mant_f32_e32 v10, v9
	s_mov_b32 s5, 0x3f2aaaab
	v_cmp_gt_f32_e32 vcc, s5, v10
	s_mov_b32 s5, 0x3f317218
	s_mov_b32 s4, 0x7f800000
	v_subbrev_co_u32_e32 v6, vcc, 0, v6, vcc
	v_sub_u32_e32 v10, 0, v6
	v_ldexp_f32 v9, v9, v10
	v_ldexp_f32 v7, v7, v10
	v_add_f32_e32 v10, -1.0, v9
	v_add_f32_e32 v17, 1.0, v9
	v_add_f32_e32 v11, 1.0, v10
	v_add_f32_e32 v21, -1.0, v17
	v_sub_f32_e32 v11, v9, v11
	v_sub_f32_e32 v9, v9, v21
	v_add_f32_e32 v11, v7, v11
	v_add_f32_e32 v7, v7, v9
	;; [unrolled: 1-line block ×3, first 2 shown]
	v_rcp_f32_e32 v21, v9
	v_add_f32_e32 v12, v10, v11
	v_sub_f32_e32 v10, v10, v12
	v_add_f32_e32 v10, v11, v10
	v_sub_f32_e32 v11, v17, v9
	v_add_f32_e32 v7, v7, v11
	v_mul_f32_e32 v11, v12, v21
	v_mul_f32_e32 v17, v9, v11
	v_fma_f32 v34, v11, v9, -v17
	v_fmac_f32_e32 v34, v11, v7
	v_add_f32_e32 v35, v17, v34
	v_sub_f32_e32 v36, v12, v35
	v_sub_f32_e32 v12, v12, v36
	;; [unrolled: 1-line block ×4, first 2 shown]
	v_add_f32_e32 v10, v10, v12
	v_sub_f32_e32 v12, v17, v34
	v_add_f32_e32 v10, v12, v10
	v_add_f32_e32 v12, v36, v10
	v_mul_f32_e32 v17, v21, v12
	v_mul_f32_e32 v34, v9, v17
	v_fma_f32 v9, v17, v9, -v34
	v_fmac_f32_e32 v9, v17, v7
	v_sub_f32_e32 v7, v36, v12
	v_add_f32_e32 v7, v10, v7
	v_add_f32_e32 v10, v34, v9
	v_sub_f32_e32 v35, v12, v10
	v_sub_f32_e32 v12, v12, v35
	;; [unrolled: 1-line block ×4, first 2 shown]
	v_add_f32_e32 v7, v7, v10
	v_sub_f32_e32 v9, v34, v9
	v_add_f32_e32 v7, v9, v7
	v_add_f32_e32 v9, v11, v17
	;; [unrolled: 1-line block ×3, first 2 shown]
	v_sub_f32_e32 v10, v9, v11
	v_mul_f32_e32 v7, v21, v7
	v_sub_f32_e32 v10, v17, v10
	v_add_f32_e32 v7, v10, v7
	v_cvt_f32_i32_e32 v6, v6
	v_add_f32_e32 v10, v9, v7
	v_mul_f32_e32 v11, v10, v10
	v_mov_b32_e32 v12, 0x3ecc95a3
	v_fmac_f32_e32 v12, 0x3e9b6dac, v11
	v_mov_b32_e32 v17, 0x3f2aaada
	v_fmac_f32_e32 v17, v11, v12
	v_mul_f32_e32 v12, 0x3f317218, v6
	v_fma_f32 v21, v6, s5, -v12
	v_fmac_f32_e32 v21, 0xb102e308, v6
	v_sub_f32_e32 v6, v10, v9
	v_sub_f32_e32 v6, v7, v6
	v_add_f32_e32 v7, v12, v21
	v_sub_f32_e32 v9, v7, v12
	v_ldexp_f32 v12, v10, 1
	v_mul_f32_e32 v10, v10, v11
	v_mul_f32_e32 v10, v10, v17
	v_add_f32_e32 v11, v12, v10
	v_sub_f32_e32 v12, v11, v12
	v_ldexp_f32 v6, v6, 1
	v_sub_f32_e32 v10, v10, v12
	v_add_f32_e32 v6, v6, v10
	v_add_f32_e32 v10, v11, v6
	v_sub_f32_e32 v11, v10, v11
	v_sub_f32_e32 v6, v6, v11
	v_add_f32_e32 v11, v7, v10
	v_sub_f32_e32 v12, v11, v7
	v_sub_f32_e32 v17, v11, v12
	;; [unrolled: 1-line block ×5, first 2 shown]
	v_add_f32_e32 v7, v10, v7
	v_add_f32_e32 v10, v9, v6
	v_sub_f32_e32 v12, v10, v9
	v_sub_f32_e32 v17, v10, v12
	v_sub_f32_e32 v9, v9, v17
	v_sub_f32_e32 v6, v6, v12
	v_add_f32_e32 v7, v10, v7
	v_add_f32_e32 v6, v6, v9
	;; [unrolled: 1-line block ×3, first 2 shown]
	v_sub_f32_e32 v10, v9, v11
	v_sub_f32_e32 v7, v7, v10
	v_add_f32_e32 v6, v6, v7
	v_add_f32_e32 v6, v9, v6
	v_cmp_neq_f32_e32 vcc, s4, v4
	s_mov_b32 s4, 0x33800000
	v_cndmask_b32_e32 v6, v8, v6, vcc
	v_cmp_lt_f32_e64 vcc, |v4|, s4
	v_cndmask_b32_e32 v4, v6, v4, vcc
	v_add_f32_e32 v4, v5, v4
	v_cvt_f16_f32_e32 v4, v4
	v_cvt_f32_f16_e32 v17, v4
	v_mov_b32_e32 v34, v4
.LBB420_396:
	s_or_b64 exec, exec, s[2:3]
	v_max_f32_e32 v5, v28, v28
	v_max_f32_e32 v7, v17, v17
	v_min_f32_e32 v6, v7, v5
	v_cmp_u_f16_e32 vcc, v4, v4
	v_max_f32_e32 v5, v7, v5
	v_cndmask_b32_e32 v6, v6, v17, vcc
	v_cndmask_b32_e32 v5, v5, v17, vcc
	v_cndmask_b32_e64 v6, v6, v28, s[38:39]
	v_cndmask_b32_e64 v5, v5, v28, s[38:39]
	s_movk_i32 s4, 0x1f8
	v_cmp_neq_f32_e32 vcc, v6, v5
	v_cmp_class_f32_e64 s[2:3], v6, s4
	s_or_b64 s[6:7], vcc, s[2:3]
	v_mov_b32_e32 v28, v34
	s_and_saveexec_b64 s[2:3], s[6:7]
	s_cbranch_execz .LBB420_398
; %bb.397:
	v_sub_f32_e32 v4, v6, v5
	s_mov_b32 s5, 0x3fb8aa3b
	v_mul_f32_e32 v6, 0x3fb8aa3b, v4
	v_fma_f32 v7, v4, s5, -v6
	v_rndne_f32_e32 v8, v6
	v_fmac_f32_e32 v7, 0x32a5705f, v4
	v_sub_f32_e32 v6, v6, v8
	v_add_f32_e32 v6, v6, v7
	v_exp_f32_e32 v6, v6
	v_cvt_i32_f32_e32 v7, v8
	s_mov_b32 s5, 0xc2ce8ed0
	v_cmp_ngt_f32_e32 vcc, s5, v4
	s_mov_b32 s5, 0x42b17218
	v_ldexp_f32 v6, v6, v7
	v_cndmask_b32_e32 v6, 0, v6, vcc
	v_mov_b32_e32 v8, 0x7f800000
	v_cmp_nlt_f32_e32 vcc, s5, v4
	v_cndmask_b32_e32 v4, v8, v6, vcc
	v_add_f32_e32 v9, 1.0, v4
	v_cvt_f64_f32_e32 v[6:7], v9
	v_add_f32_e32 v10, -1.0, v9
	v_sub_f32_e32 v11, v10, v9
	v_sub_f32_e32 v10, v4, v10
	v_frexp_exp_i32_f64_e32 v6, v[6:7]
	v_add_f32_e32 v7, 1.0, v11
	v_add_f32_e32 v7, v10, v7
	v_frexp_mant_f32_e32 v10, v9
	s_mov_b32 s6, 0x3f2aaaab
	v_cmp_gt_f32_e32 vcc, s6, v10
	s_mov_b32 s6, 0x3f317218
	s_mov_b32 s5, 0x7f800000
	v_subbrev_co_u32_e32 v6, vcc, 0, v6, vcc
	v_sub_u32_e32 v10, 0, v6
	v_ldexp_f32 v9, v9, v10
	v_ldexp_f32 v7, v7, v10
	v_add_f32_e32 v10, -1.0, v9
	v_add_f32_e32 v17, 1.0, v9
	v_add_f32_e32 v11, 1.0, v10
	v_add_f32_e32 v21, -1.0, v17
	v_sub_f32_e32 v11, v9, v11
	v_sub_f32_e32 v9, v9, v21
	v_add_f32_e32 v11, v7, v11
	v_add_f32_e32 v7, v7, v9
	;; [unrolled: 1-line block ×3, first 2 shown]
	v_rcp_f32_e32 v21, v9
	v_add_f32_e32 v12, v10, v11
	v_sub_f32_e32 v10, v10, v12
	v_add_f32_e32 v10, v11, v10
	v_sub_f32_e32 v11, v17, v9
	v_add_f32_e32 v7, v7, v11
	v_mul_f32_e32 v11, v12, v21
	v_mul_f32_e32 v17, v9, v11
	v_fma_f32 v28, v11, v9, -v17
	v_fmac_f32_e32 v28, v11, v7
	v_add_f32_e32 v35, v17, v28
	v_sub_f32_e32 v36, v12, v35
	v_sub_f32_e32 v12, v12, v36
	;; [unrolled: 1-line block ×4, first 2 shown]
	v_add_f32_e32 v10, v10, v12
	v_sub_f32_e32 v12, v17, v28
	v_add_f32_e32 v10, v12, v10
	v_add_f32_e32 v12, v36, v10
	v_mul_f32_e32 v17, v21, v12
	v_mul_f32_e32 v28, v9, v17
	v_fma_f32 v9, v17, v9, -v28
	v_fmac_f32_e32 v9, v17, v7
	v_sub_f32_e32 v7, v36, v12
	v_add_f32_e32 v7, v10, v7
	v_add_f32_e32 v10, v28, v9
	v_sub_f32_e32 v35, v12, v10
	v_sub_f32_e32 v12, v12, v35
	;; [unrolled: 1-line block ×4, first 2 shown]
	v_add_f32_e32 v7, v7, v10
	v_sub_f32_e32 v9, v28, v9
	v_add_f32_e32 v7, v9, v7
	v_add_f32_e32 v9, v11, v17
	;; [unrolled: 1-line block ×3, first 2 shown]
	v_sub_f32_e32 v10, v9, v11
	v_mul_f32_e32 v7, v21, v7
	v_sub_f32_e32 v10, v17, v10
	v_add_f32_e32 v7, v10, v7
	v_cvt_f32_i32_e32 v6, v6
	v_add_f32_e32 v10, v9, v7
	v_mul_f32_e32 v11, v10, v10
	v_mov_b32_e32 v12, 0x3ecc95a3
	v_fmac_f32_e32 v12, 0x3e9b6dac, v11
	v_mov_b32_e32 v17, 0x3f2aaada
	v_fmac_f32_e32 v17, v11, v12
	v_mul_f32_e32 v12, 0x3f317218, v6
	v_fma_f32 v21, v6, s6, -v12
	v_fmac_f32_e32 v21, 0xb102e308, v6
	v_sub_f32_e32 v6, v10, v9
	v_sub_f32_e32 v6, v7, v6
	v_add_f32_e32 v7, v12, v21
	v_sub_f32_e32 v9, v7, v12
	v_ldexp_f32 v12, v10, 1
	v_mul_f32_e32 v10, v10, v11
	v_mul_f32_e32 v10, v10, v17
	v_add_f32_e32 v11, v12, v10
	v_sub_f32_e32 v12, v11, v12
	v_ldexp_f32 v6, v6, 1
	v_sub_f32_e32 v10, v10, v12
	v_add_f32_e32 v6, v6, v10
	v_add_f32_e32 v10, v11, v6
	v_sub_f32_e32 v11, v10, v11
	v_sub_f32_e32 v6, v6, v11
	v_add_f32_e32 v11, v7, v10
	v_sub_f32_e32 v12, v11, v7
	v_sub_f32_e32 v17, v11, v12
	;; [unrolled: 1-line block ×5, first 2 shown]
	v_add_f32_e32 v7, v10, v7
	v_add_f32_e32 v10, v9, v6
	v_sub_f32_e32 v12, v10, v9
	v_sub_f32_e32 v17, v10, v12
	;; [unrolled: 1-line block ×4, first 2 shown]
	v_add_f32_e32 v7, v10, v7
	v_add_f32_e32 v6, v6, v9
	;; [unrolled: 1-line block ×3, first 2 shown]
	v_sub_f32_e32 v10, v9, v11
	v_sub_f32_e32 v7, v7, v10
	v_add_f32_e32 v6, v6, v7
	v_add_f32_e32 v6, v9, v6
	v_cmp_neq_f32_e32 vcc, s5, v4
	s_mov_b32 s5, 0x33800000
	v_cndmask_b32_e32 v6, v8, v6, vcc
	v_cmp_lt_f32_e64 vcc, |v4|, s5
	v_cndmask_b32_e32 v4, v6, v4, vcc
	v_add_f32_e32 v4, v5, v4
	v_cvt_f16_f32_e32 v4, v4
	v_cvt_f32_f16_e32 v17, v4
	v_mov_b32_e32 v28, v4
.LBB420_398:
	s_or_b64 exec, exec, s[2:3]
	v_max_f32_e32 v6, v1, v1
	v_max_f32_e32 v7, v17, v17
	v_min_f32_e32 v5, v7, v6
	v_cmp_u_f16_e32 vcc, v4, v4
	v_max_f32_e32 v6, v7, v6
	v_cndmask_b32_e32 v5, v5, v17, vcc
	v_cndmask_b32_e32 v6, v6, v17, vcc
	v_cndmask_b32_e64 v5, v5, v1, s[40:41]
	v_cndmask_b32_e64 v1, v6, v1, s[40:41]
	v_cmp_neq_f32_e32 vcc, v5, v1
	v_cmp_class_f32_e64 s[2:3], v5, s4
	s_or_b64 s[4:5], vcc, s[2:3]
	v_mov_b32_e32 v35, v28
	s_and_saveexec_b64 s[2:3], s[4:5]
	s_cbranch_execz .LBB420_400
; %bb.399:
	v_sub_f32_e32 v4, v5, v1
	s_mov_b32 s4, 0x3fb8aa3b
	v_mul_f32_e32 v5, 0x3fb8aa3b, v4
	v_fma_f32 v6, v4, s4, -v5
	v_rndne_f32_e32 v7, v5
	v_fmac_f32_e32 v6, 0x32a5705f, v4
	v_sub_f32_e32 v5, v5, v7
	v_add_f32_e32 v5, v5, v6
	v_exp_f32_e32 v5, v5
	v_cvt_i32_f32_e32 v6, v7
	s_mov_b32 s4, 0xc2ce8ed0
	v_cmp_ngt_f32_e32 vcc, s4, v4
	s_mov_b32 s4, 0x42b17218
	v_ldexp_f32 v5, v5, v6
	v_cndmask_b32_e32 v5, 0, v5, vcc
	v_mov_b32_e32 v6, 0x7f800000
	v_cmp_nlt_f32_e32 vcc, s4, v4
	v_cndmask_b32_e32 v7, v6, v5, vcc
	v_add_f32_e32 v8, 1.0, v7
	v_cvt_f64_f32_e32 v[4:5], v8
	v_add_f32_e32 v9, -1.0, v8
	v_sub_f32_e32 v10, v9, v8
	v_sub_f32_e32 v9, v7, v9
	v_frexp_exp_i32_f64_e32 v4, v[4:5]
	v_add_f32_e32 v5, 1.0, v10
	v_add_f32_e32 v5, v9, v5
	v_frexp_mant_f32_e32 v9, v8
	s_mov_b32 s5, 0x3f2aaaab
	v_cmp_gt_f32_e32 vcc, s5, v9
	s_mov_b32 s5, 0x3f317218
	s_mov_b32 s4, 0x7f800000
	v_subbrev_co_u32_e32 v4, vcc, 0, v4, vcc
	v_sub_u32_e32 v9, 0, v4
	v_ldexp_f32 v8, v8, v9
	v_ldexp_f32 v5, v5, v9
	v_add_f32_e32 v9, -1.0, v8
	v_add_f32_e32 v12, 1.0, v8
	v_add_f32_e32 v10, 1.0, v9
	v_add_f32_e32 v17, -1.0, v12
	v_sub_f32_e32 v10, v8, v10
	v_sub_f32_e32 v8, v8, v17
	v_add_f32_e32 v10, v5, v10
	v_add_f32_e32 v5, v5, v8
	;; [unrolled: 1-line block ×3, first 2 shown]
	v_rcp_f32_e32 v17, v8
	v_add_f32_e32 v11, v9, v10
	v_sub_f32_e32 v9, v9, v11
	v_add_f32_e32 v9, v10, v9
	v_sub_f32_e32 v10, v12, v8
	v_add_f32_e32 v5, v5, v10
	v_mul_f32_e32 v10, v11, v17
	v_mul_f32_e32 v12, v8, v10
	v_fma_f32 v21, v10, v8, -v12
	v_fmac_f32_e32 v21, v10, v5
	v_add_f32_e32 v35, v12, v21
	v_sub_f32_e32 v36, v11, v35
	v_sub_f32_e32 v11, v11, v36
	v_sub_f32_e32 v12, v35, v12
	v_sub_f32_e32 v11, v11, v35
	v_add_f32_e32 v9, v9, v11
	v_sub_f32_e32 v11, v12, v21
	v_add_f32_e32 v9, v11, v9
	v_add_f32_e32 v11, v36, v9
	v_mul_f32_e32 v12, v17, v11
	v_mul_f32_e32 v21, v8, v12
	v_fma_f32 v8, v12, v8, -v21
	v_fmac_f32_e32 v8, v12, v5
	v_sub_f32_e32 v5, v36, v11
	v_add_f32_e32 v5, v9, v5
	v_add_f32_e32 v9, v21, v8
	v_sub_f32_e32 v35, v11, v9
	v_sub_f32_e32 v11, v11, v35
	;; [unrolled: 1-line block ×4, first 2 shown]
	v_add_f32_e32 v5, v5, v9
	v_sub_f32_e32 v8, v21, v8
	v_add_f32_e32 v5, v8, v5
	v_add_f32_e32 v8, v10, v12
	;; [unrolled: 1-line block ×3, first 2 shown]
	v_sub_f32_e32 v9, v8, v10
	v_mul_f32_e32 v5, v17, v5
	v_sub_f32_e32 v9, v12, v9
	v_add_f32_e32 v5, v9, v5
	v_cvt_f32_i32_e32 v4, v4
	v_add_f32_e32 v9, v8, v5
	v_mul_f32_e32 v10, v9, v9
	v_mov_b32_e32 v11, 0x3ecc95a3
	v_fmac_f32_e32 v11, 0x3e9b6dac, v10
	v_mov_b32_e32 v12, 0x3f2aaada
	v_fmac_f32_e32 v12, v10, v11
	v_mul_f32_e32 v11, 0x3f317218, v4
	v_fma_f32 v17, v4, s5, -v11
	v_fmac_f32_e32 v17, 0xb102e308, v4
	v_sub_f32_e32 v4, v9, v8
	v_sub_f32_e32 v4, v5, v4
	v_add_f32_e32 v5, v11, v17
	v_sub_f32_e32 v8, v5, v11
	v_ldexp_f32 v11, v9, 1
	v_mul_f32_e32 v9, v9, v10
	v_mul_f32_e32 v9, v9, v12
	v_add_f32_e32 v10, v11, v9
	v_sub_f32_e32 v11, v10, v11
	v_ldexp_f32 v4, v4, 1
	v_sub_f32_e32 v9, v9, v11
	v_add_f32_e32 v4, v4, v9
	v_add_f32_e32 v9, v10, v4
	v_sub_f32_e32 v10, v9, v10
	v_sub_f32_e32 v4, v4, v10
	v_add_f32_e32 v10, v5, v9
	v_sub_f32_e32 v11, v10, v5
	v_sub_f32_e32 v12, v10, v11
	;; [unrolled: 1-line block ×5, first 2 shown]
	v_add_f32_e32 v5, v9, v5
	v_add_f32_e32 v9, v8, v4
	v_sub_f32_e32 v11, v9, v8
	v_sub_f32_e32 v12, v9, v11
	;; [unrolled: 1-line block ×4, first 2 shown]
	v_add_f32_e32 v5, v9, v5
	v_add_f32_e32 v4, v4, v8
	;; [unrolled: 1-line block ×3, first 2 shown]
	v_sub_f32_e32 v9, v8, v10
	v_sub_f32_e32 v5, v5, v9
	v_add_f32_e32 v4, v4, v5
	v_add_f32_e32 v4, v8, v4
	v_cmp_neq_f32_e32 vcc, s4, v7
	s_mov_b32 s4, 0x33800000
	v_cndmask_b32_e32 v4, v6, v4, vcc
	v_cmp_lt_f32_e64 vcc, |v7|, s4
	v_cndmask_b32_e32 v4, v4, v7, vcc
	v_add_f32_e32 v1, v1, v4
	v_cvt_f16_f32_e32 v4, v1
	v_cvt_f32_f16_e32 v17, v4
	v_mov_b32_e32 v35, v4
.LBB420_400:
	s_or_b64 exec, exec, s[2:3]
	v_max_f32_e32 v1, v29, v29
	v_max_f32_e32 v6, v17, v17
	v_min_f32_e32 v5, v6, v1
	v_cmp_u_f16_e32 vcc, v4, v4
	v_max_f32_e32 v1, v6, v1
	v_cndmask_b32_e32 v5, v5, v17, vcc
	v_cndmask_b32_e32 v1, v1, v17, vcc
	v_cndmask_b32_e64 v5, v5, v29, s[42:43]
	v_cndmask_b32_e64 v1, v1, v29, s[42:43]
	s_movk_i32 s4, 0x1f8
	v_cmp_neq_f32_e32 vcc, v5, v1
	v_cmp_class_f32_e64 s[2:3], v5, s4
	s_or_b64 s[6:7], vcc, s[2:3]
	v_mov_b32_e32 v29, v35
	s_and_saveexec_b64 s[2:3], s[6:7]
	s_cbranch_execz .LBB420_402
; %bb.401:
	v_sub_f32_e32 v4, v5, v1
	s_mov_b32 s5, 0x3fb8aa3b
	v_mul_f32_e32 v5, 0x3fb8aa3b, v4
	v_fma_f32 v6, v4, s5, -v5
	v_rndne_f32_e32 v7, v5
	v_fmac_f32_e32 v6, 0x32a5705f, v4
	v_sub_f32_e32 v5, v5, v7
	v_add_f32_e32 v5, v5, v6
	v_exp_f32_e32 v5, v5
	v_cvt_i32_f32_e32 v6, v7
	s_mov_b32 s5, 0xc2ce8ed0
	v_cmp_ngt_f32_e32 vcc, s5, v4
	s_mov_b32 s5, 0x42b17218
	v_ldexp_f32 v5, v5, v6
	v_cndmask_b32_e32 v5, 0, v5, vcc
	v_mov_b32_e32 v6, 0x7f800000
	v_cmp_nlt_f32_e32 vcc, s5, v4
	v_cndmask_b32_e32 v7, v6, v5, vcc
	v_add_f32_e32 v8, 1.0, v7
	v_cvt_f64_f32_e32 v[4:5], v8
	v_add_f32_e32 v9, -1.0, v8
	v_sub_f32_e32 v10, v9, v8
	v_sub_f32_e32 v9, v7, v9
	v_frexp_exp_i32_f64_e32 v4, v[4:5]
	v_add_f32_e32 v5, 1.0, v10
	v_add_f32_e32 v5, v9, v5
	v_frexp_mant_f32_e32 v9, v8
	s_mov_b32 s6, 0x3f2aaaab
	v_cmp_gt_f32_e32 vcc, s6, v9
	s_mov_b32 s6, 0x3f317218
	s_mov_b32 s5, 0x7f800000
	v_subbrev_co_u32_e32 v4, vcc, 0, v4, vcc
	v_sub_u32_e32 v9, 0, v4
	v_ldexp_f32 v8, v8, v9
	v_ldexp_f32 v5, v5, v9
	v_add_f32_e32 v9, -1.0, v8
	v_add_f32_e32 v12, 1.0, v8
	v_add_f32_e32 v10, 1.0, v9
	v_add_f32_e32 v17, -1.0, v12
	v_sub_f32_e32 v10, v8, v10
	v_sub_f32_e32 v8, v8, v17
	v_add_f32_e32 v10, v5, v10
	v_add_f32_e32 v5, v5, v8
	;; [unrolled: 1-line block ×3, first 2 shown]
	v_rcp_f32_e32 v17, v8
	v_add_f32_e32 v11, v9, v10
	v_sub_f32_e32 v9, v9, v11
	v_add_f32_e32 v9, v10, v9
	v_sub_f32_e32 v10, v12, v8
	v_add_f32_e32 v5, v5, v10
	v_mul_f32_e32 v10, v11, v17
	v_mul_f32_e32 v12, v8, v10
	v_fma_f32 v21, v10, v8, -v12
	v_fmac_f32_e32 v21, v10, v5
	v_add_f32_e32 v29, v12, v21
	v_sub_f32_e32 v36, v11, v29
	v_sub_f32_e32 v11, v11, v36
	;; [unrolled: 1-line block ×4, first 2 shown]
	v_add_f32_e32 v9, v9, v11
	v_sub_f32_e32 v11, v12, v21
	v_add_f32_e32 v9, v11, v9
	v_add_f32_e32 v11, v36, v9
	v_mul_f32_e32 v12, v17, v11
	v_mul_f32_e32 v21, v8, v12
	v_fma_f32 v8, v12, v8, -v21
	v_fmac_f32_e32 v8, v12, v5
	v_sub_f32_e32 v5, v36, v11
	v_add_f32_e32 v5, v9, v5
	v_add_f32_e32 v9, v21, v8
	v_sub_f32_e32 v29, v11, v9
	v_sub_f32_e32 v11, v11, v29
	;; [unrolled: 1-line block ×4, first 2 shown]
	v_add_f32_e32 v5, v5, v9
	v_sub_f32_e32 v8, v21, v8
	v_add_f32_e32 v5, v8, v5
	v_add_f32_e32 v8, v10, v12
	;; [unrolled: 1-line block ×3, first 2 shown]
	v_sub_f32_e32 v9, v8, v10
	v_mul_f32_e32 v5, v17, v5
	v_sub_f32_e32 v9, v12, v9
	v_add_f32_e32 v5, v9, v5
	v_cvt_f32_i32_e32 v4, v4
	v_add_f32_e32 v9, v8, v5
	v_mul_f32_e32 v10, v9, v9
	v_mov_b32_e32 v11, 0x3ecc95a3
	v_fmac_f32_e32 v11, 0x3e9b6dac, v10
	v_mov_b32_e32 v12, 0x3f2aaada
	v_fmac_f32_e32 v12, v10, v11
	v_mul_f32_e32 v11, 0x3f317218, v4
	v_fma_f32 v17, v4, s6, -v11
	v_fmac_f32_e32 v17, 0xb102e308, v4
	v_sub_f32_e32 v4, v9, v8
	v_sub_f32_e32 v4, v5, v4
	v_add_f32_e32 v5, v11, v17
	v_sub_f32_e32 v8, v5, v11
	v_ldexp_f32 v11, v9, 1
	v_mul_f32_e32 v9, v9, v10
	v_mul_f32_e32 v9, v9, v12
	v_add_f32_e32 v10, v11, v9
	v_sub_f32_e32 v11, v10, v11
	v_ldexp_f32 v4, v4, 1
	v_sub_f32_e32 v9, v9, v11
	v_add_f32_e32 v4, v4, v9
	v_add_f32_e32 v9, v10, v4
	v_sub_f32_e32 v10, v9, v10
	v_sub_f32_e32 v4, v4, v10
	v_add_f32_e32 v10, v5, v9
	v_sub_f32_e32 v11, v10, v5
	v_sub_f32_e32 v12, v10, v11
	;; [unrolled: 1-line block ×5, first 2 shown]
	v_add_f32_e32 v5, v9, v5
	v_add_f32_e32 v9, v8, v4
	v_sub_f32_e32 v11, v9, v8
	v_sub_f32_e32 v12, v9, v11
	;; [unrolled: 1-line block ×4, first 2 shown]
	v_add_f32_e32 v5, v9, v5
	v_add_f32_e32 v4, v4, v8
	;; [unrolled: 1-line block ×3, first 2 shown]
	v_sub_f32_e32 v9, v8, v10
	v_sub_f32_e32 v5, v5, v9
	v_add_f32_e32 v4, v4, v5
	v_add_f32_e32 v4, v8, v4
	v_cmp_neq_f32_e32 vcc, s5, v7
	s_mov_b32 s5, 0x33800000
	v_cndmask_b32_e32 v4, v6, v4, vcc
	v_cmp_lt_f32_e64 vcc, |v7|, s5
	v_cndmask_b32_e32 v4, v4, v7, vcc
	v_add_f32_e32 v1, v1, v4
	v_cvt_f16_f32_e32 v4, v1
	v_cvt_f32_f16_e32 v17, v4
	v_mov_b32_e32 v29, v4
.LBB420_402:
	s_or_b64 exec, exec, s[2:3]
	v_max_f32_e32 v1, v2, v2
	v_max_f32_e32 v6, v17, v17
	v_min_f32_e32 v5, v6, v1
	v_cmp_u_f16_e32 vcc, v4, v4
	v_max_f32_e32 v1, v6, v1
	v_cndmask_b32_e32 v5, v5, v17, vcc
	v_cndmask_b32_e32 v1, v1, v17, vcc
	v_cndmask_b32_e64 v5, v5, v2, s[44:45]
	v_cndmask_b32_e64 v1, v1, v2, s[44:45]
	v_cmp_neq_f32_e32 vcc, v5, v1
	v_cmp_class_f32_e64 s[2:3], v5, s4
	s_or_b64 s[4:5], vcc, s[2:3]
	v_mov_b32_e32 v36, v29
	s_and_saveexec_b64 s[2:3], s[4:5]
	s_cbranch_execz .LBB420_404
; %bb.403:
	v_sub_f32_e32 v2, v5, v1
	s_mov_b32 s4, 0x3fb8aa3b
	v_mul_f32_e32 v4, 0x3fb8aa3b, v2
	v_fma_f32 v5, v2, s4, -v4
	v_rndne_f32_e32 v6, v4
	v_fmac_f32_e32 v5, 0x32a5705f, v2
	v_sub_f32_e32 v4, v4, v6
	v_add_f32_e32 v4, v4, v5
	v_exp_f32_e32 v4, v4
	v_cvt_i32_f32_e32 v5, v6
	s_mov_b32 s4, 0xc2ce8ed0
	v_cmp_ngt_f32_e32 vcc, s4, v2
	s_mov_b32 s4, 0x42b17218
	v_ldexp_f32 v4, v4, v5
	v_cndmask_b32_e32 v4, 0, v4, vcc
	v_mov_b32_e32 v6, 0x7f800000
	v_cmp_nlt_f32_e32 vcc, s4, v2
	v_cndmask_b32_e32 v2, v6, v4, vcc
	v_add_f32_e32 v7, 1.0, v2
	v_cvt_f64_f32_e32 v[4:5], v7
	v_add_f32_e32 v8, -1.0, v7
	v_sub_f32_e32 v9, v8, v7
	v_sub_f32_e32 v8, v2, v8
	v_frexp_exp_i32_f64_e32 v4, v[4:5]
	v_add_f32_e32 v5, 1.0, v9
	v_add_f32_e32 v5, v8, v5
	v_frexp_mant_f32_e32 v8, v7
	s_mov_b32 s5, 0x3f2aaaab
	v_cmp_gt_f32_e32 vcc, s5, v8
	s_mov_b32 s5, 0x3f317218
	s_mov_b32 s4, 0x7f800000
	v_subbrev_co_u32_e32 v4, vcc, 0, v4, vcc
	v_sub_u32_e32 v8, 0, v4
	v_ldexp_f32 v7, v7, v8
	v_ldexp_f32 v5, v5, v8
	v_add_f32_e32 v8, -1.0, v7
	v_add_f32_e32 v11, 1.0, v7
	v_add_f32_e32 v9, 1.0, v8
	v_add_f32_e32 v12, -1.0, v11
	v_sub_f32_e32 v9, v7, v9
	v_sub_f32_e32 v7, v7, v12
	v_add_f32_e32 v9, v5, v9
	v_add_f32_e32 v5, v5, v7
	;; [unrolled: 1-line block ×3, first 2 shown]
	v_rcp_f32_e32 v12, v7
	v_add_f32_e32 v10, v8, v9
	v_sub_f32_e32 v8, v8, v10
	v_add_f32_e32 v8, v9, v8
	v_sub_f32_e32 v9, v11, v7
	v_add_f32_e32 v5, v5, v9
	v_mul_f32_e32 v9, v10, v12
	v_mul_f32_e32 v11, v7, v9
	v_fma_f32 v17, v9, v7, -v11
	v_fmac_f32_e32 v17, v9, v5
	v_add_f32_e32 v21, v11, v17
	v_sub_f32_e32 v36, v10, v21
	v_sub_f32_e32 v10, v10, v36
	;; [unrolled: 1-line block ×4, first 2 shown]
	v_add_f32_e32 v8, v8, v10
	v_sub_f32_e32 v10, v11, v17
	v_add_f32_e32 v8, v10, v8
	v_add_f32_e32 v10, v36, v8
	v_mul_f32_e32 v11, v12, v10
	v_mul_f32_e32 v17, v7, v11
	v_fma_f32 v7, v11, v7, -v17
	v_fmac_f32_e32 v7, v11, v5
	v_sub_f32_e32 v5, v36, v10
	v_add_f32_e32 v5, v8, v5
	v_add_f32_e32 v8, v17, v7
	v_sub_f32_e32 v21, v10, v8
	v_sub_f32_e32 v10, v10, v21
	;; [unrolled: 1-line block ×4, first 2 shown]
	v_add_f32_e32 v5, v5, v8
	v_sub_f32_e32 v7, v17, v7
	v_add_f32_e32 v5, v7, v5
	v_add_f32_e32 v7, v9, v11
	;; [unrolled: 1-line block ×3, first 2 shown]
	v_sub_f32_e32 v8, v7, v9
	v_mul_f32_e32 v5, v12, v5
	v_sub_f32_e32 v8, v11, v8
	v_add_f32_e32 v5, v8, v5
	v_cvt_f32_i32_e32 v4, v4
	v_add_f32_e32 v8, v7, v5
	v_mul_f32_e32 v9, v8, v8
	v_mov_b32_e32 v10, 0x3ecc95a3
	v_fmac_f32_e32 v10, 0x3e9b6dac, v9
	v_mov_b32_e32 v11, 0x3f2aaada
	v_fmac_f32_e32 v11, v9, v10
	v_mul_f32_e32 v10, 0x3f317218, v4
	v_fma_f32 v12, v4, s5, -v10
	v_fmac_f32_e32 v12, 0xb102e308, v4
	v_sub_f32_e32 v4, v8, v7
	v_sub_f32_e32 v4, v5, v4
	v_add_f32_e32 v5, v10, v12
	v_sub_f32_e32 v7, v5, v10
	v_ldexp_f32 v10, v8, 1
	v_mul_f32_e32 v8, v8, v9
	v_mul_f32_e32 v8, v8, v11
	v_add_f32_e32 v9, v10, v8
	v_sub_f32_e32 v10, v9, v10
	v_ldexp_f32 v4, v4, 1
	v_sub_f32_e32 v8, v8, v10
	v_add_f32_e32 v4, v4, v8
	v_add_f32_e32 v8, v9, v4
	v_sub_f32_e32 v9, v8, v9
	v_sub_f32_e32 v4, v4, v9
	v_add_f32_e32 v9, v5, v8
	v_sub_f32_e32 v10, v9, v5
	v_sub_f32_e32 v11, v9, v10
	;; [unrolled: 1-line block ×5, first 2 shown]
	v_add_f32_e32 v5, v8, v5
	v_add_f32_e32 v8, v7, v4
	v_sub_f32_e32 v10, v8, v7
	v_sub_f32_e32 v11, v8, v10
	;; [unrolled: 1-line block ×4, first 2 shown]
	v_add_f32_e32 v5, v8, v5
	v_add_f32_e32 v4, v4, v7
	;; [unrolled: 1-line block ×3, first 2 shown]
	v_sub_f32_e32 v8, v7, v9
	v_sub_f32_e32 v5, v5, v8
	v_add_f32_e32 v4, v4, v5
	v_add_f32_e32 v4, v7, v4
	v_cmp_neq_f32_e32 vcc, s4, v2
	s_mov_b32 s4, 0x33800000
	v_cndmask_b32_e32 v4, v6, v4, vcc
	v_cmp_lt_f32_e64 vcc, |v2|, s4
	v_cndmask_b32_e32 v2, v4, v2, vcc
	v_add_f32_e32 v1, v1, v2
	v_cvt_f16_f32_e32 v4, v1
	v_cvt_f32_f16_e32 v17, v4
	v_mov_b32_e32 v36, v4
.LBB420_404:
	s_or_b64 exec, exec, s[2:3]
	v_max_f32_e32 v1, v30, v30
	v_max_f32_e32 v5, v17, v17
	v_min_f32_e32 v2, v5, v1
	v_cmp_u_f16_e32 vcc, v4, v4
	v_max_f32_e32 v1, v5, v1
	v_cndmask_b32_e32 v2, v2, v17, vcc
	v_cndmask_b32_e32 v1, v1, v17, vcc
	v_cndmask_b32_e64 v2, v2, v30, s[46:47]
	v_cndmask_b32_e64 v1, v1, v30, s[46:47]
	s_movk_i32 s4, 0x1f8
	v_cmp_neq_f32_e32 vcc, v2, v1
	v_cmp_class_f32_e64 s[2:3], v2, s4
	s_or_b64 s[6:7], vcc, s[2:3]
	v_mov_b32_e32 v30, v36
	s_and_saveexec_b64 s[2:3], s[6:7]
	s_cbranch_execz .LBB420_406
; %bb.405:
	v_sub_f32_e32 v2, v2, v1
	s_mov_b32 s5, 0x3fb8aa3b
	v_mul_f32_e32 v4, 0x3fb8aa3b, v2
	v_fma_f32 v5, v2, s5, -v4
	v_rndne_f32_e32 v6, v4
	v_fmac_f32_e32 v5, 0x32a5705f, v2
	v_sub_f32_e32 v4, v4, v6
	v_add_f32_e32 v4, v4, v5
	v_exp_f32_e32 v4, v4
	v_cvt_i32_f32_e32 v5, v6
	s_mov_b32 s5, 0xc2ce8ed0
	v_cmp_ngt_f32_e32 vcc, s5, v2
	s_mov_b32 s5, 0x42b17218
	v_ldexp_f32 v4, v4, v5
	v_cndmask_b32_e32 v4, 0, v4, vcc
	v_mov_b32_e32 v6, 0x7f800000
	v_cmp_nlt_f32_e32 vcc, s5, v2
	v_cndmask_b32_e32 v2, v6, v4, vcc
	v_add_f32_e32 v7, 1.0, v2
	v_cvt_f64_f32_e32 v[4:5], v7
	v_add_f32_e32 v8, -1.0, v7
	v_sub_f32_e32 v9, v8, v7
	v_sub_f32_e32 v8, v2, v8
	v_frexp_exp_i32_f64_e32 v4, v[4:5]
	v_add_f32_e32 v5, 1.0, v9
	v_add_f32_e32 v5, v8, v5
	v_frexp_mant_f32_e32 v8, v7
	s_mov_b32 s6, 0x3f2aaaab
	v_cmp_gt_f32_e32 vcc, s6, v8
	s_mov_b32 s6, 0x3f317218
	s_mov_b32 s5, 0x7f800000
	v_subbrev_co_u32_e32 v4, vcc, 0, v4, vcc
	v_sub_u32_e32 v8, 0, v4
	v_ldexp_f32 v7, v7, v8
	v_ldexp_f32 v5, v5, v8
	v_add_f32_e32 v8, -1.0, v7
	v_add_f32_e32 v11, 1.0, v7
	v_add_f32_e32 v9, 1.0, v8
	v_add_f32_e32 v12, -1.0, v11
	v_sub_f32_e32 v9, v7, v9
	v_sub_f32_e32 v7, v7, v12
	v_add_f32_e32 v9, v5, v9
	v_add_f32_e32 v5, v5, v7
	;; [unrolled: 1-line block ×3, first 2 shown]
	v_rcp_f32_e32 v12, v7
	v_add_f32_e32 v10, v8, v9
	v_sub_f32_e32 v8, v8, v10
	v_add_f32_e32 v8, v9, v8
	v_sub_f32_e32 v9, v11, v7
	v_add_f32_e32 v5, v5, v9
	v_mul_f32_e32 v9, v10, v12
	v_mul_f32_e32 v11, v7, v9
	v_fma_f32 v17, v9, v7, -v11
	v_fmac_f32_e32 v17, v9, v5
	v_add_f32_e32 v21, v11, v17
	v_sub_f32_e32 v30, v10, v21
	v_sub_f32_e32 v10, v10, v30
	v_sub_f32_e32 v11, v21, v11
	v_sub_f32_e32 v10, v10, v21
	v_add_f32_e32 v8, v8, v10
	v_sub_f32_e32 v10, v11, v17
	v_add_f32_e32 v8, v10, v8
	v_add_f32_e32 v10, v30, v8
	v_mul_f32_e32 v11, v12, v10
	v_mul_f32_e32 v17, v7, v11
	v_fma_f32 v7, v11, v7, -v17
	v_fmac_f32_e32 v7, v11, v5
	v_sub_f32_e32 v5, v30, v10
	v_add_f32_e32 v5, v8, v5
	v_add_f32_e32 v8, v17, v7
	v_sub_f32_e32 v21, v10, v8
	v_sub_f32_e32 v10, v10, v21
	;; [unrolled: 1-line block ×4, first 2 shown]
	v_add_f32_e32 v5, v5, v8
	v_sub_f32_e32 v7, v17, v7
	v_add_f32_e32 v5, v7, v5
	v_add_f32_e32 v7, v9, v11
	v_add_f32_e32 v5, v21, v5
	v_sub_f32_e32 v8, v7, v9
	v_mul_f32_e32 v5, v12, v5
	v_sub_f32_e32 v8, v11, v8
	v_add_f32_e32 v5, v8, v5
	v_cvt_f32_i32_e32 v4, v4
	v_add_f32_e32 v8, v7, v5
	v_mul_f32_e32 v9, v8, v8
	v_mov_b32_e32 v10, 0x3ecc95a3
	v_fmac_f32_e32 v10, 0x3e9b6dac, v9
	v_mov_b32_e32 v11, 0x3f2aaada
	v_fmac_f32_e32 v11, v9, v10
	v_mul_f32_e32 v10, 0x3f317218, v4
	v_fma_f32 v12, v4, s6, -v10
	v_fmac_f32_e32 v12, 0xb102e308, v4
	v_sub_f32_e32 v4, v8, v7
	v_sub_f32_e32 v4, v5, v4
	v_add_f32_e32 v5, v10, v12
	v_sub_f32_e32 v7, v5, v10
	v_ldexp_f32 v10, v8, 1
	v_mul_f32_e32 v8, v8, v9
	v_mul_f32_e32 v8, v8, v11
	v_add_f32_e32 v9, v10, v8
	v_sub_f32_e32 v10, v9, v10
	v_ldexp_f32 v4, v4, 1
	v_sub_f32_e32 v8, v8, v10
	v_add_f32_e32 v4, v4, v8
	v_add_f32_e32 v8, v9, v4
	v_sub_f32_e32 v9, v8, v9
	v_sub_f32_e32 v4, v4, v9
	v_add_f32_e32 v9, v5, v8
	v_sub_f32_e32 v10, v9, v5
	v_sub_f32_e32 v11, v9, v10
	;; [unrolled: 1-line block ×5, first 2 shown]
	v_add_f32_e32 v5, v8, v5
	v_add_f32_e32 v8, v7, v4
	v_sub_f32_e32 v10, v8, v7
	v_sub_f32_e32 v11, v8, v10
	;; [unrolled: 1-line block ×4, first 2 shown]
	v_add_f32_e32 v5, v8, v5
	v_add_f32_e32 v4, v4, v7
	;; [unrolled: 1-line block ×3, first 2 shown]
	v_sub_f32_e32 v8, v7, v9
	v_sub_f32_e32 v5, v5, v8
	v_add_f32_e32 v4, v4, v5
	v_add_f32_e32 v4, v7, v4
	v_cmp_neq_f32_e32 vcc, s5, v2
	s_mov_b32 s5, 0x33800000
	v_cndmask_b32_e32 v4, v6, v4, vcc
	v_cmp_lt_f32_e64 vcc, |v2|, s5
	v_cndmask_b32_e32 v2, v4, v2, vcc
	v_add_f32_e32 v1, v1, v2
	v_cvt_f16_f32_e32 v4, v1
	v_cvt_f32_f16_e32 v17, v4
	v_mov_b32_e32 v30, v4
.LBB420_406:
	s_or_b64 exec, exec, s[2:3]
	v_max_f32_e32 v1, v3, v3
	v_max_f32_e32 v5, v17, v17
	v_min_f32_e32 v2, v5, v1
	v_cmp_u_f16_e32 vcc, v4, v4
	v_max_f32_e32 v1, v5, v1
	v_cndmask_b32_e32 v2, v2, v17, vcc
	v_cndmask_b32_e32 v1, v1, v17, vcc
	v_cndmask_b32_e64 v2, v2, v3, s[48:49]
	v_cndmask_b32_e64 v1, v1, v3, s[48:49]
	v_cmp_neq_f32_e32 vcc, v2, v1
	v_cmp_class_f32_e64 s[2:3], v2, s4
	s_or_b64 s[4:5], vcc, s[2:3]
	v_mov_b32_e32 v37, v30
	s_and_saveexec_b64 s[2:3], s[4:5]
	s_cbranch_execz .LBB420_408
; %bb.407:
	v_sub_f32_e32 v2, v2, v1
	s_mov_b32 s4, 0x3fb8aa3b
	v_mul_f32_e32 v3, 0x3fb8aa3b, v2
	v_fma_f32 v4, v2, s4, -v3
	v_rndne_f32_e32 v5, v3
	v_fmac_f32_e32 v4, 0x32a5705f, v2
	v_sub_f32_e32 v3, v3, v5
	v_add_f32_e32 v3, v3, v4
	v_exp_f32_e32 v3, v3
	v_cvt_i32_f32_e32 v4, v5
	s_mov_b32 s4, 0xc2ce8ed0
	v_cmp_ngt_f32_e32 vcc, s4, v2
	s_mov_b32 s4, 0x42b17218
	v_ldexp_f32 v3, v3, v4
	v_cndmask_b32_e32 v3, 0, v3, vcc
	v_mov_b32_e32 v4, 0x7f800000
	v_cmp_nlt_f32_e32 vcc, s4, v2
	v_cndmask_b32_e32 v5, v4, v3, vcc
	v_add_f32_e32 v6, 1.0, v5
	v_cvt_f64_f32_e32 v[2:3], v6
	v_add_f32_e32 v7, -1.0, v6
	v_sub_f32_e32 v8, v7, v6
	v_sub_f32_e32 v7, v5, v7
	v_frexp_exp_i32_f64_e32 v2, v[2:3]
	v_add_f32_e32 v3, 1.0, v8
	v_add_f32_e32 v3, v7, v3
	v_frexp_mant_f32_e32 v7, v6
	s_mov_b32 s5, 0x3f2aaaab
	v_cmp_gt_f32_e32 vcc, s5, v7
	s_mov_b32 s5, 0x3f317218
	s_mov_b32 s4, 0x7f800000
	v_subbrev_co_u32_e32 v2, vcc, 0, v2, vcc
	v_sub_u32_e32 v7, 0, v2
	v_ldexp_f32 v6, v6, v7
	v_ldexp_f32 v3, v3, v7
	v_add_f32_e32 v7, -1.0, v6
	v_add_f32_e32 v10, 1.0, v6
	v_add_f32_e32 v8, 1.0, v7
	v_add_f32_e32 v11, -1.0, v10
	v_sub_f32_e32 v8, v6, v8
	v_sub_f32_e32 v6, v6, v11
	v_add_f32_e32 v8, v3, v8
	v_add_f32_e32 v3, v3, v6
	;; [unrolled: 1-line block ×3, first 2 shown]
	v_rcp_f32_e32 v11, v6
	v_add_f32_e32 v9, v7, v8
	v_sub_f32_e32 v7, v7, v9
	v_add_f32_e32 v7, v8, v7
	v_sub_f32_e32 v8, v10, v6
	v_add_f32_e32 v3, v3, v8
	v_mul_f32_e32 v8, v9, v11
	v_mul_f32_e32 v10, v6, v8
	v_fma_f32 v12, v8, v6, -v10
	v_fmac_f32_e32 v12, v8, v3
	v_add_f32_e32 v17, v10, v12
	v_sub_f32_e32 v21, v9, v17
	v_sub_f32_e32 v9, v9, v21
	;; [unrolled: 1-line block ×4, first 2 shown]
	v_add_f32_e32 v7, v7, v9
	v_sub_f32_e32 v9, v10, v12
	v_add_f32_e32 v7, v9, v7
	v_add_f32_e32 v9, v21, v7
	v_mul_f32_e32 v10, v11, v9
	v_mul_f32_e32 v12, v6, v10
	v_fma_f32 v6, v10, v6, -v12
	v_fmac_f32_e32 v6, v10, v3
	v_sub_f32_e32 v3, v21, v9
	v_add_f32_e32 v3, v7, v3
	v_add_f32_e32 v7, v12, v6
	v_sub_f32_e32 v17, v9, v7
	v_sub_f32_e32 v9, v9, v17
	;; [unrolled: 1-line block ×4, first 2 shown]
	v_add_f32_e32 v3, v3, v7
	v_sub_f32_e32 v6, v12, v6
	v_add_f32_e32 v3, v6, v3
	v_add_f32_e32 v6, v8, v10
	;; [unrolled: 1-line block ×3, first 2 shown]
	v_sub_f32_e32 v7, v6, v8
	v_mul_f32_e32 v3, v11, v3
	v_sub_f32_e32 v7, v10, v7
	v_add_f32_e32 v3, v7, v3
	v_cvt_f32_i32_e32 v2, v2
	v_add_f32_e32 v7, v6, v3
	v_mul_f32_e32 v8, v7, v7
	v_mov_b32_e32 v9, 0x3ecc95a3
	v_fmac_f32_e32 v9, 0x3e9b6dac, v8
	v_mov_b32_e32 v10, 0x3f2aaada
	v_fmac_f32_e32 v10, v8, v9
	v_mul_f32_e32 v9, 0x3f317218, v2
	v_fma_f32 v11, v2, s5, -v9
	v_fmac_f32_e32 v11, 0xb102e308, v2
	v_sub_f32_e32 v2, v7, v6
	v_sub_f32_e32 v2, v3, v2
	v_add_f32_e32 v3, v9, v11
	v_sub_f32_e32 v6, v3, v9
	v_ldexp_f32 v9, v7, 1
	v_mul_f32_e32 v7, v7, v8
	v_mul_f32_e32 v7, v7, v10
	v_add_f32_e32 v8, v9, v7
	v_sub_f32_e32 v9, v8, v9
	v_ldexp_f32 v2, v2, 1
	v_sub_f32_e32 v7, v7, v9
	v_add_f32_e32 v2, v2, v7
	v_add_f32_e32 v7, v8, v2
	v_sub_f32_e32 v8, v7, v8
	v_sub_f32_e32 v2, v2, v8
	v_add_f32_e32 v8, v3, v7
	v_sub_f32_e32 v9, v8, v3
	v_sub_f32_e32 v10, v8, v9
	;; [unrolled: 1-line block ×5, first 2 shown]
	v_add_f32_e32 v3, v7, v3
	v_add_f32_e32 v7, v6, v2
	v_sub_f32_e32 v9, v7, v6
	v_sub_f32_e32 v10, v7, v9
	;; [unrolled: 1-line block ×4, first 2 shown]
	v_add_f32_e32 v3, v7, v3
	v_add_f32_e32 v2, v2, v6
	;; [unrolled: 1-line block ×3, first 2 shown]
	v_sub_f32_e32 v7, v6, v8
	v_sub_f32_e32 v3, v3, v7
	v_add_f32_e32 v2, v2, v3
	v_add_f32_e32 v2, v6, v2
	v_cmp_neq_f32_e32 vcc, s4, v5
	s_mov_b32 s4, 0x33800000
	v_cndmask_b32_e32 v2, v4, v2, vcc
	v_cmp_lt_f32_e64 vcc, |v5|, s4
	v_cndmask_b32_e32 v2, v2, v5, vcc
	v_add_f32_e32 v1, v1, v2
	v_cvt_f16_f32_e32 v4, v1
	v_cvt_f32_f16_e32 v17, v4
	v_mov_b32_e32 v37, v4
.LBB420_408:
	s_or_b64 exec, exec, s[2:3]
	v_max_f32_e32 v1, v31, v31
	v_max_f32_e32 v3, v17, v17
	v_min_f32_e32 v2, v3, v1
	v_cmp_u_f16_e32 vcc, v4, v4
	v_max_f32_e32 v1, v3, v1
	v_cndmask_b32_e32 v2, v2, v17, vcc
	v_cndmask_b32_e32 v1, v1, v17, vcc
	v_cndmask_b32_e64 v2, v2, v31, s[50:51]
	v_cndmask_b32_e64 v1, v1, v31, s[50:51]
	s_movk_i32 s2, 0x1f8
	v_cmp_neq_f32_e32 vcc, v2, v1
	v_cmp_class_f32_e64 s[2:3], v2, s2
	s_or_b64 s[4:5], vcc, s[2:3]
	v_mov_b32_e32 v17, v37
	s_and_saveexec_b64 s[2:3], s[4:5]
	s_cbranch_execz .LBB420_410
; %bb.409:
	v_sub_f32_e32 v2, v2, v1
	s_mov_b32 s4, 0x3fb8aa3b
	v_mul_f32_e32 v3, 0x3fb8aa3b, v2
	v_fma_f32 v4, v2, s4, -v3
	v_rndne_f32_e32 v5, v3
	v_fmac_f32_e32 v4, 0x32a5705f, v2
	v_sub_f32_e32 v3, v3, v5
	v_add_f32_e32 v3, v3, v4
	v_exp_f32_e32 v3, v3
	v_cvt_i32_f32_e32 v4, v5
	s_mov_b32 s4, 0xc2ce8ed0
	v_cmp_ngt_f32_e32 vcc, s4, v2
	s_mov_b32 s4, 0x42b17218
	v_ldexp_f32 v3, v3, v4
	v_cndmask_b32_e32 v3, 0, v3, vcc
	v_mov_b32_e32 v4, 0x7f800000
	v_cmp_nlt_f32_e32 vcc, s4, v2
	v_cndmask_b32_e32 v5, v4, v3, vcc
	v_add_f32_e32 v6, 1.0, v5
	v_cvt_f64_f32_e32 v[2:3], v6
	v_add_f32_e32 v7, -1.0, v6
	v_sub_f32_e32 v8, v7, v6
	v_sub_f32_e32 v7, v5, v7
	v_frexp_exp_i32_f64_e32 v2, v[2:3]
	v_add_f32_e32 v3, 1.0, v8
	v_add_f32_e32 v3, v7, v3
	v_frexp_mant_f32_e32 v7, v6
	s_mov_b32 s5, 0x3f2aaaab
	v_cmp_gt_f32_e32 vcc, s5, v7
	s_mov_b32 s5, 0x3f317218
	s_mov_b32 s4, 0x7f800000
	v_subbrev_co_u32_e32 v2, vcc, 0, v2, vcc
	v_sub_u32_e32 v7, 0, v2
	v_ldexp_f32 v6, v6, v7
	v_ldexp_f32 v3, v3, v7
	v_add_f32_e32 v7, -1.0, v6
	v_add_f32_e32 v10, 1.0, v6
	v_add_f32_e32 v8, 1.0, v7
	v_add_f32_e32 v11, -1.0, v10
	v_sub_f32_e32 v8, v6, v8
	v_sub_f32_e32 v6, v6, v11
	v_add_f32_e32 v8, v3, v8
	v_add_f32_e32 v3, v3, v6
	;; [unrolled: 1-line block ×3, first 2 shown]
	v_rcp_f32_e32 v11, v6
	v_add_f32_e32 v9, v7, v8
	v_sub_f32_e32 v7, v7, v9
	v_add_f32_e32 v7, v8, v7
	v_sub_f32_e32 v8, v10, v6
	v_add_f32_e32 v3, v3, v8
	v_mul_f32_e32 v8, v9, v11
	v_mul_f32_e32 v10, v6, v8
	v_fma_f32 v12, v8, v6, -v10
	v_fmac_f32_e32 v12, v8, v3
	v_add_f32_e32 v17, v10, v12
	v_sub_f32_e32 v21, v9, v17
	v_sub_f32_e32 v9, v9, v21
	;; [unrolled: 1-line block ×4, first 2 shown]
	v_add_f32_e32 v7, v7, v9
	v_sub_f32_e32 v9, v10, v12
	v_add_f32_e32 v7, v9, v7
	v_add_f32_e32 v9, v21, v7
	v_mul_f32_e32 v10, v11, v9
	v_mul_f32_e32 v12, v6, v10
	v_fma_f32 v6, v10, v6, -v12
	v_fmac_f32_e32 v6, v10, v3
	v_sub_f32_e32 v3, v21, v9
	v_add_f32_e32 v3, v7, v3
	v_add_f32_e32 v7, v12, v6
	v_sub_f32_e32 v17, v9, v7
	v_sub_f32_e32 v9, v9, v17
	;; [unrolled: 1-line block ×4, first 2 shown]
	v_add_f32_e32 v3, v3, v7
	v_sub_f32_e32 v6, v12, v6
	v_add_f32_e32 v3, v6, v3
	v_add_f32_e32 v6, v8, v10
	;; [unrolled: 1-line block ×3, first 2 shown]
	v_sub_f32_e32 v7, v6, v8
	v_mul_f32_e32 v3, v11, v3
	v_sub_f32_e32 v7, v10, v7
	v_add_f32_e32 v3, v7, v3
	v_cvt_f32_i32_e32 v2, v2
	v_add_f32_e32 v7, v6, v3
	v_mul_f32_e32 v8, v7, v7
	v_mov_b32_e32 v9, 0x3ecc95a3
	v_fmac_f32_e32 v9, 0x3e9b6dac, v8
	v_mov_b32_e32 v10, 0x3f2aaada
	v_fmac_f32_e32 v10, v8, v9
	v_mul_f32_e32 v9, 0x3f317218, v2
	v_fma_f32 v11, v2, s5, -v9
	v_fmac_f32_e32 v11, 0xb102e308, v2
	v_sub_f32_e32 v2, v7, v6
	v_sub_f32_e32 v2, v3, v2
	v_add_f32_e32 v3, v9, v11
	v_sub_f32_e32 v6, v3, v9
	v_ldexp_f32 v9, v7, 1
	v_mul_f32_e32 v7, v7, v8
	v_mul_f32_e32 v7, v7, v10
	v_add_f32_e32 v8, v9, v7
	v_sub_f32_e32 v9, v8, v9
	v_ldexp_f32 v2, v2, 1
	v_sub_f32_e32 v7, v7, v9
	v_add_f32_e32 v2, v2, v7
	v_add_f32_e32 v7, v8, v2
	v_sub_f32_e32 v8, v7, v8
	v_sub_f32_e32 v2, v2, v8
	v_add_f32_e32 v8, v3, v7
	v_sub_f32_e32 v9, v8, v3
	v_sub_f32_e32 v10, v8, v9
	;; [unrolled: 1-line block ×5, first 2 shown]
	v_add_f32_e32 v3, v7, v3
	v_add_f32_e32 v7, v6, v2
	v_sub_f32_e32 v9, v7, v6
	v_sub_f32_e32 v10, v7, v9
	;; [unrolled: 1-line block ×4, first 2 shown]
	v_add_f32_e32 v3, v7, v3
	v_add_f32_e32 v2, v2, v6
	;; [unrolled: 1-line block ×3, first 2 shown]
	v_sub_f32_e32 v7, v6, v8
	v_sub_f32_e32 v3, v3, v7
	v_add_f32_e32 v2, v2, v3
	v_add_f32_e32 v2, v6, v2
	v_cmp_neq_f32_e32 vcc, s4, v5
	s_mov_b32 s4, 0x33800000
	v_cndmask_b32_e32 v2, v4, v2, vcc
	v_cmp_lt_f32_e64 vcc, |v5|, s4
	v_cndmask_b32_e32 v2, v2, v5, vcc
	v_add_f32_e32 v1, v1, v2
	v_cvt_f16_f32_e32 v17, v1
.LBB420_410:
	s_or_b64 exec, exec, s[2:3]
	s_movk_i32 s2, 0xff
	v_cmp_eq_u32_e32 vcc, s2, v0
	s_and_saveexec_b64 s[2:3], vcc
	s_cbranch_execz .LBB420_412
; %bb.411:
	s_mov_b32 s4, 0x20000
	v_mov_b32_e32 v1, 0
	v_or_b32_sdwa v2, v17, s4 dst_sel:DWORD dst_unused:UNUSED_PAD src0_sel:WORD_0 src1_sel:DWORD
	global_store_dword v1, v2, s[80:81] offset:256
.LBB420_412:
	s_or_b64 exec, exec, s[2:3]
.LBB420_413:
	s_add_u32 s2, s76, s62
	s_addc_u32 s3, s77, s63
	s_add_u32 s2, s2, s72
	s_addc_u32 s3, s3, s73
	s_mov_b64 s[4:5], -1
	s_and_b64 vcc, exec, s[0:1]
	s_waitcnt vmcnt(0)
	s_barrier
	s_cbranch_vccz .LBB420_415
; %bb.414:
	s_mov_b32 s0, 0x5040100
	v_perm_b32 v4, v23, v44, s0
	v_perm_b32 v3, v22, v18, s0
	;; [unrolled: 1-line block ×4, first 2 shown]
	ds_write_b128 v20, v[1:4]
	v_perm_b32 v4, v27, v33, s0
	v_perm_b32 v3, v26, v32, s0
	;; [unrolled: 1-line block ×4, first 2 shown]
	ds_write_b128 v20, v[1:4] offset:16
	v_perm_b32 v4, v17, v37, s0
	v_perm_b32 v3, v30, v36, s0
	;; [unrolled: 1-line block ×4, first 2 shown]
	v_mov_b32_e32 v51, s3
	v_add_co_u32_e32 v52, vcc, s2, v19
	ds_write_b128 v20, v[1:4] offset:32
	s_waitcnt lgkmcnt(0)
	s_barrier
	ds_read_u16 v1, v19
	ds_read_u16 v2, v19 offset:512
	ds_read_u16 v3, v19 offset:1024
	;; [unrolled: 1-line block ×23, first 2 shown]
	v_addc_co_u32_e32 v51, vcc, 0, v51, vcc
	s_movk_i32 s0, 0x1000
	s_waitcnt lgkmcnt(14)
	global_store_short v19, v1, s[2:3]
	global_store_short v19, v2, s[2:3] offset:512
	global_store_short v19, v3, s[2:3] offset:1024
	;; [unrolled: 1-line block ×7, first 2 shown]
	v_add_co_u32_e32 v1, vcc, s0, v52
	v_addc_co_u32_e32 v2, vcc, 0, v51, vcc
	global_store_short v[1:2], v9, off
	global_store_short v[1:2], v10, off offset:512
	s_waitcnt lgkmcnt(13)
	global_store_short v[1:2], v11, off offset:1024
	s_waitcnt lgkmcnt(12)
	;; [unrolled: 2-line block ×6, first 2 shown]
	global_store_short v[1:2], v39, off offset:3584
	v_add_co_u32_e32 v1, vcc, 0x2000, v52
	v_addc_co_u32_e32 v2, vcc, 0, v51, vcc
	s_waitcnt lgkmcnt(7)
	global_store_short v[1:2], v40, off
	s_waitcnt lgkmcnt(6)
	global_store_short v[1:2], v41, off offset:512
	s_waitcnt lgkmcnt(5)
	global_store_short v[1:2], v42, off offset:1024
	s_waitcnt lgkmcnt(4)
	global_store_short v[1:2], v43, off offset:1536
	s_waitcnt lgkmcnt(3)
	global_store_short v[1:2], v47, off offset:2048
	s_waitcnt lgkmcnt(2)
	global_store_short v[1:2], v48, off offset:2560
	s_waitcnt lgkmcnt(1)
	global_store_short v[1:2], v49, off offset:3072
	s_waitcnt lgkmcnt(0)
	global_store_short v[1:2], v50, off offset:3584
	s_mov_b64 s[4:5], 0
.LBB420_415:
	s_andn2_b64 vcc, exec, s[4:5]
	s_cbranch_vccnz .LBB420_472
; %bb.416:
	s_mov_b32 s0, 0x5040100
	v_perm_b32 v4, v23, v44, s0
	v_perm_b32 v3, v22, v18, s0
	;; [unrolled: 1-line block ×4, first 2 shown]
	ds_write_b128 v20, v[1:4]
	v_perm_b32 v4, v27, v33, s0
	v_perm_b32 v3, v26, v32, s0
	v_perm_b32 v2, v25, v46, s0
	v_perm_b32 v1, v24, v45, s0
	ds_write_b128 v20, v[1:4] offset:16
	v_perm_b32 v4, v17, v37, s0
	v_perm_b32 v3, v30, v36, s0
	;; [unrolled: 1-line block ×4, first 2 shown]
	ds_write_b128 v20, v[1:4] offset:32
	s_waitcnt vmcnt(0) lgkmcnt(0)
	s_barrier
	ds_read_u16 v5, v19
	ds_read_u16 v4, v19 offset:512
	ds_read_u16 v7, v19 offset:1024
	;; [unrolled: 1-line block ×23, first 2 shown]
	v_mov_b32_e32 v3, s3
	v_add_co_u32_e32 v2, vcc, s2, v19
	v_addc_co_u32_e32 v3, vcc, 0, v3, vcc
	v_mov_b32_e32 v1, 0
	v_cmp_gt_u32_e32 vcc, s33, v0
	s_and_saveexec_b64 s[0:1], vcc
	s_cbranch_execz .LBB420_418
; %bb.417:
	s_waitcnt lgkmcnt(14)
	global_store_short v[2:3], v5, off
.LBB420_418:
	s_or_b64 exec, exec, s[0:1]
	v_or_b32_e32 v19, 0x100, v0
	v_cmp_gt_u32_e32 vcc, s33, v19
	s_and_saveexec_b64 s[0:1], vcc
	s_cbranch_execz .LBB420_420
; %bb.419:
	s_waitcnt lgkmcnt(14)
	global_store_short v[2:3], v4, off offset:512
.LBB420_420:
	s_or_b64 exec, exec, s[0:1]
	v_or_b32_e32 v19, 0x200, v0
	v_cmp_gt_u32_e32 vcc, s33, v19
	s_and_saveexec_b64 s[0:1], vcc
	s_cbranch_execz .LBB420_422
; %bb.421:
	s_waitcnt lgkmcnt(14)
	global_store_short v[2:3], v7, off offset:1024
.LBB420_422:
	;; [unrolled: 9-line block ×7, first 2 shown]
	s_or_b64 exec, exec, s[0:1]
	v_or_b32_e32 v19, 0x800, v0
	v_cmp_gt_u32_e32 vcc, s33, v19
	s_and_saveexec_b64 s[0:1], vcc
	s_cbranch_execz .LBB420_434
; %bb.433:
	v_add_co_u32_e32 v29, vcc, 0x1000, v2
	v_addc_co_u32_e32 v30, vcc, 0, v3, vcc
	s_waitcnt lgkmcnt(14)
	global_store_short v[29:30], v18, off
.LBB420_434:
	s_or_b64 exec, exec, s[0:1]
	v_or_b32_e32 v19, 0x900, v0
	v_cmp_gt_u32_e32 vcc, s33, v19
	s_and_saveexec_b64 s[0:1], vcc
	s_cbranch_execz .LBB420_436
; %bb.435:
	v_add_co_u32_e32 v29, vcc, 0x1000, v2
	v_addc_co_u32_e32 v30, vcc, 0, v3, vcc
	s_waitcnt lgkmcnt(14)
	global_store_short v[29:30], v23, off offset:512
.LBB420_436:
	s_or_b64 exec, exec, s[0:1]
	v_or_b32_e32 v19, 0xa00, v0
	v_cmp_gt_u32_e32 vcc, s33, v19
	s_and_saveexec_b64 s[0:1], vcc
	s_cbranch_execz .LBB420_438
; %bb.437:
	v_add_co_u32_e32 v29, vcc, 0x1000, v2
	v_addc_co_u32_e32 v30, vcc, 0, v3, vcc
	s_waitcnt lgkmcnt(13)
	global_store_short v[29:30], v22, off offset:1024
.LBB420_438:
	;; [unrolled: 11-line block ×7, first 2 shown]
	s_or_b64 exec, exec, s[0:1]
	v_or_b32_e32 v19, 0x1000, v0
	v_cmp_gt_u32_e32 vcc, s33, v19
	s_and_saveexec_b64 s[0:1], vcc
	s_cbranch_execz .LBB420_450
; %bb.449:
	v_add_co_u32_e32 v29, vcc, 0x2000, v2
	v_addc_co_u32_e32 v30, vcc, 0, v3, vcc
	s_waitcnt lgkmcnt(7)
	global_store_short v[29:30], v24, off
.LBB420_450:
	s_or_b64 exec, exec, s[0:1]
	v_or_b32_e32 v19, 0x1100, v0
	v_cmp_gt_u32_e32 vcc, s33, v19
	s_and_saveexec_b64 s[0:1], vcc
	s_cbranch_execz .LBB420_452
; %bb.451:
	v_add_co_u32_e32 v29, vcc, 0x2000, v2
	v_addc_co_u32_e32 v30, vcc, 0, v3, vcc
	s_waitcnt lgkmcnt(6)
	global_store_short v[29:30], v26, off offset:512
.LBB420_452:
	s_or_b64 exec, exec, s[0:1]
	v_or_b32_e32 v19, 0x1200, v0
	v_cmp_gt_u32_e32 vcc, s33, v19
	s_and_saveexec_b64 s[0:1], vcc
	s_cbranch_execz .LBB420_454
; %bb.453:
	v_add_co_u32_e32 v29, vcc, 0x2000, v2
	v_addc_co_u32_e32 v30, vcc, 0, v3, vcc
	s_waitcnt lgkmcnt(5)
	global_store_short v[29:30], v27, off offset:1024
.LBB420_454:
	;; [unrolled: 11-line block ×7, first 2 shown]
	s_or_b64 exec, exec, s[0:1]
	v_cmp_lt_u64_e64 s[0:1], s[70:71], 2
	s_and_b64 vcc, exec, s[0:1]
	s_cbranch_vccnz .LBB420_472
; %bb.465:
	s_add_u32 s0, s33, -1
	s_addc_u32 s1, s82, -1
	s_mul_i32 s5, s1, 0xaaaaaaab
	s_mul_hi_u32 s6, s0, 0xaaaaaaab
	s_mul_hi_u32 s4, s1, 0xaaaaaaab
	s_add_u32 s5, s5, s6
	s_mul_i32 s3, s0, 0xaaaaaaaa
	s_addc_u32 s4, s4, 0
	s_mul_hi_u32 s2, s0, 0xaaaaaaaa
	s_add_u32 s3, s3, s5
	s_addc_u32 s2, s2, 0
	s_add_u32 s2, s4, s2
	s_addc_u32 s3, 0, 0
	s_mul_i32 s5, s1, 0xaaaaaaaa
	s_mul_hi_u32 s4, s1, 0xaaaaaaaa
	s_add_u32 s2, s5, s2
	s_addc_u32 s3, s4, s3
	s_lshr_b64 s[2:3], s[2:3], 4
	v_cmp_eq_u64_e32 vcc, s[2:3], v[0:1]
	s_and_saveexec_b64 s[2:3], vcc
	s_cbranch_execz .LBB420_472
; %bb.466:
	v_mul_hi_u32_u24_e32 v1, 24, v0
	v_mul_u32_u24_e32 v0, 24, v0
	v_mov_b32_e32 v2, s1
	v_sub_co_u32_e32 v0, vcc, s0, v0
	v_subb_co_u32_e32 v1, vcc, v2, v1, vcc
	v_cmp_lt_i64_e32 vcc, 11, v[0:1]
	s_mov_b64 s[0:1], 0
	s_mov_b64 s[8:9], 0
	;; [unrolled: 1-line block ×4, first 2 shown]
	s_and_saveexec_b64 s[2:3], vcc
	s_xor_b64 s[2:3], exec, s[2:3]
	s_cbranch_execnz .LBB420_473
; %bb.467:
	s_andn2_saveexec_b64 s[2:3], s[2:3]
	s_cbranch_execnz .LBB420_518
.LBB420_468:
	s_or_b64 exec, exec, s[2:3]
	s_and_saveexec_b64 s[2:3], s[8:9]
	s_cbranch_execnz .LBB420_535
.LBB420_469:
	s_or_b64 exec, exec, s[2:3]
	s_and_saveexec_b64 s[2:3], s[6:7]
	s_cbranch_execnz .LBB420_536
.LBB420_470:
	s_or_b64 exec, exec, s[2:3]
	s_and_saveexec_b64 s[2:3], s[4:5]
	s_xor_b64 s[2:3], exec, s[2:3]
	s_cbranch_execnz .LBB420_537
.LBB420_471:
	s_or_b64 exec, exec, s[2:3]
	s_and_b64 exec, exec, s[0:1]
	s_cbranch_execnz .LBB420_538
.LBB420_472:
	s_endpgm
.LBB420_473:
	v_cmp_lt_i64_e32 vcc, 17, v[0:1]
	s_and_saveexec_b64 s[10:11], vcc
	s_xor_b64 s[10:11], exec, s[10:11]
	s_cbranch_execz .LBB420_495
; %bb.474:
	v_cmp_lt_i64_e32 vcc, 20, v[0:1]
	s_and_saveexec_b64 s[12:13], vcc
	s_xor_b64 s[12:13], exec, s[12:13]
	s_cbranch_execz .LBB420_484
; %bb.475:
	v_cmp_lt_i64_e32 vcc, 21, v[0:1]
	s_mov_b64 s[14:15], 0
	s_and_saveexec_b64 s[4:5], vcc
	s_xor_b64 s[4:5], exec, s[4:5]
	s_cbranch_execz .LBB420_481
; %bb.476:
	v_cmp_lt_i64_e32 vcc, 22, v[0:1]
	s_and_saveexec_b64 s[14:15], vcc
	s_xor_b64 s[14:15], exec, s[14:15]
	s_cbranch_execz .LBB420_478
; %bb.477:
	v_mov_b32_e32 v2, 0
	s_waitcnt lgkmcnt(0)
	global_store_short v2, v28, s[66:67]
.LBB420_478:
	s_or_saveexec_b64 s[14:15], s[14:15]
	s_mov_b64 s[16:17], 0
	s_xor_b64 exec, exec, s[14:15]
; %bb.479:
	s_mov_b64 s[16:17], exec
; %bb.480:
	s_or_b64 exec, exec, s[14:15]
	s_and_b64 s[14:15], s[16:17], exec
.LBB420_481:
	s_andn2_saveexec_b64 s[4:5], s[4:5]
; %bb.482:
	s_mov_b64 s[6:7], exec
; %bb.483:
	s_or_b64 exec, exec, s[4:5]
	s_and_b64 s[4:5], s[14:15], exec
	s_and_b64 s[6:7], s[6:7], exec
                                        ; implicit-def: $vgpr27
                                        ; implicit-def: $vgpr25
.LBB420_484:
	s_andn2_saveexec_b64 s[12:13], s[12:13]
	s_cbranch_execz .LBB420_494
; %bb.485:
	v_cmp_lt_i64_e32 vcc, 18, v[0:1]
	s_mov_b64 s[14:15], 0
	s_and_saveexec_b64 s[8:9], vcc
	s_xor_b64 s[8:9], exec, s[8:9]
	s_cbranch_execz .LBB420_491
; %bb.486:
	v_cmp_lt_i64_e32 vcc, 19, v[0:1]
	s_and_saveexec_b64 s[16:17], vcc
	s_xor_b64 s[16:17], exec, s[16:17]
; %bb.487:
	s_mov_b64 s[14:15], exec
                                        ; implicit-def: $vgpr25
; %bb.488:
	s_andn2_saveexec_b64 s[16:17], s[16:17]
	s_cbranch_execz .LBB420_490
; %bb.489:
	v_mov_b32_e32 v2, 0
	s_waitcnt lgkmcnt(4)
	global_store_short v2, v25, s[66:67]
.LBB420_490:
	s_or_b64 exec, exec, s[16:17]
	s_and_b64 s[14:15], s[14:15], exec
                                        ; implicit-def: $vgpr27
.LBB420_491:
	s_andn2_saveexec_b64 s[8:9], s[8:9]
	s_cbranch_execz .LBB420_493
; %bb.492:
	v_mov_b32_e32 v2, 0
	s_waitcnt lgkmcnt(5)
	global_store_short v2, v27, s[66:67]
.LBB420_493:
	s_or_b64 exec, exec, s[8:9]
	s_and_b64 s[8:9], s[14:15], exec
.LBB420_494:
	s_or_b64 exec, exec, s[12:13]
	s_and_b64 s[4:5], s[4:5], exec
	s_and_b64 s[6:7], s[6:7], exec
	;; [unrolled: 1-line block ×3, first 2 shown]
                                        ; implicit-def: $vgpr17
                                        ; implicit-def: $vgpr15
                                        ; implicit-def: $vgpr16
                                        ; implicit-def: $vgpr21
                                        ; implicit-def: $vgpr24
                                        ; implicit-def: $vgpr26
.LBB420_495:
	s_andn2_saveexec_b64 s[10:11], s[10:11]
	s_cbranch_execz .LBB420_517
; %bb.496:
	v_cmp_lt_i64_e32 vcc, 14, v[0:1]
	s_mov_b64 s[12:13], s[4:5]
	s_and_saveexec_b64 s[14:15], vcc
	s_xor_b64 s[14:15], exec, s[14:15]
	s_cbranch_execz .LBB420_506
; %bb.497:
	v_cmp_lt_i64_e32 vcc, 15, v[0:1]
	s_and_saveexec_b64 s[12:13], vcc
	s_xor_b64 s[12:13], exec, s[12:13]
	s_cbranch_execz .LBB420_503
; %bb.498:
	v_cmp_lt_i64_e32 vcc, 16, v[0:1]
	s_and_saveexec_b64 s[16:17], vcc
	s_xor_b64 s[16:17], exec, s[16:17]
	s_cbranch_execz .LBB420_500
; %bb.499:
	v_mov_b32_e32 v2, 0
	s_waitcnt lgkmcnt(6)
	global_store_short v2, v26, s[66:67]
                                        ; implicit-def: $vgpr24
.LBB420_500:
	s_andn2_saveexec_b64 s[16:17], s[16:17]
	s_cbranch_execz .LBB420_502
; %bb.501:
	v_mov_b32_e32 v2, 0
	s_waitcnt lgkmcnt(7)
	global_store_short v2, v24, s[66:67]
.LBB420_502:
	s_or_b64 exec, exec, s[16:17]
.LBB420_503:
	s_or_saveexec_b64 s[12:13], s[12:13]
	s_mov_b64 s[16:17], s[4:5]
	s_xor_b64 exec, exec, s[12:13]
; %bb.504:
	s_or_b64 s[16:17], s[4:5], exec
; %bb.505:
	s_or_b64 exec, exec, s[12:13]
	s_andn2_b64 s[12:13], s[4:5], exec
	s_and_b64 s[16:17], s[16:17], exec
	s_or_b64 s[12:13], s[12:13], s[16:17]
                                        ; implicit-def: $vgpr16
                                        ; implicit-def: $vgpr21
                                        ; implicit-def: $vgpr15
.LBB420_506:
	s_or_saveexec_b64 s[14:15], s[14:15]
	s_mov_b64 s[16:17], s[6:7]
                                        ; implicit-def: $vgpr11
	s_xor_b64 exec, exec, s[14:15]
	s_cbranch_execz .LBB420_516
; %bb.507:
	v_cmp_lt_i64_e32 vcc, 12, v[0:1]
	s_mov_b64 s[18:19], s[6:7]
	s_mov_b64 s[20:21], s[12:13]
	s_and_saveexec_b64 s[16:17], vcc
	s_xor_b64 s[16:17], exec, s[16:17]
	s_cbranch_execz .LBB420_513
; %bb.508:
	v_cmp_lt_i64_e32 vcc, 13, v[0:1]
	s_mov_b64 s[18:19], s[12:13]
	s_and_saveexec_b64 s[20:21], vcc
	s_xor_b64 s[20:21], exec, s[20:21]
; %bb.509:
	s_or_b64 s[18:19], s[12:13], exec
; %bb.510:
	s_or_saveexec_b64 s[20:21], s[20:21]
	s_mov_b64 s[22:23], s[6:7]
	s_xor_b64 exec, exec, s[20:21]
; %bb.511:
	s_or_b64 s[22:23], s[6:7], exec
; %bb.512:
	s_or_b64 exec, exec, s[20:21]
	s_andn2_b64 s[20:21], s[12:13], exec
	s_and_b64 s[18:19], s[18:19], exec
	s_or_b64 s[20:21], s[20:21], s[18:19]
	s_andn2_b64 s[18:19], s[6:7], exec
	s_and_b64 s[22:23], s[22:23], exec
	s_or_b64 s[18:19], s[18:19], s[22:23]
                                        ; implicit-def: $vgpr21
.LBB420_513:
	s_andn2_saveexec_b64 s[16:17], s[16:17]
	s_cbranch_execz .LBB420_515
; %bb.514:
	s_or_b64 s[18:19], s[18:19], exec
	s_waitcnt lgkmcnt(10)
	v_mov_b32_e32 v16, v21
.LBB420_515:
	s_or_b64 exec, exec, s[16:17]
	s_andn2_b64 s[12:13], s[12:13], exec
	s_and_b64 s[16:17], s[20:21], exec
	s_or_b64 s[12:13], s[12:13], s[16:17]
	s_andn2_b64 s[16:17], s[6:7], exec
	s_and_b64 s[18:19], s[18:19], exec
	s_or_b64 s[16:17], s[16:17], s[18:19]
	s_waitcnt lgkmcnt(8)
	v_mov_b32_e32 v17, v15
	s_waitcnt lgkmcnt(2)
	v_mov_b32_e32 v11, v16
.LBB420_516:
	s_or_b64 exec, exec, s[14:15]
	s_andn2_b64 s[4:5], s[4:5], exec
	s_and_b64 s[12:13], s[12:13], exec
	s_or_b64 s[4:5], s[4:5], s[12:13]
	s_andn2_b64 s[6:7], s[6:7], exec
	s_and_b64 s[12:13], s[16:17], exec
	s_or_b64 s[6:7], s[6:7], s[12:13]
	s_waitcnt lgkmcnt(1)
	v_mov_b32_e32 v12, v17
.LBB420_517:
	s_or_b64 exec, exec, s[10:11]
	s_and_b64 s[4:5], s[4:5], exec
	s_and_b64 s[6:7], s[6:7], exec
	;; [unrolled: 1-line block ×3, first 2 shown]
                                        ; implicit-def: $vgpr18
                                        ; implicit-def: $vgpr23
                                        ; implicit-def: $vgpr20
                                        ; implicit-def: $vgpr22
                                        ; implicit-def: $vgpr13
                                        ; implicit-def: $vgpr14
	s_andn2_saveexec_b64 s[2:3], s[2:3]
	s_cbranch_execz .LBB420_468
.LBB420_518:
	v_cmp_lt_i64_e32 vcc, 5, v[0:1]
	s_mov_b64 s[12:13], -1
	s_mov_b64 s[10:11], s[8:9]
	s_mov_b64 s[14:15], s[6:7]
	;; [unrolled: 1-line block ×3, first 2 shown]
                                        ; implicit-def: $vgpr10
	s_and_saveexec_b64 s[0:1], vcc
	s_cbranch_execz .LBB420_534
; %bb.519:
	v_cmp_lt_i64_e32 vcc, 8, v[0:1]
	s_mov_b64 s[10:11], s[8:9]
                                        ; implicit-def: $vgpr10
	s_and_saveexec_b64 s[12:13], vcc
	s_xor_b64 s[12:13], exec, s[12:13]
	s_cbranch_execz .LBB420_529
; %bb.520:
	v_cmp_lt_i64_e32 vcc, 9, v[0:1]
	s_and_saveexec_b64 s[10:11], vcc
	s_xor_b64 s[10:11], exec, s[10:11]
	s_cbranch_execz .LBB420_526
; %bb.521:
	v_cmp_lt_i64_e32 vcc, 10, v[0:1]
	s_and_saveexec_b64 s[14:15], vcc
	s_xor_b64 s[14:15], exec, s[14:15]
; %bb.522:
                                        ; implicit-def: $vgpr22
; %bb.523:
	s_andn2_saveexec_b64 s[14:15], s[14:15]
	s_cbranch_execz .LBB420_525
; %bb.524:
	s_waitcnt lgkmcnt(12)
	v_mov_b32_e32 v20, v22
.LBB420_525:
	s_or_b64 exec, exec, s[14:15]
                                        ; implicit-def: $vgpr23
.LBB420_526:
	s_andn2_saveexec_b64 s[10:11], s[10:11]
	s_cbranch_execz .LBB420_528
; %bb.527:
	s_waitcnt lgkmcnt(12)
	v_mov_b32_e32 v20, v23
.LBB420_528:
	s_or_b64 exec, exec, s[10:11]
	s_or_b64 s[10:11], s[8:9], exec
	s_waitcnt lgkmcnt(3)
	v_mov_b32_e32 v10, v20
                                        ; implicit-def: $vgpr18
.LBB420_529:
	s_or_saveexec_b64 s[12:13], s[12:13]
	s_mov_b64 s[14:15], s[6:7]
	s_mov_b64 s[18:19], s[4:5]
	s_xor_b64 exec, exec, s[12:13]
	s_cbranch_execz .LBB420_533
; %bb.530:
	v_cmp_lt_i64_e32 vcc, 6, v[0:1]
	s_mov_b64 s[18:19], -1
	s_mov_b64 s[16:17], s[10:11]
	s_mov_b64 s[14:15], s[6:7]
	s_and_saveexec_b64 s[20:21], vcc
; %bb.531:
	v_cmp_lt_i64_e32 vcc, 7, v[0:1]
	s_andn2_b64 s[16:17], s[10:11], exec
	s_and_b64 s[22:23], vcc, exec
	s_xor_b64 s[18:19], exec, -1
	s_or_b64 s[14:15], s[6:7], exec
	s_or_b64 s[16:17], s[16:17], s[22:23]
; %bb.532:
	s_or_b64 exec, exec, s[20:21]
	s_andn2_b64 s[20:21], s[4:5], exec
	s_and_b64 s[18:19], s[18:19], exec
	s_or_b64 s[18:19], s[20:21], s[18:19]
	s_andn2_b64 s[20:21], s[6:7], exec
	s_and_b64 s[14:15], s[14:15], exec
	s_andn2_b64 s[10:11], s[10:11], exec
	s_and_b64 s[16:17], s[16:17], exec
	s_or_b64 s[14:15], s[20:21], s[14:15]
	s_or_b64 s[10:11], s[10:11], s[16:17]
	s_waitcnt lgkmcnt(3)
	v_mov_b32_e32 v10, v18
.LBB420_533:
	s_or_b64 exec, exec, s[12:13]
	s_andn2_b64 s[16:17], s[4:5], exec
	s_and_b64 s[18:19], s[18:19], exec
	s_or_b64 s[16:17], s[16:17], s[18:19]
	s_andn2_b64 s[18:19], s[6:7], exec
	s_and_b64 s[14:15], s[14:15], exec
	s_or_b64 s[14:15], s[18:19], s[14:15]
	s_andn2_b64 s[18:19], s[8:9], exec
	s_and_b64 s[10:11], s[10:11], exec
	s_xor_b64 s[12:13], exec, -1
	s_or_b64 s[10:11], s[18:19], s[10:11]
.LBB420_534:
	s_or_b64 exec, exec, s[0:1]
	s_and_b64 s[0:1], s[12:13], exec
	s_andn2_b64 s[4:5], s[4:5], exec
	s_and_b64 s[12:13], s[16:17], exec
	s_or_b64 s[4:5], s[4:5], s[12:13]
	s_andn2_b64 s[6:7], s[6:7], exec
	s_and_b64 s[12:13], s[14:15], exec
	s_andn2_b64 s[8:9], s[8:9], exec
	s_and_b64 s[10:11], s[10:11], exec
	s_or_b64 s[6:7], s[6:7], s[12:13]
	s_or_b64 s[8:9], s[8:9], s[10:11]
	s_waitcnt lgkmcnt(1)
	v_mov_b32_e32 v12, v13
	v_mov_b32_e32 v11, v14
	s_or_b64 exec, exec, s[2:3]
	s_and_saveexec_b64 s[2:3], s[8:9]
	s_cbranch_execz .LBB420_469
.LBB420_535:
	v_mov_b32_e32 v2, 0
	s_andn2_b64 s[6:7], s[6:7], exec
	s_waitcnt lgkmcnt(3)
	global_store_short v2, v10, s[66:67]
	s_or_b64 exec, exec, s[2:3]
	s_and_saveexec_b64 s[2:3], s[6:7]
	s_cbranch_execz .LBB420_470
.LBB420_536:
	v_mov_b32_e32 v2, 0
	s_waitcnt lgkmcnt(2)
	global_store_short v2, v11, s[66:67]
	s_or_b64 exec, exec, s[2:3]
	s_and_saveexec_b64 s[2:3], s[4:5]
	s_xor_b64 s[2:3], exec, s[2:3]
	s_cbranch_execz .LBB420_471
.LBB420_537:
	v_mov_b32_e32 v2, 0
	s_waitcnt lgkmcnt(1)
	global_store_short v2, v12, s[66:67]
	s_or_b64 exec, exec, s[2:3]
	s_and_b64 exec, exec, s[0:1]
	s_cbranch_execz .LBB420_472
.LBB420_538:
	v_cmp_lt_i64_e32 vcc, 2, v[0:1]
	s_and_saveexec_b64 s[0:1], vcc
	s_xor_b64 s[0:1], exec, s[0:1]
	s_cbranch_execz .LBB420_548
; %bb.539:
	v_cmp_lt_i64_e32 vcc, 3, v[0:1]
	s_and_saveexec_b64 s[2:3], vcc
	s_xor_b64 s[2:3], exec, s[2:3]
	s_cbranch_execz .LBB420_545
; %bb.540:
	v_cmp_lt_i64_e32 vcc, 4, v[0:1]
	s_and_saveexec_b64 s[4:5], vcc
	s_xor_b64 s[4:5], exec, s[4:5]
	s_cbranch_execz .LBB420_542
; %bb.541:
	v_mov_b32_e32 v0, 0
	s_waitcnt lgkmcnt(14)
	global_store_short v0, v9, s[66:67]
                                        ; implicit-def: $vgpr6
.LBB420_542:
	s_andn2_saveexec_b64 s[4:5], s[4:5]
	s_cbranch_execz .LBB420_544
; %bb.543:
	v_mov_b32_e32 v0, 0
	s_waitcnt lgkmcnt(14)
	global_store_short v0, v6, s[66:67]
.LBB420_544:
	s_or_b64 exec, exec, s[4:5]
                                        ; implicit-def: $vgpr8
.LBB420_545:
	s_andn2_saveexec_b64 s[2:3], s[2:3]
	s_cbranch_execz .LBB420_547
; %bb.546:
	v_mov_b32_e32 v0, 0
	s_waitcnt lgkmcnt(14)
	global_store_short v0, v8, s[66:67]
.LBB420_547:
	s_or_b64 exec, exec, s[2:3]
                                        ; implicit-def: $vgpr0_vgpr1
                                        ; implicit-def: $vgpr7
                                        ; implicit-def: $vgpr4
                                        ; implicit-def: $vgpr5
.LBB420_548:
	s_andn2_saveexec_b64 s[0:1], s[0:1]
	s_cbranch_execz .LBB420_472
; %bb.549:
	v_cmp_lt_i64_e32 vcc, 1, v[0:1]
	s_and_saveexec_b64 s[0:1], vcc
	s_xor_b64 s[0:1], exec, s[0:1]
	s_cbranch_execz .LBB420_551
; %bb.550:
	v_mov_b32_e32 v0, 0
	s_waitcnt lgkmcnt(14)
	global_store_short v0, v7, s[66:67]
                                        ; implicit-def: $vgpr4
                                        ; implicit-def: $vgpr0_vgpr1
                                        ; implicit-def: $vgpr5
.LBB420_551:
	s_andn2_saveexec_b64 s[0:1], s[0:1]
	s_cbranch_execz .LBB420_472
; %bb.552:
	v_cmp_ne_u64_e32 vcc, 1, v[0:1]
	s_and_saveexec_b64 s[0:1], vcc
	s_xor_b64 s[0:1], exec, s[0:1]
	s_cbranch_execz .LBB420_554
; %bb.553:
	v_mov_b32_e32 v0, 0
	s_waitcnt lgkmcnt(14)
	global_store_short v0, v5, s[66:67]
                                        ; implicit-def: $vgpr4
.LBB420_554:
	s_andn2_saveexec_b64 s[0:1], s[0:1]
	s_cbranch_execz .LBB420_472
; %bb.555:
	v_mov_b32_e32 v0, 0
	s_waitcnt lgkmcnt(14)
	global_store_short v0, v4, s[66:67]
	s_endpgm
	.section	.rodata,"a",@progbits
	.p2align	6, 0x0
	.amdhsa_kernel _ZN7rocprim17ROCPRIM_400000_NS6detail17trampoline_kernelINS0_14default_configENS1_20scan_config_selectorIN3c104HalfEEEZZNS1_9scan_implILNS1_25lookback_scan_determinismE0ELb0ELb0ES3_PKS6_PS6_S6_ZZZN2at6native31launch_logcumsumexp_cuda_kernelERKNSD_10TensorBaseESH_lENKUlvE_clEvENKUlvE3_clEvEUlS6_S6_E_S6_EEDaPvRmT3_T4_T5_mT6_P12ihipStream_tbENKUlT_T0_E_clISt17integral_constantIbLb0EESX_IbLb1EEEEDaST_SU_EUlST_E_NS1_11comp_targetILNS1_3genE2ELNS1_11target_archE906ELNS1_3gpuE6ELNS1_3repE0EEENS1_30default_config_static_selectorELNS0_4arch9wavefront6targetE1EEEvT1_
		.amdhsa_group_segment_fixed_size 12288
		.amdhsa_private_segment_fixed_size 0
		.amdhsa_kernarg_size 96
		.amdhsa_user_sgpr_count 6
		.amdhsa_user_sgpr_private_segment_buffer 1
		.amdhsa_user_sgpr_dispatch_ptr 0
		.amdhsa_user_sgpr_queue_ptr 0
		.amdhsa_user_sgpr_kernarg_segment_ptr 1
		.amdhsa_user_sgpr_dispatch_id 0
		.amdhsa_user_sgpr_flat_scratch_init 0
		.amdhsa_user_sgpr_private_segment_size 0
		.amdhsa_uses_dynamic_stack 0
		.amdhsa_system_sgpr_private_segment_wavefront_offset 0
		.amdhsa_system_sgpr_workgroup_id_x 1
		.amdhsa_system_sgpr_workgroup_id_y 0
		.amdhsa_system_sgpr_workgroup_id_z 0
		.amdhsa_system_sgpr_workgroup_info 0
		.amdhsa_system_vgpr_workitem_id 0
		.amdhsa_next_free_vgpr 76
		.amdhsa_next_free_sgpr 98
		.amdhsa_reserve_vcc 1
		.amdhsa_reserve_flat_scratch 0
		.amdhsa_float_round_mode_32 0
		.amdhsa_float_round_mode_16_64 0
		.amdhsa_float_denorm_mode_32 3
		.amdhsa_float_denorm_mode_16_64 3
		.amdhsa_dx10_clamp 1
		.amdhsa_ieee_mode 1
		.amdhsa_fp16_overflow 0
		.amdhsa_exception_fp_ieee_invalid_op 0
		.amdhsa_exception_fp_denorm_src 0
		.amdhsa_exception_fp_ieee_div_zero 0
		.amdhsa_exception_fp_ieee_overflow 0
		.amdhsa_exception_fp_ieee_underflow 0
		.amdhsa_exception_fp_ieee_inexact 0
		.amdhsa_exception_int_div_zero 0
	.end_amdhsa_kernel
	.section	.text._ZN7rocprim17ROCPRIM_400000_NS6detail17trampoline_kernelINS0_14default_configENS1_20scan_config_selectorIN3c104HalfEEEZZNS1_9scan_implILNS1_25lookback_scan_determinismE0ELb0ELb0ES3_PKS6_PS6_S6_ZZZN2at6native31launch_logcumsumexp_cuda_kernelERKNSD_10TensorBaseESH_lENKUlvE_clEvENKUlvE3_clEvEUlS6_S6_E_S6_EEDaPvRmT3_T4_T5_mT6_P12ihipStream_tbENKUlT_T0_E_clISt17integral_constantIbLb0EESX_IbLb1EEEEDaST_SU_EUlST_E_NS1_11comp_targetILNS1_3genE2ELNS1_11target_archE906ELNS1_3gpuE6ELNS1_3repE0EEENS1_30default_config_static_selectorELNS0_4arch9wavefront6targetE1EEEvT1_,"axG",@progbits,_ZN7rocprim17ROCPRIM_400000_NS6detail17trampoline_kernelINS0_14default_configENS1_20scan_config_selectorIN3c104HalfEEEZZNS1_9scan_implILNS1_25lookback_scan_determinismE0ELb0ELb0ES3_PKS6_PS6_S6_ZZZN2at6native31launch_logcumsumexp_cuda_kernelERKNSD_10TensorBaseESH_lENKUlvE_clEvENKUlvE3_clEvEUlS6_S6_E_S6_EEDaPvRmT3_T4_T5_mT6_P12ihipStream_tbENKUlT_T0_E_clISt17integral_constantIbLb0EESX_IbLb1EEEEDaST_SU_EUlST_E_NS1_11comp_targetILNS1_3genE2ELNS1_11target_archE906ELNS1_3gpuE6ELNS1_3repE0EEENS1_30default_config_static_selectorELNS0_4arch9wavefront6targetE1EEEvT1_,comdat
.Lfunc_end420:
	.size	_ZN7rocprim17ROCPRIM_400000_NS6detail17trampoline_kernelINS0_14default_configENS1_20scan_config_selectorIN3c104HalfEEEZZNS1_9scan_implILNS1_25lookback_scan_determinismE0ELb0ELb0ES3_PKS6_PS6_S6_ZZZN2at6native31launch_logcumsumexp_cuda_kernelERKNSD_10TensorBaseESH_lENKUlvE_clEvENKUlvE3_clEvEUlS6_S6_E_S6_EEDaPvRmT3_T4_T5_mT6_P12ihipStream_tbENKUlT_T0_E_clISt17integral_constantIbLb0EESX_IbLb1EEEEDaST_SU_EUlST_E_NS1_11comp_targetILNS1_3genE2ELNS1_11target_archE906ELNS1_3gpuE6ELNS1_3repE0EEENS1_30default_config_static_selectorELNS0_4arch9wavefront6targetE1EEEvT1_, .Lfunc_end420-_ZN7rocprim17ROCPRIM_400000_NS6detail17trampoline_kernelINS0_14default_configENS1_20scan_config_selectorIN3c104HalfEEEZZNS1_9scan_implILNS1_25lookback_scan_determinismE0ELb0ELb0ES3_PKS6_PS6_S6_ZZZN2at6native31launch_logcumsumexp_cuda_kernelERKNSD_10TensorBaseESH_lENKUlvE_clEvENKUlvE3_clEvEUlS6_S6_E_S6_EEDaPvRmT3_T4_T5_mT6_P12ihipStream_tbENKUlT_T0_E_clISt17integral_constantIbLb0EESX_IbLb1EEEEDaST_SU_EUlST_E_NS1_11comp_targetILNS1_3genE2ELNS1_11target_archE906ELNS1_3gpuE6ELNS1_3repE0EEENS1_30default_config_static_selectorELNS0_4arch9wavefront6targetE1EEEvT1_
                                        ; -- End function
	.set _ZN7rocprim17ROCPRIM_400000_NS6detail17trampoline_kernelINS0_14default_configENS1_20scan_config_selectorIN3c104HalfEEEZZNS1_9scan_implILNS1_25lookback_scan_determinismE0ELb0ELb0ES3_PKS6_PS6_S6_ZZZN2at6native31launch_logcumsumexp_cuda_kernelERKNSD_10TensorBaseESH_lENKUlvE_clEvENKUlvE3_clEvEUlS6_S6_E_S6_EEDaPvRmT3_T4_T5_mT6_P12ihipStream_tbENKUlT_T0_E_clISt17integral_constantIbLb0EESX_IbLb1EEEEDaST_SU_EUlST_E_NS1_11comp_targetILNS1_3genE2ELNS1_11target_archE906ELNS1_3gpuE6ELNS1_3repE0EEENS1_30default_config_static_selectorELNS0_4arch9wavefront6targetE1EEEvT1_.num_vgpr, 76
	.set _ZN7rocprim17ROCPRIM_400000_NS6detail17trampoline_kernelINS0_14default_configENS1_20scan_config_selectorIN3c104HalfEEEZZNS1_9scan_implILNS1_25lookback_scan_determinismE0ELb0ELb0ES3_PKS6_PS6_S6_ZZZN2at6native31launch_logcumsumexp_cuda_kernelERKNSD_10TensorBaseESH_lENKUlvE_clEvENKUlvE3_clEvEUlS6_S6_E_S6_EEDaPvRmT3_T4_T5_mT6_P12ihipStream_tbENKUlT_T0_E_clISt17integral_constantIbLb0EESX_IbLb1EEEEDaST_SU_EUlST_E_NS1_11comp_targetILNS1_3genE2ELNS1_11target_archE906ELNS1_3gpuE6ELNS1_3repE0EEENS1_30default_config_static_selectorELNS0_4arch9wavefront6targetE1EEEvT1_.num_agpr, 0
	.set _ZN7rocprim17ROCPRIM_400000_NS6detail17trampoline_kernelINS0_14default_configENS1_20scan_config_selectorIN3c104HalfEEEZZNS1_9scan_implILNS1_25lookback_scan_determinismE0ELb0ELb0ES3_PKS6_PS6_S6_ZZZN2at6native31launch_logcumsumexp_cuda_kernelERKNSD_10TensorBaseESH_lENKUlvE_clEvENKUlvE3_clEvEUlS6_S6_E_S6_EEDaPvRmT3_T4_T5_mT6_P12ihipStream_tbENKUlT_T0_E_clISt17integral_constantIbLb0EESX_IbLb1EEEEDaST_SU_EUlST_E_NS1_11comp_targetILNS1_3genE2ELNS1_11target_archE906ELNS1_3gpuE6ELNS1_3repE0EEENS1_30default_config_static_selectorELNS0_4arch9wavefront6targetE1EEEvT1_.numbered_sgpr, 92
	.set _ZN7rocprim17ROCPRIM_400000_NS6detail17trampoline_kernelINS0_14default_configENS1_20scan_config_selectorIN3c104HalfEEEZZNS1_9scan_implILNS1_25lookback_scan_determinismE0ELb0ELb0ES3_PKS6_PS6_S6_ZZZN2at6native31launch_logcumsumexp_cuda_kernelERKNSD_10TensorBaseESH_lENKUlvE_clEvENKUlvE3_clEvEUlS6_S6_E_S6_EEDaPvRmT3_T4_T5_mT6_P12ihipStream_tbENKUlT_T0_E_clISt17integral_constantIbLb0EESX_IbLb1EEEEDaST_SU_EUlST_E_NS1_11comp_targetILNS1_3genE2ELNS1_11target_archE906ELNS1_3gpuE6ELNS1_3repE0EEENS1_30default_config_static_selectorELNS0_4arch9wavefront6targetE1EEEvT1_.num_named_barrier, 0
	.set _ZN7rocprim17ROCPRIM_400000_NS6detail17trampoline_kernelINS0_14default_configENS1_20scan_config_selectorIN3c104HalfEEEZZNS1_9scan_implILNS1_25lookback_scan_determinismE0ELb0ELb0ES3_PKS6_PS6_S6_ZZZN2at6native31launch_logcumsumexp_cuda_kernelERKNSD_10TensorBaseESH_lENKUlvE_clEvENKUlvE3_clEvEUlS6_S6_E_S6_EEDaPvRmT3_T4_T5_mT6_P12ihipStream_tbENKUlT_T0_E_clISt17integral_constantIbLb0EESX_IbLb1EEEEDaST_SU_EUlST_E_NS1_11comp_targetILNS1_3genE2ELNS1_11target_archE906ELNS1_3gpuE6ELNS1_3repE0EEENS1_30default_config_static_selectorELNS0_4arch9wavefront6targetE1EEEvT1_.private_seg_size, 0
	.set _ZN7rocprim17ROCPRIM_400000_NS6detail17trampoline_kernelINS0_14default_configENS1_20scan_config_selectorIN3c104HalfEEEZZNS1_9scan_implILNS1_25lookback_scan_determinismE0ELb0ELb0ES3_PKS6_PS6_S6_ZZZN2at6native31launch_logcumsumexp_cuda_kernelERKNSD_10TensorBaseESH_lENKUlvE_clEvENKUlvE3_clEvEUlS6_S6_E_S6_EEDaPvRmT3_T4_T5_mT6_P12ihipStream_tbENKUlT_T0_E_clISt17integral_constantIbLb0EESX_IbLb1EEEEDaST_SU_EUlST_E_NS1_11comp_targetILNS1_3genE2ELNS1_11target_archE906ELNS1_3gpuE6ELNS1_3repE0EEENS1_30default_config_static_selectorELNS0_4arch9wavefront6targetE1EEEvT1_.uses_vcc, 1
	.set _ZN7rocprim17ROCPRIM_400000_NS6detail17trampoline_kernelINS0_14default_configENS1_20scan_config_selectorIN3c104HalfEEEZZNS1_9scan_implILNS1_25lookback_scan_determinismE0ELb0ELb0ES3_PKS6_PS6_S6_ZZZN2at6native31launch_logcumsumexp_cuda_kernelERKNSD_10TensorBaseESH_lENKUlvE_clEvENKUlvE3_clEvEUlS6_S6_E_S6_EEDaPvRmT3_T4_T5_mT6_P12ihipStream_tbENKUlT_T0_E_clISt17integral_constantIbLb0EESX_IbLb1EEEEDaST_SU_EUlST_E_NS1_11comp_targetILNS1_3genE2ELNS1_11target_archE906ELNS1_3gpuE6ELNS1_3repE0EEENS1_30default_config_static_selectorELNS0_4arch9wavefront6targetE1EEEvT1_.uses_flat_scratch, 0
	.set _ZN7rocprim17ROCPRIM_400000_NS6detail17trampoline_kernelINS0_14default_configENS1_20scan_config_selectorIN3c104HalfEEEZZNS1_9scan_implILNS1_25lookback_scan_determinismE0ELb0ELb0ES3_PKS6_PS6_S6_ZZZN2at6native31launch_logcumsumexp_cuda_kernelERKNSD_10TensorBaseESH_lENKUlvE_clEvENKUlvE3_clEvEUlS6_S6_E_S6_EEDaPvRmT3_T4_T5_mT6_P12ihipStream_tbENKUlT_T0_E_clISt17integral_constantIbLb0EESX_IbLb1EEEEDaST_SU_EUlST_E_NS1_11comp_targetILNS1_3genE2ELNS1_11target_archE906ELNS1_3gpuE6ELNS1_3repE0EEENS1_30default_config_static_selectorELNS0_4arch9wavefront6targetE1EEEvT1_.has_dyn_sized_stack, 0
	.set _ZN7rocprim17ROCPRIM_400000_NS6detail17trampoline_kernelINS0_14default_configENS1_20scan_config_selectorIN3c104HalfEEEZZNS1_9scan_implILNS1_25lookback_scan_determinismE0ELb0ELb0ES3_PKS6_PS6_S6_ZZZN2at6native31launch_logcumsumexp_cuda_kernelERKNSD_10TensorBaseESH_lENKUlvE_clEvENKUlvE3_clEvEUlS6_S6_E_S6_EEDaPvRmT3_T4_T5_mT6_P12ihipStream_tbENKUlT_T0_E_clISt17integral_constantIbLb0EESX_IbLb1EEEEDaST_SU_EUlST_E_NS1_11comp_targetILNS1_3genE2ELNS1_11target_archE906ELNS1_3gpuE6ELNS1_3repE0EEENS1_30default_config_static_selectorELNS0_4arch9wavefront6targetE1EEEvT1_.has_recursion, 0
	.set _ZN7rocprim17ROCPRIM_400000_NS6detail17trampoline_kernelINS0_14default_configENS1_20scan_config_selectorIN3c104HalfEEEZZNS1_9scan_implILNS1_25lookback_scan_determinismE0ELb0ELb0ES3_PKS6_PS6_S6_ZZZN2at6native31launch_logcumsumexp_cuda_kernelERKNSD_10TensorBaseESH_lENKUlvE_clEvENKUlvE3_clEvEUlS6_S6_E_S6_EEDaPvRmT3_T4_T5_mT6_P12ihipStream_tbENKUlT_T0_E_clISt17integral_constantIbLb0EESX_IbLb1EEEEDaST_SU_EUlST_E_NS1_11comp_targetILNS1_3genE2ELNS1_11target_archE906ELNS1_3gpuE6ELNS1_3repE0EEENS1_30default_config_static_selectorELNS0_4arch9wavefront6targetE1EEEvT1_.has_indirect_call, 0
	.section	.AMDGPU.csdata,"",@progbits
; Kernel info:
; codeLenInByte = 108520
; TotalNumSgprs: 96
; NumVgprs: 76
; ScratchSize: 0
; MemoryBound: 0
; FloatMode: 240
; IeeeMode: 1
; LDSByteSize: 12288 bytes/workgroup (compile time only)
; SGPRBlocks: 12
; VGPRBlocks: 18
; NumSGPRsForWavesPerEU: 102
; NumVGPRsForWavesPerEU: 76
; Occupancy: 3
; WaveLimiterHint : 1
; COMPUTE_PGM_RSRC2:SCRATCH_EN: 0
; COMPUTE_PGM_RSRC2:USER_SGPR: 6
; COMPUTE_PGM_RSRC2:TRAP_HANDLER: 0
; COMPUTE_PGM_RSRC2:TGID_X_EN: 1
; COMPUTE_PGM_RSRC2:TGID_Y_EN: 0
; COMPUTE_PGM_RSRC2:TGID_Z_EN: 0
; COMPUTE_PGM_RSRC2:TIDIG_COMP_CNT: 0
	.section	.text._ZN7rocprim17ROCPRIM_400000_NS6detail17trampoline_kernelINS0_14default_configENS1_20scan_config_selectorIN3c104HalfEEEZZNS1_9scan_implILNS1_25lookback_scan_determinismE0ELb0ELb0ES3_PKS6_PS6_S6_ZZZN2at6native31launch_logcumsumexp_cuda_kernelERKNSD_10TensorBaseESH_lENKUlvE_clEvENKUlvE3_clEvEUlS6_S6_E_S6_EEDaPvRmT3_T4_T5_mT6_P12ihipStream_tbENKUlT_T0_E_clISt17integral_constantIbLb0EESX_IbLb1EEEEDaST_SU_EUlST_E_NS1_11comp_targetILNS1_3genE10ELNS1_11target_archE1201ELNS1_3gpuE5ELNS1_3repE0EEENS1_30default_config_static_selectorELNS0_4arch9wavefront6targetE1EEEvT1_,"axG",@progbits,_ZN7rocprim17ROCPRIM_400000_NS6detail17trampoline_kernelINS0_14default_configENS1_20scan_config_selectorIN3c104HalfEEEZZNS1_9scan_implILNS1_25lookback_scan_determinismE0ELb0ELb0ES3_PKS6_PS6_S6_ZZZN2at6native31launch_logcumsumexp_cuda_kernelERKNSD_10TensorBaseESH_lENKUlvE_clEvENKUlvE3_clEvEUlS6_S6_E_S6_EEDaPvRmT3_T4_T5_mT6_P12ihipStream_tbENKUlT_T0_E_clISt17integral_constantIbLb0EESX_IbLb1EEEEDaST_SU_EUlST_E_NS1_11comp_targetILNS1_3genE10ELNS1_11target_archE1201ELNS1_3gpuE5ELNS1_3repE0EEENS1_30default_config_static_selectorELNS0_4arch9wavefront6targetE1EEEvT1_,comdat
	.globl	_ZN7rocprim17ROCPRIM_400000_NS6detail17trampoline_kernelINS0_14default_configENS1_20scan_config_selectorIN3c104HalfEEEZZNS1_9scan_implILNS1_25lookback_scan_determinismE0ELb0ELb0ES3_PKS6_PS6_S6_ZZZN2at6native31launch_logcumsumexp_cuda_kernelERKNSD_10TensorBaseESH_lENKUlvE_clEvENKUlvE3_clEvEUlS6_S6_E_S6_EEDaPvRmT3_T4_T5_mT6_P12ihipStream_tbENKUlT_T0_E_clISt17integral_constantIbLb0EESX_IbLb1EEEEDaST_SU_EUlST_E_NS1_11comp_targetILNS1_3genE10ELNS1_11target_archE1201ELNS1_3gpuE5ELNS1_3repE0EEENS1_30default_config_static_selectorELNS0_4arch9wavefront6targetE1EEEvT1_ ; -- Begin function _ZN7rocprim17ROCPRIM_400000_NS6detail17trampoline_kernelINS0_14default_configENS1_20scan_config_selectorIN3c104HalfEEEZZNS1_9scan_implILNS1_25lookback_scan_determinismE0ELb0ELb0ES3_PKS6_PS6_S6_ZZZN2at6native31launch_logcumsumexp_cuda_kernelERKNSD_10TensorBaseESH_lENKUlvE_clEvENKUlvE3_clEvEUlS6_S6_E_S6_EEDaPvRmT3_T4_T5_mT6_P12ihipStream_tbENKUlT_T0_E_clISt17integral_constantIbLb0EESX_IbLb1EEEEDaST_SU_EUlST_E_NS1_11comp_targetILNS1_3genE10ELNS1_11target_archE1201ELNS1_3gpuE5ELNS1_3repE0EEENS1_30default_config_static_selectorELNS0_4arch9wavefront6targetE1EEEvT1_
	.p2align	8
	.type	_ZN7rocprim17ROCPRIM_400000_NS6detail17trampoline_kernelINS0_14default_configENS1_20scan_config_selectorIN3c104HalfEEEZZNS1_9scan_implILNS1_25lookback_scan_determinismE0ELb0ELb0ES3_PKS6_PS6_S6_ZZZN2at6native31launch_logcumsumexp_cuda_kernelERKNSD_10TensorBaseESH_lENKUlvE_clEvENKUlvE3_clEvEUlS6_S6_E_S6_EEDaPvRmT3_T4_T5_mT6_P12ihipStream_tbENKUlT_T0_E_clISt17integral_constantIbLb0EESX_IbLb1EEEEDaST_SU_EUlST_E_NS1_11comp_targetILNS1_3genE10ELNS1_11target_archE1201ELNS1_3gpuE5ELNS1_3repE0EEENS1_30default_config_static_selectorELNS0_4arch9wavefront6targetE1EEEvT1_,@function
_ZN7rocprim17ROCPRIM_400000_NS6detail17trampoline_kernelINS0_14default_configENS1_20scan_config_selectorIN3c104HalfEEEZZNS1_9scan_implILNS1_25lookback_scan_determinismE0ELb0ELb0ES3_PKS6_PS6_S6_ZZZN2at6native31launch_logcumsumexp_cuda_kernelERKNSD_10TensorBaseESH_lENKUlvE_clEvENKUlvE3_clEvEUlS6_S6_E_S6_EEDaPvRmT3_T4_T5_mT6_P12ihipStream_tbENKUlT_T0_E_clISt17integral_constantIbLb0EESX_IbLb1EEEEDaST_SU_EUlST_E_NS1_11comp_targetILNS1_3genE10ELNS1_11target_archE1201ELNS1_3gpuE5ELNS1_3repE0EEENS1_30default_config_static_selectorELNS0_4arch9wavefront6targetE1EEEvT1_: ; @_ZN7rocprim17ROCPRIM_400000_NS6detail17trampoline_kernelINS0_14default_configENS1_20scan_config_selectorIN3c104HalfEEEZZNS1_9scan_implILNS1_25lookback_scan_determinismE0ELb0ELb0ES3_PKS6_PS6_S6_ZZZN2at6native31launch_logcumsumexp_cuda_kernelERKNSD_10TensorBaseESH_lENKUlvE_clEvENKUlvE3_clEvEUlS6_S6_E_S6_EEDaPvRmT3_T4_T5_mT6_P12ihipStream_tbENKUlT_T0_E_clISt17integral_constantIbLb0EESX_IbLb1EEEEDaST_SU_EUlST_E_NS1_11comp_targetILNS1_3genE10ELNS1_11target_archE1201ELNS1_3gpuE5ELNS1_3repE0EEENS1_30default_config_static_selectorELNS0_4arch9wavefront6targetE1EEEvT1_
; %bb.0:
	.section	.rodata,"a",@progbits
	.p2align	6, 0x0
	.amdhsa_kernel _ZN7rocprim17ROCPRIM_400000_NS6detail17trampoline_kernelINS0_14default_configENS1_20scan_config_selectorIN3c104HalfEEEZZNS1_9scan_implILNS1_25lookback_scan_determinismE0ELb0ELb0ES3_PKS6_PS6_S6_ZZZN2at6native31launch_logcumsumexp_cuda_kernelERKNSD_10TensorBaseESH_lENKUlvE_clEvENKUlvE3_clEvEUlS6_S6_E_S6_EEDaPvRmT3_T4_T5_mT6_P12ihipStream_tbENKUlT_T0_E_clISt17integral_constantIbLb0EESX_IbLb1EEEEDaST_SU_EUlST_E_NS1_11comp_targetILNS1_3genE10ELNS1_11target_archE1201ELNS1_3gpuE5ELNS1_3repE0EEENS1_30default_config_static_selectorELNS0_4arch9wavefront6targetE1EEEvT1_
		.amdhsa_group_segment_fixed_size 0
		.amdhsa_private_segment_fixed_size 0
		.amdhsa_kernarg_size 96
		.amdhsa_user_sgpr_count 6
		.amdhsa_user_sgpr_private_segment_buffer 1
		.amdhsa_user_sgpr_dispatch_ptr 0
		.amdhsa_user_sgpr_queue_ptr 0
		.amdhsa_user_sgpr_kernarg_segment_ptr 1
		.amdhsa_user_sgpr_dispatch_id 0
		.amdhsa_user_sgpr_flat_scratch_init 0
		.amdhsa_user_sgpr_private_segment_size 0
		.amdhsa_uses_dynamic_stack 0
		.amdhsa_system_sgpr_private_segment_wavefront_offset 0
		.amdhsa_system_sgpr_workgroup_id_x 1
		.amdhsa_system_sgpr_workgroup_id_y 0
		.amdhsa_system_sgpr_workgroup_id_z 0
		.amdhsa_system_sgpr_workgroup_info 0
		.amdhsa_system_vgpr_workitem_id 0
		.amdhsa_next_free_vgpr 1
		.amdhsa_next_free_sgpr 0
		.amdhsa_reserve_vcc 0
		.amdhsa_reserve_flat_scratch 0
		.amdhsa_float_round_mode_32 0
		.amdhsa_float_round_mode_16_64 0
		.amdhsa_float_denorm_mode_32 3
		.amdhsa_float_denorm_mode_16_64 3
		.amdhsa_dx10_clamp 1
		.amdhsa_ieee_mode 1
		.amdhsa_fp16_overflow 0
		.amdhsa_exception_fp_ieee_invalid_op 0
		.amdhsa_exception_fp_denorm_src 0
		.amdhsa_exception_fp_ieee_div_zero 0
		.amdhsa_exception_fp_ieee_overflow 0
		.amdhsa_exception_fp_ieee_underflow 0
		.amdhsa_exception_fp_ieee_inexact 0
		.amdhsa_exception_int_div_zero 0
	.end_amdhsa_kernel
	.section	.text._ZN7rocprim17ROCPRIM_400000_NS6detail17trampoline_kernelINS0_14default_configENS1_20scan_config_selectorIN3c104HalfEEEZZNS1_9scan_implILNS1_25lookback_scan_determinismE0ELb0ELb0ES3_PKS6_PS6_S6_ZZZN2at6native31launch_logcumsumexp_cuda_kernelERKNSD_10TensorBaseESH_lENKUlvE_clEvENKUlvE3_clEvEUlS6_S6_E_S6_EEDaPvRmT3_T4_T5_mT6_P12ihipStream_tbENKUlT_T0_E_clISt17integral_constantIbLb0EESX_IbLb1EEEEDaST_SU_EUlST_E_NS1_11comp_targetILNS1_3genE10ELNS1_11target_archE1201ELNS1_3gpuE5ELNS1_3repE0EEENS1_30default_config_static_selectorELNS0_4arch9wavefront6targetE1EEEvT1_,"axG",@progbits,_ZN7rocprim17ROCPRIM_400000_NS6detail17trampoline_kernelINS0_14default_configENS1_20scan_config_selectorIN3c104HalfEEEZZNS1_9scan_implILNS1_25lookback_scan_determinismE0ELb0ELb0ES3_PKS6_PS6_S6_ZZZN2at6native31launch_logcumsumexp_cuda_kernelERKNSD_10TensorBaseESH_lENKUlvE_clEvENKUlvE3_clEvEUlS6_S6_E_S6_EEDaPvRmT3_T4_T5_mT6_P12ihipStream_tbENKUlT_T0_E_clISt17integral_constantIbLb0EESX_IbLb1EEEEDaST_SU_EUlST_E_NS1_11comp_targetILNS1_3genE10ELNS1_11target_archE1201ELNS1_3gpuE5ELNS1_3repE0EEENS1_30default_config_static_selectorELNS0_4arch9wavefront6targetE1EEEvT1_,comdat
.Lfunc_end421:
	.size	_ZN7rocprim17ROCPRIM_400000_NS6detail17trampoline_kernelINS0_14default_configENS1_20scan_config_selectorIN3c104HalfEEEZZNS1_9scan_implILNS1_25lookback_scan_determinismE0ELb0ELb0ES3_PKS6_PS6_S6_ZZZN2at6native31launch_logcumsumexp_cuda_kernelERKNSD_10TensorBaseESH_lENKUlvE_clEvENKUlvE3_clEvEUlS6_S6_E_S6_EEDaPvRmT3_T4_T5_mT6_P12ihipStream_tbENKUlT_T0_E_clISt17integral_constantIbLb0EESX_IbLb1EEEEDaST_SU_EUlST_E_NS1_11comp_targetILNS1_3genE10ELNS1_11target_archE1201ELNS1_3gpuE5ELNS1_3repE0EEENS1_30default_config_static_selectorELNS0_4arch9wavefront6targetE1EEEvT1_, .Lfunc_end421-_ZN7rocprim17ROCPRIM_400000_NS6detail17trampoline_kernelINS0_14default_configENS1_20scan_config_selectorIN3c104HalfEEEZZNS1_9scan_implILNS1_25lookback_scan_determinismE0ELb0ELb0ES3_PKS6_PS6_S6_ZZZN2at6native31launch_logcumsumexp_cuda_kernelERKNSD_10TensorBaseESH_lENKUlvE_clEvENKUlvE3_clEvEUlS6_S6_E_S6_EEDaPvRmT3_T4_T5_mT6_P12ihipStream_tbENKUlT_T0_E_clISt17integral_constantIbLb0EESX_IbLb1EEEEDaST_SU_EUlST_E_NS1_11comp_targetILNS1_3genE10ELNS1_11target_archE1201ELNS1_3gpuE5ELNS1_3repE0EEENS1_30default_config_static_selectorELNS0_4arch9wavefront6targetE1EEEvT1_
                                        ; -- End function
	.set _ZN7rocprim17ROCPRIM_400000_NS6detail17trampoline_kernelINS0_14default_configENS1_20scan_config_selectorIN3c104HalfEEEZZNS1_9scan_implILNS1_25lookback_scan_determinismE0ELb0ELb0ES3_PKS6_PS6_S6_ZZZN2at6native31launch_logcumsumexp_cuda_kernelERKNSD_10TensorBaseESH_lENKUlvE_clEvENKUlvE3_clEvEUlS6_S6_E_S6_EEDaPvRmT3_T4_T5_mT6_P12ihipStream_tbENKUlT_T0_E_clISt17integral_constantIbLb0EESX_IbLb1EEEEDaST_SU_EUlST_E_NS1_11comp_targetILNS1_3genE10ELNS1_11target_archE1201ELNS1_3gpuE5ELNS1_3repE0EEENS1_30default_config_static_selectorELNS0_4arch9wavefront6targetE1EEEvT1_.num_vgpr, 0
	.set _ZN7rocprim17ROCPRIM_400000_NS6detail17trampoline_kernelINS0_14default_configENS1_20scan_config_selectorIN3c104HalfEEEZZNS1_9scan_implILNS1_25lookback_scan_determinismE0ELb0ELb0ES3_PKS6_PS6_S6_ZZZN2at6native31launch_logcumsumexp_cuda_kernelERKNSD_10TensorBaseESH_lENKUlvE_clEvENKUlvE3_clEvEUlS6_S6_E_S6_EEDaPvRmT3_T4_T5_mT6_P12ihipStream_tbENKUlT_T0_E_clISt17integral_constantIbLb0EESX_IbLb1EEEEDaST_SU_EUlST_E_NS1_11comp_targetILNS1_3genE10ELNS1_11target_archE1201ELNS1_3gpuE5ELNS1_3repE0EEENS1_30default_config_static_selectorELNS0_4arch9wavefront6targetE1EEEvT1_.num_agpr, 0
	.set _ZN7rocprim17ROCPRIM_400000_NS6detail17trampoline_kernelINS0_14default_configENS1_20scan_config_selectorIN3c104HalfEEEZZNS1_9scan_implILNS1_25lookback_scan_determinismE0ELb0ELb0ES3_PKS6_PS6_S6_ZZZN2at6native31launch_logcumsumexp_cuda_kernelERKNSD_10TensorBaseESH_lENKUlvE_clEvENKUlvE3_clEvEUlS6_S6_E_S6_EEDaPvRmT3_T4_T5_mT6_P12ihipStream_tbENKUlT_T0_E_clISt17integral_constantIbLb0EESX_IbLb1EEEEDaST_SU_EUlST_E_NS1_11comp_targetILNS1_3genE10ELNS1_11target_archE1201ELNS1_3gpuE5ELNS1_3repE0EEENS1_30default_config_static_selectorELNS0_4arch9wavefront6targetE1EEEvT1_.numbered_sgpr, 0
	.set _ZN7rocprim17ROCPRIM_400000_NS6detail17trampoline_kernelINS0_14default_configENS1_20scan_config_selectorIN3c104HalfEEEZZNS1_9scan_implILNS1_25lookback_scan_determinismE0ELb0ELb0ES3_PKS6_PS6_S6_ZZZN2at6native31launch_logcumsumexp_cuda_kernelERKNSD_10TensorBaseESH_lENKUlvE_clEvENKUlvE3_clEvEUlS6_S6_E_S6_EEDaPvRmT3_T4_T5_mT6_P12ihipStream_tbENKUlT_T0_E_clISt17integral_constantIbLb0EESX_IbLb1EEEEDaST_SU_EUlST_E_NS1_11comp_targetILNS1_3genE10ELNS1_11target_archE1201ELNS1_3gpuE5ELNS1_3repE0EEENS1_30default_config_static_selectorELNS0_4arch9wavefront6targetE1EEEvT1_.num_named_barrier, 0
	.set _ZN7rocprim17ROCPRIM_400000_NS6detail17trampoline_kernelINS0_14default_configENS1_20scan_config_selectorIN3c104HalfEEEZZNS1_9scan_implILNS1_25lookback_scan_determinismE0ELb0ELb0ES3_PKS6_PS6_S6_ZZZN2at6native31launch_logcumsumexp_cuda_kernelERKNSD_10TensorBaseESH_lENKUlvE_clEvENKUlvE3_clEvEUlS6_S6_E_S6_EEDaPvRmT3_T4_T5_mT6_P12ihipStream_tbENKUlT_T0_E_clISt17integral_constantIbLb0EESX_IbLb1EEEEDaST_SU_EUlST_E_NS1_11comp_targetILNS1_3genE10ELNS1_11target_archE1201ELNS1_3gpuE5ELNS1_3repE0EEENS1_30default_config_static_selectorELNS0_4arch9wavefront6targetE1EEEvT1_.private_seg_size, 0
	.set _ZN7rocprim17ROCPRIM_400000_NS6detail17trampoline_kernelINS0_14default_configENS1_20scan_config_selectorIN3c104HalfEEEZZNS1_9scan_implILNS1_25lookback_scan_determinismE0ELb0ELb0ES3_PKS6_PS6_S6_ZZZN2at6native31launch_logcumsumexp_cuda_kernelERKNSD_10TensorBaseESH_lENKUlvE_clEvENKUlvE3_clEvEUlS6_S6_E_S6_EEDaPvRmT3_T4_T5_mT6_P12ihipStream_tbENKUlT_T0_E_clISt17integral_constantIbLb0EESX_IbLb1EEEEDaST_SU_EUlST_E_NS1_11comp_targetILNS1_3genE10ELNS1_11target_archE1201ELNS1_3gpuE5ELNS1_3repE0EEENS1_30default_config_static_selectorELNS0_4arch9wavefront6targetE1EEEvT1_.uses_vcc, 0
	.set _ZN7rocprim17ROCPRIM_400000_NS6detail17trampoline_kernelINS0_14default_configENS1_20scan_config_selectorIN3c104HalfEEEZZNS1_9scan_implILNS1_25lookback_scan_determinismE0ELb0ELb0ES3_PKS6_PS6_S6_ZZZN2at6native31launch_logcumsumexp_cuda_kernelERKNSD_10TensorBaseESH_lENKUlvE_clEvENKUlvE3_clEvEUlS6_S6_E_S6_EEDaPvRmT3_T4_T5_mT6_P12ihipStream_tbENKUlT_T0_E_clISt17integral_constantIbLb0EESX_IbLb1EEEEDaST_SU_EUlST_E_NS1_11comp_targetILNS1_3genE10ELNS1_11target_archE1201ELNS1_3gpuE5ELNS1_3repE0EEENS1_30default_config_static_selectorELNS0_4arch9wavefront6targetE1EEEvT1_.uses_flat_scratch, 0
	.set _ZN7rocprim17ROCPRIM_400000_NS6detail17trampoline_kernelINS0_14default_configENS1_20scan_config_selectorIN3c104HalfEEEZZNS1_9scan_implILNS1_25lookback_scan_determinismE0ELb0ELb0ES3_PKS6_PS6_S6_ZZZN2at6native31launch_logcumsumexp_cuda_kernelERKNSD_10TensorBaseESH_lENKUlvE_clEvENKUlvE3_clEvEUlS6_S6_E_S6_EEDaPvRmT3_T4_T5_mT6_P12ihipStream_tbENKUlT_T0_E_clISt17integral_constantIbLb0EESX_IbLb1EEEEDaST_SU_EUlST_E_NS1_11comp_targetILNS1_3genE10ELNS1_11target_archE1201ELNS1_3gpuE5ELNS1_3repE0EEENS1_30default_config_static_selectorELNS0_4arch9wavefront6targetE1EEEvT1_.has_dyn_sized_stack, 0
	.set _ZN7rocprim17ROCPRIM_400000_NS6detail17trampoline_kernelINS0_14default_configENS1_20scan_config_selectorIN3c104HalfEEEZZNS1_9scan_implILNS1_25lookback_scan_determinismE0ELb0ELb0ES3_PKS6_PS6_S6_ZZZN2at6native31launch_logcumsumexp_cuda_kernelERKNSD_10TensorBaseESH_lENKUlvE_clEvENKUlvE3_clEvEUlS6_S6_E_S6_EEDaPvRmT3_T4_T5_mT6_P12ihipStream_tbENKUlT_T0_E_clISt17integral_constantIbLb0EESX_IbLb1EEEEDaST_SU_EUlST_E_NS1_11comp_targetILNS1_3genE10ELNS1_11target_archE1201ELNS1_3gpuE5ELNS1_3repE0EEENS1_30default_config_static_selectorELNS0_4arch9wavefront6targetE1EEEvT1_.has_recursion, 0
	.set _ZN7rocprim17ROCPRIM_400000_NS6detail17trampoline_kernelINS0_14default_configENS1_20scan_config_selectorIN3c104HalfEEEZZNS1_9scan_implILNS1_25lookback_scan_determinismE0ELb0ELb0ES3_PKS6_PS6_S6_ZZZN2at6native31launch_logcumsumexp_cuda_kernelERKNSD_10TensorBaseESH_lENKUlvE_clEvENKUlvE3_clEvEUlS6_S6_E_S6_EEDaPvRmT3_T4_T5_mT6_P12ihipStream_tbENKUlT_T0_E_clISt17integral_constantIbLb0EESX_IbLb1EEEEDaST_SU_EUlST_E_NS1_11comp_targetILNS1_3genE10ELNS1_11target_archE1201ELNS1_3gpuE5ELNS1_3repE0EEENS1_30default_config_static_selectorELNS0_4arch9wavefront6targetE1EEEvT1_.has_indirect_call, 0
	.section	.AMDGPU.csdata,"",@progbits
; Kernel info:
; codeLenInByte = 0
; TotalNumSgprs: 4
; NumVgprs: 0
; ScratchSize: 0
; MemoryBound: 0
; FloatMode: 240
; IeeeMode: 1
; LDSByteSize: 0 bytes/workgroup (compile time only)
; SGPRBlocks: 0
; VGPRBlocks: 0
; NumSGPRsForWavesPerEU: 4
; NumVGPRsForWavesPerEU: 1
; Occupancy: 10
; WaveLimiterHint : 0
; COMPUTE_PGM_RSRC2:SCRATCH_EN: 0
; COMPUTE_PGM_RSRC2:USER_SGPR: 6
; COMPUTE_PGM_RSRC2:TRAP_HANDLER: 0
; COMPUTE_PGM_RSRC2:TGID_X_EN: 1
; COMPUTE_PGM_RSRC2:TGID_Y_EN: 0
; COMPUTE_PGM_RSRC2:TGID_Z_EN: 0
; COMPUTE_PGM_RSRC2:TIDIG_COMP_CNT: 0
	.section	.text._ZN7rocprim17ROCPRIM_400000_NS6detail17trampoline_kernelINS0_14default_configENS1_20scan_config_selectorIN3c104HalfEEEZZNS1_9scan_implILNS1_25lookback_scan_determinismE0ELb0ELb0ES3_PKS6_PS6_S6_ZZZN2at6native31launch_logcumsumexp_cuda_kernelERKNSD_10TensorBaseESH_lENKUlvE_clEvENKUlvE3_clEvEUlS6_S6_E_S6_EEDaPvRmT3_T4_T5_mT6_P12ihipStream_tbENKUlT_T0_E_clISt17integral_constantIbLb0EESX_IbLb1EEEEDaST_SU_EUlST_E_NS1_11comp_targetILNS1_3genE10ELNS1_11target_archE1200ELNS1_3gpuE4ELNS1_3repE0EEENS1_30default_config_static_selectorELNS0_4arch9wavefront6targetE1EEEvT1_,"axG",@progbits,_ZN7rocprim17ROCPRIM_400000_NS6detail17trampoline_kernelINS0_14default_configENS1_20scan_config_selectorIN3c104HalfEEEZZNS1_9scan_implILNS1_25lookback_scan_determinismE0ELb0ELb0ES3_PKS6_PS6_S6_ZZZN2at6native31launch_logcumsumexp_cuda_kernelERKNSD_10TensorBaseESH_lENKUlvE_clEvENKUlvE3_clEvEUlS6_S6_E_S6_EEDaPvRmT3_T4_T5_mT6_P12ihipStream_tbENKUlT_T0_E_clISt17integral_constantIbLb0EESX_IbLb1EEEEDaST_SU_EUlST_E_NS1_11comp_targetILNS1_3genE10ELNS1_11target_archE1200ELNS1_3gpuE4ELNS1_3repE0EEENS1_30default_config_static_selectorELNS0_4arch9wavefront6targetE1EEEvT1_,comdat
	.globl	_ZN7rocprim17ROCPRIM_400000_NS6detail17trampoline_kernelINS0_14default_configENS1_20scan_config_selectorIN3c104HalfEEEZZNS1_9scan_implILNS1_25lookback_scan_determinismE0ELb0ELb0ES3_PKS6_PS6_S6_ZZZN2at6native31launch_logcumsumexp_cuda_kernelERKNSD_10TensorBaseESH_lENKUlvE_clEvENKUlvE3_clEvEUlS6_S6_E_S6_EEDaPvRmT3_T4_T5_mT6_P12ihipStream_tbENKUlT_T0_E_clISt17integral_constantIbLb0EESX_IbLb1EEEEDaST_SU_EUlST_E_NS1_11comp_targetILNS1_3genE10ELNS1_11target_archE1200ELNS1_3gpuE4ELNS1_3repE0EEENS1_30default_config_static_selectorELNS0_4arch9wavefront6targetE1EEEvT1_ ; -- Begin function _ZN7rocprim17ROCPRIM_400000_NS6detail17trampoline_kernelINS0_14default_configENS1_20scan_config_selectorIN3c104HalfEEEZZNS1_9scan_implILNS1_25lookback_scan_determinismE0ELb0ELb0ES3_PKS6_PS6_S6_ZZZN2at6native31launch_logcumsumexp_cuda_kernelERKNSD_10TensorBaseESH_lENKUlvE_clEvENKUlvE3_clEvEUlS6_S6_E_S6_EEDaPvRmT3_T4_T5_mT6_P12ihipStream_tbENKUlT_T0_E_clISt17integral_constantIbLb0EESX_IbLb1EEEEDaST_SU_EUlST_E_NS1_11comp_targetILNS1_3genE10ELNS1_11target_archE1200ELNS1_3gpuE4ELNS1_3repE0EEENS1_30default_config_static_selectorELNS0_4arch9wavefront6targetE1EEEvT1_
	.p2align	8
	.type	_ZN7rocprim17ROCPRIM_400000_NS6detail17trampoline_kernelINS0_14default_configENS1_20scan_config_selectorIN3c104HalfEEEZZNS1_9scan_implILNS1_25lookback_scan_determinismE0ELb0ELb0ES3_PKS6_PS6_S6_ZZZN2at6native31launch_logcumsumexp_cuda_kernelERKNSD_10TensorBaseESH_lENKUlvE_clEvENKUlvE3_clEvEUlS6_S6_E_S6_EEDaPvRmT3_T4_T5_mT6_P12ihipStream_tbENKUlT_T0_E_clISt17integral_constantIbLb0EESX_IbLb1EEEEDaST_SU_EUlST_E_NS1_11comp_targetILNS1_3genE10ELNS1_11target_archE1200ELNS1_3gpuE4ELNS1_3repE0EEENS1_30default_config_static_selectorELNS0_4arch9wavefront6targetE1EEEvT1_,@function
_ZN7rocprim17ROCPRIM_400000_NS6detail17trampoline_kernelINS0_14default_configENS1_20scan_config_selectorIN3c104HalfEEEZZNS1_9scan_implILNS1_25lookback_scan_determinismE0ELb0ELb0ES3_PKS6_PS6_S6_ZZZN2at6native31launch_logcumsumexp_cuda_kernelERKNSD_10TensorBaseESH_lENKUlvE_clEvENKUlvE3_clEvEUlS6_S6_E_S6_EEDaPvRmT3_T4_T5_mT6_P12ihipStream_tbENKUlT_T0_E_clISt17integral_constantIbLb0EESX_IbLb1EEEEDaST_SU_EUlST_E_NS1_11comp_targetILNS1_3genE10ELNS1_11target_archE1200ELNS1_3gpuE4ELNS1_3repE0EEENS1_30default_config_static_selectorELNS0_4arch9wavefront6targetE1EEEvT1_: ; @_ZN7rocprim17ROCPRIM_400000_NS6detail17trampoline_kernelINS0_14default_configENS1_20scan_config_selectorIN3c104HalfEEEZZNS1_9scan_implILNS1_25lookback_scan_determinismE0ELb0ELb0ES3_PKS6_PS6_S6_ZZZN2at6native31launch_logcumsumexp_cuda_kernelERKNSD_10TensorBaseESH_lENKUlvE_clEvENKUlvE3_clEvEUlS6_S6_E_S6_EEDaPvRmT3_T4_T5_mT6_P12ihipStream_tbENKUlT_T0_E_clISt17integral_constantIbLb0EESX_IbLb1EEEEDaST_SU_EUlST_E_NS1_11comp_targetILNS1_3genE10ELNS1_11target_archE1200ELNS1_3gpuE4ELNS1_3repE0EEENS1_30default_config_static_selectorELNS0_4arch9wavefront6targetE1EEEvT1_
; %bb.0:
	.section	.rodata,"a",@progbits
	.p2align	6, 0x0
	.amdhsa_kernel _ZN7rocprim17ROCPRIM_400000_NS6detail17trampoline_kernelINS0_14default_configENS1_20scan_config_selectorIN3c104HalfEEEZZNS1_9scan_implILNS1_25lookback_scan_determinismE0ELb0ELb0ES3_PKS6_PS6_S6_ZZZN2at6native31launch_logcumsumexp_cuda_kernelERKNSD_10TensorBaseESH_lENKUlvE_clEvENKUlvE3_clEvEUlS6_S6_E_S6_EEDaPvRmT3_T4_T5_mT6_P12ihipStream_tbENKUlT_T0_E_clISt17integral_constantIbLb0EESX_IbLb1EEEEDaST_SU_EUlST_E_NS1_11comp_targetILNS1_3genE10ELNS1_11target_archE1200ELNS1_3gpuE4ELNS1_3repE0EEENS1_30default_config_static_selectorELNS0_4arch9wavefront6targetE1EEEvT1_
		.amdhsa_group_segment_fixed_size 0
		.amdhsa_private_segment_fixed_size 0
		.amdhsa_kernarg_size 96
		.amdhsa_user_sgpr_count 6
		.amdhsa_user_sgpr_private_segment_buffer 1
		.amdhsa_user_sgpr_dispatch_ptr 0
		.amdhsa_user_sgpr_queue_ptr 0
		.amdhsa_user_sgpr_kernarg_segment_ptr 1
		.amdhsa_user_sgpr_dispatch_id 0
		.amdhsa_user_sgpr_flat_scratch_init 0
		.amdhsa_user_sgpr_private_segment_size 0
		.amdhsa_uses_dynamic_stack 0
		.amdhsa_system_sgpr_private_segment_wavefront_offset 0
		.amdhsa_system_sgpr_workgroup_id_x 1
		.amdhsa_system_sgpr_workgroup_id_y 0
		.amdhsa_system_sgpr_workgroup_id_z 0
		.amdhsa_system_sgpr_workgroup_info 0
		.amdhsa_system_vgpr_workitem_id 0
		.amdhsa_next_free_vgpr 1
		.amdhsa_next_free_sgpr 0
		.amdhsa_reserve_vcc 0
		.amdhsa_reserve_flat_scratch 0
		.amdhsa_float_round_mode_32 0
		.amdhsa_float_round_mode_16_64 0
		.amdhsa_float_denorm_mode_32 3
		.amdhsa_float_denorm_mode_16_64 3
		.amdhsa_dx10_clamp 1
		.amdhsa_ieee_mode 1
		.amdhsa_fp16_overflow 0
		.amdhsa_exception_fp_ieee_invalid_op 0
		.amdhsa_exception_fp_denorm_src 0
		.amdhsa_exception_fp_ieee_div_zero 0
		.amdhsa_exception_fp_ieee_overflow 0
		.amdhsa_exception_fp_ieee_underflow 0
		.amdhsa_exception_fp_ieee_inexact 0
		.amdhsa_exception_int_div_zero 0
	.end_amdhsa_kernel
	.section	.text._ZN7rocprim17ROCPRIM_400000_NS6detail17trampoline_kernelINS0_14default_configENS1_20scan_config_selectorIN3c104HalfEEEZZNS1_9scan_implILNS1_25lookback_scan_determinismE0ELb0ELb0ES3_PKS6_PS6_S6_ZZZN2at6native31launch_logcumsumexp_cuda_kernelERKNSD_10TensorBaseESH_lENKUlvE_clEvENKUlvE3_clEvEUlS6_S6_E_S6_EEDaPvRmT3_T4_T5_mT6_P12ihipStream_tbENKUlT_T0_E_clISt17integral_constantIbLb0EESX_IbLb1EEEEDaST_SU_EUlST_E_NS1_11comp_targetILNS1_3genE10ELNS1_11target_archE1200ELNS1_3gpuE4ELNS1_3repE0EEENS1_30default_config_static_selectorELNS0_4arch9wavefront6targetE1EEEvT1_,"axG",@progbits,_ZN7rocprim17ROCPRIM_400000_NS6detail17trampoline_kernelINS0_14default_configENS1_20scan_config_selectorIN3c104HalfEEEZZNS1_9scan_implILNS1_25lookback_scan_determinismE0ELb0ELb0ES3_PKS6_PS6_S6_ZZZN2at6native31launch_logcumsumexp_cuda_kernelERKNSD_10TensorBaseESH_lENKUlvE_clEvENKUlvE3_clEvEUlS6_S6_E_S6_EEDaPvRmT3_T4_T5_mT6_P12ihipStream_tbENKUlT_T0_E_clISt17integral_constantIbLb0EESX_IbLb1EEEEDaST_SU_EUlST_E_NS1_11comp_targetILNS1_3genE10ELNS1_11target_archE1200ELNS1_3gpuE4ELNS1_3repE0EEENS1_30default_config_static_selectorELNS0_4arch9wavefront6targetE1EEEvT1_,comdat
.Lfunc_end422:
	.size	_ZN7rocprim17ROCPRIM_400000_NS6detail17trampoline_kernelINS0_14default_configENS1_20scan_config_selectorIN3c104HalfEEEZZNS1_9scan_implILNS1_25lookback_scan_determinismE0ELb0ELb0ES3_PKS6_PS6_S6_ZZZN2at6native31launch_logcumsumexp_cuda_kernelERKNSD_10TensorBaseESH_lENKUlvE_clEvENKUlvE3_clEvEUlS6_S6_E_S6_EEDaPvRmT3_T4_T5_mT6_P12ihipStream_tbENKUlT_T0_E_clISt17integral_constantIbLb0EESX_IbLb1EEEEDaST_SU_EUlST_E_NS1_11comp_targetILNS1_3genE10ELNS1_11target_archE1200ELNS1_3gpuE4ELNS1_3repE0EEENS1_30default_config_static_selectorELNS0_4arch9wavefront6targetE1EEEvT1_, .Lfunc_end422-_ZN7rocprim17ROCPRIM_400000_NS6detail17trampoline_kernelINS0_14default_configENS1_20scan_config_selectorIN3c104HalfEEEZZNS1_9scan_implILNS1_25lookback_scan_determinismE0ELb0ELb0ES3_PKS6_PS6_S6_ZZZN2at6native31launch_logcumsumexp_cuda_kernelERKNSD_10TensorBaseESH_lENKUlvE_clEvENKUlvE3_clEvEUlS6_S6_E_S6_EEDaPvRmT3_T4_T5_mT6_P12ihipStream_tbENKUlT_T0_E_clISt17integral_constantIbLb0EESX_IbLb1EEEEDaST_SU_EUlST_E_NS1_11comp_targetILNS1_3genE10ELNS1_11target_archE1200ELNS1_3gpuE4ELNS1_3repE0EEENS1_30default_config_static_selectorELNS0_4arch9wavefront6targetE1EEEvT1_
                                        ; -- End function
	.set _ZN7rocprim17ROCPRIM_400000_NS6detail17trampoline_kernelINS0_14default_configENS1_20scan_config_selectorIN3c104HalfEEEZZNS1_9scan_implILNS1_25lookback_scan_determinismE0ELb0ELb0ES3_PKS6_PS6_S6_ZZZN2at6native31launch_logcumsumexp_cuda_kernelERKNSD_10TensorBaseESH_lENKUlvE_clEvENKUlvE3_clEvEUlS6_S6_E_S6_EEDaPvRmT3_T4_T5_mT6_P12ihipStream_tbENKUlT_T0_E_clISt17integral_constantIbLb0EESX_IbLb1EEEEDaST_SU_EUlST_E_NS1_11comp_targetILNS1_3genE10ELNS1_11target_archE1200ELNS1_3gpuE4ELNS1_3repE0EEENS1_30default_config_static_selectorELNS0_4arch9wavefront6targetE1EEEvT1_.num_vgpr, 0
	.set _ZN7rocprim17ROCPRIM_400000_NS6detail17trampoline_kernelINS0_14default_configENS1_20scan_config_selectorIN3c104HalfEEEZZNS1_9scan_implILNS1_25lookback_scan_determinismE0ELb0ELb0ES3_PKS6_PS6_S6_ZZZN2at6native31launch_logcumsumexp_cuda_kernelERKNSD_10TensorBaseESH_lENKUlvE_clEvENKUlvE3_clEvEUlS6_S6_E_S6_EEDaPvRmT3_T4_T5_mT6_P12ihipStream_tbENKUlT_T0_E_clISt17integral_constantIbLb0EESX_IbLb1EEEEDaST_SU_EUlST_E_NS1_11comp_targetILNS1_3genE10ELNS1_11target_archE1200ELNS1_3gpuE4ELNS1_3repE0EEENS1_30default_config_static_selectorELNS0_4arch9wavefront6targetE1EEEvT1_.num_agpr, 0
	.set _ZN7rocprim17ROCPRIM_400000_NS6detail17trampoline_kernelINS0_14default_configENS1_20scan_config_selectorIN3c104HalfEEEZZNS1_9scan_implILNS1_25lookback_scan_determinismE0ELb0ELb0ES3_PKS6_PS6_S6_ZZZN2at6native31launch_logcumsumexp_cuda_kernelERKNSD_10TensorBaseESH_lENKUlvE_clEvENKUlvE3_clEvEUlS6_S6_E_S6_EEDaPvRmT3_T4_T5_mT6_P12ihipStream_tbENKUlT_T0_E_clISt17integral_constantIbLb0EESX_IbLb1EEEEDaST_SU_EUlST_E_NS1_11comp_targetILNS1_3genE10ELNS1_11target_archE1200ELNS1_3gpuE4ELNS1_3repE0EEENS1_30default_config_static_selectorELNS0_4arch9wavefront6targetE1EEEvT1_.numbered_sgpr, 0
	.set _ZN7rocprim17ROCPRIM_400000_NS6detail17trampoline_kernelINS0_14default_configENS1_20scan_config_selectorIN3c104HalfEEEZZNS1_9scan_implILNS1_25lookback_scan_determinismE0ELb0ELb0ES3_PKS6_PS6_S6_ZZZN2at6native31launch_logcumsumexp_cuda_kernelERKNSD_10TensorBaseESH_lENKUlvE_clEvENKUlvE3_clEvEUlS6_S6_E_S6_EEDaPvRmT3_T4_T5_mT6_P12ihipStream_tbENKUlT_T0_E_clISt17integral_constantIbLb0EESX_IbLb1EEEEDaST_SU_EUlST_E_NS1_11comp_targetILNS1_3genE10ELNS1_11target_archE1200ELNS1_3gpuE4ELNS1_3repE0EEENS1_30default_config_static_selectorELNS0_4arch9wavefront6targetE1EEEvT1_.num_named_barrier, 0
	.set _ZN7rocprim17ROCPRIM_400000_NS6detail17trampoline_kernelINS0_14default_configENS1_20scan_config_selectorIN3c104HalfEEEZZNS1_9scan_implILNS1_25lookback_scan_determinismE0ELb0ELb0ES3_PKS6_PS6_S6_ZZZN2at6native31launch_logcumsumexp_cuda_kernelERKNSD_10TensorBaseESH_lENKUlvE_clEvENKUlvE3_clEvEUlS6_S6_E_S6_EEDaPvRmT3_T4_T5_mT6_P12ihipStream_tbENKUlT_T0_E_clISt17integral_constantIbLb0EESX_IbLb1EEEEDaST_SU_EUlST_E_NS1_11comp_targetILNS1_3genE10ELNS1_11target_archE1200ELNS1_3gpuE4ELNS1_3repE0EEENS1_30default_config_static_selectorELNS0_4arch9wavefront6targetE1EEEvT1_.private_seg_size, 0
	.set _ZN7rocprim17ROCPRIM_400000_NS6detail17trampoline_kernelINS0_14default_configENS1_20scan_config_selectorIN3c104HalfEEEZZNS1_9scan_implILNS1_25lookback_scan_determinismE0ELb0ELb0ES3_PKS6_PS6_S6_ZZZN2at6native31launch_logcumsumexp_cuda_kernelERKNSD_10TensorBaseESH_lENKUlvE_clEvENKUlvE3_clEvEUlS6_S6_E_S6_EEDaPvRmT3_T4_T5_mT6_P12ihipStream_tbENKUlT_T0_E_clISt17integral_constantIbLb0EESX_IbLb1EEEEDaST_SU_EUlST_E_NS1_11comp_targetILNS1_3genE10ELNS1_11target_archE1200ELNS1_3gpuE4ELNS1_3repE0EEENS1_30default_config_static_selectorELNS0_4arch9wavefront6targetE1EEEvT1_.uses_vcc, 0
	.set _ZN7rocprim17ROCPRIM_400000_NS6detail17trampoline_kernelINS0_14default_configENS1_20scan_config_selectorIN3c104HalfEEEZZNS1_9scan_implILNS1_25lookback_scan_determinismE0ELb0ELb0ES3_PKS6_PS6_S6_ZZZN2at6native31launch_logcumsumexp_cuda_kernelERKNSD_10TensorBaseESH_lENKUlvE_clEvENKUlvE3_clEvEUlS6_S6_E_S6_EEDaPvRmT3_T4_T5_mT6_P12ihipStream_tbENKUlT_T0_E_clISt17integral_constantIbLb0EESX_IbLb1EEEEDaST_SU_EUlST_E_NS1_11comp_targetILNS1_3genE10ELNS1_11target_archE1200ELNS1_3gpuE4ELNS1_3repE0EEENS1_30default_config_static_selectorELNS0_4arch9wavefront6targetE1EEEvT1_.uses_flat_scratch, 0
	.set _ZN7rocprim17ROCPRIM_400000_NS6detail17trampoline_kernelINS0_14default_configENS1_20scan_config_selectorIN3c104HalfEEEZZNS1_9scan_implILNS1_25lookback_scan_determinismE0ELb0ELb0ES3_PKS6_PS6_S6_ZZZN2at6native31launch_logcumsumexp_cuda_kernelERKNSD_10TensorBaseESH_lENKUlvE_clEvENKUlvE3_clEvEUlS6_S6_E_S6_EEDaPvRmT3_T4_T5_mT6_P12ihipStream_tbENKUlT_T0_E_clISt17integral_constantIbLb0EESX_IbLb1EEEEDaST_SU_EUlST_E_NS1_11comp_targetILNS1_3genE10ELNS1_11target_archE1200ELNS1_3gpuE4ELNS1_3repE0EEENS1_30default_config_static_selectorELNS0_4arch9wavefront6targetE1EEEvT1_.has_dyn_sized_stack, 0
	.set _ZN7rocprim17ROCPRIM_400000_NS6detail17trampoline_kernelINS0_14default_configENS1_20scan_config_selectorIN3c104HalfEEEZZNS1_9scan_implILNS1_25lookback_scan_determinismE0ELb0ELb0ES3_PKS6_PS6_S6_ZZZN2at6native31launch_logcumsumexp_cuda_kernelERKNSD_10TensorBaseESH_lENKUlvE_clEvENKUlvE3_clEvEUlS6_S6_E_S6_EEDaPvRmT3_T4_T5_mT6_P12ihipStream_tbENKUlT_T0_E_clISt17integral_constantIbLb0EESX_IbLb1EEEEDaST_SU_EUlST_E_NS1_11comp_targetILNS1_3genE10ELNS1_11target_archE1200ELNS1_3gpuE4ELNS1_3repE0EEENS1_30default_config_static_selectorELNS0_4arch9wavefront6targetE1EEEvT1_.has_recursion, 0
	.set _ZN7rocprim17ROCPRIM_400000_NS6detail17trampoline_kernelINS0_14default_configENS1_20scan_config_selectorIN3c104HalfEEEZZNS1_9scan_implILNS1_25lookback_scan_determinismE0ELb0ELb0ES3_PKS6_PS6_S6_ZZZN2at6native31launch_logcumsumexp_cuda_kernelERKNSD_10TensorBaseESH_lENKUlvE_clEvENKUlvE3_clEvEUlS6_S6_E_S6_EEDaPvRmT3_T4_T5_mT6_P12ihipStream_tbENKUlT_T0_E_clISt17integral_constantIbLb0EESX_IbLb1EEEEDaST_SU_EUlST_E_NS1_11comp_targetILNS1_3genE10ELNS1_11target_archE1200ELNS1_3gpuE4ELNS1_3repE0EEENS1_30default_config_static_selectorELNS0_4arch9wavefront6targetE1EEEvT1_.has_indirect_call, 0
	.section	.AMDGPU.csdata,"",@progbits
; Kernel info:
; codeLenInByte = 0
; TotalNumSgprs: 4
; NumVgprs: 0
; ScratchSize: 0
; MemoryBound: 0
; FloatMode: 240
; IeeeMode: 1
; LDSByteSize: 0 bytes/workgroup (compile time only)
; SGPRBlocks: 0
; VGPRBlocks: 0
; NumSGPRsForWavesPerEU: 4
; NumVGPRsForWavesPerEU: 1
; Occupancy: 10
; WaveLimiterHint : 0
; COMPUTE_PGM_RSRC2:SCRATCH_EN: 0
; COMPUTE_PGM_RSRC2:USER_SGPR: 6
; COMPUTE_PGM_RSRC2:TRAP_HANDLER: 0
; COMPUTE_PGM_RSRC2:TGID_X_EN: 1
; COMPUTE_PGM_RSRC2:TGID_Y_EN: 0
; COMPUTE_PGM_RSRC2:TGID_Z_EN: 0
; COMPUTE_PGM_RSRC2:TIDIG_COMP_CNT: 0
	.section	.text._ZN7rocprim17ROCPRIM_400000_NS6detail17trampoline_kernelINS0_14default_configENS1_20scan_config_selectorIN3c104HalfEEEZZNS1_9scan_implILNS1_25lookback_scan_determinismE0ELb0ELb0ES3_PKS6_PS6_S6_ZZZN2at6native31launch_logcumsumexp_cuda_kernelERKNSD_10TensorBaseESH_lENKUlvE_clEvENKUlvE3_clEvEUlS6_S6_E_S6_EEDaPvRmT3_T4_T5_mT6_P12ihipStream_tbENKUlT_T0_E_clISt17integral_constantIbLb0EESX_IbLb1EEEEDaST_SU_EUlST_E_NS1_11comp_targetILNS1_3genE9ELNS1_11target_archE1100ELNS1_3gpuE3ELNS1_3repE0EEENS1_30default_config_static_selectorELNS0_4arch9wavefront6targetE1EEEvT1_,"axG",@progbits,_ZN7rocprim17ROCPRIM_400000_NS6detail17trampoline_kernelINS0_14default_configENS1_20scan_config_selectorIN3c104HalfEEEZZNS1_9scan_implILNS1_25lookback_scan_determinismE0ELb0ELb0ES3_PKS6_PS6_S6_ZZZN2at6native31launch_logcumsumexp_cuda_kernelERKNSD_10TensorBaseESH_lENKUlvE_clEvENKUlvE3_clEvEUlS6_S6_E_S6_EEDaPvRmT3_T4_T5_mT6_P12ihipStream_tbENKUlT_T0_E_clISt17integral_constantIbLb0EESX_IbLb1EEEEDaST_SU_EUlST_E_NS1_11comp_targetILNS1_3genE9ELNS1_11target_archE1100ELNS1_3gpuE3ELNS1_3repE0EEENS1_30default_config_static_selectorELNS0_4arch9wavefront6targetE1EEEvT1_,comdat
	.globl	_ZN7rocprim17ROCPRIM_400000_NS6detail17trampoline_kernelINS0_14default_configENS1_20scan_config_selectorIN3c104HalfEEEZZNS1_9scan_implILNS1_25lookback_scan_determinismE0ELb0ELb0ES3_PKS6_PS6_S6_ZZZN2at6native31launch_logcumsumexp_cuda_kernelERKNSD_10TensorBaseESH_lENKUlvE_clEvENKUlvE3_clEvEUlS6_S6_E_S6_EEDaPvRmT3_T4_T5_mT6_P12ihipStream_tbENKUlT_T0_E_clISt17integral_constantIbLb0EESX_IbLb1EEEEDaST_SU_EUlST_E_NS1_11comp_targetILNS1_3genE9ELNS1_11target_archE1100ELNS1_3gpuE3ELNS1_3repE0EEENS1_30default_config_static_selectorELNS0_4arch9wavefront6targetE1EEEvT1_ ; -- Begin function _ZN7rocprim17ROCPRIM_400000_NS6detail17trampoline_kernelINS0_14default_configENS1_20scan_config_selectorIN3c104HalfEEEZZNS1_9scan_implILNS1_25lookback_scan_determinismE0ELb0ELb0ES3_PKS6_PS6_S6_ZZZN2at6native31launch_logcumsumexp_cuda_kernelERKNSD_10TensorBaseESH_lENKUlvE_clEvENKUlvE3_clEvEUlS6_S6_E_S6_EEDaPvRmT3_T4_T5_mT6_P12ihipStream_tbENKUlT_T0_E_clISt17integral_constantIbLb0EESX_IbLb1EEEEDaST_SU_EUlST_E_NS1_11comp_targetILNS1_3genE9ELNS1_11target_archE1100ELNS1_3gpuE3ELNS1_3repE0EEENS1_30default_config_static_selectorELNS0_4arch9wavefront6targetE1EEEvT1_
	.p2align	8
	.type	_ZN7rocprim17ROCPRIM_400000_NS6detail17trampoline_kernelINS0_14default_configENS1_20scan_config_selectorIN3c104HalfEEEZZNS1_9scan_implILNS1_25lookback_scan_determinismE0ELb0ELb0ES3_PKS6_PS6_S6_ZZZN2at6native31launch_logcumsumexp_cuda_kernelERKNSD_10TensorBaseESH_lENKUlvE_clEvENKUlvE3_clEvEUlS6_S6_E_S6_EEDaPvRmT3_T4_T5_mT6_P12ihipStream_tbENKUlT_T0_E_clISt17integral_constantIbLb0EESX_IbLb1EEEEDaST_SU_EUlST_E_NS1_11comp_targetILNS1_3genE9ELNS1_11target_archE1100ELNS1_3gpuE3ELNS1_3repE0EEENS1_30default_config_static_selectorELNS0_4arch9wavefront6targetE1EEEvT1_,@function
_ZN7rocprim17ROCPRIM_400000_NS6detail17trampoline_kernelINS0_14default_configENS1_20scan_config_selectorIN3c104HalfEEEZZNS1_9scan_implILNS1_25lookback_scan_determinismE0ELb0ELb0ES3_PKS6_PS6_S6_ZZZN2at6native31launch_logcumsumexp_cuda_kernelERKNSD_10TensorBaseESH_lENKUlvE_clEvENKUlvE3_clEvEUlS6_S6_E_S6_EEDaPvRmT3_T4_T5_mT6_P12ihipStream_tbENKUlT_T0_E_clISt17integral_constantIbLb0EESX_IbLb1EEEEDaST_SU_EUlST_E_NS1_11comp_targetILNS1_3genE9ELNS1_11target_archE1100ELNS1_3gpuE3ELNS1_3repE0EEENS1_30default_config_static_selectorELNS0_4arch9wavefront6targetE1EEEvT1_: ; @_ZN7rocprim17ROCPRIM_400000_NS6detail17trampoline_kernelINS0_14default_configENS1_20scan_config_selectorIN3c104HalfEEEZZNS1_9scan_implILNS1_25lookback_scan_determinismE0ELb0ELb0ES3_PKS6_PS6_S6_ZZZN2at6native31launch_logcumsumexp_cuda_kernelERKNSD_10TensorBaseESH_lENKUlvE_clEvENKUlvE3_clEvEUlS6_S6_E_S6_EEDaPvRmT3_T4_T5_mT6_P12ihipStream_tbENKUlT_T0_E_clISt17integral_constantIbLb0EESX_IbLb1EEEEDaST_SU_EUlST_E_NS1_11comp_targetILNS1_3genE9ELNS1_11target_archE1100ELNS1_3gpuE3ELNS1_3repE0EEENS1_30default_config_static_selectorELNS0_4arch9wavefront6targetE1EEEvT1_
; %bb.0:
	.section	.rodata,"a",@progbits
	.p2align	6, 0x0
	.amdhsa_kernel _ZN7rocprim17ROCPRIM_400000_NS6detail17trampoline_kernelINS0_14default_configENS1_20scan_config_selectorIN3c104HalfEEEZZNS1_9scan_implILNS1_25lookback_scan_determinismE0ELb0ELb0ES3_PKS6_PS6_S6_ZZZN2at6native31launch_logcumsumexp_cuda_kernelERKNSD_10TensorBaseESH_lENKUlvE_clEvENKUlvE3_clEvEUlS6_S6_E_S6_EEDaPvRmT3_T4_T5_mT6_P12ihipStream_tbENKUlT_T0_E_clISt17integral_constantIbLb0EESX_IbLb1EEEEDaST_SU_EUlST_E_NS1_11comp_targetILNS1_3genE9ELNS1_11target_archE1100ELNS1_3gpuE3ELNS1_3repE0EEENS1_30default_config_static_selectorELNS0_4arch9wavefront6targetE1EEEvT1_
		.amdhsa_group_segment_fixed_size 0
		.amdhsa_private_segment_fixed_size 0
		.amdhsa_kernarg_size 96
		.amdhsa_user_sgpr_count 6
		.amdhsa_user_sgpr_private_segment_buffer 1
		.amdhsa_user_sgpr_dispatch_ptr 0
		.amdhsa_user_sgpr_queue_ptr 0
		.amdhsa_user_sgpr_kernarg_segment_ptr 1
		.amdhsa_user_sgpr_dispatch_id 0
		.amdhsa_user_sgpr_flat_scratch_init 0
		.amdhsa_user_sgpr_private_segment_size 0
		.amdhsa_uses_dynamic_stack 0
		.amdhsa_system_sgpr_private_segment_wavefront_offset 0
		.amdhsa_system_sgpr_workgroup_id_x 1
		.amdhsa_system_sgpr_workgroup_id_y 0
		.amdhsa_system_sgpr_workgroup_id_z 0
		.amdhsa_system_sgpr_workgroup_info 0
		.amdhsa_system_vgpr_workitem_id 0
		.amdhsa_next_free_vgpr 1
		.amdhsa_next_free_sgpr 0
		.amdhsa_reserve_vcc 0
		.amdhsa_reserve_flat_scratch 0
		.amdhsa_float_round_mode_32 0
		.amdhsa_float_round_mode_16_64 0
		.amdhsa_float_denorm_mode_32 3
		.amdhsa_float_denorm_mode_16_64 3
		.amdhsa_dx10_clamp 1
		.amdhsa_ieee_mode 1
		.amdhsa_fp16_overflow 0
		.amdhsa_exception_fp_ieee_invalid_op 0
		.amdhsa_exception_fp_denorm_src 0
		.amdhsa_exception_fp_ieee_div_zero 0
		.amdhsa_exception_fp_ieee_overflow 0
		.amdhsa_exception_fp_ieee_underflow 0
		.amdhsa_exception_fp_ieee_inexact 0
		.amdhsa_exception_int_div_zero 0
	.end_amdhsa_kernel
	.section	.text._ZN7rocprim17ROCPRIM_400000_NS6detail17trampoline_kernelINS0_14default_configENS1_20scan_config_selectorIN3c104HalfEEEZZNS1_9scan_implILNS1_25lookback_scan_determinismE0ELb0ELb0ES3_PKS6_PS6_S6_ZZZN2at6native31launch_logcumsumexp_cuda_kernelERKNSD_10TensorBaseESH_lENKUlvE_clEvENKUlvE3_clEvEUlS6_S6_E_S6_EEDaPvRmT3_T4_T5_mT6_P12ihipStream_tbENKUlT_T0_E_clISt17integral_constantIbLb0EESX_IbLb1EEEEDaST_SU_EUlST_E_NS1_11comp_targetILNS1_3genE9ELNS1_11target_archE1100ELNS1_3gpuE3ELNS1_3repE0EEENS1_30default_config_static_selectorELNS0_4arch9wavefront6targetE1EEEvT1_,"axG",@progbits,_ZN7rocprim17ROCPRIM_400000_NS6detail17trampoline_kernelINS0_14default_configENS1_20scan_config_selectorIN3c104HalfEEEZZNS1_9scan_implILNS1_25lookback_scan_determinismE0ELb0ELb0ES3_PKS6_PS6_S6_ZZZN2at6native31launch_logcumsumexp_cuda_kernelERKNSD_10TensorBaseESH_lENKUlvE_clEvENKUlvE3_clEvEUlS6_S6_E_S6_EEDaPvRmT3_T4_T5_mT6_P12ihipStream_tbENKUlT_T0_E_clISt17integral_constantIbLb0EESX_IbLb1EEEEDaST_SU_EUlST_E_NS1_11comp_targetILNS1_3genE9ELNS1_11target_archE1100ELNS1_3gpuE3ELNS1_3repE0EEENS1_30default_config_static_selectorELNS0_4arch9wavefront6targetE1EEEvT1_,comdat
.Lfunc_end423:
	.size	_ZN7rocprim17ROCPRIM_400000_NS6detail17trampoline_kernelINS0_14default_configENS1_20scan_config_selectorIN3c104HalfEEEZZNS1_9scan_implILNS1_25lookback_scan_determinismE0ELb0ELb0ES3_PKS6_PS6_S6_ZZZN2at6native31launch_logcumsumexp_cuda_kernelERKNSD_10TensorBaseESH_lENKUlvE_clEvENKUlvE3_clEvEUlS6_S6_E_S6_EEDaPvRmT3_T4_T5_mT6_P12ihipStream_tbENKUlT_T0_E_clISt17integral_constantIbLb0EESX_IbLb1EEEEDaST_SU_EUlST_E_NS1_11comp_targetILNS1_3genE9ELNS1_11target_archE1100ELNS1_3gpuE3ELNS1_3repE0EEENS1_30default_config_static_selectorELNS0_4arch9wavefront6targetE1EEEvT1_, .Lfunc_end423-_ZN7rocprim17ROCPRIM_400000_NS6detail17trampoline_kernelINS0_14default_configENS1_20scan_config_selectorIN3c104HalfEEEZZNS1_9scan_implILNS1_25lookback_scan_determinismE0ELb0ELb0ES3_PKS6_PS6_S6_ZZZN2at6native31launch_logcumsumexp_cuda_kernelERKNSD_10TensorBaseESH_lENKUlvE_clEvENKUlvE3_clEvEUlS6_S6_E_S6_EEDaPvRmT3_T4_T5_mT6_P12ihipStream_tbENKUlT_T0_E_clISt17integral_constantIbLb0EESX_IbLb1EEEEDaST_SU_EUlST_E_NS1_11comp_targetILNS1_3genE9ELNS1_11target_archE1100ELNS1_3gpuE3ELNS1_3repE0EEENS1_30default_config_static_selectorELNS0_4arch9wavefront6targetE1EEEvT1_
                                        ; -- End function
	.set _ZN7rocprim17ROCPRIM_400000_NS6detail17trampoline_kernelINS0_14default_configENS1_20scan_config_selectorIN3c104HalfEEEZZNS1_9scan_implILNS1_25lookback_scan_determinismE0ELb0ELb0ES3_PKS6_PS6_S6_ZZZN2at6native31launch_logcumsumexp_cuda_kernelERKNSD_10TensorBaseESH_lENKUlvE_clEvENKUlvE3_clEvEUlS6_S6_E_S6_EEDaPvRmT3_T4_T5_mT6_P12ihipStream_tbENKUlT_T0_E_clISt17integral_constantIbLb0EESX_IbLb1EEEEDaST_SU_EUlST_E_NS1_11comp_targetILNS1_3genE9ELNS1_11target_archE1100ELNS1_3gpuE3ELNS1_3repE0EEENS1_30default_config_static_selectorELNS0_4arch9wavefront6targetE1EEEvT1_.num_vgpr, 0
	.set _ZN7rocprim17ROCPRIM_400000_NS6detail17trampoline_kernelINS0_14default_configENS1_20scan_config_selectorIN3c104HalfEEEZZNS1_9scan_implILNS1_25lookback_scan_determinismE0ELb0ELb0ES3_PKS6_PS6_S6_ZZZN2at6native31launch_logcumsumexp_cuda_kernelERKNSD_10TensorBaseESH_lENKUlvE_clEvENKUlvE3_clEvEUlS6_S6_E_S6_EEDaPvRmT3_T4_T5_mT6_P12ihipStream_tbENKUlT_T0_E_clISt17integral_constantIbLb0EESX_IbLb1EEEEDaST_SU_EUlST_E_NS1_11comp_targetILNS1_3genE9ELNS1_11target_archE1100ELNS1_3gpuE3ELNS1_3repE0EEENS1_30default_config_static_selectorELNS0_4arch9wavefront6targetE1EEEvT1_.num_agpr, 0
	.set _ZN7rocprim17ROCPRIM_400000_NS6detail17trampoline_kernelINS0_14default_configENS1_20scan_config_selectorIN3c104HalfEEEZZNS1_9scan_implILNS1_25lookback_scan_determinismE0ELb0ELb0ES3_PKS6_PS6_S6_ZZZN2at6native31launch_logcumsumexp_cuda_kernelERKNSD_10TensorBaseESH_lENKUlvE_clEvENKUlvE3_clEvEUlS6_S6_E_S6_EEDaPvRmT3_T4_T5_mT6_P12ihipStream_tbENKUlT_T0_E_clISt17integral_constantIbLb0EESX_IbLb1EEEEDaST_SU_EUlST_E_NS1_11comp_targetILNS1_3genE9ELNS1_11target_archE1100ELNS1_3gpuE3ELNS1_3repE0EEENS1_30default_config_static_selectorELNS0_4arch9wavefront6targetE1EEEvT1_.numbered_sgpr, 0
	.set _ZN7rocprim17ROCPRIM_400000_NS6detail17trampoline_kernelINS0_14default_configENS1_20scan_config_selectorIN3c104HalfEEEZZNS1_9scan_implILNS1_25lookback_scan_determinismE0ELb0ELb0ES3_PKS6_PS6_S6_ZZZN2at6native31launch_logcumsumexp_cuda_kernelERKNSD_10TensorBaseESH_lENKUlvE_clEvENKUlvE3_clEvEUlS6_S6_E_S6_EEDaPvRmT3_T4_T5_mT6_P12ihipStream_tbENKUlT_T0_E_clISt17integral_constantIbLb0EESX_IbLb1EEEEDaST_SU_EUlST_E_NS1_11comp_targetILNS1_3genE9ELNS1_11target_archE1100ELNS1_3gpuE3ELNS1_3repE0EEENS1_30default_config_static_selectorELNS0_4arch9wavefront6targetE1EEEvT1_.num_named_barrier, 0
	.set _ZN7rocprim17ROCPRIM_400000_NS6detail17trampoline_kernelINS0_14default_configENS1_20scan_config_selectorIN3c104HalfEEEZZNS1_9scan_implILNS1_25lookback_scan_determinismE0ELb0ELb0ES3_PKS6_PS6_S6_ZZZN2at6native31launch_logcumsumexp_cuda_kernelERKNSD_10TensorBaseESH_lENKUlvE_clEvENKUlvE3_clEvEUlS6_S6_E_S6_EEDaPvRmT3_T4_T5_mT6_P12ihipStream_tbENKUlT_T0_E_clISt17integral_constantIbLb0EESX_IbLb1EEEEDaST_SU_EUlST_E_NS1_11comp_targetILNS1_3genE9ELNS1_11target_archE1100ELNS1_3gpuE3ELNS1_3repE0EEENS1_30default_config_static_selectorELNS0_4arch9wavefront6targetE1EEEvT1_.private_seg_size, 0
	.set _ZN7rocprim17ROCPRIM_400000_NS6detail17trampoline_kernelINS0_14default_configENS1_20scan_config_selectorIN3c104HalfEEEZZNS1_9scan_implILNS1_25lookback_scan_determinismE0ELb0ELb0ES3_PKS6_PS6_S6_ZZZN2at6native31launch_logcumsumexp_cuda_kernelERKNSD_10TensorBaseESH_lENKUlvE_clEvENKUlvE3_clEvEUlS6_S6_E_S6_EEDaPvRmT3_T4_T5_mT6_P12ihipStream_tbENKUlT_T0_E_clISt17integral_constantIbLb0EESX_IbLb1EEEEDaST_SU_EUlST_E_NS1_11comp_targetILNS1_3genE9ELNS1_11target_archE1100ELNS1_3gpuE3ELNS1_3repE0EEENS1_30default_config_static_selectorELNS0_4arch9wavefront6targetE1EEEvT1_.uses_vcc, 0
	.set _ZN7rocprim17ROCPRIM_400000_NS6detail17trampoline_kernelINS0_14default_configENS1_20scan_config_selectorIN3c104HalfEEEZZNS1_9scan_implILNS1_25lookback_scan_determinismE0ELb0ELb0ES3_PKS6_PS6_S6_ZZZN2at6native31launch_logcumsumexp_cuda_kernelERKNSD_10TensorBaseESH_lENKUlvE_clEvENKUlvE3_clEvEUlS6_S6_E_S6_EEDaPvRmT3_T4_T5_mT6_P12ihipStream_tbENKUlT_T0_E_clISt17integral_constantIbLb0EESX_IbLb1EEEEDaST_SU_EUlST_E_NS1_11comp_targetILNS1_3genE9ELNS1_11target_archE1100ELNS1_3gpuE3ELNS1_3repE0EEENS1_30default_config_static_selectorELNS0_4arch9wavefront6targetE1EEEvT1_.uses_flat_scratch, 0
	.set _ZN7rocprim17ROCPRIM_400000_NS6detail17trampoline_kernelINS0_14default_configENS1_20scan_config_selectorIN3c104HalfEEEZZNS1_9scan_implILNS1_25lookback_scan_determinismE0ELb0ELb0ES3_PKS6_PS6_S6_ZZZN2at6native31launch_logcumsumexp_cuda_kernelERKNSD_10TensorBaseESH_lENKUlvE_clEvENKUlvE3_clEvEUlS6_S6_E_S6_EEDaPvRmT3_T4_T5_mT6_P12ihipStream_tbENKUlT_T0_E_clISt17integral_constantIbLb0EESX_IbLb1EEEEDaST_SU_EUlST_E_NS1_11comp_targetILNS1_3genE9ELNS1_11target_archE1100ELNS1_3gpuE3ELNS1_3repE0EEENS1_30default_config_static_selectorELNS0_4arch9wavefront6targetE1EEEvT1_.has_dyn_sized_stack, 0
	.set _ZN7rocprim17ROCPRIM_400000_NS6detail17trampoline_kernelINS0_14default_configENS1_20scan_config_selectorIN3c104HalfEEEZZNS1_9scan_implILNS1_25lookback_scan_determinismE0ELb0ELb0ES3_PKS6_PS6_S6_ZZZN2at6native31launch_logcumsumexp_cuda_kernelERKNSD_10TensorBaseESH_lENKUlvE_clEvENKUlvE3_clEvEUlS6_S6_E_S6_EEDaPvRmT3_T4_T5_mT6_P12ihipStream_tbENKUlT_T0_E_clISt17integral_constantIbLb0EESX_IbLb1EEEEDaST_SU_EUlST_E_NS1_11comp_targetILNS1_3genE9ELNS1_11target_archE1100ELNS1_3gpuE3ELNS1_3repE0EEENS1_30default_config_static_selectorELNS0_4arch9wavefront6targetE1EEEvT1_.has_recursion, 0
	.set _ZN7rocprim17ROCPRIM_400000_NS6detail17trampoline_kernelINS0_14default_configENS1_20scan_config_selectorIN3c104HalfEEEZZNS1_9scan_implILNS1_25lookback_scan_determinismE0ELb0ELb0ES3_PKS6_PS6_S6_ZZZN2at6native31launch_logcumsumexp_cuda_kernelERKNSD_10TensorBaseESH_lENKUlvE_clEvENKUlvE3_clEvEUlS6_S6_E_S6_EEDaPvRmT3_T4_T5_mT6_P12ihipStream_tbENKUlT_T0_E_clISt17integral_constantIbLb0EESX_IbLb1EEEEDaST_SU_EUlST_E_NS1_11comp_targetILNS1_3genE9ELNS1_11target_archE1100ELNS1_3gpuE3ELNS1_3repE0EEENS1_30default_config_static_selectorELNS0_4arch9wavefront6targetE1EEEvT1_.has_indirect_call, 0
	.section	.AMDGPU.csdata,"",@progbits
; Kernel info:
; codeLenInByte = 0
; TotalNumSgprs: 4
; NumVgprs: 0
; ScratchSize: 0
; MemoryBound: 0
; FloatMode: 240
; IeeeMode: 1
; LDSByteSize: 0 bytes/workgroup (compile time only)
; SGPRBlocks: 0
; VGPRBlocks: 0
; NumSGPRsForWavesPerEU: 4
; NumVGPRsForWavesPerEU: 1
; Occupancy: 10
; WaveLimiterHint : 0
; COMPUTE_PGM_RSRC2:SCRATCH_EN: 0
; COMPUTE_PGM_RSRC2:USER_SGPR: 6
; COMPUTE_PGM_RSRC2:TRAP_HANDLER: 0
; COMPUTE_PGM_RSRC2:TGID_X_EN: 1
; COMPUTE_PGM_RSRC2:TGID_Y_EN: 0
; COMPUTE_PGM_RSRC2:TGID_Z_EN: 0
; COMPUTE_PGM_RSRC2:TIDIG_COMP_CNT: 0
	.section	.text._ZN7rocprim17ROCPRIM_400000_NS6detail17trampoline_kernelINS0_14default_configENS1_20scan_config_selectorIN3c104HalfEEEZZNS1_9scan_implILNS1_25lookback_scan_determinismE0ELb0ELb0ES3_PKS6_PS6_S6_ZZZN2at6native31launch_logcumsumexp_cuda_kernelERKNSD_10TensorBaseESH_lENKUlvE_clEvENKUlvE3_clEvEUlS6_S6_E_S6_EEDaPvRmT3_T4_T5_mT6_P12ihipStream_tbENKUlT_T0_E_clISt17integral_constantIbLb0EESX_IbLb1EEEEDaST_SU_EUlST_E_NS1_11comp_targetILNS1_3genE8ELNS1_11target_archE1030ELNS1_3gpuE2ELNS1_3repE0EEENS1_30default_config_static_selectorELNS0_4arch9wavefront6targetE1EEEvT1_,"axG",@progbits,_ZN7rocprim17ROCPRIM_400000_NS6detail17trampoline_kernelINS0_14default_configENS1_20scan_config_selectorIN3c104HalfEEEZZNS1_9scan_implILNS1_25lookback_scan_determinismE0ELb0ELb0ES3_PKS6_PS6_S6_ZZZN2at6native31launch_logcumsumexp_cuda_kernelERKNSD_10TensorBaseESH_lENKUlvE_clEvENKUlvE3_clEvEUlS6_S6_E_S6_EEDaPvRmT3_T4_T5_mT6_P12ihipStream_tbENKUlT_T0_E_clISt17integral_constantIbLb0EESX_IbLb1EEEEDaST_SU_EUlST_E_NS1_11comp_targetILNS1_3genE8ELNS1_11target_archE1030ELNS1_3gpuE2ELNS1_3repE0EEENS1_30default_config_static_selectorELNS0_4arch9wavefront6targetE1EEEvT1_,comdat
	.globl	_ZN7rocprim17ROCPRIM_400000_NS6detail17trampoline_kernelINS0_14default_configENS1_20scan_config_selectorIN3c104HalfEEEZZNS1_9scan_implILNS1_25lookback_scan_determinismE0ELb0ELb0ES3_PKS6_PS6_S6_ZZZN2at6native31launch_logcumsumexp_cuda_kernelERKNSD_10TensorBaseESH_lENKUlvE_clEvENKUlvE3_clEvEUlS6_S6_E_S6_EEDaPvRmT3_T4_T5_mT6_P12ihipStream_tbENKUlT_T0_E_clISt17integral_constantIbLb0EESX_IbLb1EEEEDaST_SU_EUlST_E_NS1_11comp_targetILNS1_3genE8ELNS1_11target_archE1030ELNS1_3gpuE2ELNS1_3repE0EEENS1_30default_config_static_selectorELNS0_4arch9wavefront6targetE1EEEvT1_ ; -- Begin function _ZN7rocprim17ROCPRIM_400000_NS6detail17trampoline_kernelINS0_14default_configENS1_20scan_config_selectorIN3c104HalfEEEZZNS1_9scan_implILNS1_25lookback_scan_determinismE0ELb0ELb0ES3_PKS6_PS6_S6_ZZZN2at6native31launch_logcumsumexp_cuda_kernelERKNSD_10TensorBaseESH_lENKUlvE_clEvENKUlvE3_clEvEUlS6_S6_E_S6_EEDaPvRmT3_T4_T5_mT6_P12ihipStream_tbENKUlT_T0_E_clISt17integral_constantIbLb0EESX_IbLb1EEEEDaST_SU_EUlST_E_NS1_11comp_targetILNS1_3genE8ELNS1_11target_archE1030ELNS1_3gpuE2ELNS1_3repE0EEENS1_30default_config_static_selectorELNS0_4arch9wavefront6targetE1EEEvT1_
	.p2align	8
	.type	_ZN7rocprim17ROCPRIM_400000_NS6detail17trampoline_kernelINS0_14default_configENS1_20scan_config_selectorIN3c104HalfEEEZZNS1_9scan_implILNS1_25lookback_scan_determinismE0ELb0ELb0ES3_PKS6_PS6_S6_ZZZN2at6native31launch_logcumsumexp_cuda_kernelERKNSD_10TensorBaseESH_lENKUlvE_clEvENKUlvE3_clEvEUlS6_S6_E_S6_EEDaPvRmT3_T4_T5_mT6_P12ihipStream_tbENKUlT_T0_E_clISt17integral_constantIbLb0EESX_IbLb1EEEEDaST_SU_EUlST_E_NS1_11comp_targetILNS1_3genE8ELNS1_11target_archE1030ELNS1_3gpuE2ELNS1_3repE0EEENS1_30default_config_static_selectorELNS0_4arch9wavefront6targetE1EEEvT1_,@function
_ZN7rocprim17ROCPRIM_400000_NS6detail17trampoline_kernelINS0_14default_configENS1_20scan_config_selectorIN3c104HalfEEEZZNS1_9scan_implILNS1_25lookback_scan_determinismE0ELb0ELb0ES3_PKS6_PS6_S6_ZZZN2at6native31launch_logcumsumexp_cuda_kernelERKNSD_10TensorBaseESH_lENKUlvE_clEvENKUlvE3_clEvEUlS6_S6_E_S6_EEDaPvRmT3_T4_T5_mT6_P12ihipStream_tbENKUlT_T0_E_clISt17integral_constantIbLb0EESX_IbLb1EEEEDaST_SU_EUlST_E_NS1_11comp_targetILNS1_3genE8ELNS1_11target_archE1030ELNS1_3gpuE2ELNS1_3repE0EEENS1_30default_config_static_selectorELNS0_4arch9wavefront6targetE1EEEvT1_: ; @_ZN7rocprim17ROCPRIM_400000_NS6detail17trampoline_kernelINS0_14default_configENS1_20scan_config_selectorIN3c104HalfEEEZZNS1_9scan_implILNS1_25lookback_scan_determinismE0ELb0ELb0ES3_PKS6_PS6_S6_ZZZN2at6native31launch_logcumsumexp_cuda_kernelERKNSD_10TensorBaseESH_lENKUlvE_clEvENKUlvE3_clEvEUlS6_S6_E_S6_EEDaPvRmT3_T4_T5_mT6_P12ihipStream_tbENKUlT_T0_E_clISt17integral_constantIbLb0EESX_IbLb1EEEEDaST_SU_EUlST_E_NS1_11comp_targetILNS1_3genE8ELNS1_11target_archE1030ELNS1_3gpuE2ELNS1_3repE0EEENS1_30default_config_static_selectorELNS0_4arch9wavefront6targetE1EEEvT1_
; %bb.0:
	.section	.rodata,"a",@progbits
	.p2align	6, 0x0
	.amdhsa_kernel _ZN7rocprim17ROCPRIM_400000_NS6detail17trampoline_kernelINS0_14default_configENS1_20scan_config_selectorIN3c104HalfEEEZZNS1_9scan_implILNS1_25lookback_scan_determinismE0ELb0ELb0ES3_PKS6_PS6_S6_ZZZN2at6native31launch_logcumsumexp_cuda_kernelERKNSD_10TensorBaseESH_lENKUlvE_clEvENKUlvE3_clEvEUlS6_S6_E_S6_EEDaPvRmT3_T4_T5_mT6_P12ihipStream_tbENKUlT_T0_E_clISt17integral_constantIbLb0EESX_IbLb1EEEEDaST_SU_EUlST_E_NS1_11comp_targetILNS1_3genE8ELNS1_11target_archE1030ELNS1_3gpuE2ELNS1_3repE0EEENS1_30default_config_static_selectorELNS0_4arch9wavefront6targetE1EEEvT1_
		.amdhsa_group_segment_fixed_size 0
		.amdhsa_private_segment_fixed_size 0
		.amdhsa_kernarg_size 96
		.amdhsa_user_sgpr_count 6
		.amdhsa_user_sgpr_private_segment_buffer 1
		.amdhsa_user_sgpr_dispatch_ptr 0
		.amdhsa_user_sgpr_queue_ptr 0
		.amdhsa_user_sgpr_kernarg_segment_ptr 1
		.amdhsa_user_sgpr_dispatch_id 0
		.amdhsa_user_sgpr_flat_scratch_init 0
		.amdhsa_user_sgpr_private_segment_size 0
		.amdhsa_uses_dynamic_stack 0
		.amdhsa_system_sgpr_private_segment_wavefront_offset 0
		.amdhsa_system_sgpr_workgroup_id_x 1
		.amdhsa_system_sgpr_workgroup_id_y 0
		.amdhsa_system_sgpr_workgroup_id_z 0
		.amdhsa_system_sgpr_workgroup_info 0
		.amdhsa_system_vgpr_workitem_id 0
		.amdhsa_next_free_vgpr 1
		.amdhsa_next_free_sgpr 0
		.amdhsa_reserve_vcc 0
		.amdhsa_reserve_flat_scratch 0
		.amdhsa_float_round_mode_32 0
		.amdhsa_float_round_mode_16_64 0
		.amdhsa_float_denorm_mode_32 3
		.amdhsa_float_denorm_mode_16_64 3
		.amdhsa_dx10_clamp 1
		.amdhsa_ieee_mode 1
		.amdhsa_fp16_overflow 0
		.amdhsa_exception_fp_ieee_invalid_op 0
		.amdhsa_exception_fp_denorm_src 0
		.amdhsa_exception_fp_ieee_div_zero 0
		.amdhsa_exception_fp_ieee_overflow 0
		.amdhsa_exception_fp_ieee_underflow 0
		.amdhsa_exception_fp_ieee_inexact 0
		.amdhsa_exception_int_div_zero 0
	.end_amdhsa_kernel
	.section	.text._ZN7rocprim17ROCPRIM_400000_NS6detail17trampoline_kernelINS0_14default_configENS1_20scan_config_selectorIN3c104HalfEEEZZNS1_9scan_implILNS1_25lookback_scan_determinismE0ELb0ELb0ES3_PKS6_PS6_S6_ZZZN2at6native31launch_logcumsumexp_cuda_kernelERKNSD_10TensorBaseESH_lENKUlvE_clEvENKUlvE3_clEvEUlS6_S6_E_S6_EEDaPvRmT3_T4_T5_mT6_P12ihipStream_tbENKUlT_T0_E_clISt17integral_constantIbLb0EESX_IbLb1EEEEDaST_SU_EUlST_E_NS1_11comp_targetILNS1_3genE8ELNS1_11target_archE1030ELNS1_3gpuE2ELNS1_3repE0EEENS1_30default_config_static_selectorELNS0_4arch9wavefront6targetE1EEEvT1_,"axG",@progbits,_ZN7rocprim17ROCPRIM_400000_NS6detail17trampoline_kernelINS0_14default_configENS1_20scan_config_selectorIN3c104HalfEEEZZNS1_9scan_implILNS1_25lookback_scan_determinismE0ELb0ELb0ES3_PKS6_PS6_S6_ZZZN2at6native31launch_logcumsumexp_cuda_kernelERKNSD_10TensorBaseESH_lENKUlvE_clEvENKUlvE3_clEvEUlS6_S6_E_S6_EEDaPvRmT3_T4_T5_mT6_P12ihipStream_tbENKUlT_T0_E_clISt17integral_constantIbLb0EESX_IbLb1EEEEDaST_SU_EUlST_E_NS1_11comp_targetILNS1_3genE8ELNS1_11target_archE1030ELNS1_3gpuE2ELNS1_3repE0EEENS1_30default_config_static_selectorELNS0_4arch9wavefront6targetE1EEEvT1_,comdat
.Lfunc_end424:
	.size	_ZN7rocprim17ROCPRIM_400000_NS6detail17trampoline_kernelINS0_14default_configENS1_20scan_config_selectorIN3c104HalfEEEZZNS1_9scan_implILNS1_25lookback_scan_determinismE0ELb0ELb0ES3_PKS6_PS6_S6_ZZZN2at6native31launch_logcumsumexp_cuda_kernelERKNSD_10TensorBaseESH_lENKUlvE_clEvENKUlvE3_clEvEUlS6_S6_E_S6_EEDaPvRmT3_T4_T5_mT6_P12ihipStream_tbENKUlT_T0_E_clISt17integral_constantIbLb0EESX_IbLb1EEEEDaST_SU_EUlST_E_NS1_11comp_targetILNS1_3genE8ELNS1_11target_archE1030ELNS1_3gpuE2ELNS1_3repE0EEENS1_30default_config_static_selectorELNS0_4arch9wavefront6targetE1EEEvT1_, .Lfunc_end424-_ZN7rocprim17ROCPRIM_400000_NS6detail17trampoline_kernelINS0_14default_configENS1_20scan_config_selectorIN3c104HalfEEEZZNS1_9scan_implILNS1_25lookback_scan_determinismE0ELb0ELb0ES3_PKS6_PS6_S6_ZZZN2at6native31launch_logcumsumexp_cuda_kernelERKNSD_10TensorBaseESH_lENKUlvE_clEvENKUlvE3_clEvEUlS6_S6_E_S6_EEDaPvRmT3_T4_T5_mT6_P12ihipStream_tbENKUlT_T0_E_clISt17integral_constantIbLb0EESX_IbLb1EEEEDaST_SU_EUlST_E_NS1_11comp_targetILNS1_3genE8ELNS1_11target_archE1030ELNS1_3gpuE2ELNS1_3repE0EEENS1_30default_config_static_selectorELNS0_4arch9wavefront6targetE1EEEvT1_
                                        ; -- End function
	.set _ZN7rocprim17ROCPRIM_400000_NS6detail17trampoline_kernelINS0_14default_configENS1_20scan_config_selectorIN3c104HalfEEEZZNS1_9scan_implILNS1_25lookback_scan_determinismE0ELb0ELb0ES3_PKS6_PS6_S6_ZZZN2at6native31launch_logcumsumexp_cuda_kernelERKNSD_10TensorBaseESH_lENKUlvE_clEvENKUlvE3_clEvEUlS6_S6_E_S6_EEDaPvRmT3_T4_T5_mT6_P12ihipStream_tbENKUlT_T0_E_clISt17integral_constantIbLb0EESX_IbLb1EEEEDaST_SU_EUlST_E_NS1_11comp_targetILNS1_3genE8ELNS1_11target_archE1030ELNS1_3gpuE2ELNS1_3repE0EEENS1_30default_config_static_selectorELNS0_4arch9wavefront6targetE1EEEvT1_.num_vgpr, 0
	.set _ZN7rocprim17ROCPRIM_400000_NS6detail17trampoline_kernelINS0_14default_configENS1_20scan_config_selectorIN3c104HalfEEEZZNS1_9scan_implILNS1_25lookback_scan_determinismE0ELb0ELb0ES3_PKS6_PS6_S6_ZZZN2at6native31launch_logcumsumexp_cuda_kernelERKNSD_10TensorBaseESH_lENKUlvE_clEvENKUlvE3_clEvEUlS6_S6_E_S6_EEDaPvRmT3_T4_T5_mT6_P12ihipStream_tbENKUlT_T0_E_clISt17integral_constantIbLb0EESX_IbLb1EEEEDaST_SU_EUlST_E_NS1_11comp_targetILNS1_3genE8ELNS1_11target_archE1030ELNS1_3gpuE2ELNS1_3repE0EEENS1_30default_config_static_selectorELNS0_4arch9wavefront6targetE1EEEvT1_.num_agpr, 0
	.set _ZN7rocprim17ROCPRIM_400000_NS6detail17trampoline_kernelINS0_14default_configENS1_20scan_config_selectorIN3c104HalfEEEZZNS1_9scan_implILNS1_25lookback_scan_determinismE0ELb0ELb0ES3_PKS6_PS6_S6_ZZZN2at6native31launch_logcumsumexp_cuda_kernelERKNSD_10TensorBaseESH_lENKUlvE_clEvENKUlvE3_clEvEUlS6_S6_E_S6_EEDaPvRmT3_T4_T5_mT6_P12ihipStream_tbENKUlT_T0_E_clISt17integral_constantIbLb0EESX_IbLb1EEEEDaST_SU_EUlST_E_NS1_11comp_targetILNS1_3genE8ELNS1_11target_archE1030ELNS1_3gpuE2ELNS1_3repE0EEENS1_30default_config_static_selectorELNS0_4arch9wavefront6targetE1EEEvT1_.numbered_sgpr, 0
	.set _ZN7rocprim17ROCPRIM_400000_NS6detail17trampoline_kernelINS0_14default_configENS1_20scan_config_selectorIN3c104HalfEEEZZNS1_9scan_implILNS1_25lookback_scan_determinismE0ELb0ELb0ES3_PKS6_PS6_S6_ZZZN2at6native31launch_logcumsumexp_cuda_kernelERKNSD_10TensorBaseESH_lENKUlvE_clEvENKUlvE3_clEvEUlS6_S6_E_S6_EEDaPvRmT3_T4_T5_mT6_P12ihipStream_tbENKUlT_T0_E_clISt17integral_constantIbLb0EESX_IbLb1EEEEDaST_SU_EUlST_E_NS1_11comp_targetILNS1_3genE8ELNS1_11target_archE1030ELNS1_3gpuE2ELNS1_3repE0EEENS1_30default_config_static_selectorELNS0_4arch9wavefront6targetE1EEEvT1_.num_named_barrier, 0
	.set _ZN7rocprim17ROCPRIM_400000_NS6detail17trampoline_kernelINS0_14default_configENS1_20scan_config_selectorIN3c104HalfEEEZZNS1_9scan_implILNS1_25lookback_scan_determinismE0ELb0ELb0ES3_PKS6_PS6_S6_ZZZN2at6native31launch_logcumsumexp_cuda_kernelERKNSD_10TensorBaseESH_lENKUlvE_clEvENKUlvE3_clEvEUlS6_S6_E_S6_EEDaPvRmT3_T4_T5_mT6_P12ihipStream_tbENKUlT_T0_E_clISt17integral_constantIbLb0EESX_IbLb1EEEEDaST_SU_EUlST_E_NS1_11comp_targetILNS1_3genE8ELNS1_11target_archE1030ELNS1_3gpuE2ELNS1_3repE0EEENS1_30default_config_static_selectorELNS0_4arch9wavefront6targetE1EEEvT1_.private_seg_size, 0
	.set _ZN7rocprim17ROCPRIM_400000_NS6detail17trampoline_kernelINS0_14default_configENS1_20scan_config_selectorIN3c104HalfEEEZZNS1_9scan_implILNS1_25lookback_scan_determinismE0ELb0ELb0ES3_PKS6_PS6_S6_ZZZN2at6native31launch_logcumsumexp_cuda_kernelERKNSD_10TensorBaseESH_lENKUlvE_clEvENKUlvE3_clEvEUlS6_S6_E_S6_EEDaPvRmT3_T4_T5_mT6_P12ihipStream_tbENKUlT_T0_E_clISt17integral_constantIbLb0EESX_IbLb1EEEEDaST_SU_EUlST_E_NS1_11comp_targetILNS1_3genE8ELNS1_11target_archE1030ELNS1_3gpuE2ELNS1_3repE0EEENS1_30default_config_static_selectorELNS0_4arch9wavefront6targetE1EEEvT1_.uses_vcc, 0
	.set _ZN7rocprim17ROCPRIM_400000_NS6detail17trampoline_kernelINS0_14default_configENS1_20scan_config_selectorIN3c104HalfEEEZZNS1_9scan_implILNS1_25lookback_scan_determinismE0ELb0ELb0ES3_PKS6_PS6_S6_ZZZN2at6native31launch_logcumsumexp_cuda_kernelERKNSD_10TensorBaseESH_lENKUlvE_clEvENKUlvE3_clEvEUlS6_S6_E_S6_EEDaPvRmT3_T4_T5_mT6_P12ihipStream_tbENKUlT_T0_E_clISt17integral_constantIbLb0EESX_IbLb1EEEEDaST_SU_EUlST_E_NS1_11comp_targetILNS1_3genE8ELNS1_11target_archE1030ELNS1_3gpuE2ELNS1_3repE0EEENS1_30default_config_static_selectorELNS0_4arch9wavefront6targetE1EEEvT1_.uses_flat_scratch, 0
	.set _ZN7rocprim17ROCPRIM_400000_NS6detail17trampoline_kernelINS0_14default_configENS1_20scan_config_selectorIN3c104HalfEEEZZNS1_9scan_implILNS1_25lookback_scan_determinismE0ELb0ELb0ES3_PKS6_PS6_S6_ZZZN2at6native31launch_logcumsumexp_cuda_kernelERKNSD_10TensorBaseESH_lENKUlvE_clEvENKUlvE3_clEvEUlS6_S6_E_S6_EEDaPvRmT3_T4_T5_mT6_P12ihipStream_tbENKUlT_T0_E_clISt17integral_constantIbLb0EESX_IbLb1EEEEDaST_SU_EUlST_E_NS1_11comp_targetILNS1_3genE8ELNS1_11target_archE1030ELNS1_3gpuE2ELNS1_3repE0EEENS1_30default_config_static_selectorELNS0_4arch9wavefront6targetE1EEEvT1_.has_dyn_sized_stack, 0
	.set _ZN7rocprim17ROCPRIM_400000_NS6detail17trampoline_kernelINS0_14default_configENS1_20scan_config_selectorIN3c104HalfEEEZZNS1_9scan_implILNS1_25lookback_scan_determinismE0ELb0ELb0ES3_PKS6_PS6_S6_ZZZN2at6native31launch_logcumsumexp_cuda_kernelERKNSD_10TensorBaseESH_lENKUlvE_clEvENKUlvE3_clEvEUlS6_S6_E_S6_EEDaPvRmT3_T4_T5_mT6_P12ihipStream_tbENKUlT_T0_E_clISt17integral_constantIbLb0EESX_IbLb1EEEEDaST_SU_EUlST_E_NS1_11comp_targetILNS1_3genE8ELNS1_11target_archE1030ELNS1_3gpuE2ELNS1_3repE0EEENS1_30default_config_static_selectorELNS0_4arch9wavefront6targetE1EEEvT1_.has_recursion, 0
	.set _ZN7rocprim17ROCPRIM_400000_NS6detail17trampoline_kernelINS0_14default_configENS1_20scan_config_selectorIN3c104HalfEEEZZNS1_9scan_implILNS1_25lookback_scan_determinismE0ELb0ELb0ES3_PKS6_PS6_S6_ZZZN2at6native31launch_logcumsumexp_cuda_kernelERKNSD_10TensorBaseESH_lENKUlvE_clEvENKUlvE3_clEvEUlS6_S6_E_S6_EEDaPvRmT3_T4_T5_mT6_P12ihipStream_tbENKUlT_T0_E_clISt17integral_constantIbLb0EESX_IbLb1EEEEDaST_SU_EUlST_E_NS1_11comp_targetILNS1_3genE8ELNS1_11target_archE1030ELNS1_3gpuE2ELNS1_3repE0EEENS1_30default_config_static_selectorELNS0_4arch9wavefront6targetE1EEEvT1_.has_indirect_call, 0
	.section	.AMDGPU.csdata,"",@progbits
; Kernel info:
; codeLenInByte = 0
; TotalNumSgprs: 4
; NumVgprs: 0
; ScratchSize: 0
; MemoryBound: 0
; FloatMode: 240
; IeeeMode: 1
; LDSByteSize: 0 bytes/workgroup (compile time only)
; SGPRBlocks: 0
; VGPRBlocks: 0
; NumSGPRsForWavesPerEU: 4
; NumVGPRsForWavesPerEU: 1
; Occupancy: 10
; WaveLimiterHint : 0
; COMPUTE_PGM_RSRC2:SCRATCH_EN: 0
; COMPUTE_PGM_RSRC2:USER_SGPR: 6
; COMPUTE_PGM_RSRC2:TRAP_HANDLER: 0
; COMPUTE_PGM_RSRC2:TGID_X_EN: 1
; COMPUTE_PGM_RSRC2:TGID_Y_EN: 0
; COMPUTE_PGM_RSRC2:TGID_Z_EN: 0
; COMPUTE_PGM_RSRC2:TIDIG_COMP_CNT: 0
	.section	.text._ZN7rocprim17ROCPRIM_400000_NS6detail17trampoline_kernelINS0_14default_configENS1_20scan_config_selectorIN3c104HalfEEEZZNS1_9scan_implILNS1_25lookback_scan_determinismE0ELb0ELb0ES3_PKS6_PS6_S6_ZZZN2at6native31launch_logcumsumexp_cuda_kernelERKNSD_10TensorBaseESH_lENKUlvE_clEvENKUlvE3_clEvEUlS6_S6_E_S6_EEDaPvRmT3_T4_T5_mT6_P12ihipStream_tbENKUlT_T0_E_clISt17integral_constantIbLb0EESX_IbLb1EEEEDaST_SU_EUlST_E0_NS1_11comp_targetILNS1_3genE0ELNS1_11target_archE4294967295ELNS1_3gpuE0ELNS1_3repE0EEENS1_30default_config_static_selectorELNS0_4arch9wavefront6targetE1EEEvT1_,"axG",@progbits,_ZN7rocprim17ROCPRIM_400000_NS6detail17trampoline_kernelINS0_14default_configENS1_20scan_config_selectorIN3c104HalfEEEZZNS1_9scan_implILNS1_25lookback_scan_determinismE0ELb0ELb0ES3_PKS6_PS6_S6_ZZZN2at6native31launch_logcumsumexp_cuda_kernelERKNSD_10TensorBaseESH_lENKUlvE_clEvENKUlvE3_clEvEUlS6_S6_E_S6_EEDaPvRmT3_T4_T5_mT6_P12ihipStream_tbENKUlT_T0_E_clISt17integral_constantIbLb0EESX_IbLb1EEEEDaST_SU_EUlST_E0_NS1_11comp_targetILNS1_3genE0ELNS1_11target_archE4294967295ELNS1_3gpuE0ELNS1_3repE0EEENS1_30default_config_static_selectorELNS0_4arch9wavefront6targetE1EEEvT1_,comdat
	.globl	_ZN7rocprim17ROCPRIM_400000_NS6detail17trampoline_kernelINS0_14default_configENS1_20scan_config_selectorIN3c104HalfEEEZZNS1_9scan_implILNS1_25lookback_scan_determinismE0ELb0ELb0ES3_PKS6_PS6_S6_ZZZN2at6native31launch_logcumsumexp_cuda_kernelERKNSD_10TensorBaseESH_lENKUlvE_clEvENKUlvE3_clEvEUlS6_S6_E_S6_EEDaPvRmT3_T4_T5_mT6_P12ihipStream_tbENKUlT_T0_E_clISt17integral_constantIbLb0EESX_IbLb1EEEEDaST_SU_EUlST_E0_NS1_11comp_targetILNS1_3genE0ELNS1_11target_archE4294967295ELNS1_3gpuE0ELNS1_3repE0EEENS1_30default_config_static_selectorELNS0_4arch9wavefront6targetE1EEEvT1_ ; -- Begin function _ZN7rocprim17ROCPRIM_400000_NS6detail17trampoline_kernelINS0_14default_configENS1_20scan_config_selectorIN3c104HalfEEEZZNS1_9scan_implILNS1_25lookback_scan_determinismE0ELb0ELb0ES3_PKS6_PS6_S6_ZZZN2at6native31launch_logcumsumexp_cuda_kernelERKNSD_10TensorBaseESH_lENKUlvE_clEvENKUlvE3_clEvEUlS6_S6_E_S6_EEDaPvRmT3_T4_T5_mT6_P12ihipStream_tbENKUlT_T0_E_clISt17integral_constantIbLb0EESX_IbLb1EEEEDaST_SU_EUlST_E0_NS1_11comp_targetILNS1_3genE0ELNS1_11target_archE4294967295ELNS1_3gpuE0ELNS1_3repE0EEENS1_30default_config_static_selectorELNS0_4arch9wavefront6targetE1EEEvT1_
	.p2align	8
	.type	_ZN7rocprim17ROCPRIM_400000_NS6detail17trampoline_kernelINS0_14default_configENS1_20scan_config_selectorIN3c104HalfEEEZZNS1_9scan_implILNS1_25lookback_scan_determinismE0ELb0ELb0ES3_PKS6_PS6_S6_ZZZN2at6native31launch_logcumsumexp_cuda_kernelERKNSD_10TensorBaseESH_lENKUlvE_clEvENKUlvE3_clEvEUlS6_S6_E_S6_EEDaPvRmT3_T4_T5_mT6_P12ihipStream_tbENKUlT_T0_E_clISt17integral_constantIbLb0EESX_IbLb1EEEEDaST_SU_EUlST_E0_NS1_11comp_targetILNS1_3genE0ELNS1_11target_archE4294967295ELNS1_3gpuE0ELNS1_3repE0EEENS1_30default_config_static_selectorELNS0_4arch9wavefront6targetE1EEEvT1_,@function
_ZN7rocprim17ROCPRIM_400000_NS6detail17trampoline_kernelINS0_14default_configENS1_20scan_config_selectorIN3c104HalfEEEZZNS1_9scan_implILNS1_25lookback_scan_determinismE0ELb0ELb0ES3_PKS6_PS6_S6_ZZZN2at6native31launch_logcumsumexp_cuda_kernelERKNSD_10TensorBaseESH_lENKUlvE_clEvENKUlvE3_clEvEUlS6_S6_E_S6_EEDaPvRmT3_T4_T5_mT6_P12ihipStream_tbENKUlT_T0_E_clISt17integral_constantIbLb0EESX_IbLb1EEEEDaST_SU_EUlST_E0_NS1_11comp_targetILNS1_3genE0ELNS1_11target_archE4294967295ELNS1_3gpuE0ELNS1_3repE0EEENS1_30default_config_static_selectorELNS0_4arch9wavefront6targetE1EEEvT1_: ; @_ZN7rocprim17ROCPRIM_400000_NS6detail17trampoline_kernelINS0_14default_configENS1_20scan_config_selectorIN3c104HalfEEEZZNS1_9scan_implILNS1_25lookback_scan_determinismE0ELb0ELb0ES3_PKS6_PS6_S6_ZZZN2at6native31launch_logcumsumexp_cuda_kernelERKNSD_10TensorBaseESH_lENKUlvE_clEvENKUlvE3_clEvEUlS6_S6_E_S6_EEDaPvRmT3_T4_T5_mT6_P12ihipStream_tbENKUlT_T0_E_clISt17integral_constantIbLb0EESX_IbLb1EEEEDaST_SU_EUlST_E0_NS1_11comp_targetILNS1_3genE0ELNS1_11target_archE4294967295ELNS1_3gpuE0ELNS1_3repE0EEENS1_30default_config_static_selectorELNS0_4arch9wavefront6targetE1EEEvT1_
; %bb.0:
	.section	.rodata,"a",@progbits
	.p2align	6, 0x0
	.amdhsa_kernel _ZN7rocprim17ROCPRIM_400000_NS6detail17trampoline_kernelINS0_14default_configENS1_20scan_config_selectorIN3c104HalfEEEZZNS1_9scan_implILNS1_25lookback_scan_determinismE0ELb0ELb0ES3_PKS6_PS6_S6_ZZZN2at6native31launch_logcumsumexp_cuda_kernelERKNSD_10TensorBaseESH_lENKUlvE_clEvENKUlvE3_clEvEUlS6_S6_E_S6_EEDaPvRmT3_T4_T5_mT6_P12ihipStream_tbENKUlT_T0_E_clISt17integral_constantIbLb0EESX_IbLb1EEEEDaST_SU_EUlST_E0_NS1_11comp_targetILNS1_3genE0ELNS1_11target_archE4294967295ELNS1_3gpuE0ELNS1_3repE0EEENS1_30default_config_static_selectorELNS0_4arch9wavefront6targetE1EEEvT1_
		.amdhsa_group_segment_fixed_size 0
		.amdhsa_private_segment_fixed_size 0
		.amdhsa_kernarg_size 32
		.amdhsa_user_sgpr_count 6
		.amdhsa_user_sgpr_private_segment_buffer 1
		.amdhsa_user_sgpr_dispatch_ptr 0
		.amdhsa_user_sgpr_queue_ptr 0
		.amdhsa_user_sgpr_kernarg_segment_ptr 1
		.amdhsa_user_sgpr_dispatch_id 0
		.amdhsa_user_sgpr_flat_scratch_init 0
		.amdhsa_user_sgpr_private_segment_size 0
		.amdhsa_uses_dynamic_stack 0
		.amdhsa_system_sgpr_private_segment_wavefront_offset 0
		.amdhsa_system_sgpr_workgroup_id_x 1
		.amdhsa_system_sgpr_workgroup_id_y 0
		.amdhsa_system_sgpr_workgroup_id_z 0
		.amdhsa_system_sgpr_workgroup_info 0
		.amdhsa_system_vgpr_workitem_id 0
		.amdhsa_next_free_vgpr 1
		.amdhsa_next_free_sgpr 0
		.amdhsa_reserve_vcc 0
		.amdhsa_reserve_flat_scratch 0
		.amdhsa_float_round_mode_32 0
		.amdhsa_float_round_mode_16_64 0
		.amdhsa_float_denorm_mode_32 3
		.amdhsa_float_denorm_mode_16_64 3
		.amdhsa_dx10_clamp 1
		.amdhsa_ieee_mode 1
		.amdhsa_fp16_overflow 0
		.amdhsa_exception_fp_ieee_invalid_op 0
		.amdhsa_exception_fp_denorm_src 0
		.amdhsa_exception_fp_ieee_div_zero 0
		.amdhsa_exception_fp_ieee_overflow 0
		.amdhsa_exception_fp_ieee_underflow 0
		.amdhsa_exception_fp_ieee_inexact 0
		.amdhsa_exception_int_div_zero 0
	.end_amdhsa_kernel
	.section	.text._ZN7rocprim17ROCPRIM_400000_NS6detail17trampoline_kernelINS0_14default_configENS1_20scan_config_selectorIN3c104HalfEEEZZNS1_9scan_implILNS1_25lookback_scan_determinismE0ELb0ELb0ES3_PKS6_PS6_S6_ZZZN2at6native31launch_logcumsumexp_cuda_kernelERKNSD_10TensorBaseESH_lENKUlvE_clEvENKUlvE3_clEvEUlS6_S6_E_S6_EEDaPvRmT3_T4_T5_mT6_P12ihipStream_tbENKUlT_T0_E_clISt17integral_constantIbLb0EESX_IbLb1EEEEDaST_SU_EUlST_E0_NS1_11comp_targetILNS1_3genE0ELNS1_11target_archE4294967295ELNS1_3gpuE0ELNS1_3repE0EEENS1_30default_config_static_selectorELNS0_4arch9wavefront6targetE1EEEvT1_,"axG",@progbits,_ZN7rocprim17ROCPRIM_400000_NS6detail17trampoline_kernelINS0_14default_configENS1_20scan_config_selectorIN3c104HalfEEEZZNS1_9scan_implILNS1_25lookback_scan_determinismE0ELb0ELb0ES3_PKS6_PS6_S6_ZZZN2at6native31launch_logcumsumexp_cuda_kernelERKNSD_10TensorBaseESH_lENKUlvE_clEvENKUlvE3_clEvEUlS6_S6_E_S6_EEDaPvRmT3_T4_T5_mT6_P12ihipStream_tbENKUlT_T0_E_clISt17integral_constantIbLb0EESX_IbLb1EEEEDaST_SU_EUlST_E0_NS1_11comp_targetILNS1_3genE0ELNS1_11target_archE4294967295ELNS1_3gpuE0ELNS1_3repE0EEENS1_30default_config_static_selectorELNS0_4arch9wavefront6targetE1EEEvT1_,comdat
.Lfunc_end425:
	.size	_ZN7rocprim17ROCPRIM_400000_NS6detail17trampoline_kernelINS0_14default_configENS1_20scan_config_selectorIN3c104HalfEEEZZNS1_9scan_implILNS1_25lookback_scan_determinismE0ELb0ELb0ES3_PKS6_PS6_S6_ZZZN2at6native31launch_logcumsumexp_cuda_kernelERKNSD_10TensorBaseESH_lENKUlvE_clEvENKUlvE3_clEvEUlS6_S6_E_S6_EEDaPvRmT3_T4_T5_mT6_P12ihipStream_tbENKUlT_T0_E_clISt17integral_constantIbLb0EESX_IbLb1EEEEDaST_SU_EUlST_E0_NS1_11comp_targetILNS1_3genE0ELNS1_11target_archE4294967295ELNS1_3gpuE0ELNS1_3repE0EEENS1_30default_config_static_selectorELNS0_4arch9wavefront6targetE1EEEvT1_, .Lfunc_end425-_ZN7rocprim17ROCPRIM_400000_NS6detail17trampoline_kernelINS0_14default_configENS1_20scan_config_selectorIN3c104HalfEEEZZNS1_9scan_implILNS1_25lookback_scan_determinismE0ELb0ELb0ES3_PKS6_PS6_S6_ZZZN2at6native31launch_logcumsumexp_cuda_kernelERKNSD_10TensorBaseESH_lENKUlvE_clEvENKUlvE3_clEvEUlS6_S6_E_S6_EEDaPvRmT3_T4_T5_mT6_P12ihipStream_tbENKUlT_T0_E_clISt17integral_constantIbLb0EESX_IbLb1EEEEDaST_SU_EUlST_E0_NS1_11comp_targetILNS1_3genE0ELNS1_11target_archE4294967295ELNS1_3gpuE0ELNS1_3repE0EEENS1_30default_config_static_selectorELNS0_4arch9wavefront6targetE1EEEvT1_
                                        ; -- End function
	.set _ZN7rocprim17ROCPRIM_400000_NS6detail17trampoline_kernelINS0_14default_configENS1_20scan_config_selectorIN3c104HalfEEEZZNS1_9scan_implILNS1_25lookback_scan_determinismE0ELb0ELb0ES3_PKS6_PS6_S6_ZZZN2at6native31launch_logcumsumexp_cuda_kernelERKNSD_10TensorBaseESH_lENKUlvE_clEvENKUlvE3_clEvEUlS6_S6_E_S6_EEDaPvRmT3_T4_T5_mT6_P12ihipStream_tbENKUlT_T0_E_clISt17integral_constantIbLb0EESX_IbLb1EEEEDaST_SU_EUlST_E0_NS1_11comp_targetILNS1_3genE0ELNS1_11target_archE4294967295ELNS1_3gpuE0ELNS1_3repE0EEENS1_30default_config_static_selectorELNS0_4arch9wavefront6targetE1EEEvT1_.num_vgpr, 0
	.set _ZN7rocprim17ROCPRIM_400000_NS6detail17trampoline_kernelINS0_14default_configENS1_20scan_config_selectorIN3c104HalfEEEZZNS1_9scan_implILNS1_25lookback_scan_determinismE0ELb0ELb0ES3_PKS6_PS6_S6_ZZZN2at6native31launch_logcumsumexp_cuda_kernelERKNSD_10TensorBaseESH_lENKUlvE_clEvENKUlvE3_clEvEUlS6_S6_E_S6_EEDaPvRmT3_T4_T5_mT6_P12ihipStream_tbENKUlT_T0_E_clISt17integral_constantIbLb0EESX_IbLb1EEEEDaST_SU_EUlST_E0_NS1_11comp_targetILNS1_3genE0ELNS1_11target_archE4294967295ELNS1_3gpuE0ELNS1_3repE0EEENS1_30default_config_static_selectorELNS0_4arch9wavefront6targetE1EEEvT1_.num_agpr, 0
	.set _ZN7rocprim17ROCPRIM_400000_NS6detail17trampoline_kernelINS0_14default_configENS1_20scan_config_selectorIN3c104HalfEEEZZNS1_9scan_implILNS1_25lookback_scan_determinismE0ELb0ELb0ES3_PKS6_PS6_S6_ZZZN2at6native31launch_logcumsumexp_cuda_kernelERKNSD_10TensorBaseESH_lENKUlvE_clEvENKUlvE3_clEvEUlS6_S6_E_S6_EEDaPvRmT3_T4_T5_mT6_P12ihipStream_tbENKUlT_T0_E_clISt17integral_constantIbLb0EESX_IbLb1EEEEDaST_SU_EUlST_E0_NS1_11comp_targetILNS1_3genE0ELNS1_11target_archE4294967295ELNS1_3gpuE0ELNS1_3repE0EEENS1_30default_config_static_selectorELNS0_4arch9wavefront6targetE1EEEvT1_.numbered_sgpr, 0
	.set _ZN7rocprim17ROCPRIM_400000_NS6detail17trampoline_kernelINS0_14default_configENS1_20scan_config_selectorIN3c104HalfEEEZZNS1_9scan_implILNS1_25lookback_scan_determinismE0ELb0ELb0ES3_PKS6_PS6_S6_ZZZN2at6native31launch_logcumsumexp_cuda_kernelERKNSD_10TensorBaseESH_lENKUlvE_clEvENKUlvE3_clEvEUlS6_S6_E_S6_EEDaPvRmT3_T4_T5_mT6_P12ihipStream_tbENKUlT_T0_E_clISt17integral_constantIbLb0EESX_IbLb1EEEEDaST_SU_EUlST_E0_NS1_11comp_targetILNS1_3genE0ELNS1_11target_archE4294967295ELNS1_3gpuE0ELNS1_3repE0EEENS1_30default_config_static_selectorELNS0_4arch9wavefront6targetE1EEEvT1_.num_named_barrier, 0
	.set _ZN7rocprim17ROCPRIM_400000_NS6detail17trampoline_kernelINS0_14default_configENS1_20scan_config_selectorIN3c104HalfEEEZZNS1_9scan_implILNS1_25lookback_scan_determinismE0ELb0ELb0ES3_PKS6_PS6_S6_ZZZN2at6native31launch_logcumsumexp_cuda_kernelERKNSD_10TensorBaseESH_lENKUlvE_clEvENKUlvE3_clEvEUlS6_S6_E_S6_EEDaPvRmT3_T4_T5_mT6_P12ihipStream_tbENKUlT_T0_E_clISt17integral_constantIbLb0EESX_IbLb1EEEEDaST_SU_EUlST_E0_NS1_11comp_targetILNS1_3genE0ELNS1_11target_archE4294967295ELNS1_3gpuE0ELNS1_3repE0EEENS1_30default_config_static_selectorELNS0_4arch9wavefront6targetE1EEEvT1_.private_seg_size, 0
	.set _ZN7rocprim17ROCPRIM_400000_NS6detail17trampoline_kernelINS0_14default_configENS1_20scan_config_selectorIN3c104HalfEEEZZNS1_9scan_implILNS1_25lookback_scan_determinismE0ELb0ELb0ES3_PKS6_PS6_S6_ZZZN2at6native31launch_logcumsumexp_cuda_kernelERKNSD_10TensorBaseESH_lENKUlvE_clEvENKUlvE3_clEvEUlS6_S6_E_S6_EEDaPvRmT3_T4_T5_mT6_P12ihipStream_tbENKUlT_T0_E_clISt17integral_constantIbLb0EESX_IbLb1EEEEDaST_SU_EUlST_E0_NS1_11comp_targetILNS1_3genE0ELNS1_11target_archE4294967295ELNS1_3gpuE0ELNS1_3repE0EEENS1_30default_config_static_selectorELNS0_4arch9wavefront6targetE1EEEvT1_.uses_vcc, 0
	.set _ZN7rocprim17ROCPRIM_400000_NS6detail17trampoline_kernelINS0_14default_configENS1_20scan_config_selectorIN3c104HalfEEEZZNS1_9scan_implILNS1_25lookback_scan_determinismE0ELb0ELb0ES3_PKS6_PS6_S6_ZZZN2at6native31launch_logcumsumexp_cuda_kernelERKNSD_10TensorBaseESH_lENKUlvE_clEvENKUlvE3_clEvEUlS6_S6_E_S6_EEDaPvRmT3_T4_T5_mT6_P12ihipStream_tbENKUlT_T0_E_clISt17integral_constantIbLb0EESX_IbLb1EEEEDaST_SU_EUlST_E0_NS1_11comp_targetILNS1_3genE0ELNS1_11target_archE4294967295ELNS1_3gpuE0ELNS1_3repE0EEENS1_30default_config_static_selectorELNS0_4arch9wavefront6targetE1EEEvT1_.uses_flat_scratch, 0
	.set _ZN7rocprim17ROCPRIM_400000_NS6detail17trampoline_kernelINS0_14default_configENS1_20scan_config_selectorIN3c104HalfEEEZZNS1_9scan_implILNS1_25lookback_scan_determinismE0ELb0ELb0ES3_PKS6_PS6_S6_ZZZN2at6native31launch_logcumsumexp_cuda_kernelERKNSD_10TensorBaseESH_lENKUlvE_clEvENKUlvE3_clEvEUlS6_S6_E_S6_EEDaPvRmT3_T4_T5_mT6_P12ihipStream_tbENKUlT_T0_E_clISt17integral_constantIbLb0EESX_IbLb1EEEEDaST_SU_EUlST_E0_NS1_11comp_targetILNS1_3genE0ELNS1_11target_archE4294967295ELNS1_3gpuE0ELNS1_3repE0EEENS1_30default_config_static_selectorELNS0_4arch9wavefront6targetE1EEEvT1_.has_dyn_sized_stack, 0
	.set _ZN7rocprim17ROCPRIM_400000_NS6detail17trampoline_kernelINS0_14default_configENS1_20scan_config_selectorIN3c104HalfEEEZZNS1_9scan_implILNS1_25lookback_scan_determinismE0ELb0ELb0ES3_PKS6_PS6_S6_ZZZN2at6native31launch_logcumsumexp_cuda_kernelERKNSD_10TensorBaseESH_lENKUlvE_clEvENKUlvE3_clEvEUlS6_S6_E_S6_EEDaPvRmT3_T4_T5_mT6_P12ihipStream_tbENKUlT_T0_E_clISt17integral_constantIbLb0EESX_IbLb1EEEEDaST_SU_EUlST_E0_NS1_11comp_targetILNS1_3genE0ELNS1_11target_archE4294967295ELNS1_3gpuE0ELNS1_3repE0EEENS1_30default_config_static_selectorELNS0_4arch9wavefront6targetE1EEEvT1_.has_recursion, 0
	.set _ZN7rocprim17ROCPRIM_400000_NS6detail17trampoline_kernelINS0_14default_configENS1_20scan_config_selectorIN3c104HalfEEEZZNS1_9scan_implILNS1_25lookback_scan_determinismE0ELb0ELb0ES3_PKS6_PS6_S6_ZZZN2at6native31launch_logcumsumexp_cuda_kernelERKNSD_10TensorBaseESH_lENKUlvE_clEvENKUlvE3_clEvEUlS6_S6_E_S6_EEDaPvRmT3_T4_T5_mT6_P12ihipStream_tbENKUlT_T0_E_clISt17integral_constantIbLb0EESX_IbLb1EEEEDaST_SU_EUlST_E0_NS1_11comp_targetILNS1_3genE0ELNS1_11target_archE4294967295ELNS1_3gpuE0ELNS1_3repE0EEENS1_30default_config_static_selectorELNS0_4arch9wavefront6targetE1EEEvT1_.has_indirect_call, 0
	.section	.AMDGPU.csdata,"",@progbits
; Kernel info:
; codeLenInByte = 0
; TotalNumSgprs: 4
; NumVgprs: 0
; ScratchSize: 0
; MemoryBound: 0
; FloatMode: 240
; IeeeMode: 1
; LDSByteSize: 0 bytes/workgroup (compile time only)
; SGPRBlocks: 0
; VGPRBlocks: 0
; NumSGPRsForWavesPerEU: 4
; NumVGPRsForWavesPerEU: 1
; Occupancy: 10
; WaveLimiterHint : 0
; COMPUTE_PGM_RSRC2:SCRATCH_EN: 0
; COMPUTE_PGM_RSRC2:USER_SGPR: 6
; COMPUTE_PGM_RSRC2:TRAP_HANDLER: 0
; COMPUTE_PGM_RSRC2:TGID_X_EN: 1
; COMPUTE_PGM_RSRC2:TGID_Y_EN: 0
; COMPUTE_PGM_RSRC2:TGID_Z_EN: 0
; COMPUTE_PGM_RSRC2:TIDIG_COMP_CNT: 0
	.section	.text._ZN7rocprim17ROCPRIM_400000_NS6detail17trampoline_kernelINS0_14default_configENS1_20scan_config_selectorIN3c104HalfEEEZZNS1_9scan_implILNS1_25lookback_scan_determinismE0ELb0ELb0ES3_PKS6_PS6_S6_ZZZN2at6native31launch_logcumsumexp_cuda_kernelERKNSD_10TensorBaseESH_lENKUlvE_clEvENKUlvE3_clEvEUlS6_S6_E_S6_EEDaPvRmT3_T4_T5_mT6_P12ihipStream_tbENKUlT_T0_E_clISt17integral_constantIbLb0EESX_IbLb1EEEEDaST_SU_EUlST_E0_NS1_11comp_targetILNS1_3genE5ELNS1_11target_archE942ELNS1_3gpuE9ELNS1_3repE0EEENS1_30default_config_static_selectorELNS0_4arch9wavefront6targetE1EEEvT1_,"axG",@progbits,_ZN7rocprim17ROCPRIM_400000_NS6detail17trampoline_kernelINS0_14default_configENS1_20scan_config_selectorIN3c104HalfEEEZZNS1_9scan_implILNS1_25lookback_scan_determinismE0ELb0ELb0ES3_PKS6_PS6_S6_ZZZN2at6native31launch_logcumsumexp_cuda_kernelERKNSD_10TensorBaseESH_lENKUlvE_clEvENKUlvE3_clEvEUlS6_S6_E_S6_EEDaPvRmT3_T4_T5_mT6_P12ihipStream_tbENKUlT_T0_E_clISt17integral_constantIbLb0EESX_IbLb1EEEEDaST_SU_EUlST_E0_NS1_11comp_targetILNS1_3genE5ELNS1_11target_archE942ELNS1_3gpuE9ELNS1_3repE0EEENS1_30default_config_static_selectorELNS0_4arch9wavefront6targetE1EEEvT1_,comdat
	.globl	_ZN7rocprim17ROCPRIM_400000_NS6detail17trampoline_kernelINS0_14default_configENS1_20scan_config_selectorIN3c104HalfEEEZZNS1_9scan_implILNS1_25lookback_scan_determinismE0ELb0ELb0ES3_PKS6_PS6_S6_ZZZN2at6native31launch_logcumsumexp_cuda_kernelERKNSD_10TensorBaseESH_lENKUlvE_clEvENKUlvE3_clEvEUlS6_S6_E_S6_EEDaPvRmT3_T4_T5_mT6_P12ihipStream_tbENKUlT_T0_E_clISt17integral_constantIbLb0EESX_IbLb1EEEEDaST_SU_EUlST_E0_NS1_11comp_targetILNS1_3genE5ELNS1_11target_archE942ELNS1_3gpuE9ELNS1_3repE0EEENS1_30default_config_static_selectorELNS0_4arch9wavefront6targetE1EEEvT1_ ; -- Begin function _ZN7rocprim17ROCPRIM_400000_NS6detail17trampoline_kernelINS0_14default_configENS1_20scan_config_selectorIN3c104HalfEEEZZNS1_9scan_implILNS1_25lookback_scan_determinismE0ELb0ELb0ES3_PKS6_PS6_S6_ZZZN2at6native31launch_logcumsumexp_cuda_kernelERKNSD_10TensorBaseESH_lENKUlvE_clEvENKUlvE3_clEvEUlS6_S6_E_S6_EEDaPvRmT3_T4_T5_mT6_P12ihipStream_tbENKUlT_T0_E_clISt17integral_constantIbLb0EESX_IbLb1EEEEDaST_SU_EUlST_E0_NS1_11comp_targetILNS1_3genE5ELNS1_11target_archE942ELNS1_3gpuE9ELNS1_3repE0EEENS1_30default_config_static_selectorELNS0_4arch9wavefront6targetE1EEEvT1_
	.p2align	8
	.type	_ZN7rocprim17ROCPRIM_400000_NS6detail17trampoline_kernelINS0_14default_configENS1_20scan_config_selectorIN3c104HalfEEEZZNS1_9scan_implILNS1_25lookback_scan_determinismE0ELb0ELb0ES3_PKS6_PS6_S6_ZZZN2at6native31launch_logcumsumexp_cuda_kernelERKNSD_10TensorBaseESH_lENKUlvE_clEvENKUlvE3_clEvEUlS6_S6_E_S6_EEDaPvRmT3_T4_T5_mT6_P12ihipStream_tbENKUlT_T0_E_clISt17integral_constantIbLb0EESX_IbLb1EEEEDaST_SU_EUlST_E0_NS1_11comp_targetILNS1_3genE5ELNS1_11target_archE942ELNS1_3gpuE9ELNS1_3repE0EEENS1_30default_config_static_selectorELNS0_4arch9wavefront6targetE1EEEvT1_,@function
_ZN7rocprim17ROCPRIM_400000_NS6detail17trampoline_kernelINS0_14default_configENS1_20scan_config_selectorIN3c104HalfEEEZZNS1_9scan_implILNS1_25lookback_scan_determinismE0ELb0ELb0ES3_PKS6_PS6_S6_ZZZN2at6native31launch_logcumsumexp_cuda_kernelERKNSD_10TensorBaseESH_lENKUlvE_clEvENKUlvE3_clEvEUlS6_S6_E_S6_EEDaPvRmT3_T4_T5_mT6_P12ihipStream_tbENKUlT_T0_E_clISt17integral_constantIbLb0EESX_IbLb1EEEEDaST_SU_EUlST_E0_NS1_11comp_targetILNS1_3genE5ELNS1_11target_archE942ELNS1_3gpuE9ELNS1_3repE0EEENS1_30default_config_static_selectorELNS0_4arch9wavefront6targetE1EEEvT1_: ; @_ZN7rocprim17ROCPRIM_400000_NS6detail17trampoline_kernelINS0_14default_configENS1_20scan_config_selectorIN3c104HalfEEEZZNS1_9scan_implILNS1_25lookback_scan_determinismE0ELb0ELb0ES3_PKS6_PS6_S6_ZZZN2at6native31launch_logcumsumexp_cuda_kernelERKNSD_10TensorBaseESH_lENKUlvE_clEvENKUlvE3_clEvEUlS6_S6_E_S6_EEDaPvRmT3_T4_T5_mT6_P12ihipStream_tbENKUlT_T0_E_clISt17integral_constantIbLb0EESX_IbLb1EEEEDaST_SU_EUlST_E0_NS1_11comp_targetILNS1_3genE5ELNS1_11target_archE942ELNS1_3gpuE9ELNS1_3repE0EEENS1_30default_config_static_selectorELNS0_4arch9wavefront6targetE1EEEvT1_
; %bb.0:
	.section	.rodata,"a",@progbits
	.p2align	6, 0x0
	.amdhsa_kernel _ZN7rocprim17ROCPRIM_400000_NS6detail17trampoline_kernelINS0_14default_configENS1_20scan_config_selectorIN3c104HalfEEEZZNS1_9scan_implILNS1_25lookback_scan_determinismE0ELb0ELb0ES3_PKS6_PS6_S6_ZZZN2at6native31launch_logcumsumexp_cuda_kernelERKNSD_10TensorBaseESH_lENKUlvE_clEvENKUlvE3_clEvEUlS6_S6_E_S6_EEDaPvRmT3_T4_T5_mT6_P12ihipStream_tbENKUlT_T0_E_clISt17integral_constantIbLb0EESX_IbLb1EEEEDaST_SU_EUlST_E0_NS1_11comp_targetILNS1_3genE5ELNS1_11target_archE942ELNS1_3gpuE9ELNS1_3repE0EEENS1_30default_config_static_selectorELNS0_4arch9wavefront6targetE1EEEvT1_
		.amdhsa_group_segment_fixed_size 0
		.amdhsa_private_segment_fixed_size 0
		.amdhsa_kernarg_size 32
		.amdhsa_user_sgpr_count 6
		.amdhsa_user_sgpr_private_segment_buffer 1
		.amdhsa_user_sgpr_dispatch_ptr 0
		.amdhsa_user_sgpr_queue_ptr 0
		.amdhsa_user_sgpr_kernarg_segment_ptr 1
		.amdhsa_user_sgpr_dispatch_id 0
		.amdhsa_user_sgpr_flat_scratch_init 0
		.amdhsa_user_sgpr_private_segment_size 0
		.amdhsa_uses_dynamic_stack 0
		.amdhsa_system_sgpr_private_segment_wavefront_offset 0
		.amdhsa_system_sgpr_workgroup_id_x 1
		.amdhsa_system_sgpr_workgroup_id_y 0
		.amdhsa_system_sgpr_workgroup_id_z 0
		.amdhsa_system_sgpr_workgroup_info 0
		.amdhsa_system_vgpr_workitem_id 0
		.amdhsa_next_free_vgpr 1
		.amdhsa_next_free_sgpr 0
		.amdhsa_reserve_vcc 0
		.amdhsa_reserve_flat_scratch 0
		.amdhsa_float_round_mode_32 0
		.amdhsa_float_round_mode_16_64 0
		.amdhsa_float_denorm_mode_32 3
		.amdhsa_float_denorm_mode_16_64 3
		.amdhsa_dx10_clamp 1
		.amdhsa_ieee_mode 1
		.amdhsa_fp16_overflow 0
		.amdhsa_exception_fp_ieee_invalid_op 0
		.amdhsa_exception_fp_denorm_src 0
		.amdhsa_exception_fp_ieee_div_zero 0
		.amdhsa_exception_fp_ieee_overflow 0
		.amdhsa_exception_fp_ieee_underflow 0
		.amdhsa_exception_fp_ieee_inexact 0
		.amdhsa_exception_int_div_zero 0
	.end_amdhsa_kernel
	.section	.text._ZN7rocprim17ROCPRIM_400000_NS6detail17trampoline_kernelINS0_14default_configENS1_20scan_config_selectorIN3c104HalfEEEZZNS1_9scan_implILNS1_25lookback_scan_determinismE0ELb0ELb0ES3_PKS6_PS6_S6_ZZZN2at6native31launch_logcumsumexp_cuda_kernelERKNSD_10TensorBaseESH_lENKUlvE_clEvENKUlvE3_clEvEUlS6_S6_E_S6_EEDaPvRmT3_T4_T5_mT6_P12ihipStream_tbENKUlT_T0_E_clISt17integral_constantIbLb0EESX_IbLb1EEEEDaST_SU_EUlST_E0_NS1_11comp_targetILNS1_3genE5ELNS1_11target_archE942ELNS1_3gpuE9ELNS1_3repE0EEENS1_30default_config_static_selectorELNS0_4arch9wavefront6targetE1EEEvT1_,"axG",@progbits,_ZN7rocprim17ROCPRIM_400000_NS6detail17trampoline_kernelINS0_14default_configENS1_20scan_config_selectorIN3c104HalfEEEZZNS1_9scan_implILNS1_25lookback_scan_determinismE0ELb0ELb0ES3_PKS6_PS6_S6_ZZZN2at6native31launch_logcumsumexp_cuda_kernelERKNSD_10TensorBaseESH_lENKUlvE_clEvENKUlvE3_clEvEUlS6_S6_E_S6_EEDaPvRmT3_T4_T5_mT6_P12ihipStream_tbENKUlT_T0_E_clISt17integral_constantIbLb0EESX_IbLb1EEEEDaST_SU_EUlST_E0_NS1_11comp_targetILNS1_3genE5ELNS1_11target_archE942ELNS1_3gpuE9ELNS1_3repE0EEENS1_30default_config_static_selectorELNS0_4arch9wavefront6targetE1EEEvT1_,comdat
.Lfunc_end426:
	.size	_ZN7rocprim17ROCPRIM_400000_NS6detail17trampoline_kernelINS0_14default_configENS1_20scan_config_selectorIN3c104HalfEEEZZNS1_9scan_implILNS1_25lookback_scan_determinismE0ELb0ELb0ES3_PKS6_PS6_S6_ZZZN2at6native31launch_logcumsumexp_cuda_kernelERKNSD_10TensorBaseESH_lENKUlvE_clEvENKUlvE3_clEvEUlS6_S6_E_S6_EEDaPvRmT3_T4_T5_mT6_P12ihipStream_tbENKUlT_T0_E_clISt17integral_constantIbLb0EESX_IbLb1EEEEDaST_SU_EUlST_E0_NS1_11comp_targetILNS1_3genE5ELNS1_11target_archE942ELNS1_3gpuE9ELNS1_3repE0EEENS1_30default_config_static_selectorELNS0_4arch9wavefront6targetE1EEEvT1_, .Lfunc_end426-_ZN7rocprim17ROCPRIM_400000_NS6detail17trampoline_kernelINS0_14default_configENS1_20scan_config_selectorIN3c104HalfEEEZZNS1_9scan_implILNS1_25lookback_scan_determinismE0ELb0ELb0ES3_PKS6_PS6_S6_ZZZN2at6native31launch_logcumsumexp_cuda_kernelERKNSD_10TensorBaseESH_lENKUlvE_clEvENKUlvE3_clEvEUlS6_S6_E_S6_EEDaPvRmT3_T4_T5_mT6_P12ihipStream_tbENKUlT_T0_E_clISt17integral_constantIbLb0EESX_IbLb1EEEEDaST_SU_EUlST_E0_NS1_11comp_targetILNS1_3genE5ELNS1_11target_archE942ELNS1_3gpuE9ELNS1_3repE0EEENS1_30default_config_static_selectorELNS0_4arch9wavefront6targetE1EEEvT1_
                                        ; -- End function
	.set _ZN7rocprim17ROCPRIM_400000_NS6detail17trampoline_kernelINS0_14default_configENS1_20scan_config_selectorIN3c104HalfEEEZZNS1_9scan_implILNS1_25lookback_scan_determinismE0ELb0ELb0ES3_PKS6_PS6_S6_ZZZN2at6native31launch_logcumsumexp_cuda_kernelERKNSD_10TensorBaseESH_lENKUlvE_clEvENKUlvE3_clEvEUlS6_S6_E_S6_EEDaPvRmT3_T4_T5_mT6_P12ihipStream_tbENKUlT_T0_E_clISt17integral_constantIbLb0EESX_IbLb1EEEEDaST_SU_EUlST_E0_NS1_11comp_targetILNS1_3genE5ELNS1_11target_archE942ELNS1_3gpuE9ELNS1_3repE0EEENS1_30default_config_static_selectorELNS0_4arch9wavefront6targetE1EEEvT1_.num_vgpr, 0
	.set _ZN7rocprim17ROCPRIM_400000_NS6detail17trampoline_kernelINS0_14default_configENS1_20scan_config_selectorIN3c104HalfEEEZZNS1_9scan_implILNS1_25lookback_scan_determinismE0ELb0ELb0ES3_PKS6_PS6_S6_ZZZN2at6native31launch_logcumsumexp_cuda_kernelERKNSD_10TensorBaseESH_lENKUlvE_clEvENKUlvE3_clEvEUlS6_S6_E_S6_EEDaPvRmT3_T4_T5_mT6_P12ihipStream_tbENKUlT_T0_E_clISt17integral_constantIbLb0EESX_IbLb1EEEEDaST_SU_EUlST_E0_NS1_11comp_targetILNS1_3genE5ELNS1_11target_archE942ELNS1_3gpuE9ELNS1_3repE0EEENS1_30default_config_static_selectorELNS0_4arch9wavefront6targetE1EEEvT1_.num_agpr, 0
	.set _ZN7rocprim17ROCPRIM_400000_NS6detail17trampoline_kernelINS0_14default_configENS1_20scan_config_selectorIN3c104HalfEEEZZNS1_9scan_implILNS1_25lookback_scan_determinismE0ELb0ELb0ES3_PKS6_PS6_S6_ZZZN2at6native31launch_logcumsumexp_cuda_kernelERKNSD_10TensorBaseESH_lENKUlvE_clEvENKUlvE3_clEvEUlS6_S6_E_S6_EEDaPvRmT3_T4_T5_mT6_P12ihipStream_tbENKUlT_T0_E_clISt17integral_constantIbLb0EESX_IbLb1EEEEDaST_SU_EUlST_E0_NS1_11comp_targetILNS1_3genE5ELNS1_11target_archE942ELNS1_3gpuE9ELNS1_3repE0EEENS1_30default_config_static_selectorELNS0_4arch9wavefront6targetE1EEEvT1_.numbered_sgpr, 0
	.set _ZN7rocprim17ROCPRIM_400000_NS6detail17trampoline_kernelINS0_14default_configENS1_20scan_config_selectorIN3c104HalfEEEZZNS1_9scan_implILNS1_25lookback_scan_determinismE0ELb0ELb0ES3_PKS6_PS6_S6_ZZZN2at6native31launch_logcumsumexp_cuda_kernelERKNSD_10TensorBaseESH_lENKUlvE_clEvENKUlvE3_clEvEUlS6_S6_E_S6_EEDaPvRmT3_T4_T5_mT6_P12ihipStream_tbENKUlT_T0_E_clISt17integral_constantIbLb0EESX_IbLb1EEEEDaST_SU_EUlST_E0_NS1_11comp_targetILNS1_3genE5ELNS1_11target_archE942ELNS1_3gpuE9ELNS1_3repE0EEENS1_30default_config_static_selectorELNS0_4arch9wavefront6targetE1EEEvT1_.num_named_barrier, 0
	.set _ZN7rocprim17ROCPRIM_400000_NS6detail17trampoline_kernelINS0_14default_configENS1_20scan_config_selectorIN3c104HalfEEEZZNS1_9scan_implILNS1_25lookback_scan_determinismE0ELb0ELb0ES3_PKS6_PS6_S6_ZZZN2at6native31launch_logcumsumexp_cuda_kernelERKNSD_10TensorBaseESH_lENKUlvE_clEvENKUlvE3_clEvEUlS6_S6_E_S6_EEDaPvRmT3_T4_T5_mT6_P12ihipStream_tbENKUlT_T0_E_clISt17integral_constantIbLb0EESX_IbLb1EEEEDaST_SU_EUlST_E0_NS1_11comp_targetILNS1_3genE5ELNS1_11target_archE942ELNS1_3gpuE9ELNS1_3repE0EEENS1_30default_config_static_selectorELNS0_4arch9wavefront6targetE1EEEvT1_.private_seg_size, 0
	.set _ZN7rocprim17ROCPRIM_400000_NS6detail17trampoline_kernelINS0_14default_configENS1_20scan_config_selectorIN3c104HalfEEEZZNS1_9scan_implILNS1_25lookback_scan_determinismE0ELb0ELb0ES3_PKS6_PS6_S6_ZZZN2at6native31launch_logcumsumexp_cuda_kernelERKNSD_10TensorBaseESH_lENKUlvE_clEvENKUlvE3_clEvEUlS6_S6_E_S6_EEDaPvRmT3_T4_T5_mT6_P12ihipStream_tbENKUlT_T0_E_clISt17integral_constantIbLb0EESX_IbLb1EEEEDaST_SU_EUlST_E0_NS1_11comp_targetILNS1_3genE5ELNS1_11target_archE942ELNS1_3gpuE9ELNS1_3repE0EEENS1_30default_config_static_selectorELNS0_4arch9wavefront6targetE1EEEvT1_.uses_vcc, 0
	.set _ZN7rocprim17ROCPRIM_400000_NS6detail17trampoline_kernelINS0_14default_configENS1_20scan_config_selectorIN3c104HalfEEEZZNS1_9scan_implILNS1_25lookback_scan_determinismE0ELb0ELb0ES3_PKS6_PS6_S6_ZZZN2at6native31launch_logcumsumexp_cuda_kernelERKNSD_10TensorBaseESH_lENKUlvE_clEvENKUlvE3_clEvEUlS6_S6_E_S6_EEDaPvRmT3_T4_T5_mT6_P12ihipStream_tbENKUlT_T0_E_clISt17integral_constantIbLb0EESX_IbLb1EEEEDaST_SU_EUlST_E0_NS1_11comp_targetILNS1_3genE5ELNS1_11target_archE942ELNS1_3gpuE9ELNS1_3repE0EEENS1_30default_config_static_selectorELNS0_4arch9wavefront6targetE1EEEvT1_.uses_flat_scratch, 0
	.set _ZN7rocprim17ROCPRIM_400000_NS6detail17trampoline_kernelINS0_14default_configENS1_20scan_config_selectorIN3c104HalfEEEZZNS1_9scan_implILNS1_25lookback_scan_determinismE0ELb0ELb0ES3_PKS6_PS6_S6_ZZZN2at6native31launch_logcumsumexp_cuda_kernelERKNSD_10TensorBaseESH_lENKUlvE_clEvENKUlvE3_clEvEUlS6_S6_E_S6_EEDaPvRmT3_T4_T5_mT6_P12ihipStream_tbENKUlT_T0_E_clISt17integral_constantIbLb0EESX_IbLb1EEEEDaST_SU_EUlST_E0_NS1_11comp_targetILNS1_3genE5ELNS1_11target_archE942ELNS1_3gpuE9ELNS1_3repE0EEENS1_30default_config_static_selectorELNS0_4arch9wavefront6targetE1EEEvT1_.has_dyn_sized_stack, 0
	.set _ZN7rocprim17ROCPRIM_400000_NS6detail17trampoline_kernelINS0_14default_configENS1_20scan_config_selectorIN3c104HalfEEEZZNS1_9scan_implILNS1_25lookback_scan_determinismE0ELb0ELb0ES3_PKS6_PS6_S6_ZZZN2at6native31launch_logcumsumexp_cuda_kernelERKNSD_10TensorBaseESH_lENKUlvE_clEvENKUlvE3_clEvEUlS6_S6_E_S6_EEDaPvRmT3_T4_T5_mT6_P12ihipStream_tbENKUlT_T0_E_clISt17integral_constantIbLb0EESX_IbLb1EEEEDaST_SU_EUlST_E0_NS1_11comp_targetILNS1_3genE5ELNS1_11target_archE942ELNS1_3gpuE9ELNS1_3repE0EEENS1_30default_config_static_selectorELNS0_4arch9wavefront6targetE1EEEvT1_.has_recursion, 0
	.set _ZN7rocprim17ROCPRIM_400000_NS6detail17trampoline_kernelINS0_14default_configENS1_20scan_config_selectorIN3c104HalfEEEZZNS1_9scan_implILNS1_25lookback_scan_determinismE0ELb0ELb0ES3_PKS6_PS6_S6_ZZZN2at6native31launch_logcumsumexp_cuda_kernelERKNSD_10TensorBaseESH_lENKUlvE_clEvENKUlvE3_clEvEUlS6_S6_E_S6_EEDaPvRmT3_T4_T5_mT6_P12ihipStream_tbENKUlT_T0_E_clISt17integral_constantIbLb0EESX_IbLb1EEEEDaST_SU_EUlST_E0_NS1_11comp_targetILNS1_3genE5ELNS1_11target_archE942ELNS1_3gpuE9ELNS1_3repE0EEENS1_30default_config_static_selectorELNS0_4arch9wavefront6targetE1EEEvT1_.has_indirect_call, 0
	.section	.AMDGPU.csdata,"",@progbits
; Kernel info:
; codeLenInByte = 0
; TotalNumSgprs: 4
; NumVgprs: 0
; ScratchSize: 0
; MemoryBound: 0
; FloatMode: 240
; IeeeMode: 1
; LDSByteSize: 0 bytes/workgroup (compile time only)
; SGPRBlocks: 0
; VGPRBlocks: 0
; NumSGPRsForWavesPerEU: 4
; NumVGPRsForWavesPerEU: 1
; Occupancy: 10
; WaveLimiterHint : 0
; COMPUTE_PGM_RSRC2:SCRATCH_EN: 0
; COMPUTE_PGM_RSRC2:USER_SGPR: 6
; COMPUTE_PGM_RSRC2:TRAP_HANDLER: 0
; COMPUTE_PGM_RSRC2:TGID_X_EN: 1
; COMPUTE_PGM_RSRC2:TGID_Y_EN: 0
; COMPUTE_PGM_RSRC2:TGID_Z_EN: 0
; COMPUTE_PGM_RSRC2:TIDIG_COMP_CNT: 0
	.section	.text._ZN7rocprim17ROCPRIM_400000_NS6detail17trampoline_kernelINS0_14default_configENS1_20scan_config_selectorIN3c104HalfEEEZZNS1_9scan_implILNS1_25lookback_scan_determinismE0ELb0ELb0ES3_PKS6_PS6_S6_ZZZN2at6native31launch_logcumsumexp_cuda_kernelERKNSD_10TensorBaseESH_lENKUlvE_clEvENKUlvE3_clEvEUlS6_S6_E_S6_EEDaPvRmT3_T4_T5_mT6_P12ihipStream_tbENKUlT_T0_E_clISt17integral_constantIbLb0EESX_IbLb1EEEEDaST_SU_EUlST_E0_NS1_11comp_targetILNS1_3genE4ELNS1_11target_archE910ELNS1_3gpuE8ELNS1_3repE0EEENS1_30default_config_static_selectorELNS0_4arch9wavefront6targetE1EEEvT1_,"axG",@progbits,_ZN7rocprim17ROCPRIM_400000_NS6detail17trampoline_kernelINS0_14default_configENS1_20scan_config_selectorIN3c104HalfEEEZZNS1_9scan_implILNS1_25lookback_scan_determinismE0ELb0ELb0ES3_PKS6_PS6_S6_ZZZN2at6native31launch_logcumsumexp_cuda_kernelERKNSD_10TensorBaseESH_lENKUlvE_clEvENKUlvE3_clEvEUlS6_S6_E_S6_EEDaPvRmT3_T4_T5_mT6_P12ihipStream_tbENKUlT_T0_E_clISt17integral_constantIbLb0EESX_IbLb1EEEEDaST_SU_EUlST_E0_NS1_11comp_targetILNS1_3genE4ELNS1_11target_archE910ELNS1_3gpuE8ELNS1_3repE0EEENS1_30default_config_static_selectorELNS0_4arch9wavefront6targetE1EEEvT1_,comdat
	.globl	_ZN7rocprim17ROCPRIM_400000_NS6detail17trampoline_kernelINS0_14default_configENS1_20scan_config_selectorIN3c104HalfEEEZZNS1_9scan_implILNS1_25lookback_scan_determinismE0ELb0ELb0ES3_PKS6_PS6_S6_ZZZN2at6native31launch_logcumsumexp_cuda_kernelERKNSD_10TensorBaseESH_lENKUlvE_clEvENKUlvE3_clEvEUlS6_S6_E_S6_EEDaPvRmT3_T4_T5_mT6_P12ihipStream_tbENKUlT_T0_E_clISt17integral_constantIbLb0EESX_IbLb1EEEEDaST_SU_EUlST_E0_NS1_11comp_targetILNS1_3genE4ELNS1_11target_archE910ELNS1_3gpuE8ELNS1_3repE0EEENS1_30default_config_static_selectorELNS0_4arch9wavefront6targetE1EEEvT1_ ; -- Begin function _ZN7rocprim17ROCPRIM_400000_NS6detail17trampoline_kernelINS0_14default_configENS1_20scan_config_selectorIN3c104HalfEEEZZNS1_9scan_implILNS1_25lookback_scan_determinismE0ELb0ELb0ES3_PKS6_PS6_S6_ZZZN2at6native31launch_logcumsumexp_cuda_kernelERKNSD_10TensorBaseESH_lENKUlvE_clEvENKUlvE3_clEvEUlS6_S6_E_S6_EEDaPvRmT3_T4_T5_mT6_P12ihipStream_tbENKUlT_T0_E_clISt17integral_constantIbLb0EESX_IbLb1EEEEDaST_SU_EUlST_E0_NS1_11comp_targetILNS1_3genE4ELNS1_11target_archE910ELNS1_3gpuE8ELNS1_3repE0EEENS1_30default_config_static_selectorELNS0_4arch9wavefront6targetE1EEEvT1_
	.p2align	8
	.type	_ZN7rocprim17ROCPRIM_400000_NS6detail17trampoline_kernelINS0_14default_configENS1_20scan_config_selectorIN3c104HalfEEEZZNS1_9scan_implILNS1_25lookback_scan_determinismE0ELb0ELb0ES3_PKS6_PS6_S6_ZZZN2at6native31launch_logcumsumexp_cuda_kernelERKNSD_10TensorBaseESH_lENKUlvE_clEvENKUlvE3_clEvEUlS6_S6_E_S6_EEDaPvRmT3_T4_T5_mT6_P12ihipStream_tbENKUlT_T0_E_clISt17integral_constantIbLb0EESX_IbLb1EEEEDaST_SU_EUlST_E0_NS1_11comp_targetILNS1_3genE4ELNS1_11target_archE910ELNS1_3gpuE8ELNS1_3repE0EEENS1_30default_config_static_selectorELNS0_4arch9wavefront6targetE1EEEvT1_,@function
_ZN7rocprim17ROCPRIM_400000_NS6detail17trampoline_kernelINS0_14default_configENS1_20scan_config_selectorIN3c104HalfEEEZZNS1_9scan_implILNS1_25lookback_scan_determinismE0ELb0ELb0ES3_PKS6_PS6_S6_ZZZN2at6native31launch_logcumsumexp_cuda_kernelERKNSD_10TensorBaseESH_lENKUlvE_clEvENKUlvE3_clEvEUlS6_S6_E_S6_EEDaPvRmT3_T4_T5_mT6_P12ihipStream_tbENKUlT_T0_E_clISt17integral_constantIbLb0EESX_IbLb1EEEEDaST_SU_EUlST_E0_NS1_11comp_targetILNS1_3genE4ELNS1_11target_archE910ELNS1_3gpuE8ELNS1_3repE0EEENS1_30default_config_static_selectorELNS0_4arch9wavefront6targetE1EEEvT1_: ; @_ZN7rocprim17ROCPRIM_400000_NS6detail17trampoline_kernelINS0_14default_configENS1_20scan_config_selectorIN3c104HalfEEEZZNS1_9scan_implILNS1_25lookback_scan_determinismE0ELb0ELb0ES3_PKS6_PS6_S6_ZZZN2at6native31launch_logcumsumexp_cuda_kernelERKNSD_10TensorBaseESH_lENKUlvE_clEvENKUlvE3_clEvEUlS6_S6_E_S6_EEDaPvRmT3_T4_T5_mT6_P12ihipStream_tbENKUlT_T0_E_clISt17integral_constantIbLb0EESX_IbLb1EEEEDaST_SU_EUlST_E0_NS1_11comp_targetILNS1_3genE4ELNS1_11target_archE910ELNS1_3gpuE8ELNS1_3repE0EEENS1_30default_config_static_selectorELNS0_4arch9wavefront6targetE1EEEvT1_
; %bb.0:
	.section	.rodata,"a",@progbits
	.p2align	6, 0x0
	.amdhsa_kernel _ZN7rocprim17ROCPRIM_400000_NS6detail17trampoline_kernelINS0_14default_configENS1_20scan_config_selectorIN3c104HalfEEEZZNS1_9scan_implILNS1_25lookback_scan_determinismE0ELb0ELb0ES3_PKS6_PS6_S6_ZZZN2at6native31launch_logcumsumexp_cuda_kernelERKNSD_10TensorBaseESH_lENKUlvE_clEvENKUlvE3_clEvEUlS6_S6_E_S6_EEDaPvRmT3_T4_T5_mT6_P12ihipStream_tbENKUlT_T0_E_clISt17integral_constantIbLb0EESX_IbLb1EEEEDaST_SU_EUlST_E0_NS1_11comp_targetILNS1_3genE4ELNS1_11target_archE910ELNS1_3gpuE8ELNS1_3repE0EEENS1_30default_config_static_selectorELNS0_4arch9wavefront6targetE1EEEvT1_
		.amdhsa_group_segment_fixed_size 0
		.amdhsa_private_segment_fixed_size 0
		.amdhsa_kernarg_size 32
		.amdhsa_user_sgpr_count 6
		.amdhsa_user_sgpr_private_segment_buffer 1
		.amdhsa_user_sgpr_dispatch_ptr 0
		.amdhsa_user_sgpr_queue_ptr 0
		.amdhsa_user_sgpr_kernarg_segment_ptr 1
		.amdhsa_user_sgpr_dispatch_id 0
		.amdhsa_user_sgpr_flat_scratch_init 0
		.amdhsa_user_sgpr_private_segment_size 0
		.amdhsa_uses_dynamic_stack 0
		.amdhsa_system_sgpr_private_segment_wavefront_offset 0
		.amdhsa_system_sgpr_workgroup_id_x 1
		.amdhsa_system_sgpr_workgroup_id_y 0
		.amdhsa_system_sgpr_workgroup_id_z 0
		.amdhsa_system_sgpr_workgroup_info 0
		.amdhsa_system_vgpr_workitem_id 0
		.amdhsa_next_free_vgpr 1
		.amdhsa_next_free_sgpr 0
		.amdhsa_reserve_vcc 0
		.amdhsa_reserve_flat_scratch 0
		.amdhsa_float_round_mode_32 0
		.amdhsa_float_round_mode_16_64 0
		.amdhsa_float_denorm_mode_32 3
		.amdhsa_float_denorm_mode_16_64 3
		.amdhsa_dx10_clamp 1
		.amdhsa_ieee_mode 1
		.amdhsa_fp16_overflow 0
		.amdhsa_exception_fp_ieee_invalid_op 0
		.amdhsa_exception_fp_denorm_src 0
		.amdhsa_exception_fp_ieee_div_zero 0
		.amdhsa_exception_fp_ieee_overflow 0
		.amdhsa_exception_fp_ieee_underflow 0
		.amdhsa_exception_fp_ieee_inexact 0
		.amdhsa_exception_int_div_zero 0
	.end_amdhsa_kernel
	.section	.text._ZN7rocprim17ROCPRIM_400000_NS6detail17trampoline_kernelINS0_14default_configENS1_20scan_config_selectorIN3c104HalfEEEZZNS1_9scan_implILNS1_25lookback_scan_determinismE0ELb0ELb0ES3_PKS6_PS6_S6_ZZZN2at6native31launch_logcumsumexp_cuda_kernelERKNSD_10TensorBaseESH_lENKUlvE_clEvENKUlvE3_clEvEUlS6_S6_E_S6_EEDaPvRmT3_T4_T5_mT6_P12ihipStream_tbENKUlT_T0_E_clISt17integral_constantIbLb0EESX_IbLb1EEEEDaST_SU_EUlST_E0_NS1_11comp_targetILNS1_3genE4ELNS1_11target_archE910ELNS1_3gpuE8ELNS1_3repE0EEENS1_30default_config_static_selectorELNS0_4arch9wavefront6targetE1EEEvT1_,"axG",@progbits,_ZN7rocprim17ROCPRIM_400000_NS6detail17trampoline_kernelINS0_14default_configENS1_20scan_config_selectorIN3c104HalfEEEZZNS1_9scan_implILNS1_25lookback_scan_determinismE0ELb0ELb0ES3_PKS6_PS6_S6_ZZZN2at6native31launch_logcumsumexp_cuda_kernelERKNSD_10TensorBaseESH_lENKUlvE_clEvENKUlvE3_clEvEUlS6_S6_E_S6_EEDaPvRmT3_T4_T5_mT6_P12ihipStream_tbENKUlT_T0_E_clISt17integral_constantIbLb0EESX_IbLb1EEEEDaST_SU_EUlST_E0_NS1_11comp_targetILNS1_3genE4ELNS1_11target_archE910ELNS1_3gpuE8ELNS1_3repE0EEENS1_30default_config_static_selectorELNS0_4arch9wavefront6targetE1EEEvT1_,comdat
.Lfunc_end427:
	.size	_ZN7rocprim17ROCPRIM_400000_NS6detail17trampoline_kernelINS0_14default_configENS1_20scan_config_selectorIN3c104HalfEEEZZNS1_9scan_implILNS1_25lookback_scan_determinismE0ELb0ELb0ES3_PKS6_PS6_S6_ZZZN2at6native31launch_logcumsumexp_cuda_kernelERKNSD_10TensorBaseESH_lENKUlvE_clEvENKUlvE3_clEvEUlS6_S6_E_S6_EEDaPvRmT3_T4_T5_mT6_P12ihipStream_tbENKUlT_T0_E_clISt17integral_constantIbLb0EESX_IbLb1EEEEDaST_SU_EUlST_E0_NS1_11comp_targetILNS1_3genE4ELNS1_11target_archE910ELNS1_3gpuE8ELNS1_3repE0EEENS1_30default_config_static_selectorELNS0_4arch9wavefront6targetE1EEEvT1_, .Lfunc_end427-_ZN7rocprim17ROCPRIM_400000_NS6detail17trampoline_kernelINS0_14default_configENS1_20scan_config_selectorIN3c104HalfEEEZZNS1_9scan_implILNS1_25lookback_scan_determinismE0ELb0ELb0ES3_PKS6_PS6_S6_ZZZN2at6native31launch_logcumsumexp_cuda_kernelERKNSD_10TensorBaseESH_lENKUlvE_clEvENKUlvE3_clEvEUlS6_S6_E_S6_EEDaPvRmT3_T4_T5_mT6_P12ihipStream_tbENKUlT_T0_E_clISt17integral_constantIbLb0EESX_IbLb1EEEEDaST_SU_EUlST_E0_NS1_11comp_targetILNS1_3genE4ELNS1_11target_archE910ELNS1_3gpuE8ELNS1_3repE0EEENS1_30default_config_static_selectorELNS0_4arch9wavefront6targetE1EEEvT1_
                                        ; -- End function
	.set _ZN7rocprim17ROCPRIM_400000_NS6detail17trampoline_kernelINS0_14default_configENS1_20scan_config_selectorIN3c104HalfEEEZZNS1_9scan_implILNS1_25lookback_scan_determinismE0ELb0ELb0ES3_PKS6_PS6_S6_ZZZN2at6native31launch_logcumsumexp_cuda_kernelERKNSD_10TensorBaseESH_lENKUlvE_clEvENKUlvE3_clEvEUlS6_S6_E_S6_EEDaPvRmT3_T4_T5_mT6_P12ihipStream_tbENKUlT_T0_E_clISt17integral_constantIbLb0EESX_IbLb1EEEEDaST_SU_EUlST_E0_NS1_11comp_targetILNS1_3genE4ELNS1_11target_archE910ELNS1_3gpuE8ELNS1_3repE0EEENS1_30default_config_static_selectorELNS0_4arch9wavefront6targetE1EEEvT1_.num_vgpr, 0
	.set _ZN7rocprim17ROCPRIM_400000_NS6detail17trampoline_kernelINS0_14default_configENS1_20scan_config_selectorIN3c104HalfEEEZZNS1_9scan_implILNS1_25lookback_scan_determinismE0ELb0ELb0ES3_PKS6_PS6_S6_ZZZN2at6native31launch_logcumsumexp_cuda_kernelERKNSD_10TensorBaseESH_lENKUlvE_clEvENKUlvE3_clEvEUlS6_S6_E_S6_EEDaPvRmT3_T4_T5_mT6_P12ihipStream_tbENKUlT_T0_E_clISt17integral_constantIbLb0EESX_IbLb1EEEEDaST_SU_EUlST_E0_NS1_11comp_targetILNS1_3genE4ELNS1_11target_archE910ELNS1_3gpuE8ELNS1_3repE0EEENS1_30default_config_static_selectorELNS0_4arch9wavefront6targetE1EEEvT1_.num_agpr, 0
	.set _ZN7rocprim17ROCPRIM_400000_NS6detail17trampoline_kernelINS0_14default_configENS1_20scan_config_selectorIN3c104HalfEEEZZNS1_9scan_implILNS1_25lookback_scan_determinismE0ELb0ELb0ES3_PKS6_PS6_S6_ZZZN2at6native31launch_logcumsumexp_cuda_kernelERKNSD_10TensorBaseESH_lENKUlvE_clEvENKUlvE3_clEvEUlS6_S6_E_S6_EEDaPvRmT3_T4_T5_mT6_P12ihipStream_tbENKUlT_T0_E_clISt17integral_constantIbLb0EESX_IbLb1EEEEDaST_SU_EUlST_E0_NS1_11comp_targetILNS1_3genE4ELNS1_11target_archE910ELNS1_3gpuE8ELNS1_3repE0EEENS1_30default_config_static_selectorELNS0_4arch9wavefront6targetE1EEEvT1_.numbered_sgpr, 0
	.set _ZN7rocprim17ROCPRIM_400000_NS6detail17trampoline_kernelINS0_14default_configENS1_20scan_config_selectorIN3c104HalfEEEZZNS1_9scan_implILNS1_25lookback_scan_determinismE0ELb0ELb0ES3_PKS6_PS6_S6_ZZZN2at6native31launch_logcumsumexp_cuda_kernelERKNSD_10TensorBaseESH_lENKUlvE_clEvENKUlvE3_clEvEUlS6_S6_E_S6_EEDaPvRmT3_T4_T5_mT6_P12ihipStream_tbENKUlT_T0_E_clISt17integral_constantIbLb0EESX_IbLb1EEEEDaST_SU_EUlST_E0_NS1_11comp_targetILNS1_3genE4ELNS1_11target_archE910ELNS1_3gpuE8ELNS1_3repE0EEENS1_30default_config_static_selectorELNS0_4arch9wavefront6targetE1EEEvT1_.num_named_barrier, 0
	.set _ZN7rocprim17ROCPRIM_400000_NS6detail17trampoline_kernelINS0_14default_configENS1_20scan_config_selectorIN3c104HalfEEEZZNS1_9scan_implILNS1_25lookback_scan_determinismE0ELb0ELb0ES3_PKS6_PS6_S6_ZZZN2at6native31launch_logcumsumexp_cuda_kernelERKNSD_10TensorBaseESH_lENKUlvE_clEvENKUlvE3_clEvEUlS6_S6_E_S6_EEDaPvRmT3_T4_T5_mT6_P12ihipStream_tbENKUlT_T0_E_clISt17integral_constantIbLb0EESX_IbLb1EEEEDaST_SU_EUlST_E0_NS1_11comp_targetILNS1_3genE4ELNS1_11target_archE910ELNS1_3gpuE8ELNS1_3repE0EEENS1_30default_config_static_selectorELNS0_4arch9wavefront6targetE1EEEvT1_.private_seg_size, 0
	.set _ZN7rocprim17ROCPRIM_400000_NS6detail17trampoline_kernelINS0_14default_configENS1_20scan_config_selectorIN3c104HalfEEEZZNS1_9scan_implILNS1_25lookback_scan_determinismE0ELb0ELb0ES3_PKS6_PS6_S6_ZZZN2at6native31launch_logcumsumexp_cuda_kernelERKNSD_10TensorBaseESH_lENKUlvE_clEvENKUlvE3_clEvEUlS6_S6_E_S6_EEDaPvRmT3_T4_T5_mT6_P12ihipStream_tbENKUlT_T0_E_clISt17integral_constantIbLb0EESX_IbLb1EEEEDaST_SU_EUlST_E0_NS1_11comp_targetILNS1_3genE4ELNS1_11target_archE910ELNS1_3gpuE8ELNS1_3repE0EEENS1_30default_config_static_selectorELNS0_4arch9wavefront6targetE1EEEvT1_.uses_vcc, 0
	.set _ZN7rocprim17ROCPRIM_400000_NS6detail17trampoline_kernelINS0_14default_configENS1_20scan_config_selectorIN3c104HalfEEEZZNS1_9scan_implILNS1_25lookback_scan_determinismE0ELb0ELb0ES3_PKS6_PS6_S6_ZZZN2at6native31launch_logcumsumexp_cuda_kernelERKNSD_10TensorBaseESH_lENKUlvE_clEvENKUlvE3_clEvEUlS6_S6_E_S6_EEDaPvRmT3_T4_T5_mT6_P12ihipStream_tbENKUlT_T0_E_clISt17integral_constantIbLb0EESX_IbLb1EEEEDaST_SU_EUlST_E0_NS1_11comp_targetILNS1_3genE4ELNS1_11target_archE910ELNS1_3gpuE8ELNS1_3repE0EEENS1_30default_config_static_selectorELNS0_4arch9wavefront6targetE1EEEvT1_.uses_flat_scratch, 0
	.set _ZN7rocprim17ROCPRIM_400000_NS6detail17trampoline_kernelINS0_14default_configENS1_20scan_config_selectorIN3c104HalfEEEZZNS1_9scan_implILNS1_25lookback_scan_determinismE0ELb0ELb0ES3_PKS6_PS6_S6_ZZZN2at6native31launch_logcumsumexp_cuda_kernelERKNSD_10TensorBaseESH_lENKUlvE_clEvENKUlvE3_clEvEUlS6_S6_E_S6_EEDaPvRmT3_T4_T5_mT6_P12ihipStream_tbENKUlT_T0_E_clISt17integral_constantIbLb0EESX_IbLb1EEEEDaST_SU_EUlST_E0_NS1_11comp_targetILNS1_3genE4ELNS1_11target_archE910ELNS1_3gpuE8ELNS1_3repE0EEENS1_30default_config_static_selectorELNS0_4arch9wavefront6targetE1EEEvT1_.has_dyn_sized_stack, 0
	.set _ZN7rocprim17ROCPRIM_400000_NS6detail17trampoline_kernelINS0_14default_configENS1_20scan_config_selectorIN3c104HalfEEEZZNS1_9scan_implILNS1_25lookback_scan_determinismE0ELb0ELb0ES3_PKS6_PS6_S6_ZZZN2at6native31launch_logcumsumexp_cuda_kernelERKNSD_10TensorBaseESH_lENKUlvE_clEvENKUlvE3_clEvEUlS6_S6_E_S6_EEDaPvRmT3_T4_T5_mT6_P12ihipStream_tbENKUlT_T0_E_clISt17integral_constantIbLb0EESX_IbLb1EEEEDaST_SU_EUlST_E0_NS1_11comp_targetILNS1_3genE4ELNS1_11target_archE910ELNS1_3gpuE8ELNS1_3repE0EEENS1_30default_config_static_selectorELNS0_4arch9wavefront6targetE1EEEvT1_.has_recursion, 0
	.set _ZN7rocprim17ROCPRIM_400000_NS6detail17trampoline_kernelINS0_14default_configENS1_20scan_config_selectorIN3c104HalfEEEZZNS1_9scan_implILNS1_25lookback_scan_determinismE0ELb0ELb0ES3_PKS6_PS6_S6_ZZZN2at6native31launch_logcumsumexp_cuda_kernelERKNSD_10TensorBaseESH_lENKUlvE_clEvENKUlvE3_clEvEUlS6_S6_E_S6_EEDaPvRmT3_T4_T5_mT6_P12ihipStream_tbENKUlT_T0_E_clISt17integral_constantIbLb0EESX_IbLb1EEEEDaST_SU_EUlST_E0_NS1_11comp_targetILNS1_3genE4ELNS1_11target_archE910ELNS1_3gpuE8ELNS1_3repE0EEENS1_30default_config_static_selectorELNS0_4arch9wavefront6targetE1EEEvT1_.has_indirect_call, 0
	.section	.AMDGPU.csdata,"",@progbits
; Kernel info:
; codeLenInByte = 0
; TotalNumSgprs: 4
; NumVgprs: 0
; ScratchSize: 0
; MemoryBound: 0
; FloatMode: 240
; IeeeMode: 1
; LDSByteSize: 0 bytes/workgroup (compile time only)
; SGPRBlocks: 0
; VGPRBlocks: 0
; NumSGPRsForWavesPerEU: 4
; NumVGPRsForWavesPerEU: 1
; Occupancy: 10
; WaveLimiterHint : 0
; COMPUTE_PGM_RSRC2:SCRATCH_EN: 0
; COMPUTE_PGM_RSRC2:USER_SGPR: 6
; COMPUTE_PGM_RSRC2:TRAP_HANDLER: 0
; COMPUTE_PGM_RSRC2:TGID_X_EN: 1
; COMPUTE_PGM_RSRC2:TGID_Y_EN: 0
; COMPUTE_PGM_RSRC2:TGID_Z_EN: 0
; COMPUTE_PGM_RSRC2:TIDIG_COMP_CNT: 0
	.section	.text._ZN7rocprim17ROCPRIM_400000_NS6detail17trampoline_kernelINS0_14default_configENS1_20scan_config_selectorIN3c104HalfEEEZZNS1_9scan_implILNS1_25lookback_scan_determinismE0ELb0ELb0ES3_PKS6_PS6_S6_ZZZN2at6native31launch_logcumsumexp_cuda_kernelERKNSD_10TensorBaseESH_lENKUlvE_clEvENKUlvE3_clEvEUlS6_S6_E_S6_EEDaPvRmT3_T4_T5_mT6_P12ihipStream_tbENKUlT_T0_E_clISt17integral_constantIbLb0EESX_IbLb1EEEEDaST_SU_EUlST_E0_NS1_11comp_targetILNS1_3genE3ELNS1_11target_archE908ELNS1_3gpuE7ELNS1_3repE0EEENS1_30default_config_static_selectorELNS0_4arch9wavefront6targetE1EEEvT1_,"axG",@progbits,_ZN7rocprim17ROCPRIM_400000_NS6detail17trampoline_kernelINS0_14default_configENS1_20scan_config_selectorIN3c104HalfEEEZZNS1_9scan_implILNS1_25lookback_scan_determinismE0ELb0ELb0ES3_PKS6_PS6_S6_ZZZN2at6native31launch_logcumsumexp_cuda_kernelERKNSD_10TensorBaseESH_lENKUlvE_clEvENKUlvE3_clEvEUlS6_S6_E_S6_EEDaPvRmT3_T4_T5_mT6_P12ihipStream_tbENKUlT_T0_E_clISt17integral_constantIbLb0EESX_IbLb1EEEEDaST_SU_EUlST_E0_NS1_11comp_targetILNS1_3genE3ELNS1_11target_archE908ELNS1_3gpuE7ELNS1_3repE0EEENS1_30default_config_static_selectorELNS0_4arch9wavefront6targetE1EEEvT1_,comdat
	.globl	_ZN7rocprim17ROCPRIM_400000_NS6detail17trampoline_kernelINS0_14default_configENS1_20scan_config_selectorIN3c104HalfEEEZZNS1_9scan_implILNS1_25lookback_scan_determinismE0ELb0ELb0ES3_PKS6_PS6_S6_ZZZN2at6native31launch_logcumsumexp_cuda_kernelERKNSD_10TensorBaseESH_lENKUlvE_clEvENKUlvE3_clEvEUlS6_S6_E_S6_EEDaPvRmT3_T4_T5_mT6_P12ihipStream_tbENKUlT_T0_E_clISt17integral_constantIbLb0EESX_IbLb1EEEEDaST_SU_EUlST_E0_NS1_11comp_targetILNS1_3genE3ELNS1_11target_archE908ELNS1_3gpuE7ELNS1_3repE0EEENS1_30default_config_static_selectorELNS0_4arch9wavefront6targetE1EEEvT1_ ; -- Begin function _ZN7rocprim17ROCPRIM_400000_NS6detail17trampoline_kernelINS0_14default_configENS1_20scan_config_selectorIN3c104HalfEEEZZNS1_9scan_implILNS1_25lookback_scan_determinismE0ELb0ELb0ES3_PKS6_PS6_S6_ZZZN2at6native31launch_logcumsumexp_cuda_kernelERKNSD_10TensorBaseESH_lENKUlvE_clEvENKUlvE3_clEvEUlS6_S6_E_S6_EEDaPvRmT3_T4_T5_mT6_P12ihipStream_tbENKUlT_T0_E_clISt17integral_constantIbLb0EESX_IbLb1EEEEDaST_SU_EUlST_E0_NS1_11comp_targetILNS1_3genE3ELNS1_11target_archE908ELNS1_3gpuE7ELNS1_3repE0EEENS1_30default_config_static_selectorELNS0_4arch9wavefront6targetE1EEEvT1_
	.p2align	8
	.type	_ZN7rocprim17ROCPRIM_400000_NS6detail17trampoline_kernelINS0_14default_configENS1_20scan_config_selectorIN3c104HalfEEEZZNS1_9scan_implILNS1_25lookback_scan_determinismE0ELb0ELb0ES3_PKS6_PS6_S6_ZZZN2at6native31launch_logcumsumexp_cuda_kernelERKNSD_10TensorBaseESH_lENKUlvE_clEvENKUlvE3_clEvEUlS6_S6_E_S6_EEDaPvRmT3_T4_T5_mT6_P12ihipStream_tbENKUlT_T0_E_clISt17integral_constantIbLb0EESX_IbLb1EEEEDaST_SU_EUlST_E0_NS1_11comp_targetILNS1_3genE3ELNS1_11target_archE908ELNS1_3gpuE7ELNS1_3repE0EEENS1_30default_config_static_selectorELNS0_4arch9wavefront6targetE1EEEvT1_,@function
_ZN7rocprim17ROCPRIM_400000_NS6detail17trampoline_kernelINS0_14default_configENS1_20scan_config_selectorIN3c104HalfEEEZZNS1_9scan_implILNS1_25lookback_scan_determinismE0ELb0ELb0ES3_PKS6_PS6_S6_ZZZN2at6native31launch_logcumsumexp_cuda_kernelERKNSD_10TensorBaseESH_lENKUlvE_clEvENKUlvE3_clEvEUlS6_S6_E_S6_EEDaPvRmT3_T4_T5_mT6_P12ihipStream_tbENKUlT_T0_E_clISt17integral_constantIbLb0EESX_IbLb1EEEEDaST_SU_EUlST_E0_NS1_11comp_targetILNS1_3genE3ELNS1_11target_archE908ELNS1_3gpuE7ELNS1_3repE0EEENS1_30default_config_static_selectorELNS0_4arch9wavefront6targetE1EEEvT1_: ; @_ZN7rocprim17ROCPRIM_400000_NS6detail17trampoline_kernelINS0_14default_configENS1_20scan_config_selectorIN3c104HalfEEEZZNS1_9scan_implILNS1_25lookback_scan_determinismE0ELb0ELb0ES3_PKS6_PS6_S6_ZZZN2at6native31launch_logcumsumexp_cuda_kernelERKNSD_10TensorBaseESH_lENKUlvE_clEvENKUlvE3_clEvEUlS6_S6_E_S6_EEDaPvRmT3_T4_T5_mT6_P12ihipStream_tbENKUlT_T0_E_clISt17integral_constantIbLb0EESX_IbLb1EEEEDaST_SU_EUlST_E0_NS1_11comp_targetILNS1_3genE3ELNS1_11target_archE908ELNS1_3gpuE7ELNS1_3repE0EEENS1_30default_config_static_selectorELNS0_4arch9wavefront6targetE1EEEvT1_
; %bb.0:
	.section	.rodata,"a",@progbits
	.p2align	6, 0x0
	.amdhsa_kernel _ZN7rocprim17ROCPRIM_400000_NS6detail17trampoline_kernelINS0_14default_configENS1_20scan_config_selectorIN3c104HalfEEEZZNS1_9scan_implILNS1_25lookback_scan_determinismE0ELb0ELb0ES3_PKS6_PS6_S6_ZZZN2at6native31launch_logcumsumexp_cuda_kernelERKNSD_10TensorBaseESH_lENKUlvE_clEvENKUlvE3_clEvEUlS6_S6_E_S6_EEDaPvRmT3_T4_T5_mT6_P12ihipStream_tbENKUlT_T0_E_clISt17integral_constantIbLb0EESX_IbLb1EEEEDaST_SU_EUlST_E0_NS1_11comp_targetILNS1_3genE3ELNS1_11target_archE908ELNS1_3gpuE7ELNS1_3repE0EEENS1_30default_config_static_selectorELNS0_4arch9wavefront6targetE1EEEvT1_
		.amdhsa_group_segment_fixed_size 0
		.amdhsa_private_segment_fixed_size 0
		.amdhsa_kernarg_size 32
		.amdhsa_user_sgpr_count 6
		.amdhsa_user_sgpr_private_segment_buffer 1
		.amdhsa_user_sgpr_dispatch_ptr 0
		.amdhsa_user_sgpr_queue_ptr 0
		.amdhsa_user_sgpr_kernarg_segment_ptr 1
		.amdhsa_user_sgpr_dispatch_id 0
		.amdhsa_user_sgpr_flat_scratch_init 0
		.amdhsa_user_sgpr_private_segment_size 0
		.amdhsa_uses_dynamic_stack 0
		.amdhsa_system_sgpr_private_segment_wavefront_offset 0
		.amdhsa_system_sgpr_workgroup_id_x 1
		.amdhsa_system_sgpr_workgroup_id_y 0
		.amdhsa_system_sgpr_workgroup_id_z 0
		.amdhsa_system_sgpr_workgroup_info 0
		.amdhsa_system_vgpr_workitem_id 0
		.amdhsa_next_free_vgpr 1
		.amdhsa_next_free_sgpr 0
		.amdhsa_reserve_vcc 0
		.amdhsa_reserve_flat_scratch 0
		.amdhsa_float_round_mode_32 0
		.amdhsa_float_round_mode_16_64 0
		.amdhsa_float_denorm_mode_32 3
		.amdhsa_float_denorm_mode_16_64 3
		.amdhsa_dx10_clamp 1
		.amdhsa_ieee_mode 1
		.amdhsa_fp16_overflow 0
		.amdhsa_exception_fp_ieee_invalid_op 0
		.amdhsa_exception_fp_denorm_src 0
		.amdhsa_exception_fp_ieee_div_zero 0
		.amdhsa_exception_fp_ieee_overflow 0
		.amdhsa_exception_fp_ieee_underflow 0
		.amdhsa_exception_fp_ieee_inexact 0
		.amdhsa_exception_int_div_zero 0
	.end_amdhsa_kernel
	.section	.text._ZN7rocprim17ROCPRIM_400000_NS6detail17trampoline_kernelINS0_14default_configENS1_20scan_config_selectorIN3c104HalfEEEZZNS1_9scan_implILNS1_25lookback_scan_determinismE0ELb0ELb0ES3_PKS6_PS6_S6_ZZZN2at6native31launch_logcumsumexp_cuda_kernelERKNSD_10TensorBaseESH_lENKUlvE_clEvENKUlvE3_clEvEUlS6_S6_E_S6_EEDaPvRmT3_T4_T5_mT6_P12ihipStream_tbENKUlT_T0_E_clISt17integral_constantIbLb0EESX_IbLb1EEEEDaST_SU_EUlST_E0_NS1_11comp_targetILNS1_3genE3ELNS1_11target_archE908ELNS1_3gpuE7ELNS1_3repE0EEENS1_30default_config_static_selectorELNS0_4arch9wavefront6targetE1EEEvT1_,"axG",@progbits,_ZN7rocprim17ROCPRIM_400000_NS6detail17trampoline_kernelINS0_14default_configENS1_20scan_config_selectorIN3c104HalfEEEZZNS1_9scan_implILNS1_25lookback_scan_determinismE0ELb0ELb0ES3_PKS6_PS6_S6_ZZZN2at6native31launch_logcumsumexp_cuda_kernelERKNSD_10TensorBaseESH_lENKUlvE_clEvENKUlvE3_clEvEUlS6_S6_E_S6_EEDaPvRmT3_T4_T5_mT6_P12ihipStream_tbENKUlT_T0_E_clISt17integral_constantIbLb0EESX_IbLb1EEEEDaST_SU_EUlST_E0_NS1_11comp_targetILNS1_3genE3ELNS1_11target_archE908ELNS1_3gpuE7ELNS1_3repE0EEENS1_30default_config_static_selectorELNS0_4arch9wavefront6targetE1EEEvT1_,comdat
.Lfunc_end428:
	.size	_ZN7rocprim17ROCPRIM_400000_NS6detail17trampoline_kernelINS0_14default_configENS1_20scan_config_selectorIN3c104HalfEEEZZNS1_9scan_implILNS1_25lookback_scan_determinismE0ELb0ELb0ES3_PKS6_PS6_S6_ZZZN2at6native31launch_logcumsumexp_cuda_kernelERKNSD_10TensorBaseESH_lENKUlvE_clEvENKUlvE3_clEvEUlS6_S6_E_S6_EEDaPvRmT3_T4_T5_mT6_P12ihipStream_tbENKUlT_T0_E_clISt17integral_constantIbLb0EESX_IbLb1EEEEDaST_SU_EUlST_E0_NS1_11comp_targetILNS1_3genE3ELNS1_11target_archE908ELNS1_3gpuE7ELNS1_3repE0EEENS1_30default_config_static_selectorELNS0_4arch9wavefront6targetE1EEEvT1_, .Lfunc_end428-_ZN7rocprim17ROCPRIM_400000_NS6detail17trampoline_kernelINS0_14default_configENS1_20scan_config_selectorIN3c104HalfEEEZZNS1_9scan_implILNS1_25lookback_scan_determinismE0ELb0ELb0ES3_PKS6_PS6_S6_ZZZN2at6native31launch_logcumsumexp_cuda_kernelERKNSD_10TensorBaseESH_lENKUlvE_clEvENKUlvE3_clEvEUlS6_S6_E_S6_EEDaPvRmT3_T4_T5_mT6_P12ihipStream_tbENKUlT_T0_E_clISt17integral_constantIbLb0EESX_IbLb1EEEEDaST_SU_EUlST_E0_NS1_11comp_targetILNS1_3genE3ELNS1_11target_archE908ELNS1_3gpuE7ELNS1_3repE0EEENS1_30default_config_static_selectorELNS0_4arch9wavefront6targetE1EEEvT1_
                                        ; -- End function
	.set _ZN7rocprim17ROCPRIM_400000_NS6detail17trampoline_kernelINS0_14default_configENS1_20scan_config_selectorIN3c104HalfEEEZZNS1_9scan_implILNS1_25lookback_scan_determinismE0ELb0ELb0ES3_PKS6_PS6_S6_ZZZN2at6native31launch_logcumsumexp_cuda_kernelERKNSD_10TensorBaseESH_lENKUlvE_clEvENKUlvE3_clEvEUlS6_S6_E_S6_EEDaPvRmT3_T4_T5_mT6_P12ihipStream_tbENKUlT_T0_E_clISt17integral_constantIbLb0EESX_IbLb1EEEEDaST_SU_EUlST_E0_NS1_11comp_targetILNS1_3genE3ELNS1_11target_archE908ELNS1_3gpuE7ELNS1_3repE0EEENS1_30default_config_static_selectorELNS0_4arch9wavefront6targetE1EEEvT1_.num_vgpr, 0
	.set _ZN7rocprim17ROCPRIM_400000_NS6detail17trampoline_kernelINS0_14default_configENS1_20scan_config_selectorIN3c104HalfEEEZZNS1_9scan_implILNS1_25lookback_scan_determinismE0ELb0ELb0ES3_PKS6_PS6_S6_ZZZN2at6native31launch_logcumsumexp_cuda_kernelERKNSD_10TensorBaseESH_lENKUlvE_clEvENKUlvE3_clEvEUlS6_S6_E_S6_EEDaPvRmT3_T4_T5_mT6_P12ihipStream_tbENKUlT_T0_E_clISt17integral_constantIbLb0EESX_IbLb1EEEEDaST_SU_EUlST_E0_NS1_11comp_targetILNS1_3genE3ELNS1_11target_archE908ELNS1_3gpuE7ELNS1_3repE0EEENS1_30default_config_static_selectorELNS0_4arch9wavefront6targetE1EEEvT1_.num_agpr, 0
	.set _ZN7rocprim17ROCPRIM_400000_NS6detail17trampoline_kernelINS0_14default_configENS1_20scan_config_selectorIN3c104HalfEEEZZNS1_9scan_implILNS1_25lookback_scan_determinismE0ELb0ELb0ES3_PKS6_PS6_S6_ZZZN2at6native31launch_logcumsumexp_cuda_kernelERKNSD_10TensorBaseESH_lENKUlvE_clEvENKUlvE3_clEvEUlS6_S6_E_S6_EEDaPvRmT3_T4_T5_mT6_P12ihipStream_tbENKUlT_T0_E_clISt17integral_constantIbLb0EESX_IbLb1EEEEDaST_SU_EUlST_E0_NS1_11comp_targetILNS1_3genE3ELNS1_11target_archE908ELNS1_3gpuE7ELNS1_3repE0EEENS1_30default_config_static_selectorELNS0_4arch9wavefront6targetE1EEEvT1_.numbered_sgpr, 0
	.set _ZN7rocprim17ROCPRIM_400000_NS6detail17trampoline_kernelINS0_14default_configENS1_20scan_config_selectorIN3c104HalfEEEZZNS1_9scan_implILNS1_25lookback_scan_determinismE0ELb0ELb0ES3_PKS6_PS6_S6_ZZZN2at6native31launch_logcumsumexp_cuda_kernelERKNSD_10TensorBaseESH_lENKUlvE_clEvENKUlvE3_clEvEUlS6_S6_E_S6_EEDaPvRmT3_T4_T5_mT6_P12ihipStream_tbENKUlT_T0_E_clISt17integral_constantIbLb0EESX_IbLb1EEEEDaST_SU_EUlST_E0_NS1_11comp_targetILNS1_3genE3ELNS1_11target_archE908ELNS1_3gpuE7ELNS1_3repE0EEENS1_30default_config_static_selectorELNS0_4arch9wavefront6targetE1EEEvT1_.num_named_barrier, 0
	.set _ZN7rocprim17ROCPRIM_400000_NS6detail17trampoline_kernelINS0_14default_configENS1_20scan_config_selectorIN3c104HalfEEEZZNS1_9scan_implILNS1_25lookback_scan_determinismE0ELb0ELb0ES3_PKS6_PS6_S6_ZZZN2at6native31launch_logcumsumexp_cuda_kernelERKNSD_10TensorBaseESH_lENKUlvE_clEvENKUlvE3_clEvEUlS6_S6_E_S6_EEDaPvRmT3_T4_T5_mT6_P12ihipStream_tbENKUlT_T0_E_clISt17integral_constantIbLb0EESX_IbLb1EEEEDaST_SU_EUlST_E0_NS1_11comp_targetILNS1_3genE3ELNS1_11target_archE908ELNS1_3gpuE7ELNS1_3repE0EEENS1_30default_config_static_selectorELNS0_4arch9wavefront6targetE1EEEvT1_.private_seg_size, 0
	.set _ZN7rocprim17ROCPRIM_400000_NS6detail17trampoline_kernelINS0_14default_configENS1_20scan_config_selectorIN3c104HalfEEEZZNS1_9scan_implILNS1_25lookback_scan_determinismE0ELb0ELb0ES3_PKS6_PS6_S6_ZZZN2at6native31launch_logcumsumexp_cuda_kernelERKNSD_10TensorBaseESH_lENKUlvE_clEvENKUlvE3_clEvEUlS6_S6_E_S6_EEDaPvRmT3_T4_T5_mT6_P12ihipStream_tbENKUlT_T0_E_clISt17integral_constantIbLb0EESX_IbLb1EEEEDaST_SU_EUlST_E0_NS1_11comp_targetILNS1_3genE3ELNS1_11target_archE908ELNS1_3gpuE7ELNS1_3repE0EEENS1_30default_config_static_selectorELNS0_4arch9wavefront6targetE1EEEvT1_.uses_vcc, 0
	.set _ZN7rocprim17ROCPRIM_400000_NS6detail17trampoline_kernelINS0_14default_configENS1_20scan_config_selectorIN3c104HalfEEEZZNS1_9scan_implILNS1_25lookback_scan_determinismE0ELb0ELb0ES3_PKS6_PS6_S6_ZZZN2at6native31launch_logcumsumexp_cuda_kernelERKNSD_10TensorBaseESH_lENKUlvE_clEvENKUlvE3_clEvEUlS6_S6_E_S6_EEDaPvRmT3_T4_T5_mT6_P12ihipStream_tbENKUlT_T0_E_clISt17integral_constantIbLb0EESX_IbLb1EEEEDaST_SU_EUlST_E0_NS1_11comp_targetILNS1_3genE3ELNS1_11target_archE908ELNS1_3gpuE7ELNS1_3repE0EEENS1_30default_config_static_selectorELNS0_4arch9wavefront6targetE1EEEvT1_.uses_flat_scratch, 0
	.set _ZN7rocprim17ROCPRIM_400000_NS6detail17trampoline_kernelINS0_14default_configENS1_20scan_config_selectorIN3c104HalfEEEZZNS1_9scan_implILNS1_25lookback_scan_determinismE0ELb0ELb0ES3_PKS6_PS6_S6_ZZZN2at6native31launch_logcumsumexp_cuda_kernelERKNSD_10TensorBaseESH_lENKUlvE_clEvENKUlvE3_clEvEUlS6_S6_E_S6_EEDaPvRmT3_T4_T5_mT6_P12ihipStream_tbENKUlT_T0_E_clISt17integral_constantIbLb0EESX_IbLb1EEEEDaST_SU_EUlST_E0_NS1_11comp_targetILNS1_3genE3ELNS1_11target_archE908ELNS1_3gpuE7ELNS1_3repE0EEENS1_30default_config_static_selectorELNS0_4arch9wavefront6targetE1EEEvT1_.has_dyn_sized_stack, 0
	.set _ZN7rocprim17ROCPRIM_400000_NS6detail17trampoline_kernelINS0_14default_configENS1_20scan_config_selectorIN3c104HalfEEEZZNS1_9scan_implILNS1_25lookback_scan_determinismE0ELb0ELb0ES3_PKS6_PS6_S6_ZZZN2at6native31launch_logcumsumexp_cuda_kernelERKNSD_10TensorBaseESH_lENKUlvE_clEvENKUlvE3_clEvEUlS6_S6_E_S6_EEDaPvRmT3_T4_T5_mT6_P12ihipStream_tbENKUlT_T0_E_clISt17integral_constantIbLb0EESX_IbLb1EEEEDaST_SU_EUlST_E0_NS1_11comp_targetILNS1_3genE3ELNS1_11target_archE908ELNS1_3gpuE7ELNS1_3repE0EEENS1_30default_config_static_selectorELNS0_4arch9wavefront6targetE1EEEvT1_.has_recursion, 0
	.set _ZN7rocprim17ROCPRIM_400000_NS6detail17trampoline_kernelINS0_14default_configENS1_20scan_config_selectorIN3c104HalfEEEZZNS1_9scan_implILNS1_25lookback_scan_determinismE0ELb0ELb0ES3_PKS6_PS6_S6_ZZZN2at6native31launch_logcumsumexp_cuda_kernelERKNSD_10TensorBaseESH_lENKUlvE_clEvENKUlvE3_clEvEUlS6_S6_E_S6_EEDaPvRmT3_T4_T5_mT6_P12ihipStream_tbENKUlT_T0_E_clISt17integral_constantIbLb0EESX_IbLb1EEEEDaST_SU_EUlST_E0_NS1_11comp_targetILNS1_3genE3ELNS1_11target_archE908ELNS1_3gpuE7ELNS1_3repE0EEENS1_30default_config_static_selectorELNS0_4arch9wavefront6targetE1EEEvT1_.has_indirect_call, 0
	.section	.AMDGPU.csdata,"",@progbits
; Kernel info:
; codeLenInByte = 0
; TotalNumSgprs: 4
; NumVgprs: 0
; ScratchSize: 0
; MemoryBound: 0
; FloatMode: 240
; IeeeMode: 1
; LDSByteSize: 0 bytes/workgroup (compile time only)
; SGPRBlocks: 0
; VGPRBlocks: 0
; NumSGPRsForWavesPerEU: 4
; NumVGPRsForWavesPerEU: 1
; Occupancy: 10
; WaveLimiterHint : 0
; COMPUTE_PGM_RSRC2:SCRATCH_EN: 0
; COMPUTE_PGM_RSRC2:USER_SGPR: 6
; COMPUTE_PGM_RSRC2:TRAP_HANDLER: 0
; COMPUTE_PGM_RSRC2:TGID_X_EN: 1
; COMPUTE_PGM_RSRC2:TGID_Y_EN: 0
; COMPUTE_PGM_RSRC2:TGID_Z_EN: 0
; COMPUTE_PGM_RSRC2:TIDIG_COMP_CNT: 0
	.section	.text._ZN7rocprim17ROCPRIM_400000_NS6detail17trampoline_kernelINS0_14default_configENS1_20scan_config_selectorIN3c104HalfEEEZZNS1_9scan_implILNS1_25lookback_scan_determinismE0ELb0ELb0ES3_PKS6_PS6_S6_ZZZN2at6native31launch_logcumsumexp_cuda_kernelERKNSD_10TensorBaseESH_lENKUlvE_clEvENKUlvE3_clEvEUlS6_S6_E_S6_EEDaPvRmT3_T4_T5_mT6_P12ihipStream_tbENKUlT_T0_E_clISt17integral_constantIbLb0EESX_IbLb1EEEEDaST_SU_EUlST_E0_NS1_11comp_targetILNS1_3genE2ELNS1_11target_archE906ELNS1_3gpuE6ELNS1_3repE0EEENS1_30default_config_static_selectorELNS0_4arch9wavefront6targetE1EEEvT1_,"axG",@progbits,_ZN7rocprim17ROCPRIM_400000_NS6detail17trampoline_kernelINS0_14default_configENS1_20scan_config_selectorIN3c104HalfEEEZZNS1_9scan_implILNS1_25lookback_scan_determinismE0ELb0ELb0ES3_PKS6_PS6_S6_ZZZN2at6native31launch_logcumsumexp_cuda_kernelERKNSD_10TensorBaseESH_lENKUlvE_clEvENKUlvE3_clEvEUlS6_S6_E_S6_EEDaPvRmT3_T4_T5_mT6_P12ihipStream_tbENKUlT_T0_E_clISt17integral_constantIbLb0EESX_IbLb1EEEEDaST_SU_EUlST_E0_NS1_11comp_targetILNS1_3genE2ELNS1_11target_archE906ELNS1_3gpuE6ELNS1_3repE0EEENS1_30default_config_static_selectorELNS0_4arch9wavefront6targetE1EEEvT1_,comdat
	.globl	_ZN7rocprim17ROCPRIM_400000_NS6detail17trampoline_kernelINS0_14default_configENS1_20scan_config_selectorIN3c104HalfEEEZZNS1_9scan_implILNS1_25lookback_scan_determinismE0ELb0ELb0ES3_PKS6_PS6_S6_ZZZN2at6native31launch_logcumsumexp_cuda_kernelERKNSD_10TensorBaseESH_lENKUlvE_clEvENKUlvE3_clEvEUlS6_S6_E_S6_EEDaPvRmT3_T4_T5_mT6_P12ihipStream_tbENKUlT_T0_E_clISt17integral_constantIbLb0EESX_IbLb1EEEEDaST_SU_EUlST_E0_NS1_11comp_targetILNS1_3genE2ELNS1_11target_archE906ELNS1_3gpuE6ELNS1_3repE0EEENS1_30default_config_static_selectorELNS0_4arch9wavefront6targetE1EEEvT1_ ; -- Begin function _ZN7rocprim17ROCPRIM_400000_NS6detail17trampoline_kernelINS0_14default_configENS1_20scan_config_selectorIN3c104HalfEEEZZNS1_9scan_implILNS1_25lookback_scan_determinismE0ELb0ELb0ES3_PKS6_PS6_S6_ZZZN2at6native31launch_logcumsumexp_cuda_kernelERKNSD_10TensorBaseESH_lENKUlvE_clEvENKUlvE3_clEvEUlS6_S6_E_S6_EEDaPvRmT3_T4_T5_mT6_P12ihipStream_tbENKUlT_T0_E_clISt17integral_constantIbLb0EESX_IbLb1EEEEDaST_SU_EUlST_E0_NS1_11comp_targetILNS1_3genE2ELNS1_11target_archE906ELNS1_3gpuE6ELNS1_3repE0EEENS1_30default_config_static_selectorELNS0_4arch9wavefront6targetE1EEEvT1_
	.p2align	8
	.type	_ZN7rocprim17ROCPRIM_400000_NS6detail17trampoline_kernelINS0_14default_configENS1_20scan_config_selectorIN3c104HalfEEEZZNS1_9scan_implILNS1_25lookback_scan_determinismE0ELb0ELb0ES3_PKS6_PS6_S6_ZZZN2at6native31launch_logcumsumexp_cuda_kernelERKNSD_10TensorBaseESH_lENKUlvE_clEvENKUlvE3_clEvEUlS6_S6_E_S6_EEDaPvRmT3_T4_T5_mT6_P12ihipStream_tbENKUlT_T0_E_clISt17integral_constantIbLb0EESX_IbLb1EEEEDaST_SU_EUlST_E0_NS1_11comp_targetILNS1_3genE2ELNS1_11target_archE906ELNS1_3gpuE6ELNS1_3repE0EEENS1_30default_config_static_selectorELNS0_4arch9wavefront6targetE1EEEvT1_,@function
_ZN7rocprim17ROCPRIM_400000_NS6detail17trampoline_kernelINS0_14default_configENS1_20scan_config_selectorIN3c104HalfEEEZZNS1_9scan_implILNS1_25lookback_scan_determinismE0ELb0ELb0ES3_PKS6_PS6_S6_ZZZN2at6native31launch_logcumsumexp_cuda_kernelERKNSD_10TensorBaseESH_lENKUlvE_clEvENKUlvE3_clEvEUlS6_S6_E_S6_EEDaPvRmT3_T4_T5_mT6_P12ihipStream_tbENKUlT_T0_E_clISt17integral_constantIbLb0EESX_IbLb1EEEEDaST_SU_EUlST_E0_NS1_11comp_targetILNS1_3genE2ELNS1_11target_archE906ELNS1_3gpuE6ELNS1_3repE0EEENS1_30default_config_static_selectorELNS0_4arch9wavefront6targetE1EEEvT1_: ; @_ZN7rocprim17ROCPRIM_400000_NS6detail17trampoline_kernelINS0_14default_configENS1_20scan_config_selectorIN3c104HalfEEEZZNS1_9scan_implILNS1_25lookback_scan_determinismE0ELb0ELb0ES3_PKS6_PS6_S6_ZZZN2at6native31launch_logcumsumexp_cuda_kernelERKNSD_10TensorBaseESH_lENKUlvE_clEvENKUlvE3_clEvEUlS6_S6_E_S6_EEDaPvRmT3_T4_T5_mT6_P12ihipStream_tbENKUlT_T0_E_clISt17integral_constantIbLb0EESX_IbLb1EEEEDaST_SU_EUlST_E0_NS1_11comp_targetILNS1_3genE2ELNS1_11target_archE906ELNS1_3gpuE6ELNS1_3repE0EEENS1_30default_config_static_selectorELNS0_4arch9wavefront6targetE1EEEvT1_
; %bb.0:
	s_load_dwordx4 s[48:51], s[4:5], 0x0
	v_mov_b32_e32 v1, 0
	v_lshlrev_b32_e32 v13, 1, v0
	s_waitcnt lgkmcnt(0)
	global_load_ushort v1, v1, s[48:49]
	v_cmp_gt_u32_e64 s[2:3], s50, v0
	s_waitcnt vmcnt(0)
	v_mov_b32_e32 v2, v1
	s_mov_b64 s[0:1], exec
                                        ; implicit-def: $vgpr48 : SGPR spill to VGPR lane
	v_writelane_b32 v48, s2, 0
	v_writelane_b32 v48, s3, 1
	s_and_b64 s[2:3], s[0:1], s[2:3]
	s_mov_b64 exec, s[2:3]
	s_cbranch_execz .LBB429_2
; %bb.1:
	global_load_ushort v2, v13, s[48:49]
.LBB429_2:
	s_or_b64 exec, exec, s[0:1]
	v_or_b32_e32 v3, 0x100, v0
	v_cmp_gt_u32_e64 s[2:3], s50, v3
	v_mov_b32_e32 v3, v1
	s_mov_b64 s[0:1], exec
	v_writelane_b32 v48, s2, 2
	v_writelane_b32 v48, s3, 3
	s_and_b64 s[2:3], s[0:1], s[2:3]
	s_mov_b64 exec, s[2:3]
	s_cbranch_execz .LBB429_4
; %bb.3:
	global_load_ushort v3, v13, s[48:49] offset:512
.LBB429_4:
	s_or_b64 exec, exec, s[0:1]
	v_or_b32_e32 v4, 0x200, v0
	v_cmp_gt_u32_e64 s[2:3], s50, v4
	v_mov_b32_e32 v4, v1
	s_mov_b64 s[0:1], exec
	v_writelane_b32 v48, s2, 4
	v_writelane_b32 v48, s3, 5
	s_and_b64 s[2:3], s[0:1], s[2:3]
	s_mov_b64 exec, s[2:3]
	s_cbranch_execz .LBB429_6
; %bb.5:
	global_load_ushort v4, v13, s[48:49] offset:1024
.LBB429_6:
	;; [unrolled: 13-line block ×6, first 2 shown]
	s_or_b64 exec, exec, s[0:1]
	v_or_b32_e32 v9, 0x700, v0
	v_cmp_gt_u32_e64 s[12:13], s50, v9
	v_mov_b32_e32 v9, v1
	s_and_saveexec_b64 s[0:1], s[12:13]
	s_cbranch_execz .LBB429_16
; %bb.15:
	global_load_ushort v9, v13, s[48:49] offset:3584
.LBB429_16:
	s_or_b64 exec, exec, s[0:1]
	v_or_b32_e32 v11, 0x800, v0
	v_cmp_gt_u32_e64 s[14:15], s50, v11
	v_mov_b32_e32 v10, v1
	s_and_saveexec_b64 s[0:1], s[14:15]
	s_cbranch_execz .LBB429_18
; %bb.17:
	v_lshlrev_b32_e32 v10, 1, v11
	global_load_ushort v10, v10, s[48:49]
.LBB429_18:
	s_or_b64 exec, exec, s[0:1]
	v_or_b32_e32 v12, 0x900, v0
	v_cmp_gt_u32_e64 s[16:17], s50, v12
	v_mov_b32_e32 v11, v1
	s_and_saveexec_b64 s[0:1], s[16:17]
	s_cbranch_execz .LBB429_20
; %bb.19:
	v_lshlrev_b32_e32 v11, 1, v12
	global_load_ushort v11, v11, s[48:49]
.LBB429_20:
	;; [unrolled: 10-line block ×15, first 2 shown]
	s_or_b64 exec, exec, s[0:1]
	v_or_b32_e32 v26, 0x1700, v0
	v_cmp_gt_u32_e64 s[46:47], s50, v26
	s_and_saveexec_b64 s[0:1], s[46:47]
	s_cbranch_execz .LBB429_48
; %bb.47:
	v_lshlrev_b32_e32 v1, 1, v26
	global_load_ushort v1, v1, s[48:49]
.LBB429_48:
	s_or_b64 exec, exec, s[0:1]
	s_waitcnt vmcnt(0)
	ds_write_b16 v13, v2
	ds_write_b16 v13, v3 offset:512
	ds_write_b16 v13, v4 offset:1024
	;; [unrolled: 1-line block ×23, first 2 shown]
	v_mad_u32_u24 v5, v0, 46, v13
	s_waitcnt lgkmcnt(0)
	s_barrier
	ds_read_b128 v[1:4], v5
	ds_read_b128 v[9:12], v5 offset:16
	ds_read_b128 v[5:8], v5 offset:32
	s_movk_i32 s2, 0x1f8
	s_waitcnt lgkmcnt(0)
	v_cvt_f32_f16_e32 v14, v1
	v_cvt_f32_f16_sdwa v15, v1 dst_sel:DWORD dst_unused:UNUSED_PAD src0_sel:WORD_1
	v_cmp_u_f16_e64 s[94:95], v1, v1
	v_cmp_u_f16_sdwa s[48:49], v1, v1 src0_sel:WORD_1 src1_sel:WORD_1
	v_mov_b32_e32 v32, v14
	v_min_f32_e32 v28, v14, v15
	v_cndmask_b32_e64 v16, v28, v14, s[94:95]
	v_max_f32_e32 v29, v14, v15
	v_cndmask_b32_e64 v17, v16, v15, s[48:49]
	v_cndmask_b32_e64 v16, v29, v14, s[94:95]
	;; [unrolled: 1-line block ×3, first 2 shown]
	v_cmp_neq_f32_e64 s[50:51], v17, v16
	v_cmp_class_f32_e64 s[0:1], v17, s2
	s_or_b64 s[6:7], s[50:51], s[0:1]
	v_mov_b32_e32 v31, v1
	v_mov_b32_e32 v30, v1
	s_barrier
	s_and_saveexec_b64 s[0:1], s[6:7]
	s_cbranch_execz .LBB429_50
; %bb.49:
	v_sub_f32_e32 v17, v17, v16
	s_mov_b32 s3, 0x3fb8aa3b
	v_mul_f32_e32 v18, 0x3fb8aa3b, v17
	v_fma_f32 v19, v17, s3, -v18
	v_rndne_f32_e32 v20, v18
	v_fmac_f32_e32 v19, 0x32a5705f, v17
	v_sub_f32_e32 v18, v18, v20
	v_add_f32_e32 v18, v18, v19
	v_exp_f32_e32 v18, v18
	v_cvt_i32_f32_e32 v19, v20
	s_mov_b32 s3, 0xc2ce8ed0
	v_cmp_ngt_f32_e64 s[50:51], s3, v17
	s_mov_b32 s3, 0x42b17218
	v_ldexp_f32 v18, v18, v19
	v_cndmask_b32_e64 v18, 0, v18, s[50:51]
	v_mov_b32_e32 v19, 0x7f800000
	v_cmp_nlt_f32_e64 s[50:51], s3, v17
	v_cndmask_b32_e64 v20, v19, v18, s[50:51]
	v_add_f32_e32 v21, 1.0, v20
	v_cvt_f64_f32_e32 v[17:18], v21
	v_add_f32_e32 v22, -1.0, v21
	v_sub_f32_e32 v23, v22, v21
	v_sub_f32_e32 v22, v20, v22
	v_frexp_exp_i32_f64_e32 v17, v[17:18]
	v_add_f32_e32 v18, 1.0, v23
	v_add_f32_e32 v18, v22, v18
	v_frexp_mant_f32_e32 v22, v21
	s_mov_b32 s6, 0x3f2aaaab
	v_cmp_gt_f32_e64 s[50:51], s6, v22
	s_mov_b32 s6, 0x3f317218
	s_mov_b32 s3, 0x7f800000
	v_subbrev_co_u32_e64 v17, s[50:51], 0, v17, s[50:51]
	v_sub_u32_e32 v22, 0, v17
	v_ldexp_f32 v21, v21, v22
	v_ldexp_f32 v18, v18, v22
	v_add_f32_e32 v22, -1.0, v21
	v_add_f32_e32 v25, 1.0, v21
	v_add_f32_e32 v23, 1.0, v22
	v_add_f32_e32 v26, -1.0, v25
	v_sub_f32_e32 v23, v21, v23
	v_sub_f32_e32 v21, v21, v26
	v_add_f32_e32 v23, v18, v23
	v_add_f32_e32 v18, v18, v21
	;; [unrolled: 1-line block ×3, first 2 shown]
	v_rcp_f32_e32 v26, v21
	v_add_f32_e32 v24, v22, v23
	v_sub_f32_e32 v22, v22, v24
	v_add_f32_e32 v22, v23, v22
	v_sub_f32_e32 v23, v25, v21
	v_add_f32_e32 v18, v18, v23
	v_mul_f32_e32 v23, v24, v26
	v_mul_f32_e32 v25, v21, v23
	v_fma_f32 v27, v23, v21, -v25
	v_fmac_f32_e32 v27, v23, v18
	v_add_f32_e32 v30, v25, v27
	v_sub_f32_e32 v31, v24, v30
	v_sub_f32_e32 v24, v24, v31
	;; [unrolled: 1-line block ×4, first 2 shown]
	v_add_f32_e32 v22, v22, v24
	v_sub_f32_e32 v24, v25, v27
	v_add_f32_e32 v22, v24, v22
	v_add_f32_e32 v24, v31, v22
	v_mul_f32_e32 v25, v26, v24
	v_mul_f32_e32 v27, v21, v25
	v_fma_f32 v21, v25, v21, -v27
	v_fmac_f32_e32 v21, v25, v18
	v_sub_f32_e32 v18, v31, v24
	v_add_f32_e32 v18, v22, v18
	v_add_f32_e32 v22, v27, v21
	v_sub_f32_e32 v30, v24, v22
	v_sub_f32_e32 v24, v24, v30
	;; [unrolled: 1-line block ×4, first 2 shown]
	v_add_f32_e32 v18, v18, v22
	v_sub_f32_e32 v21, v27, v21
	v_add_f32_e32 v18, v21, v18
	v_add_f32_e32 v21, v23, v25
	;; [unrolled: 1-line block ×3, first 2 shown]
	v_sub_f32_e32 v22, v21, v23
	v_mul_f32_e32 v18, v26, v18
	v_sub_f32_e32 v22, v25, v22
	v_add_f32_e32 v18, v22, v18
	v_cvt_f32_i32_e32 v17, v17
	v_add_f32_e32 v22, v21, v18
	v_mul_f32_e32 v23, v22, v22
	v_mov_b32_e32 v24, 0x3ecc95a3
	v_fmac_f32_e32 v24, 0x3e9b6dac, v23
	v_mov_b32_e32 v25, 0x3f2aaada
	v_fmac_f32_e32 v25, v23, v24
	v_mul_f32_e32 v24, 0x3f317218, v17
	v_fma_f32 v26, v17, s6, -v24
	v_fmac_f32_e32 v26, 0xb102e308, v17
	v_sub_f32_e32 v17, v22, v21
	v_sub_f32_e32 v17, v18, v17
	v_add_f32_e32 v18, v24, v26
	v_sub_f32_e32 v21, v18, v24
	v_ldexp_f32 v24, v22, 1
	v_mul_f32_e32 v22, v22, v23
	v_mul_f32_e32 v22, v22, v25
	v_add_f32_e32 v23, v24, v22
	v_sub_f32_e32 v24, v23, v24
	v_ldexp_f32 v17, v17, 1
	v_sub_f32_e32 v22, v22, v24
	v_add_f32_e32 v17, v17, v22
	v_add_f32_e32 v22, v23, v17
	v_sub_f32_e32 v23, v22, v23
	v_sub_f32_e32 v17, v17, v23
	v_add_f32_e32 v23, v18, v22
	v_sub_f32_e32 v24, v23, v18
	v_sub_f32_e32 v25, v23, v24
	v_sub_f32_e32 v21, v26, v21
	v_sub_f32_e32 v18, v18, v25
	v_sub_f32_e32 v22, v22, v24
	v_add_f32_e32 v18, v22, v18
	v_add_f32_e32 v22, v21, v17
	v_sub_f32_e32 v24, v22, v21
	v_sub_f32_e32 v25, v22, v24
	;; [unrolled: 1-line block ×4, first 2 shown]
	v_add_f32_e32 v18, v22, v18
	v_add_f32_e32 v17, v17, v21
	;; [unrolled: 1-line block ×3, first 2 shown]
	v_sub_f32_e32 v22, v21, v23
	v_sub_f32_e32 v18, v18, v22
	v_add_f32_e32 v17, v17, v18
	v_add_f32_e32 v17, v21, v17
	v_cmp_neq_f32_e64 s[50:51], s3, v20
	s_mov_b32 s3, 0x33800000
	v_cndmask_b32_e64 v17, v19, v17, s[50:51]
	v_cmp_lt_f32_e64 s[50:51], |v20|, s3
	v_cndmask_b32_e64 v17, v17, v20, s[50:51]
	v_add_f32_e32 v16, v16, v17
	v_cvt_f16_f32_e32 v31, v16
	v_cvt_f32_f16_e32 v32, v31
	v_mov_b32_e32 v30, v31
.LBB429_50:
	s_or_b64 exec, exec, s[0:1]
	v_cvt_f32_f16_e32 v16, v2
	v_max_f32_e32 v17, v32, v32
	v_cmp_u_f16_e64 s[52:53], v31, v31
	v_cmp_u_f16_e64 s[50:51], v2, v2
	v_min_f32_e32 v18, v17, v16
	v_max_f32_e32 v17, v17, v16
	v_cndmask_b32_e64 v18, v18, v32, s[52:53]
	v_cndmask_b32_e64 v17, v17, v32, s[52:53]
	v_cndmask_b32_e64 v18, v18, v16, s[50:51]
	v_cndmask_b32_e64 v17, v17, v16, s[50:51]
	v_cmp_neq_f32_e64 s[52:53], v18, v17
	v_cmp_class_f32_e64 s[0:1], v18, s2
	s_or_b64 s[2:3], s[52:53], s[0:1]
	s_and_saveexec_b64 s[0:1], s[2:3]
	s_cbranch_execz .LBB429_52
; %bb.51:
	v_sub_f32_e32 v18, v18, v17
	s_mov_b32 s2, 0x3fb8aa3b
	v_mul_f32_e32 v19, 0x3fb8aa3b, v18
	v_fma_f32 v20, v18, s2, -v19
	v_rndne_f32_e32 v21, v19
	v_fmac_f32_e32 v20, 0x32a5705f, v18
	v_sub_f32_e32 v19, v19, v21
	v_add_f32_e32 v19, v19, v20
	v_exp_f32_e32 v19, v19
	v_cvt_i32_f32_e32 v20, v21
	s_mov_b32 s2, 0xc2ce8ed0
	v_cmp_ngt_f32_e64 s[52:53], s2, v18
	s_mov_b32 s2, 0x42b17218
	v_ldexp_f32 v19, v19, v20
	v_cndmask_b32_e64 v19, 0, v19, s[52:53]
	v_mov_b32_e32 v20, 0x7f800000
	v_cmp_nlt_f32_e64 s[52:53], s2, v18
	v_cndmask_b32_e64 v21, v20, v19, s[52:53]
	v_add_f32_e32 v22, 1.0, v21
	v_cvt_f64_f32_e32 v[18:19], v22
	v_add_f32_e32 v23, -1.0, v22
	v_sub_f32_e32 v24, v23, v22
	v_sub_f32_e32 v23, v21, v23
	v_frexp_exp_i32_f64_e32 v18, v[18:19]
	v_add_f32_e32 v19, 1.0, v24
	v_add_f32_e32 v19, v23, v19
	v_frexp_mant_f32_e32 v23, v22
	s_mov_b32 s3, 0x3f2aaaab
	v_cmp_gt_f32_e64 s[52:53], s3, v23
	s_mov_b32 s3, 0x3f317218
	s_mov_b32 s2, 0x7f800000
	v_subbrev_co_u32_e64 v18, s[52:53], 0, v18, s[52:53]
	v_sub_u32_e32 v23, 0, v18
	v_ldexp_f32 v22, v22, v23
	v_ldexp_f32 v19, v19, v23
	v_add_f32_e32 v23, -1.0, v22
	v_add_f32_e32 v26, 1.0, v22
	v_add_f32_e32 v24, 1.0, v23
	v_add_f32_e32 v27, -1.0, v26
	v_sub_f32_e32 v24, v22, v24
	v_sub_f32_e32 v22, v22, v27
	v_add_f32_e32 v24, v19, v24
	v_add_f32_e32 v19, v19, v22
	;; [unrolled: 1-line block ×3, first 2 shown]
	v_rcp_f32_e32 v27, v22
	v_add_f32_e32 v25, v23, v24
	v_sub_f32_e32 v23, v23, v25
	v_add_f32_e32 v23, v24, v23
	v_sub_f32_e32 v24, v26, v22
	v_add_f32_e32 v19, v19, v24
	v_mul_f32_e32 v24, v25, v27
	v_mul_f32_e32 v26, v22, v24
	v_fma_f32 v30, v24, v22, -v26
	v_fmac_f32_e32 v30, v24, v19
	v_add_f32_e32 v31, v26, v30
	v_sub_f32_e32 v32, v25, v31
	v_sub_f32_e32 v25, v25, v32
	;; [unrolled: 1-line block ×4, first 2 shown]
	v_add_f32_e32 v23, v23, v25
	v_sub_f32_e32 v25, v26, v30
	v_add_f32_e32 v23, v25, v23
	v_add_f32_e32 v25, v32, v23
	v_mul_f32_e32 v26, v27, v25
	v_mul_f32_e32 v30, v22, v26
	v_fma_f32 v22, v26, v22, -v30
	v_fmac_f32_e32 v22, v26, v19
	v_sub_f32_e32 v19, v32, v25
	v_add_f32_e32 v19, v23, v19
	v_add_f32_e32 v23, v30, v22
	v_sub_f32_e32 v31, v25, v23
	v_sub_f32_e32 v25, v25, v31
	;; [unrolled: 1-line block ×4, first 2 shown]
	v_add_f32_e32 v19, v19, v23
	v_sub_f32_e32 v22, v30, v22
	v_add_f32_e32 v19, v22, v19
	v_add_f32_e32 v22, v24, v26
	;; [unrolled: 1-line block ×3, first 2 shown]
	v_sub_f32_e32 v23, v22, v24
	v_mul_f32_e32 v19, v27, v19
	v_sub_f32_e32 v23, v26, v23
	v_add_f32_e32 v19, v23, v19
	v_cvt_f32_i32_e32 v18, v18
	v_add_f32_e32 v23, v22, v19
	v_mul_f32_e32 v24, v23, v23
	v_mov_b32_e32 v25, 0x3ecc95a3
	v_fmac_f32_e32 v25, 0x3e9b6dac, v24
	v_mov_b32_e32 v26, 0x3f2aaada
	v_fmac_f32_e32 v26, v24, v25
	v_mul_f32_e32 v25, 0x3f317218, v18
	v_fma_f32 v27, v18, s3, -v25
	v_fmac_f32_e32 v27, 0xb102e308, v18
	v_sub_f32_e32 v18, v23, v22
	v_sub_f32_e32 v18, v19, v18
	v_add_f32_e32 v19, v25, v27
	v_sub_f32_e32 v22, v19, v25
	v_ldexp_f32 v25, v23, 1
	v_mul_f32_e32 v23, v23, v24
	v_mul_f32_e32 v23, v23, v26
	v_add_f32_e32 v24, v25, v23
	v_sub_f32_e32 v25, v24, v25
	v_ldexp_f32 v18, v18, 1
	v_sub_f32_e32 v23, v23, v25
	v_add_f32_e32 v18, v18, v23
	v_add_f32_e32 v23, v24, v18
	v_sub_f32_e32 v24, v23, v24
	v_sub_f32_e32 v18, v18, v24
	v_add_f32_e32 v24, v19, v23
	v_sub_f32_e32 v25, v24, v19
	v_sub_f32_e32 v26, v24, v25
	;; [unrolled: 1-line block ×5, first 2 shown]
	v_add_f32_e32 v19, v23, v19
	v_add_f32_e32 v23, v22, v18
	v_sub_f32_e32 v25, v23, v22
	v_sub_f32_e32 v26, v23, v25
	;; [unrolled: 1-line block ×4, first 2 shown]
	v_add_f32_e32 v19, v23, v19
	v_add_f32_e32 v18, v18, v22
	;; [unrolled: 1-line block ×3, first 2 shown]
	v_sub_f32_e32 v23, v22, v24
	v_sub_f32_e32 v19, v19, v23
	v_add_f32_e32 v18, v18, v19
	v_add_f32_e32 v18, v22, v18
	v_cmp_neq_f32_e64 s[52:53], s2, v21
	s_mov_b32 s2, 0x33800000
	v_cndmask_b32_e64 v18, v20, v18, s[52:53]
	v_cmp_lt_f32_e64 s[52:53], |v21|, s2
	v_cndmask_b32_e64 v18, v18, v21, s[52:53]
	v_add_f32_e32 v17, v17, v18
	v_cvt_f16_f32_e32 v31, v17
	v_cvt_f32_f16_e32 v32, v31
	v_mov_b32_e32 v30, v31
.LBB429_52:
	s_or_b64 exec, exec, s[0:1]
	v_cvt_f32_f16_sdwa v17, v2 dst_sel:DWORD dst_unused:UNUSED_PAD src0_sel:WORD_1
	v_max_f32_e32 v19, v32, v32
	v_cmp_u_f16_e64 s[54:55], v31, v31
	v_cmp_u_f16_sdwa s[52:53], v2, v2 src0_sel:WORD_1 src1_sel:WORD_1
	v_min_f32_e32 v18, v19, v17
	v_max_f32_e32 v2, v19, v17
	v_cndmask_b32_e64 v18, v18, v32, s[54:55]
	v_cndmask_b32_e64 v2, v2, v32, s[54:55]
	;; [unrolled: 1-line block ×4, first 2 shown]
	s_movk_i32 s2, 0x1f8
	v_cmp_neq_f32_e64 s[54:55], v18, v2
	v_cmp_class_f32_e64 s[0:1], v18, s2
	s_or_b64 s[6:7], s[54:55], s[0:1]
	s_and_saveexec_b64 s[0:1], s[6:7]
	s_cbranch_execz .LBB429_54
; %bb.53:
	v_sub_f32_e32 v18, v18, v2
	s_mov_b32 s3, 0x3fb8aa3b
	v_mul_f32_e32 v19, 0x3fb8aa3b, v18
	v_fma_f32 v20, v18, s3, -v19
	v_rndne_f32_e32 v21, v19
	v_fmac_f32_e32 v20, 0x32a5705f, v18
	v_sub_f32_e32 v19, v19, v21
	v_add_f32_e32 v19, v19, v20
	v_exp_f32_e32 v19, v19
	v_cvt_i32_f32_e32 v20, v21
	s_mov_b32 s3, 0xc2ce8ed0
	v_cmp_ngt_f32_e64 s[54:55], s3, v18
	s_mov_b32 s3, 0x42b17218
	v_ldexp_f32 v19, v19, v20
	v_cndmask_b32_e64 v19, 0, v19, s[54:55]
	v_mov_b32_e32 v20, 0x7f800000
	v_cmp_nlt_f32_e64 s[54:55], s3, v18
	v_cndmask_b32_e64 v21, v20, v19, s[54:55]
	v_add_f32_e32 v22, 1.0, v21
	v_cvt_f64_f32_e32 v[18:19], v22
	v_add_f32_e32 v23, -1.0, v22
	v_sub_f32_e32 v24, v23, v22
	v_sub_f32_e32 v23, v21, v23
	v_frexp_exp_i32_f64_e32 v18, v[18:19]
	v_add_f32_e32 v19, 1.0, v24
	v_add_f32_e32 v19, v23, v19
	v_frexp_mant_f32_e32 v23, v22
	s_mov_b32 s6, 0x3f2aaaab
	v_cmp_gt_f32_e64 s[54:55], s6, v23
	s_mov_b32 s6, 0x3f317218
	s_mov_b32 s3, 0x7f800000
	v_subbrev_co_u32_e64 v18, s[54:55], 0, v18, s[54:55]
	v_sub_u32_e32 v23, 0, v18
	v_ldexp_f32 v22, v22, v23
	v_ldexp_f32 v19, v19, v23
	v_add_f32_e32 v23, -1.0, v22
	v_add_f32_e32 v26, 1.0, v22
	v_add_f32_e32 v24, 1.0, v23
	v_add_f32_e32 v27, -1.0, v26
	v_sub_f32_e32 v24, v22, v24
	v_sub_f32_e32 v22, v22, v27
	v_add_f32_e32 v24, v19, v24
	v_add_f32_e32 v19, v19, v22
	;; [unrolled: 1-line block ×3, first 2 shown]
	v_rcp_f32_e32 v27, v22
	v_add_f32_e32 v25, v23, v24
	v_sub_f32_e32 v23, v23, v25
	v_add_f32_e32 v23, v24, v23
	v_sub_f32_e32 v24, v26, v22
	v_add_f32_e32 v19, v19, v24
	v_mul_f32_e32 v24, v25, v27
	v_mul_f32_e32 v26, v22, v24
	v_fma_f32 v30, v24, v22, -v26
	v_fmac_f32_e32 v30, v24, v19
	v_add_f32_e32 v31, v26, v30
	v_sub_f32_e32 v32, v25, v31
	v_sub_f32_e32 v25, v25, v32
	;; [unrolled: 1-line block ×4, first 2 shown]
	v_add_f32_e32 v23, v23, v25
	v_sub_f32_e32 v25, v26, v30
	v_add_f32_e32 v23, v25, v23
	v_add_f32_e32 v25, v32, v23
	v_mul_f32_e32 v26, v27, v25
	v_mul_f32_e32 v30, v22, v26
	v_fma_f32 v22, v26, v22, -v30
	v_fmac_f32_e32 v22, v26, v19
	v_sub_f32_e32 v19, v32, v25
	v_add_f32_e32 v19, v23, v19
	v_add_f32_e32 v23, v30, v22
	v_sub_f32_e32 v31, v25, v23
	v_sub_f32_e32 v25, v25, v31
	;; [unrolled: 1-line block ×4, first 2 shown]
	v_add_f32_e32 v19, v19, v23
	v_sub_f32_e32 v22, v30, v22
	v_add_f32_e32 v19, v22, v19
	v_add_f32_e32 v22, v24, v26
	v_add_f32_e32 v19, v31, v19
	v_sub_f32_e32 v23, v22, v24
	v_mul_f32_e32 v19, v27, v19
	v_sub_f32_e32 v23, v26, v23
	v_add_f32_e32 v19, v23, v19
	v_cvt_f32_i32_e32 v18, v18
	v_add_f32_e32 v23, v22, v19
	v_mul_f32_e32 v24, v23, v23
	v_mov_b32_e32 v25, 0x3ecc95a3
	v_fmac_f32_e32 v25, 0x3e9b6dac, v24
	v_mov_b32_e32 v26, 0x3f2aaada
	v_fmac_f32_e32 v26, v24, v25
	v_mul_f32_e32 v25, 0x3f317218, v18
	v_fma_f32 v27, v18, s6, -v25
	v_fmac_f32_e32 v27, 0xb102e308, v18
	v_sub_f32_e32 v18, v23, v22
	v_sub_f32_e32 v18, v19, v18
	v_add_f32_e32 v19, v25, v27
	v_sub_f32_e32 v22, v19, v25
	v_ldexp_f32 v25, v23, 1
	v_mul_f32_e32 v23, v23, v24
	v_mul_f32_e32 v23, v23, v26
	v_add_f32_e32 v24, v25, v23
	v_sub_f32_e32 v25, v24, v25
	v_ldexp_f32 v18, v18, 1
	v_sub_f32_e32 v23, v23, v25
	v_add_f32_e32 v18, v18, v23
	v_add_f32_e32 v23, v24, v18
	v_sub_f32_e32 v24, v23, v24
	v_sub_f32_e32 v18, v18, v24
	v_add_f32_e32 v24, v19, v23
	v_sub_f32_e32 v25, v24, v19
	v_sub_f32_e32 v26, v24, v25
	;; [unrolled: 1-line block ×5, first 2 shown]
	v_add_f32_e32 v19, v23, v19
	v_add_f32_e32 v23, v22, v18
	v_sub_f32_e32 v25, v23, v22
	v_sub_f32_e32 v26, v23, v25
	;; [unrolled: 1-line block ×4, first 2 shown]
	v_add_f32_e32 v19, v23, v19
	v_add_f32_e32 v18, v18, v22
	;; [unrolled: 1-line block ×3, first 2 shown]
	v_sub_f32_e32 v23, v22, v24
	v_sub_f32_e32 v19, v19, v23
	v_add_f32_e32 v18, v18, v19
	v_add_f32_e32 v18, v22, v18
	v_cmp_neq_f32_e64 s[54:55], s3, v21
	s_mov_b32 s3, 0x33800000
	v_cndmask_b32_e64 v18, v20, v18, s[54:55]
	v_cmp_lt_f32_e64 s[54:55], |v21|, s3
	v_cndmask_b32_e64 v18, v18, v21, s[54:55]
	v_add_f32_e32 v2, v2, v18
	v_cvt_f16_f32_e32 v31, v2
	v_cvt_f32_f16_e32 v32, v31
	v_mov_b32_e32 v30, v31
.LBB429_54:
	s_or_b64 exec, exec, s[0:1]
	v_cvt_f32_f16_e32 v2, v3
	v_max_f32_e32 v18, v32, v32
	v_cmp_u_f16_e64 s[56:57], v31, v31
	v_cmp_u_f16_e64 s[54:55], v3, v3
	v_min_f32_e32 v19, v18, v2
	v_max_f32_e32 v18, v18, v2
	v_cndmask_b32_e64 v19, v19, v32, s[56:57]
	v_cndmask_b32_e64 v18, v18, v32, s[56:57]
	;; [unrolled: 1-line block ×4, first 2 shown]
	v_cmp_neq_f32_e64 s[56:57], v19, v18
	v_cmp_class_f32_e64 s[0:1], v19, s2
	s_or_b64 s[2:3], s[56:57], s[0:1]
	s_and_saveexec_b64 s[0:1], s[2:3]
	s_cbranch_execz .LBB429_56
; %bb.55:
	v_sub_f32_e32 v19, v19, v18
	s_mov_b32 s2, 0x3fb8aa3b
	v_mul_f32_e32 v20, 0x3fb8aa3b, v19
	v_fma_f32 v21, v19, s2, -v20
	v_rndne_f32_e32 v22, v20
	v_fmac_f32_e32 v21, 0x32a5705f, v19
	v_sub_f32_e32 v20, v20, v22
	v_add_f32_e32 v20, v20, v21
	v_exp_f32_e32 v20, v20
	v_cvt_i32_f32_e32 v21, v22
	s_mov_b32 s2, 0xc2ce8ed0
	v_cmp_ngt_f32_e64 s[56:57], s2, v19
	s_mov_b32 s2, 0x42b17218
	v_ldexp_f32 v20, v20, v21
	v_cndmask_b32_e64 v20, 0, v20, s[56:57]
	v_mov_b32_e32 v21, 0x7f800000
	v_cmp_nlt_f32_e64 s[56:57], s2, v19
	v_cndmask_b32_e64 v22, v21, v20, s[56:57]
	v_add_f32_e32 v23, 1.0, v22
	v_cvt_f64_f32_e32 v[19:20], v23
	v_add_f32_e32 v24, -1.0, v23
	v_sub_f32_e32 v25, v24, v23
	v_sub_f32_e32 v24, v22, v24
	v_frexp_exp_i32_f64_e32 v19, v[19:20]
	v_add_f32_e32 v20, 1.0, v25
	v_add_f32_e32 v20, v24, v20
	v_frexp_mant_f32_e32 v24, v23
	s_mov_b32 s3, 0x3f2aaaab
	v_cmp_gt_f32_e64 s[56:57], s3, v24
	s_mov_b32 s3, 0x3f317218
	s_mov_b32 s2, 0x7f800000
	v_subbrev_co_u32_e64 v19, s[56:57], 0, v19, s[56:57]
	v_sub_u32_e32 v24, 0, v19
	v_ldexp_f32 v23, v23, v24
	v_ldexp_f32 v20, v20, v24
	v_add_f32_e32 v24, -1.0, v23
	v_add_f32_e32 v27, 1.0, v23
	v_add_f32_e32 v25, 1.0, v24
	v_add_f32_e32 v30, -1.0, v27
	v_sub_f32_e32 v25, v23, v25
	v_sub_f32_e32 v23, v23, v30
	v_add_f32_e32 v25, v20, v25
	v_add_f32_e32 v20, v20, v23
	;; [unrolled: 1-line block ×3, first 2 shown]
	v_rcp_f32_e32 v30, v23
	v_add_f32_e32 v26, v24, v25
	v_sub_f32_e32 v24, v24, v26
	v_add_f32_e32 v24, v25, v24
	v_sub_f32_e32 v25, v27, v23
	v_add_f32_e32 v20, v20, v25
	v_mul_f32_e32 v25, v26, v30
	v_mul_f32_e32 v27, v23, v25
	v_fma_f32 v31, v25, v23, -v27
	v_fmac_f32_e32 v31, v25, v20
	v_add_f32_e32 v32, v27, v31
	v_sub_f32_e32 v33, v26, v32
	v_sub_f32_e32 v26, v26, v33
	;; [unrolled: 1-line block ×4, first 2 shown]
	v_add_f32_e32 v24, v24, v26
	v_sub_f32_e32 v26, v27, v31
	v_add_f32_e32 v24, v26, v24
	v_add_f32_e32 v26, v33, v24
	v_mul_f32_e32 v27, v30, v26
	v_mul_f32_e32 v31, v23, v27
	v_fma_f32 v23, v27, v23, -v31
	v_fmac_f32_e32 v23, v27, v20
	v_sub_f32_e32 v20, v33, v26
	v_add_f32_e32 v20, v24, v20
	v_add_f32_e32 v24, v31, v23
	v_sub_f32_e32 v32, v26, v24
	v_sub_f32_e32 v26, v26, v32
	;; [unrolled: 1-line block ×4, first 2 shown]
	v_add_f32_e32 v20, v20, v24
	v_sub_f32_e32 v23, v31, v23
	v_add_f32_e32 v20, v23, v20
	v_add_f32_e32 v23, v25, v27
	;; [unrolled: 1-line block ×3, first 2 shown]
	v_sub_f32_e32 v24, v23, v25
	v_mul_f32_e32 v20, v30, v20
	v_sub_f32_e32 v24, v27, v24
	v_add_f32_e32 v20, v24, v20
	v_cvt_f32_i32_e32 v19, v19
	v_add_f32_e32 v24, v23, v20
	v_mul_f32_e32 v25, v24, v24
	v_mov_b32_e32 v26, 0x3ecc95a3
	v_fmac_f32_e32 v26, 0x3e9b6dac, v25
	v_mov_b32_e32 v27, 0x3f2aaada
	v_fmac_f32_e32 v27, v25, v26
	v_mul_f32_e32 v26, 0x3f317218, v19
	v_fma_f32 v30, v19, s3, -v26
	v_fmac_f32_e32 v30, 0xb102e308, v19
	v_sub_f32_e32 v19, v24, v23
	v_sub_f32_e32 v19, v20, v19
	v_add_f32_e32 v20, v26, v30
	v_sub_f32_e32 v23, v20, v26
	v_ldexp_f32 v26, v24, 1
	v_mul_f32_e32 v24, v24, v25
	v_mul_f32_e32 v24, v24, v27
	v_add_f32_e32 v25, v26, v24
	v_sub_f32_e32 v26, v25, v26
	v_ldexp_f32 v19, v19, 1
	v_sub_f32_e32 v24, v24, v26
	v_add_f32_e32 v19, v19, v24
	v_add_f32_e32 v24, v25, v19
	v_sub_f32_e32 v25, v24, v25
	v_sub_f32_e32 v19, v19, v25
	v_add_f32_e32 v25, v20, v24
	v_sub_f32_e32 v26, v25, v20
	v_sub_f32_e32 v27, v25, v26
	;; [unrolled: 1-line block ×5, first 2 shown]
	v_add_f32_e32 v20, v24, v20
	v_add_f32_e32 v24, v23, v19
	v_sub_f32_e32 v26, v24, v23
	v_sub_f32_e32 v27, v24, v26
	;; [unrolled: 1-line block ×4, first 2 shown]
	v_add_f32_e32 v20, v24, v20
	v_add_f32_e32 v19, v19, v23
	;; [unrolled: 1-line block ×3, first 2 shown]
	v_sub_f32_e32 v24, v23, v25
	v_sub_f32_e32 v20, v20, v24
	v_add_f32_e32 v19, v19, v20
	v_add_f32_e32 v19, v23, v19
	v_cmp_neq_f32_e64 s[56:57], s2, v22
	s_mov_b32 s2, 0x33800000
	v_cndmask_b32_e64 v19, v21, v19, s[56:57]
	v_cmp_lt_f32_e64 s[56:57], |v22|, s2
	v_cndmask_b32_e64 v19, v19, v22, s[56:57]
	v_add_f32_e32 v18, v18, v19
	v_cvt_f16_f32_e32 v31, v18
	v_cvt_f32_f16_e32 v32, v31
	v_mov_b32_e32 v30, v31
.LBB429_56:
	s_or_b64 exec, exec, s[0:1]
	v_cvt_f32_f16_sdwa v18, v3 dst_sel:DWORD dst_unused:UNUSED_PAD src0_sel:WORD_1
	v_max_f32_e32 v20, v32, v32
	v_cmp_u_f16_e64 s[58:59], v31, v31
	v_cmp_u_f16_sdwa s[56:57], v3, v3 src0_sel:WORD_1 src1_sel:WORD_1
	v_min_f32_e32 v19, v20, v18
	v_max_f32_e32 v3, v20, v18
	v_cndmask_b32_e64 v19, v19, v32, s[58:59]
	v_cndmask_b32_e64 v3, v3, v32, s[58:59]
	;; [unrolled: 1-line block ×4, first 2 shown]
	s_movk_i32 s2, 0x1f8
	v_cmp_neq_f32_e64 s[58:59], v19, v3
	v_cmp_class_f32_e64 s[0:1], v19, s2
	s_or_b64 s[6:7], s[58:59], s[0:1]
	s_and_saveexec_b64 s[0:1], s[6:7]
	s_cbranch_execz .LBB429_58
; %bb.57:
	v_sub_f32_e32 v19, v19, v3
	s_mov_b32 s3, 0x3fb8aa3b
	v_mul_f32_e32 v20, 0x3fb8aa3b, v19
	v_fma_f32 v21, v19, s3, -v20
	v_rndne_f32_e32 v22, v20
	v_fmac_f32_e32 v21, 0x32a5705f, v19
	v_sub_f32_e32 v20, v20, v22
	v_add_f32_e32 v20, v20, v21
	v_exp_f32_e32 v20, v20
	v_cvt_i32_f32_e32 v21, v22
	s_mov_b32 s3, 0xc2ce8ed0
	v_cmp_ngt_f32_e64 s[58:59], s3, v19
	s_mov_b32 s3, 0x42b17218
	v_ldexp_f32 v20, v20, v21
	v_cndmask_b32_e64 v20, 0, v20, s[58:59]
	v_mov_b32_e32 v21, 0x7f800000
	v_cmp_nlt_f32_e64 s[58:59], s3, v19
	v_cndmask_b32_e64 v22, v21, v20, s[58:59]
	v_add_f32_e32 v23, 1.0, v22
	v_cvt_f64_f32_e32 v[19:20], v23
	v_add_f32_e32 v24, -1.0, v23
	v_sub_f32_e32 v25, v24, v23
	v_sub_f32_e32 v24, v22, v24
	v_frexp_exp_i32_f64_e32 v19, v[19:20]
	v_add_f32_e32 v20, 1.0, v25
	v_add_f32_e32 v20, v24, v20
	v_frexp_mant_f32_e32 v24, v23
	s_mov_b32 s6, 0x3f2aaaab
	v_cmp_gt_f32_e64 s[58:59], s6, v24
	s_mov_b32 s6, 0x3f317218
	s_mov_b32 s3, 0x7f800000
	v_subbrev_co_u32_e64 v19, s[58:59], 0, v19, s[58:59]
	v_sub_u32_e32 v24, 0, v19
	v_ldexp_f32 v23, v23, v24
	v_ldexp_f32 v20, v20, v24
	v_add_f32_e32 v24, -1.0, v23
	v_add_f32_e32 v27, 1.0, v23
	v_add_f32_e32 v25, 1.0, v24
	v_add_f32_e32 v30, -1.0, v27
	v_sub_f32_e32 v25, v23, v25
	v_sub_f32_e32 v23, v23, v30
	v_add_f32_e32 v25, v20, v25
	v_add_f32_e32 v20, v20, v23
	;; [unrolled: 1-line block ×3, first 2 shown]
	v_rcp_f32_e32 v30, v23
	v_add_f32_e32 v26, v24, v25
	v_sub_f32_e32 v24, v24, v26
	v_add_f32_e32 v24, v25, v24
	v_sub_f32_e32 v25, v27, v23
	v_add_f32_e32 v20, v20, v25
	v_mul_f32_e32 v25, v26, v30
	v_mul_f32_e32 v27, v23, v25
	v_fma_f32 v31, v25, v23, -v27
	v_fmac_f32_e32 v31, v25, v20
	v_add_f32_e32 v32, v27, v31
	v_sub_f32_e32 v33, v26, v32
	v_sub_f32_e32 v26, v26, v33
	;; [unrolled: 1-line block ×4, first 2 shown]
	v_add_f32_e32 v24, v24, v26
	v_sub_f32_e32 v26, v27, v31
	v_add_f32_e32 v24, v26, v24
	v_add_f32_e32 v26, v33, v24
	v_mul_f32_e32 v27, v30, v26
	v_mul_f32_e32 v31, v23, v27
	v_fma_f32 v23, v27, v23, -v31
	v_fmac_f32_e32 v23, v27, v20
	v_sub_f32_e32 v20, v33, v26
	v_add_f32_e32 v20, v24, v20
	v_add_f32_e32 v24, v31, v23
	v_sub_f32_e32 v32, v26, v24
	v_sub_f32_e32 v26, v26, v32
	;; [unrolled: 1-line block ×4, first 2 shown]
	v_add_f32_e32 v20, v20, v24
	v_sub_f32_e32 v23, v31, v23
	v_add_f32_e32 v20, v23, v20
	v_add_f32_e32 v23, v25, v27
	;; [unrolled: 1-line block ×3, first 2 shown]
	v_sub_f32_e32 v24, v23, v25
	v_mul_f32_e32 v20, v30, v20
	v_sub_f32_e32 v24, v27, v24
	v_add_f32_e32 v20, v24, v20
	v_cvt_f32_i32_e32 v19, v19
	v_add_f32_e32 v24, v23, v20
	v_mul_f32_e32 v25, v24, v24
	v_mov_b32_e32 v26, 0x3ecc95a3
	v_fmac_f32_e32 v26, 0x3e9b6dac, v25
	v_mov_b32_e32 v27, 0x3f2aaada
	v_fmac_f32_e32 v27, v25, v26
	v_mul_f32_e32 v26, 0x3f317218, v19
	v_fma_f32 v30, v19, s6, -v26
	v_fmac_f32_e32 v30, 0xb102e308, v19
	v_sub_f32_e32 v19, v24, v23
	v_sub_f32_e32 v19, v20, v19
	v_add_f32_e32 v20, v26, v30
	v_sub_f32_e32 v23, v20, v26
	v_ldexp_f32 v26, v24, 1
	v_mul_f32_e32 v24, v24, v25
	v_mul_f32_e32 v24, v24, v27
	v_add_f32_e32 v25, v26, v24
	v_sub_f32_e32 v26, v25, v26
	v_ldexp_f32 v19, v19, 1
	v_sub_f32_e32 v24, v24, v26
	v_add_f32_e32 v19, v19, v24
	v_add_f32_e32 v24, v25, v19
	v_sub_f32_e32 v25, v24, v25
	v_sub_f32_e32 v19, v19, v25
	v_add_f32_e32 v25, v20, v24
	v_sub_f32_e32 v26, v25, v20
	v_sub_f32_e32 v27, v25, v26
	;; [unrolled: 1-line block ×5, first 2 shown]
	v_add_f32_e32 v20, v24, v20
	v_add_f32_e32 v24, v23, v19
	v_sub_f32_e32 v26, v24, v23
	v_sub_f32_e32 v27, v24, v26
	;; [unrolled: 1-line block ×4, first 2 shown]
	v_add_f32_e32 v20, v24, v20
	v_add_f32_e32 v19, v19, v23
	;; [unrolled: 1-line block ×3, first 2 shown]
	v_sub_f32_e32 v24, v23, v25
	v_sub_f32_e32 v20, v20, v24
	v_add_f32_e32 v19, v19, v20
	v_add_f32_e32 v19, v23, v19
	v_cmp_neq_f32_e64 s[58:59], s3, v22
	s_mov_b32 s3, 0x33800000
	v_cndmask_b32_e64 v19, v21, v19, s[58:59]
	v_cmp_lt_f32_e64 s[58:59], |v22|, s3
	v_cndmask_b32_e64 v19, v19, v22, s[58:59]
	v_add_f32_e32 v3, v3, v19
	v_cvt_f16_f32_e32 v31, v3
	v_cvt_f32_f16_e32 v32, v31
	v_mov_b32_e32 v30, v31
.LBB429_58:
	s_or_b64 exec, exec, s[0:1]
	v_cvt_f32_f16_e32 v3, v4
	v_max_f32_e32 v19, v32, v32
	v_cmp_u_f16_e64 s[60:61], v31, v31
	v_cmp_u_f16_e64 s[58:59], v4, v4
	v_min_f32_e32 v20, v19, v3
	v_max_f32_e32 v19, v19, v3
	v_cndmask_b32_e64 v20, v20, v32, s[60:61]
	v_cndmask_b32_e64 v19, v19, v32, s[60:61]
	;; [unrolled: 1-line block ×4, first 2 shown]
	v_cmp_neq_f32_e64 s[60:61], v20, v19
	v_cmp_class_f32_e64 s[0:1], v20, s2
	s_or_b64 s[2:3], s[60:61], s[0:1]
	s_and_saveexec_b64 s[0:1], s[2:3]
	s_cbranch_execz .LBB429_60
; %bb.59:
	v_sub_f32_e32 v20, v20, v19
	s_mov_b32 s2, 0x3fb8aa3b
	v_mul_f32_e32 v21, 0x3fb8aa3b, v20
	v_fma_f32 v22, v20, s2, -v21
	v_rndne_f32_e32 v23, v21
	v_fmac_f32_e32 v22, 0x32a5705f, v20
	v_sub_f32_e32 v21, v21, v23
	v_add_f32_e32 v21, v21, v22
	v_exp_f32_e32 v21, v21
	v_cvt_i32_f32_e32 v22, v23
	s_mov_b32 s2, 0xc2ce8ed0
	v_cmp_ngt_f32_e64 s[60:61], s2, v20
	s_mov_b32 s2, 0x42b17218
	v_ldexp_f32 v21, v21, v22
	v_cndmask_b32_e64 v21, 0, v21, s[60:61]
	v_mov_b32_e32 v22, 0x7f800000
	v_cmp_nlt_f32_e64 s[60:61], s2, v20
	v_cndmask_b32_e64 v23, v22, v21, s[60:61]
	v_add_f32_e32 v24, 1.0, v23
	v_cvt_f64_f32_e32 v[20:21], v24
	v_add_f32_e32 v25, -1.0, v24
	v_sub_f32_e32 v26, v25, v24
	v_sub_f32_e32 v25, v23, v25
	v_frexp_exp_i32_f64_e32 v20, v[20:21]
	v_add_f32_e32 v21, 1.0, v26
	v_add_f32_e32 v21, v25, v21
	v_frexp_mant_f32_e32 v25, v24
	s_mov_b32 s3, 0x3f2aaaab
	v_cmp_gt_f32_e64 s[60:61], s3, v25
	s_mov_b32 s3, 0x3f317218
	s_mov_b32 s2, 0x7f800000
	v_subbrev_co_u32_e64 v20, s[60:61], 0, v20, s[60:61]
	v_sub_u32_e32 v25, 0, v20
	v_ldexp_f32 v24, v24, v25
	v_ldexp_f32 v21, v21, v25
	v_add_f32_e32 v25, -1.0, v24
	v_add_f32_e32 v30, 1.0, v24
	v_add_f32_e32 v26, 1.0, v25
	v_add_f32_e32 v31, -1.0, v30
	v_sub_f32_e32 v26, v24, v26
	v_sub_f32_e32 v24, v24, v31
	v_add_f32_e32 v26, v21, v26
	v_add_f32_e32 v21, v21, v24
	;; [unrolled: 1-line block ×3, first 2 shown]
	v_rcp_f32_e32 v31, v24
	v_add_f32_e32 v27, v25, v26
	v_sub_f32_e32 v25, v25, v27
	v_add_f32_e32 v25, v26, v25
	v_sub_f32_e32 v26, v30, v24
	v_add_f32_e32 v21, v21, v26
	v_mul_f32_e32 v26, v27, v31
	v_mul_f32_e32 v30, v24, v26
	v_fma_f32 v32, v26, v24, -v30
	v_fmac_f32_e32 v32, v26, v21
	v_add_f32_e32 v33, v30, v32
	v_sub_f32_e32 v34, v27, v33
	v_sub_f32_e32 v27, v27, v34
	;; [unrolled: 1-line block ×4, first 2 shown]
	v_add_f32_e32 v25, v25, v27
	v_sub_f32_e32 v27, v30, v32
	v_add_f32_e32 v25, v27, v25
	v_add_f32_e32 v27, v34, v25
	v_mul_f32_e32 v30, v31, v27
	v_mul_f32_e32 v32, v24, v30
	v_fma_f32 v24, v30, v24, -v32
	v_fmac_f32_e32 v24, v30, v21
	v_sub_f32_e32 v21, v34, v27
	v_add_f32_e32 v21, v25, v21
	v_add_f32_e32 v25, v32, v24
	v_sub_f32_e32 v33, v27, v25
	v_sub_f32_e32 v27, v27, v33
	v_sub_f32_e32 v32, v25, v32
	v_sub_f32_e32 v25, v27, v25
	v_add_f32_e32 v21, v21, v25
	v_sub_f32_e32 v24, v32, v24
	v_add_f32_e32 v21, v24, v21
	v_add_f32_e32 v24, v26, v30
	;; [unrolled: 1-line block ×3, first 2 shown]
	v_sub_f32_e32 v25, v24, v26
	v_mul_f32_e32 v21, v31, v21
	v_sub_f32_e32 v25, v30, v25
	v_add_f32_e32 v21, v25, v21
	v_cvt_f32_i32_e32 v20, v20
	v_add_f32_e32 v25, v24, v21
	v_mul_f32_e32 v26, v25, v25
	v_mov_b32_e32 v27, 0x3ecc95a3
	v_fmac_f32_e32 v27, 0x3e9b6dac, v26
	v_mov_b32_e32 v30, 0x3f2aaada
	v_fmac_f32_e32 v30, v26, v27
	v_mul_f32_e32 v27, 0x3f317218, v20
	v_fma_f32 v31, v20, s3, -v27
	v_fmac_f32_e32 v31, 0xb102e308, v20
	v_sub_f32_e32 v20, v25, v24
	v_sub_f32_e32 v20, v21, v20
	v_add_f32_e32 v21, v27, v31
	v_sub_f32_e32 v24, v21, v27
	v_ldexp_f32 v27, v25, 1
	v_mul_f32_e32 v25, v25, v26
	v_mul_f32_e32 v25, v25, v30
	v_add_f32_e32 v26, v27, v25
	v_sub_f32_e32 v27, v26, v27
	v_ldexp_f32 v20, v20, 1
	v_sub_f32_e32 v25, v25, v27
	v_add_f32_e32 v20, v20, v25
	v_add_f32_e32 v25, v26, v20
	v_sub_f32_e32 v26, v25, v26
	v_sub_f32_e32 v20, v20, v26
	v_add_f32_e32 v26, v21, v25
	v_sub_f32_e32 v27, v26, v21
	v_sub_f32_e32 v30, v26, v27
	;; [unrolled: 1-line block ×5, first 2 shown]
	v_add_f32_e32 v21, v25, v21
	v_add_f32_e32 v25, v24, v20
	v_sub_f32_e32 v27, v25, v24
	v_sub_f32_e32 v30, v25, v27
	;; [unrolled: 1-line block ×4, first 2 shown]
	v_add_f32_e32 v21, v25, v21
	v_add_f32_e32 v20, v20, v24
	;; [unrolled: 1-line block ×3, first 2 shown]
	v_sub_f32_e32 v25, v24, v26
	v_sub_f32_e32 v21, v21, v25
	v_add_f32_e32 v20, v20, v21
	v_add_f32_e32 v20, v24, v20
	v_cmp_neq_f32_e64 s[60:61], s2, v23
	s_mov_b32 s2, 0x33800000
	v_cndmask_b32_e64 v20, v22, v20, s[60:61]
	v_cmp_lt_f32_e64 s[60:61], |v23|, s2
	v_cndmask_b32_e64 v20, v20, v23, s[60:61]
	v_add_f32_e32 v19, v19, v20
	v_cvt_f16_f32_e32 v31, v19
	v_cvt_f32_f16_e32 v32, v31
	v_mov_b32_e32 v30, v31
.LBB429_60:
	s_or_b64 exec, exec, s[0:1]
	v_cvt_f32_f16_sdwa v19, v4 dst_sel:DWORD dst_unused:UNUSED_PAD src0_sel:WORD_1
	v_max_f32_e32 v21, v32, v32
	v_cmp_u_f16_e64 s[62:63], v31, v31
	v_cmp_u_f16_sdwa s[60:61], v4, v4 src0_sel:WORD_1 src1_sel:WORD_1
	v_min_f32_e32 v20, v21, v19
	v_max_f32_e32 v4, v21, v19
	v_cndmask_b32_e64 v20, v20, v32, s[62:63]
	v_cndmask_b32_e64 v4, v4, v32, s[62:63]
	;; [unrolled: 1-line block ×4, first 2 shown]
	s_movk_i32 s2, 0x1f8
	v_cmp_neq_f32_e64 s[62:63], v20, v4
	v_cmp_class_f32_e64 s[0:1], v20, s2
	s_or_b64 s[6:7], s[62:63], s[0:1]
	s_and_saveexec_b64 s[0:1], s[6:7]
	s_cbranch_execz .LBB429_62
; %bb.61:
	v_sub_f32_e32 v20, v20, v4
	s_mov_b32 s3, 0x3fb8aa3b
	v_mul_f32_e32 v21, 0x3fb8aa3b, v20
	v_fma_f32 v22, v20, s3, -v21
	v_rndne_f32_e32 v23, v21
	v_fmac_f32_e32 v22, 0x32a5705f, v20
	v_sub_f32_e32 v21, v21, v23
	v_add_f32_e32 v21, v21, v22
	v_exp_f32_e32 v21, v21
	v_cvt_i32_f32_e32 v22, v23
	s_mov_b32 s3, 0xc2ce8ed0
	v_cmp_ngt_f32_e64 s[62:63], s3, v20
	s_mov_b32 s3, 0x42b17218
	v_ldexp_f32 v21, v21, v22
	v_cndmask_b32_e64 v21, 0, v21, s[62:63]
	v_mov_b32_e32 v22, 0x7f800000
	v_cmp_nlt_f32_e64 s[62:63], s3, v20
	v_cndmask_b32_e64 v23, v22, v21, s[62:63]
	v_add_f32_e32 v24, 1.0, v23
	v_cvt_f64_f32_e32 v[20:21], v24
	v_add_f32_e32 v25, -1.0, v24
	v_sub_f32_e32 v26, v25, v24
	v_sub_f32_e32 v25, v23, v25
	v_frexp_exp_i32_f64_e32 v20, v[20:21]
	v_add_f32_e32 v21, 1.0, v26
	v_add_f32_e32 v21, v25, v21
	v_frexp_mant_f32_e32 v25, v24
	s_mov_b32 s6, 0x3f2aaaab
	v_cmp_gt_f32_e64 s[62:63], s6, v25
	s_mov_b32 s6, 0x3f317218
	s_mov_b32 s3, 0x7f800000
	v_subbrev_co_u32_e64 v20, s[62:63], 0, v20, s[62:63]
	v_sub_u32_e32 v25, 0, v20
	v_ldexp_f32 v24, v24, v25
	v_ldexp_f32 v21, v21, v25
	v_add_f32_e32 v25, -1.0, v24
	v_add_f32_e32 v30, 1.0, v24
	v_add_f32_e32 v26, 1.0, v25
	v_add_f32_e32 v31, -1.0, v30
	v_sub_f32_e32 v26, v24, v26
	v_sub_f32_e32 v24, v24, v31
	v_add_f32_e32 v26, v21, v26
	v_add_f32_e32 v21, v21, v24
	;; [unrolled: 1-line block ×3, first 2 shown]
	v_rcp_f32_e32 v31, v24
	v_add_f32_e32 v27, v25, v26
	v_sub_f32_e32 v25, v25, v27
	v_add_f32_e32 v25, v26, v25
	v_sub_f32_e32 v26, v30, v24
	v_add_f32_e32 v21, v21, v26
	v_mul_f32_e32 v26, v27, v31
	v_mul_f32_e32 v30, v24, v26
	v_fma_f32 v32, v26, v24, -v30
	v_fmac_f32_e32 v32, v26, v21
	v_add_f32_e32 v33, v30, v32
	v_sub_f32_e32 v34, v27, v33
	v_sub_f32_e32 v27, v27, v34
	;; [unrolled: 1-line block ×4, first 2 shown]
	v_add_f32_e32 v25, v25, v27
	v_sub_f32_e32 v27, v30, v32
	v_add_f32_e32 v25, v27, v25
	v_add_f32_e32 v27, v34, v25
	v_mul_f32_e32 v30, v31, v27
	v_mul_f32_e32 v32, v24, v30
	v_fma_f32 v24, v30, v24, -v32
	v_fmac_f32_e32 v24, v30, v21
	v_sub_f32_e32 v21, v34, v27
	v_add_f32_e32 v21, v25, v21
	v_add_f32_e32 v25, v32, v24
	v_sub_f32_e32 v33, v27, v25
	v_sub_f32_e32 v27, v27, v33
	;; [unrolled: 1-line block ×4, first 2 shown]
	v_add_f32_e32 v21, v21, v25
	v_sub_f32_e32 v24, v32, v24
	v_add_f32_e32 v21, v24, v21
	v_add_f32_e32 v24, v26, v30
	;; [unrolled: 1-line block ×3, first 2 shown]
	v_sub_f32_e32 v25, v24, v26
	v_mul_f32_e32 v21, v31, v21
	v_sub_f32_e32 v25, v30, v25
	v_add_f32_e32 v21, v25, v21
	v_cvt_f32_i32_e32 v20, v20
	v_add_f32_e32 v25, v24, v21
	v_mul_f32_e32 v26, v25, v25
	v_mov_b32_e32 v27, 0x3ecc95a3
	v_fmac_f32_e32 v27, 0x3e9b6dac, v26
	v_mov_b32_e32 v30, 0x3f2aaada
	v_fmac_f32_e32 v30, v26, v27
	v_mul_f32_e32 v27, 0x3f317218, v20
	v_fma_f32 v31, v20, s6, -v27
	v_fmac_f32_e32 v31, 0xb102e308, v20
	v_sub_f32_e32 v20, v25, v24
	v_sub_f32_e32 v20, v21, v20
	v_add_f32_e32 v21, v27, v31
	v_sub_f32_e32 v24, v21, v27
	v_ldexp_f32 v27, v25, 1
	v_mul_f32_e32 v25, v25, v26
	v_mul_f32_e32 v25, v25, v30
	v_add_f32_e32 v26, v27, v25
	v_sub_f32_e32 v27, v26, v27
	v_ldexp_f32 v20, v20, 1
	v_sub_f32_e32 v25, v25, v27
	v_add_f32_e32 v20, v20, v25
	v_add_f32_e32 v25, v26, v20
	v_sub_f32_e32 v26, v25, v26
	v_sub_f32_e32 v20, v20, v26
	v_add_f32_e32 v26, v21, v25
	v_sub_f32_e32 v27, v26, v21
	v_sub_f32_e32 v30, v26, v27
	;; [unrolled: 1-line block ×5, first 2 shown]
	v_add_f32_e32 v21, v25, v21
	v_add_f32_e32 v25, v24, v20
	v_sub_f32_e32 v27, v25, v24
	v_sub_f32_e32 v30, v25, v27
	;; [unrolled: 1-line block ×4, first 2 shown]
	v_add_f32_e32 v21, v25, v21
	v_add_f32_e32 v20, v20, v24
	;; [unrolled: 1-line block ×3, first 2 shown]
	v_sub_f32_e32 v25, v24, v26
	v_sub_f32_e32 v21, v21, v25
	v_add_f32_e32 v20, v20, v21
	v_add_f32_e32 v20, v24, v20
	v_cmp_neq_f32_e64 s[62:63], s3, v23
	s_mov_b32 s3, 0x33800000
	v_cndmask_b32_e64 v20, v22, v20, s[62:63]
	v_cmp_lt_f32_e64 s[62:63], |v23|, s3
	v_cndmask_b32_e64 v20, v20, v23, s[62:63]
	v_add_f32_e32 v4, v4, v20
	v_cvt_f16_f32_e32 v31, v4
	v_cvt_f32_f16_e32 v32, v31
	v_mov_b32_e32 v30, v31
.LBB429_62:
	s_or_b64 exec, exec, s[0:1]
	v_cvt_f32_f16_e32 v4, v9
	v_max_f32_e32 v20, v32, v32
	v_cmp_u_f16_e64 s[64:65], v31, v31
	v_cmp_u_f16_e64 s[62:63], v9, v9
	v_min_f32_e32 v21, v20, v4
	v_max_f32_e32 v20, v20, v4
	v_cndmask_b32_e64 v21, v21, v32, s[64:65]
	v_cndmask_b32_e64 v20, v20, v32, s[64:65]
	;; [unrolled: 1-line block ×4, first 2 shown]
	v_cmp_neq_f32_e64 s[64:65], v21, v20
	v_cmp_class_f32_e64 s[0:1], v21, s2
	s_or_b64 s[2:3], s[64:65], s[0:1]
	s_and_saveexec_b64 s[0:1], s[2:3]
	s_cbranch_execz .LBB429_64
; %bb.63:
	v_sub_f32_e32 v21, v21, v20
	s_mov_b32 s2, 0x3fb8aa3b
	v_mul_f32_e32 v22, 0x3fb8aa3b, v21
	v_fma_f32 v23, v21, s2, -v22
	v_rndne_f32_e32 v24, v22
	v_fmac_f32_e32 v23, 0x32a5705f, v21
	v_sub_f32_e32 v22, v22, v24
	v_add_f32_e32 v22, v22, v23
	v_exp_f32_e32 v22, v22
	v_cvt_i32_f32_e32 v23, v24
	s_mov_b32 s2, 0xc2ce8ed0
	v_cmp_ngt_f32_e64 s[64:65], s2, v21
	s_mov_b32 s2, 0x42b17218
	v_ldexp_f32 v22, v22, v23
	v_cndmask_b32_e64 v22, 0, v22, s[64:65]
	v_mov_b32_e32 v23, 0x7f800000
	v_cmp_nlt_f32_e64 s[64:65], s2, v21
	v_cndmask_b32_e64 v24, v23, v22, s[64:65]
	v_add_f32_e32 v25, 1.0, v24
	v_cvt_f64_f32_e32 v[21:22], v25
	v_add_f32_e32 v26, -1.0, v25
	v_sub_f32_e32 v27, v26, v25
	v_sub_f32_e32 v26, v24, v26
	v_frexp_exp_i32_f64_e32 v21, v[21:22]
	v_add_f32_e32 v22, 1.0, v27
	v_add_f32_e32 v22, v26, v22
	v_frexp_mant_f32_e32 v26, v25
	s_mov_b32 s3, 0x3f2aaaab
	v_cmp_gt_f32_e64 s[64:65], s3, v26
	s_mov_b32 s3, 0x3f317218
	s_mov_b32 s2, 0x7f800000
	v_subbrev_co_u32_e64 v21, s[64:65], 0, v21, s[64:65]
	v_sub_u32_e32 v26, 0, v21
	v_ldexp_f32 v25, v25, v26
	v_ldexp_f32 v22, v22, v26
	v_add_f32_e32 v26, -1.0, v25
	v_add_f32_e32 v31, 1.0, v25
	v_add_f32_e32 v27, 1.0, v26
	v_add_f32_e32 v32, -1.0, v31
	v_sub_f32_e32 v27, v25, v27
	v_sub_f32_e32 v25, v25, v32
	v_add_f32_e32 v27, v22, v27
	v_add_f32_e32 v22, v22, v25
	;; [unrolled: 1-line block ×3, first 2 shown]
	v_rcp_f32_e32 v32, v25
	v_add_f32_e32 v30, v26, v27
	v_sub_f32_e32 v26, v26, v30
	v_add_f32_e32 v26, v27, v26
	v_sub_f32_e32 v27, v31, v25
	v_add_f32_e32 v22, v22, v27
	v_mul_f32_e32 v27, v30, v32
	v_mul_f32_e32 v31, v25, v27
	v_fma_f32 v33, v27, v25, -v31
	v_fmac_f32_e32 v33, v27, v22
	v_add_f32_e32 v34, v31, v33
	v_sub_f32_e32 v35, v30, v34
	v_sub_f32_e32 v30, v30, v35
	;; [unrolled: 1-line block ×4, first 2 shown]
	v_add_f32_e32 v26, v26, v30
	v_sub_f32_e32 v30, v31, v33
	v_add_f32_e32 v26, v30, v26
	v_add_f32_e32 v30, v35, v26
	v_mul_f32_e32 v31, v32, v30
	v_mul_f32_e32 v33, v25, v31
	v_fma_f32 v25, v31, v25, -v33
	v_fmac_f32_e32 v25, v31, v22
	v_sub_f32_e32 v22, v35, v30
	v_add_f32_e32 v22, v26, v22
	v_add_f32_e32 v26, v33, v25
	v_sub_f32_e32 v34, v30, v26
	v_sub_f32_e32 v30, v30, v34
	;; [unrolled: 1-line block ×4, first 2 shown]
	v_add_f32_e32 v22, v22, v26
	v_sub_f32_e32 v25, v33, v25
	v_add_f32_e32 v22, v25, v22
	v_add_f32_e32 v25, v27, v31
	;; [unrolled: 1-line block ×3, first 2 shown]
	v_sub_f32_e32 v26, v25, v27
	v_mul_f32_e32 v22, v32, v22
	v_sub_f32_e32 v26, v31, v26
	v_add_f32_e32 v22, v26, v22
	v_cvt_f32_i32_e32 v21, v21
	v_add_f32_e32 v26, v25, v22
	v_mul_f32_e32 v27, v26, v26
	v_mov_b32_e32 v30, 0x3ecc95a3
	v_fmac_f32_e32 v30, 0x3e9b6dac, v27
	v_mov_b32_e32 v31, 0x3f2aaada
	v_fmac_f32_e32 v31, v27, v30
	v_mul_f32_e32 v30, 0x3f317218, v21
	v_fma_f32 v32, v21, s3, -v30
	v_fmac_f32_e32 v32, 0xb102e308, v21
	v_sub_f32_e32 v21, v26, v25
	v_sub_f32_e32 v21, v22, v21
	v_add_f32_e32 v22, v30, v32
	v_sub_f32_e32 v25, v22, v30
	v_ldexp_f32 v30, v26, 1
	v_mul_f32_e32 v26, v26, v27
	v_mul_f32_e32 v26, v26, v31
	v_add_f32_e32 v27, v30, v26
	v_sub_f32_e32 v30, v27, v30
	v_ldexp_f32 v21, v21, 1
	v_sub_f32_e32 v26, v26, v30
	v_add_f32_e32 v21, v21, v26
	v_add_f32_e32 v26, v27, v21
	v_sub_f32_e32 v27, v26, v27
	v_sub_f32_e32 v21, v21, v27
	v_add_f32_e32 v27, v22, v26
	v_sub_f32_e32 v30, v27, v22
	v_sub_f32_e32 v31, v27, v30
	;; [unrolled: 1-line block ×5, first 2 shown]
	v_add_f32_e32 v22, v26, v22
	v_add_f32_e32 v26, v25, v21
	v_sub_f32_e32 v30, v26, v25
	v_sub_f32_e32 v31, v26, v30
	;; [unrolled: 1-line block ×4, first 2 shown]
	v_add_f32_e32 v22, v26, v22
	v_add_f32_e32 v21, v21, v25
	;; [unrolled: 1-line block ×3, first 2 shown]
	v_sub_f32_e32 v26, v25, v27
	v_sub_f32_e32 v22, v22, v26
	v_add_f32_e32 v21, v21, v22
	v_add_f32_e32 v21, v25, v21
	v_cmp_neq_f32_e64 s[64:65], s2, v24
	s_mov_b32 s2, 0x33800000
	v_cndmask_b32_e64 v21, v23, v21, s[64:65]
	v_cmp_lt_f32_e64 s[64:65], |v24|, s2
	v_cndmask_b32_e64 v21, v21, v24, s[64:65]
	v_add_f32_e32 v20, v20, v21
	v_cvt_f16_f32_e32 v31, v20
	v_cvt_f32_f16_e32 v32, v31
	v_mov_b32_e32 v30, v31
.LBB429_64:
	s_or_b64 exec, exec, s[0:1]
	v_cvt_f32_f16_sdwa v20, v9 dst_sel:DWORD dst_unused:UNUSED_PAD src0_sel:WORD_1
	v_max_f32_e32 v22, v32, v32
	v_cmp_u_f16_e64 s[66:67], v31, v31
	v_cmp_u_f16_sdwa s[64:65], v9, v9 src0_sel:WORD_1 src1_sel:WORD_1
	v_min_f32_e32 v21, v22, v20
	v_max_f32_e32 v9, v22, v20
	v_cndmask_b32_e64 v21, v21, v32, s[66:67]
	v_cndmask_b32_e64 v9, v9, v32, s[66:67]
	;; [unrolled: 1-line block ×4, first 2 shown]
	s_movk_i32 s2, 0x1f8
	v_cmp_neq_f32_e64 s[66:67], v21, v9
	v_cmp_class_f32_e64 s[0:1], v21, s2
	s_or_b64 s[6:7], s[66:67], s[0:1]
	s_and_saveexec_b64 s[0:1], s[6:7]
	s_cbranch_execz .LBB429_66
; %bb.65:
	v_sub_f32_e32 v21, v21, v9
	s_mov_b32 s3, 0x3fb8aa3b
	v_mul_f32_e32 v22, 0x3fb8aa3b, v21
	v_fma_f32 v23, v21, s3, -v22
	v_rndne_f32_e32 v24, v22
	v_fmac_f32_e32 v23, 0x32a5705f, v21
	v_sub_f32_e32 v22, v22, v24
	v_add_f32_e32 v22, v22, v23
	v_exp_f32_e32 v22, v22
	v_cvt_i32_f32_e32 v23, v24
	s_mov_b32 s3, 0xc2ce8ed0
	v_cmp_ngt_f32_e64 s[66:67], s3, v21
	s_mov_b32 s3, 0x42b17218
	v_ldexp_f32 v22, v22, v23
	v_cndmask_b32_e64 v22, 0, v22, s[66:67]
	v_mov_b32_e32 v23, 0x7f800000
	v_cmp_nlt_f32_e64 s[66:67], s3, v21
	v_cndmask_b32_e64 v24, v23, v22, s[66:67]
	v_add_f32_e32 v25, 1.0, v24
	v_cvt_f64_f32_e32 v[21:22], v25
	v_add_f32_e32 v26, -1.0, v25
	v_sub_f32_e32 v27, v26, v25
	v_sub_f32_e32 v26, v24, v26
	v_frexp_exp_i32_f64_e32 v21, v[21:22]
	v_add_f32_e32 v22, 1.0, v27
	v_add_f32_e32 v22, v26, v22
	v_frexp_mant_f32_e32 v26, v25
	s_mov_b32 s6, 0x3f2aaaab
	v_cmp_gt_f32_e64 s[66:67], s6, v26
	s_mov_b32 s6, 0x3f317218
	s_mov_b32 s3, 0x7f800000
	v_subbrev_co_u32_e64 v21, s[66:67], 0, v21, s[66:67]
	v_sub_u32_e32 v26, 0, v21
	v_ldexp_f32 v25, v25, v26
	v_ldexp_f32 v22, v22, v26
	v_add_f32_e32 v26, -1.0, v25
	v_add_f32_e32 v31, 1.0, v25
	v_add_f32_e32 v27, 1.0, v26
	v_add_f32_e32 v32, -1.0, v31
	v_sub_f32_e32 v27, v25, v27
	v_sub_f32_e32 v25, v25, v32
	v_add_f32_e32 v27, v22, v27
	v_add_f32_e32 v22, v22, v25
	;; [unrolled: 1-line block ×3, first 2 shown]
	v_rcp_f32_e32 v32, v25
	v_add_f32_e32 v30, v26, v27
	v_sub_f32_e32 v26, v26, v30
	v_add_f32_e32 v26, v27, v26
	v_sub_f32_e32 v27, v31, v25
	v_add_f32_e32 v22, v22, v27
	v_mul_f32_e32 v27, v30, v32
	v_mul_f32_e32 v31, v25, v27
	v_fma_f32 v33, v27, v25, -v31
	v_fmac_f32_e32 v33, v27, v22
	v_add_f32_e32 v34, v31, v33
	v_sub_f32_e32 v35, v30, v34
	v_sub_f32_e32 v30, v30, v35
	;; [unrolled: 1-line block ×4, first 2 shown]
	v_add_f32_e32 v26, v26, v30
	v_sub_f32_e32 v30, v31, v33
	v_add_f32_e32 v26, v30, v26
	v_add_f32_e32 v30, v35, v26
	v_mul_f32_e32 v31, v32, v30
	v_mul_f32_e32 v33, v25, v31
	v_fma_f32 v25, v31, v25, -v33
	v_fmac_f32_e32 v25, v31, v22
	v_sub_f32_e32 v22, v35, v30
	v_add_f32_e32 v22, v26, v22
	v_add_f32_e32 v26, v33, v25
	v_sub_f32_e32 v34, v30, v26
	v_sub_f32_e32 v30, v30, v34
	;; [unrolled: 1-line block ×4, first 2 shown]
	v_add_f32_e32 v22, v22, v26
	v_sub_f32_e32 v25, v33, v25
	v_add_f32_e32 v22, v25, v22
	v_add_f32_e32 v25, v27, v31
	;; [unrolled: 1-line block ×3, first 2 shown]
	v_sub_f32_e32 v26, v25, v27
	v_mul_f32_e32 v22, v32, v22
	v_sub_f32_e32 v26, v31, v26
	v_add_f32_e32 v22, v26, v22
	v_cvt_f32_i32_e32 v21, v21
	v_add_f32_e32 v26, v25, v22
	v_mul_f32_e32 v27, v26, v26
	v_mov_b32_e32 v30, 0x3ecc95a3
	v_fmac_f32_e32 v30, 0x3e9b6dac, v27
	v_mov_b32_e32 v31, 0x3f2aaada
	v_fmac_f32_e32 v31, v27, v30
	v_mul_f32_e32 v30, 0x3f317218, v21
	v_fma_f32 v32, v21, s6, -v30
	v_fmac_f32_e32 v32, 0xb102e308, v21
	v_sub_f32_e32 v21, v26, v25
	v_sub_f32_e32 v21, v22, v21
	v_add_f32_e32 v22, v30, v32
	v_sub_f32_e32 v25, v22, v30
	v_ldexp_f32 v30, v26, 1
	v_mul_f32_e32 v26, v26, v27
	v_mul_f32_e32 v26, v26, v31
	v_add_f32_e32 v27, v30, v26
	v_sub_f32_e32 v30, v27, v30
	v_ldexp_f32 v21, v21, 1
	v_sub_f32_e32 v26, v26, v30
	v_add_f32_e32 v21, v21, v26
	v_add_f32_e32 v26, v27, v21
	v_sub_f32_e32 v27, v26, v27
	v_sub_f32_e32 v21, v21, v27
	v_add_f32_e32 v27, v22, v26
	v_sub_f32_e32 v30, v27, v22
	v_sub_f32_e32 v31, v27, v30
	;; [unrolled: 1-line block ×5, first 2 shown]
	v_add_f32_e32 v22, v26, v22
	v_add_f32_e32 v26, v25, v21
	v_sub_f32_e32 v30, v26, v25
	v_sub_f32_e32 v31, v26, v30
	;; [unrolled: 1-line block ×4, first 2 shown]
	v_add_f32_e32 v22, v26, v22
	v_add_f32_e32 v21, v21, v25
	;; [unrolled: 1-line block ×3, first 2 shown]
	v_sub_f32_e32 v26, v25, v27
	v_sub_f32_e32 v22, v22, v26
	v_add_f32_e32 v21, v21, v22
	v_add_f32_e32 v21, v25, v21
	v_cmp_neq_f32_e64 s[66:67], s3, v24
	s_mov_b32 s3, 0x33800000
	v_cndmask_b32_e64 v21, v23, v21, s[66:67]
	v_cmp_lt_f32_e64 s[66:67], |v24|, s3
	v_cndmask_b32_e64 v21, v21, v24, s[66:67]
	v_add_f32_e32 v9, v9, v21
	v_cvt_f16_f32_e32 v31, v9
	v_cvt_f32_f16_e32 v32, v31
	v_mov_b32_e32 v30, v31
.LBB429_66:
	s_or_b64 exec, exec, s[0:1]
	v_cvt_f32_f16_e32 v9, v10
	v_max_f32_e32 v21, v32, v32
	v_cmp_u_f16_e64 s[68:69], v31, v31
	v_cmp_u_f16_e64 s[66:67], v10, v10
	v_min_f32_e32 v22, v21, v9
	v_max_f32_e32 v21, v21, v9
	v_cndmask_b32_e64 v22, v22, v32, s[68:69]
	v_cndmask_b32_e64 v21, v21, v32, s[68:69]
	;; [unrolled: 1-line block ×4, first 2 shown]
	v_cmp_neq_f32_e64 s[68:69], v22, v21
	v_cmp_class_f32_e64 s[0:1], v22, s2
	s_or_b64 s[2:3], s[68:69], s[0:1]
	s_and_saveexec_b64 s[0:1], s[2:3]
	s_cbranch_execz .LBB429_68
; %bb.67:
	v_sub_f32_e32 v22, v22, v21
	s_mov_b32 s2, 0x3fb8aa3b
	v_mul_f32_e32 v23, 0x3fb8aa3b, v22
	v_fma_f32 v24, v22, s2, -v23
	v_rndne_f32_e32 v25, v23
	v_fmac_f32_e32 v24, 0x32a5705f, v22
	v_sub_f32_e32 v23, v23, v25
	v_add_f32_e32 v23, v23, v24
	v_exp_f32_e32 v23, v23
	v_cvt_i32_f32_e32 v24, v25
	s_mov_b32 s2, 0xc2ce8ed0
	v_cmp_ngt_f32_e64 s[68:69], s2, v22
	s_mov_b32 s2, 0x42b17218
	v_ldexp_f32 v23, v23, v24
	v_cndmask_b32_e64 v23, 0, v23, s[68:69]
	v_mov_b32_e32 v24, 0x7f800000
	v_cmp_nlt_f32_e64 s[68:69], s2, v22
	v_cndmask_b32_e64 v25, v24, v23, s[68:69]
	v_add_f32_e32 v26, 1.0, v25
	v_cvt_f64_f32_e32 v[22:23], v26
	v_add_f32_e32 v27, -1.0, v26
	v_sub_f32_e32 v30, v27, v26
	v_sub_f32_e32 v27, v25, v27
	v_frexp_exp_i32_f64_e32 v22, v[22:23]
	v_add_f32_e32 v23, 1.0, v30
	v_add_f32_e32 v23, v27, v23
	v_frexp_mant_f32_e32 v27, v26
	s_mov_b32 s3, 0x3f2aaaab
	v_cmp_gt_f32_e64 s[68:69], s3, v27
	s_mov_b32 s3, 0x3f317218
	s_mov_b32 s2, 0x7f800000
	v_subbrev_co_u32_e64 v22, s[68:69], 0, v22, s[68:69]
	v_sub_u32_e32 v27, 0, v22
	v_ldexp_f32 v26, v26, v27
	v_ldexp_f32 v23, v23, v27
	v_add_f32_e32 v27, -1.0, v26
	v_add_f32_e32 v32, 1.0, v26
	v_add_f32_e32 v30, 1.0, v27
	v_add_f32_e32 v33, -1.0, v32
	v_sub_f32_e32 v30, v26, v30
	v_sub_f32_e32 v26, v26, v33
	v_add_f32_e32 v30, v23, v30
	v_add_f32_e32 v23, v23, v26
	;; [unrolled: 1-line block ×3, first 2 shown]
	v_rcp_f32_e32 v33, v26
	v_add_f32_e32 v31, v27, v30
	v_sub_f32_e32 v27, v27, v31
	v_add_f32_e32 v27, v30, v27
	v_sub_f32_e32 v30, v32, v26
	v_add_f32_e32 v23, v23, v30
	v_mul_f32_e32 v30, v31, v33
	v_mul_f32_e32 v32, v26, v30
	v_fma_f32 v34, v30, v26, -v32
	v_fmac_f32_e32 v34, v30, v23
	v_add_f32_e32 v35, v32, v34
	v_sub_f32_e32 v36, v31, v35
	v_sub_f32_e32 v31, v31, v36
	;; [unrolled: 1-line block ×4, first 2 shown]
	v_add_f32_e32 v27, v27, v31
	v_sub_f32_e32 v31, v32, v34
	v_add_f32_e32 v27, v31, v27
	v_add_f32_e32 v31, v36, v27
	v_mul_f32_e32 v32, v33, v31
	v_mul_f32_e32 v34, v26, v32
	v_fma_f32 v26, v32, v26, -v34
	v_fmac_f32_e32 v26, v32, v23
	v_sub_f32_e32 v23, v36, v31
	v_add_f32_e32 v23, v27, v23
	v_add_f32_e32 v27, v34, v26
	v_sub_f32_e32 v35, v31, v27
	v_sub_f32_e32 v31, v31, v35
	v_sub_f32_e32 v34, v27, v34
	v_sub_f32_e32 v27, v31, v27
	v_add_f32_e32 v23, v23, v27
	v_sub_f32_e32 v26, v34, v26
	v_add_f32_e32 v23, v26, v23
	v_add_f32_e32 v26, v30, v32
	;; [unrolled: 1-line block ×3, first 2 shown]
	v_sub_f32_e32 v27, v26, v30
	v_mul_f32_e32 v23, v33, v23
	v_sub_f32_e32 v27, v32, v27
	v_add_f32_e32 v23, v27, v23
	v_cvt_f32_i32_e32 v22, v22
	v_add_f32_e32 v27, v26, v23
	v_mul_f32_e32 v30, v27, v27
	v_mov_b32_e32 v31, 0x3ecc95a3
	v_fmac_f32_e32 v31, 0x3e9b6dac, v30
	v_mov_b32_e32 v32, 0x3f2aaada
	v_fmac_f32_e32 v32, v30, v31
	v_mul_f32_e32 v31, 0x3f317218, v22
	v_fma_f32 v33, v22, s3, -v31
	v_fmac_f32_e32 v33, 0xb102e308, v22
	v_sub_f32_e32 v22, v27, v26
	v_sub_f32_e32 v22, v23, v22
	v_add_f32_e32 v23, v31, v33
	v_sub_f32_e32 v26, v23, v31
	v_ldexp_f32 v31, v27, 1
	v_mul_f32_e32 v27, v27, v30
	v_mul_f32_e32 v27, v27, v32
	v_add_f32_e32 v30, v31, v27
	v_sub_f32_e32 v31, v30, v31
	v_ldexp_f32 v22, v22, 1
	v_sub_f32_e32 v27, v27, v31
	v_add_f32_e32 v22, v22, v27
	v_add_f32_e32 v27, v30, v22
	v_sub_f32_e32 v30, v27, v30
	v_sub_f32_e32 v22, v22, v30
	v_add_f32_e32 v30, v23, v27
	v_sub_f32_e32 v31, v30, v23
	v_sub_f32_e32 v32, v30, v31
	;; [unrolled: 1-line block ×5, first 2 shown]
	v_add_f32_e32 v23, v27, v23
	v_add_f32_e32 v27, v26, v22
	v_sub_f32_e32 v31, v27, v26
	v_sub_f32_e32 v32, v27, v31
	;; [unrolled: 1-line block ×4, first 2 shown]
	v_add_f32_e32 v23, v27, v23
	v_add_f32_e32 v22, v22, v26
	;; [unrolled: 1-line block ×3, first 2 shown]
	v_sub_f32_e32 v27, v26, v30
	v_sub_f32_e32 v23, v23, v27
	v_add_f32_e32 v22, v22, v23
	v_add_f32_e32 v22, v26, v22
	v_cmp_neq_f32_e64 s[68:69], s2, v25
	s_mov_b32 s2, 0x33800000
	v_cndmask_b32_e64 v22, v24, v22, s[68:69]
	v_cmp_lt_f32_e64 s[68:69], |v25|, s2
	v_cndmask_b32_e64 v22, v22, v25, s[68:69]
	v_add_f32_e32 v21, v21, v22
	v_cvt_f16_f32_e32 v31, v21
	v_cvt_f32_f16_e32 v32, v31
	v_mov_b32_e32 v30, v31
.LBB429_68:
	s_or_b64 exec, exec, s[0:1]
	v_cvt_f32_f16_sdwa v21, v10 dst_sel:DWORD dst_unused:UNUSED_PAD src0_sel:WORD_1
	v_max_f32_e32 v23, v32, v32
	v_cmp_u_f16_e64 s[70:71], v31, v31
	v_cmp_u_f16_sdwa s[68:69], v10, v10 src0_sel:WORD_1 src1_sel:WORD_1
	v_min_f32_e32 v22, v23, v21
	v_max_f32_e32 v10, v23, v21
	v_cndmask_b32_e64 v22, v22, v32, s[70:71]
	v_cndmask_b32_e64 v10, v10, v32, s[70:71]
	;; [unrolled: 1-line block ×4, first 2 shown]
	s_movk_i32 s2, 0x1f8
	v_cmp_neq_f32_e64 s[70:71], v22, v10
	v_cmp_class_f32_e64 s[0:1], v22, s2
	s_or_b64 s[6:7], s[70:71], s[0:1]
	s_and_saveexec_b64 s[0:1], s[6:7]
	s_cbranch_execz .LBB429_70
; %bb.69:
	v_sub_f32_e32 v22, v22, v10
	s_mov_b32 s3, 0x3fb8aa3b
	v_mul_f32_e32 v23, 0x3fb8aa3b, v22
	v_fma_f32 v24, v22, s3, -v23
	v_rndne_f32_e32 v25, v23
	v_fmac_f32_e32 v24, 0x32a5705f, v22
	v_sub_f32_e32 v23, v23, v25
	v_add_f32_e32 v23, v23, v24
	v_exp_f32_e32 v23, v23
	v_cvt_i32_f32_e32 v24, v25
	s_mov_b32 s3, 0xc2ce8ed0
	v_cmp_ngt_f32_e64 s[70:71], s3, v22
	s_mov_b32 s3, 0x42b17218
	v_ldexp_f32 v23, v23, v24
	v_cndmask_b32_e64 v23, 0, v23, s[70:71]
	v_mov_b32_e32 v24, 0x7f800000
	v_cmp_nlt_f32_e64 s[70:71], s3, v22
	v_cndmask_b32_e64 v25, v24, v23, s[70:71]
	v_add_f32_e32 v26, 1.0, v25
	v_cvt_f64_f32_e32 v[22:23], v26
	v_add_f32_e32 v27, -1.0, v26
	v_sub_f32_e32 v30, v27, v26
	v_sub_f32_e32 v27, v25, v27
	v_frexp_exp_i32_f64_e32 v22, v[22:23]
	v_add_f32_e32 v23, 1.0, v30
	v_add_f32_e32 v23, v27, v23
	v_frexp_mant_f32_e32 v27, v26
	s_mov_b32 s6, 0x3f2aaaab
	v_cmp_gt_f32_e64 s[70:71], s6, v27
	s_mov_b32 s6, 0x3f317218
	s_mov_b32 s3, 0x7f800000
	v_subbrev_co_u32_e64 v22, s[70:71], 0, v22, s[70:71]
	v_sub_u32_e32 v27, 0, v22
	v_ldexp_f32 v26, v26, v27
	v_ldexp_f32 v23, v23, v27
	v_add_f32_e32 v27, -1.0, v26
	v_add_f32_e32 v32, 1.0, v26
	v_add_f32_e32 v30, 1.0, v27
	v_add_f32_e32 v33, -1.0, v32
	v_sub_f32_e32 v30, v26, v30
	v_sub_f32_e32 v26, v26, v33
	v_add_f32_e32 v30, v23, v30
	v_add_f32_e32 v23, v23, v26
	;; [unrolled: 1-line block ×3, first 2 shown]
	v_rcp_f32_e32 v33, v26
	v_add_f32_e32 v31, v27, v30
	v_sub_f32_e32 v27, v27, v31
	v_add_f32_e32 v27, v30, v27
	v_sub_f32_e32 v30, v32, v26
	v_add_f32_e32 v23, v23, v30
	v_mul_f32_e32 v30, v31, v33
	v_mul_f32_e32 v32, v26, v30
	v_fma_f32 v34, v30, v26, -v32
	v_fmac_f32_e32 v34, v30, v23
	v_add_f32_e32 v35, v32, v34
	v_sub_f32_e32 v36, v31, v35
	v_sub_f32_e32 v31, v31, v36
	;; [unrolled: 1-line block ×4, first 2 shown]
	v_add_f32_e32 v27, v27, v31
	v_sub_f32_e32 v31, v32, v34
	v_add_f32_e32 v27, v31, v27
	v_add_f32_e32 v31, v36, v27
	v_mul_f32_e32 v32, v33, v31
	v_mul_f32_e32 v34, v26, v32
	v_fma_f32 v26, v32, v26, -v34
	v_fmac_f32_e32 v26, v32, v23
	v_sub_f32_e32 v23, v36, v31
	v_add_f32_e32 v23, v27, v23
	v_add_f32_e32 v27, v34, v26
	v_sub_f32_e32 v35, v31, v27
	v_sub_f32_e32 v31, v31, v35
	;; [unrolled: 1-line block ×4, first 2 shown]
	v_add_f32_e32 v23, v23, v27
	v_sub_f32_e32 v26, v34, v26
	v_add_f32_e32 v23, v26, v23
	v_add_f32_e32 v26, v30, v32
	;; [unrolled: 1-line block ×3, first 2 shown]
	v_sub_f32_e32 v27, v26, v30
	v_mul_f32_e32 v23, v33, v23
	v_sub_f32_e32 v27, v32, v27
	v_add_f32_e32 v23, v27, v23
	v_cvt_f32_i32_e32 v22, v22
	v_add_f32_e32 v27, v26, v23
	v_mul_f32_e32 v30, v27, v27
	v_mov_b32_e32 v31, 0x3ecc95a3
	v_fmac_f32_e32 v31, 0x3e9b6dac, v30
	v_mov_b32_e32 v32, 0x3f2aaada
	v_fmac_f32_e32 v32, v30, v31
	v_mul_f32_e32 v31, 0x3f317218, v22
	v_fma_f32 v33, v22, s6, -v31
	v_fmac_f32_e32 v33, 0xb102e308, v22
	v_sub_f32_e32 v22, v27, v26
	v_sub_f32_e32 v22, v23, v22
	v_add_f32_e32 v23, v31, v33
	v_sub_f32_e32 v26, v23, v31
	v_ldexp_f32 v31, v27, 1
	v_mul_f32_e32 v27, v27, v30
	v_mul_f32_e32 v27, v27, v32
	v_add_f32_e32 v30, v31, v27
	v_sub_f32_e32 v31, v30, v31
	v_ldexp_f32 v22, v22, 1
	v_sub_f32_e32 v27, v27, v31
	v_add_f32_e32 v22, v22, v27
	v_add_f32_e32 v27, v30, v22
	v_sub_f32_e32 v30, v27, v30
	v_sub_f32_e32 v22, v22, v30
	v_add_f32_e32 v30, v23, v27
	v_sub_f32_e32 v31, v30, v23
	v_sub_f32_e32 v32, v30, v31
	;; [unrolled: 1-line block ×5, first 2 shown]
	v_add_f32_e32 v23, v27, v23
	v_add_f32_e32 v27, v26, v22
	v_sub_f32_e32 v31, v27, v26
	v_sub_f32_e32 v32, v27, v31
	;; [unrolled: 1-line block ×4, first 2 shown]
	v_add_f32_e32 v23, v27, v23
	v_add_f32_e32 v22, v22, v26
	v_add_f32_e32 v26, v30, v23
	v_sub_f32_e32 v27, v26, v30
	v_sub_f32_e32 v23, v23, v27
	v_add_f32_e32 v22, v22, v23
	v_add_f32_e32 v22, v26, v22
	v_cmp_neq_f32_e64 s[70:71], s3, v25
	s_mov_b32 s3, 0x33800000
	v_cndmask_b32_e64 v22, v24, v22, s[70:71]
	v_cmp_lt_f32_e64 s[70:71], |v25|, s3
	v_cndmask_b32_e64 v22, v22, v25, s[70:71]
	v_add_f32_e32 v10, v10, v22
	v_cvt_f16_f32_e32 v31, v10
	v_cvt_f32_f16_e32 v32, v31
	v_mov_b32_e32 v30, v31
.LBB429_70:
	s_or_b64 exec, exec, s[0:1]
	v_cvt_f32_f16_e32 v10, v11
	v_max_f32_e32 v22, v32, v32
	v_cmp_u_f16_e64 s[72:73], v31, v31
	v_cmp_u_f16_e64 s[70:71], v11, v11
	v_min_f32_e32 v23, v22, v10
	v_max_f32_e32 v22, v22, v10
	v_cndmask_b32_e64 v23, v23, v32, s[72:73]
	v_cndmask_b32_e64 v22, v22, v32, s[72:73]
	;; [unrolled: 1-line block ×4, first 2 shown]
	v_cmp_neq_f32_e64 s[72:73], v23, v22
	v_cmp_class_f32_e64 s[0:1], v23, s2
	s_or_b64 s[2:3], s[72:73], s[0:1]
	s_and_saveexec_b64 s[0:1], s[2:3]
	s_cbranch_execz .LBB429_72
; %bb.71:
	v_sub_f32_e32 v23, v23, v22
	s_mov_b32 s2, 0x3fb8aa3b
	v_mul_f32_e32 v24, 0x3fb8aa3b, v23
	v_fma_f32 v25, v23, s2, -v24
	v_rndne_f32_e32 v26, v24
	v_fmac_f32_e32 v25, 0x32a5705f, v23
	v_sub_f32_e32 v24, v24, v26
	v_add_f32_e32 v24, v24, v25
	v_exp_f32_e32 v24, v24
	v_cvt_i32_f32_e32 v25, v26
	s_mov_b32 s2, 0xc2ce8ed0
	v_cmp_ngt_f32_e64 s[72:73], s2, v23
	s_mov_b32 s2, 0x42b17218
	v_ldexp_f32 v24, v24, v25
	v_cndmask_b32_e64 v24, 0, v24, s[72:73]
	v_mov_b32_e32 v25, 0x7f800000
	v_cmp_nlt_f32_e64 s[72:73], s2, v23
	v_cndmask_b32_e64 v26, v25, v24, s[72:73]
	v_add_f32_e32 v27, 1.0, v26
	v_cvt_f64_f32_e32 v[23:24], v27
	v_add_f32_e32 v30, -1.0, v27
	v_sub_f32_e32 v31, v30, v27
	v_sub_f32_e32 v30, v26, v30
	v_frexp_exp_i32_f64_e32 v23, v[23:24]
	v_add_f32_e32 v24, 1.0, v31
	v_add_f32_e32 v24, v30, v24
	v_frexp_mant_f32_e32 v30, v27
	s_mov_b32 s3, 0x3f2aaaab
	v_cmp_gt_f32_e64 s[72:73], s3, v30
	s_mov_b32 s3, 0x3f317218
	s_mov_b32 s2, 0x7f800000
	v_subbrev_co_u32_e64 v23, s[72:73], 0, v23, s[72:73]
	v_sub_u32_e32 v30, 0, v23
	v_ldexp_f32 v27, v27, v30
	v_ldexp_f32 v24, v24, v30
	v_add_f32_e32 v30, -1.0, v27
	v_add_f32_e32 v33, 1.0, v27
	v_add_f32_e32 v31, 1.0, v30
	v_add_f32_e32 v34, -1.0, v33
	v_sub_f32_e32 v31, v27, v31
	v_sub_f32_e32 v27, v27, v34
	v_add_f32_e32 v31, v24, v31
	v_add_f32_e32 v24, v24, v27
	v_add_f32_e32 v27, v33, v24
	v_rcp_f32_e32 v34, v27
	v_add_f32_e32 v32, v30, v31
	v_sub_f32_e32 v30, v30, v32
	v_add_f32_e32 v30, v31, v30
	v_sub_f32_e32 v31, v33, v27
	v_add_f32_e32 v24, v24, v31
	v_mul_f32_e32 v31, v32, v34
	v_mul_f32_e32 v33, v27, v31
	v_fma_f32 v35, v31, v27, -v33
	v_fmac_f32_e32 v35, v31, v24
	v_add_f32_e32 v36, v33, v35
	v_sub_f32_e32 v37, v32, v36
	v_sub_f32_e32 v32, v32, v37
	;; [unrolled: 1-line block ×4, first 2 shown]
	v_add_f32_e32 v30, v30, v32
	v_sub_f32_e32 v32, v33, v35
	v_add_f32_e32 v30, v32, v30
	v_add_f32_e32 v32, v37, v30
	v_mul_f32_e32 v33, v34, v32
	v_mul_f32_e32 v35, v27, v33
	v_fma_f32 v27, v33, v27, -v35
	v_fmac_f32_e32 v27, v33, v24
	v_sub_f32_e32 v24, v37, v32
	v_add_f32_e32 v24, v30, v24
	v_add_f32_e32 v30, v35, v27
	v_sub_f32_e32 v36, v32, v30
	v_sub_f32_e32 v32, v32, v36
	;; [unrolled: 1-line block ×4, first 2 shown]
	v_add_f32_e32 v24, v24, v30
	v_sub_f32_e32 v27, v35, v27
	v_add_f32_e32 v24, v27, v24
	v_add_f32_e32 v27, v31, v33
	;; [unrolled: 1-line block ×3, first 2 shown]
	v_sub_f32_e32 v30, v27, v31
	v_mul_f32_e32 v24, v34, v24
	v_sub_f32_e32 v30, v33, v30
	v_add_f32_e32 v24, v30, v24
	v_cvt_f32_i32_e32 v23, v23
	v_add_f32_e32 v30, v27, v24
	v_mul_f32_e32 v31, v30, v30
	v_mov_b32_e32 v32, 0x3ecc95a3
	v_fmac_f32_e32 v32, 0x3e9b6dac, v31
	v_mov_b32_e32 v33, 0x3f2aaada
	v_fmac_f32_e32 v33, v31, v32
	v_mul_f32_e32 v32, 0x3f317218, v23
	v_fma_f32 v34, v23, s3, -v32
	v_fmac_f32_e32 v34, 0xb102e308, v23
	v_sub_f32_e32 v23, v30, v27
	v_sub_f32_e32 v23, v24, v23
	v_add_f32_e32 v24, v32, v34
	v_sub_f32_e32 v27, v24, v32
	v_ldexp_f32 v32, v30, 1
	v_mul_f32_e32 v30, v30, v31
	v_mul_f32_e32 v30, v30, v33
	v_add_f32_e32 v31, v32, v30
	v_sub_f32_e32 v32, v31, v32
	v_ldexp_f32 v23, v23, 1
	v_sub_f32_e32 v30, v30, v32
	v_add_f32_e32 v23, v23, v30
	v_add_f32_e32 v30, v31, v23
	v_sub_f32_e32 v31, v30, v31
	v_sub_f32_e32 v23, v23, v31
	v_add_f32_e32 v31, v24, v30
	v_sub_f32_e32 v32, v31, v24
	v_sub_f32_e32 v33, v31, v32
	;; [unrolled: 1-line block ×5, first 2 shown]
	v_add_f32_e32 v24, v30, v24
	v_add_f32_e32 v30, v27, v23
	v_sub_f32_e32 v32, v30, v27
	v_sub_f32_e32 v33, v30, v32
	;; [unrolled: 1-line block ×4, first 2 shown]
	v_add_f32_e32 v24, v30, v24
	v_add_f32_e32 v23, v23, v27
	;; [unrolled: 1-line block ×3, first 2 shown]
	v_sub_f32_e32 v30, v27, v31
	v_sub_f32_e32 v24, v24, v30
	v_add_f32_e32 v23, v23, v24
	v_add_f32_e32 v23, v27, v23
	v_cmp_neq_f32_e64 s[72:73], s2, v26
	s_mov_b32 s2, 0x33800000
	v_cndmask_b32_e64 v23, v25, v23, s[72:73]
	v_cmp_lt_f32_e64 s[72:73], |v26|, s2
	v_cndmask_b32_e64 v23, v23, v26, s[72:73]
	v_add_f32_e32 v22, v22, v23
	v_cvt_f16_f32_e32 v31, v22
	v_cvt_f32_f16_e32 v32, v31
	v_mov_b32_e32 v30, v31
.LBB429_72:
	s_or_b64 exec, exec, s[0:1]
	v_cvt_f32_f16_sdwa v22, v11 dst_sel:DWORD dst_unused:UNUSED_PAD src0_sel:WORD_1
	v_max_f32_e32 v24, v32, v32
	v_cmp_u_f16_e64 s[74:75], v31, v31
	v_cmp_u_f16_sdwa s[72:73], v11, v11 src0_sel:WORD_1 src1_sel:WORD_1
	v_min_f32_e32 v23, v24, v22
	v_max_f32_e32 v11, v24, v22
	v_cndmask_b32_e64 v23, v23, v32, s[74:75]
	v_cndmask_b32_e64 v11, v11, v32, s[74:75]
	;; [unrolled: 1-line block ×4, first 2 shown]
	s_movk_i32 s2, 0x1f8
	v_cmp_neq_f32_e64 s[74:75], v23, v11
	v_cmp_class_f32_e64 s[0:1], v23, s2
	s_or_b64 s[6:7], s[74:75], s[0:1]
	s_and_saveexec_b64 s[0:1], s[6:7]
	s_cbranch_execz .LBB429_74
; %bb.73:
	v_sub_f32_e32 v23, v23, v11
	s_mov_b32 s3, 0x3fb8aa3b
	v_mul_f32_e32 v24, 0x3fb8aa3b, v23
	v_fma_f32 v25, v23, s3, -v24
	v_rndne_f32_e32 v26, v24
	v_fmac_f32_e32 v25, 0x32a5705f, v23
	v_sub_f32_e32 v24, v24, v26
	v_add_f32_e32 v24, v24, v25
	v_exp_f32_e32 v24, v24
	v_cvt_i32_f32_e32 v25, v26
	s_mov_b32 s3, 0xc2ce8ed0
	v_cmp_ngt_f32_e64 s[74:75], s3, v23
	s_mov_b32 s3, 0x42b17218
	v_ldexp_f32 v24, v24, v25
	v_cndmask_b32_e64 v24, 0, v24, s[74:75]
	v_mov_b32_e32 v25, 0x7f800000
	v_cmp_nlt_f32_e64 s[74:75], s3, v23
	v_cndmask_b32_e64 v26, v25, v24, s[74:75]
	v_add_f32_e32 v27, 1.0, v26
	v_cvt_f64_f32_e32 v[23:24], v27
	v_add_f32_e32 v30, -1.0, v27
	v_sub_f32_e32 v31, v30, v27
	v_sub_f32_e32 v30, v26, v30
	v_frexp_exp_i32_f64_e32 v23, v[23:24]
	v_add_f32_e32 v24, 1.0, v31
	v_add_f32_e32 v24, v30, v24
	v_frexp_mant_f32_e32 v30, v27
	s_mov_b32 s6, 0x3f2aaaab
	v_cmp_gt_f32_e64 s[74:75], s6, v30
	s_mov_b32 s6, 0x3f317218
	s_mov_b32 s3, 0x7f800000
	v_subbrev_co_u32_e64 v23, s[74:75], 0, v23, s[74:75]
	v_sub_u32_e32 v30, 0, v23
	v_ldexp_f32 v27, v27, v30
	v_ldexp_f32 v24, v24, v30
	v_add_f32_e32 v30, -1.0, v27
	v_add_f32_e32 v33, 1.0, v27
	v_add_f32_e32 v31, 1.0, v30
	v_add_f32_e32 v34, -1.0, v33
	v_sub_f32_e32 v31, v27, v31
	v_sub_f32_e32 v27, v27, v34
	v_add_f32_e32 v31, v24, v31
	v_add_f32_e32 v24, v24, v27
	;; [unrolled: 1-line block ×3, first 2 shown]
	v_rcp_f32_e32 v34, v27
	v_add_f32_e32 v32, v30, v31
	v_sub_f32_e32 v30, v30, v32
	v_add_f32_e32 v30, v31, v30
	v_sub_f32_e32 v31, v33, v27
	v_add_f32_e32 v24, v24, v31
	v_mul_f32_e32 v31, v32, v34
	v_mul_f32_e32 v33, v27, v31
	v_fma_f32 v35, v31, v27, -v33
	v_fmac_f32_e32 v35, v31, v24
	v_add_f32_e32 v36, v33, v35
	v_sub_f32_e32 v37, v32, v36
	v_sub_f32_e32 v32, v32, v37
	;; [unrolled: 1-line block ×4, first 2 shown]
	v_add_f32_e32 v30, v30, v32
	v_sub_f32_e32 v32, v33, v35
	v_add_f32_e32 v30, v32, v30
	v_add_f32_e32 v32, v37, v30
	v_mul_f32_e32 v33, v34, v32
	v_mul_f32_e32 v35, v27, v33
	v_fma_f32 v27, v33, v27, -v35
	v_fmac_f32_e32 v27, v33, v24
	v_sub_f32_e32 v24, v37, v32
	v_add_f32_e32 v24, v30, v24
	v_add_f32_e32 v30, v35, v27
	v_sub_f32_e32 v36, v32, v30
	v_sub_f32_e32 v32, v32, v36
	;; [unrolled: 1-line block ×4, first 2 shown]
	v_add_f32_e32 v24, v24, v30
	v_sub_f32_e32 v27, v35, v27
	v_add_f32_e32 v24, v27, v24
	v_add_f32_e32 v27, v31, v33
	;; [unrolled: 1-line block ×3, first 2 shown]
	v_sub_f32_e32 v30, v27, v31
	v_mul_f32_e32 v24, v34, v24
	v_sub_f32_e32 v30, v33, v30
	v_add_f32_e32 v24, v30, v24
	v_cvt_f32_i32_e32 v23, v23
	v_add_f32_e32 v30, v27, v24
	v_mul_f32_e32 v31, v30, v30
	v_mov_b32_e32 v32, 0x3ecc95a3
	v_fmac_f32_e32 v32, 0x3e9b6dac, v31
	v_mov_b32_e32 v33, 0x3f2aaada
	v_fmac_f32_e32 v33, v31, v32
	v_mul_f32_e32 v32, 0x3f317218, v23
	v_fma_f32 v34, v23, s6, -v32
	v_fmac_f32_e32 v34, 0xb102e308, v23
	v_sub_f32_e32 v23, v30, v27
	v_sub_f32_e32 v23, v24, v23
	v_add_f32_e32 v24, v32, v34
	v_sub_f32_e32 v27, v24, v32
	v_ldexp_f32 v32, v30, 1
	v_mul_f32_e32 v30, v30, v31
	v_mul_f32_e32 v30, v30, v33
	v_add_f32_e32 v31, v32, v30
	v_sub_f32_e32 v32, v31, v32
	v_ldexp_f32 v23, v23, 1
	v_sub_f32_e32 v30, v30, v32
	v_add_f32_e32 v23, v23, v30
	v_add_f32_e32 v30, v31, v23
	v_sub_f32_e32 v31, v30, v31
	v_sub_f32_e32 v23, v23, v31
	v_add_f32_e32 v31, v24, v30
	v_sub_f32_e32 v32, v31, v24
	v_sub_f32_e32 v33, v31, v32
	;; [unrolled: 1-line block ×5, first 2 shown]
	v_add_f32_e32 v24, v30, v24
	v_add_f32_e32 v30, v27, v23
	v_sub_f32_e32 v32, v30, v27
	v_sub_f32_e32 v33, v30, v32
	;; [unrolled: 1-line block ×4, first 2 shown]
	v_add_f32_e32 v24, v30, v24
	v_add_f32_e32 v23, v23, v27
	;; [unrolled: 1-line block ×3, first 2 shown]
	v_sub_f32_e32 v30, v27, v31
	v_sub_f32_e32 v24, v24, v30
	v_add_f32_e32 v23, v23, v24
	v_add_f32_e32 v23, v27, v23
	v_cmp_neq_f32_e64 s[74:75], s3, v26
	s_mov_b32 s3, 0x33800000
	v_cndmask_b32_e64 v23, v25, v23, s[74:75]
	v_cmp_lt_f32_e64 s[74:75], |v26|, s3
	v_cndmask_b32_e64 v23, v23, v26, s[74:75]
	v_add_f32_e32 v11, v11, v23
	v_cvt_f16_f32_e32 v31, v11
	v_cvt_f32_f16_e32 v32, v31
	v_mov_b32_e32 v30, v31
.LBB429_74:
	s_or_b64 exec, exec, s[0:1]
	v_cvt_f32_f16_e32 v11, v12
	v_max_f32_e32 v23, v32, v32
	v_cmp_u_f16_e64 s[76:77], v31, v31
	v_cmp_u_f16_e64 s[74:75], v12, v12
	v_min_f32_e32 v24, v23, v11
	v_max_f32_e32 v23, v23, v11
	v_cndmask_b32_e64 v24, v24, v32, s[76:77]
	v_cndmask_b32_e64 v23, v23, v32, s[76:77]
	;; [unrolled: 1-line block ×4, first 2 shown]
	v_cmp_neq_f32_e64 s[76:77], v24, v23
	v_cmp_class_f32_e64 s[0:1], v24, s2
	s_or_b64 s[2:3], s[76:77], s[0:1]
	s_and_saveexec_b64 s[0:1], s[2:3]
	s_cbranch_execz .LBB429_76
; %bb.75:
	v_sub_f32_e32 v24, v24, v23
	s_mov_b32 s2, 0x3fb8aa3b
	v_mul_f32_e32 v25, 0x3fb8aa3b, v24
	v_fma_f32 v26, v24, s2, -v25
	v_rndne_f32_e32 v27, v25
	v_fmac_f32_e32 v26, 0x32a5705f, v24
	v_sub_f32_e32 v25, v25, v27
	v_add_f32_e32 v25, v25, v26
	v_exp_f32_e32 v25, v25
	v_cvt_i32_f32_e32 v26, v27
	s_mov_b32 s2, 0xc2ce8ed0
	v_cmp_ngt_f32_e64 s[76:77], s2, v24
	s_mov_b32 s2, 0x42b17218
	v_ldexp_f32 v25, v25, v26
	v_cndmask_b32_e64 v25, 0, v25, s[76:77]
	v_mov_b32_e32 v26, 0x7f800000
	v_cmp_nlt_f32_e64 s[76:77], s2, v24
	v_cndmask_b32_e64 v27, v26, v25, s[76:77]
	v_add_f32_e32 v30, 1.0, v27
	v_cvt_f64_f32_e32 v[24:25], v30
	v_add_f32_e32 v31, -1.0, v30
	v_sub_f32_e32 v32, v31, v30
	v_sub_f32_e32 v31, v27, v31
	v_frexp_exp_i32_f64_e32 v24, v[24:25]
	v_add_f32_e32 v25, 1.0, v32
	v_add_f32_e32 v25, v31, v25
	v_frexp_mant_f32_e32 v31, v30
	s_mov_b32 s3, 0x3f2aaaab
	v_cmp_gt_f32_e64 s[76:77], s3, v31
	s_mov_b32 s3, 0x3f317218
	s_mov_b32 s2, 0x7f800000
	v_subbrev_co_u32_e64 v24, s[76:77], 0, v24, s[76:77]
	v_sub_u32_e32 v31, 0, v24
	v_ldexp_f32 v30, v30, v31
	v_ldexp_f32 v25, v25, v31
	v_add_f32_e32 v31, -1.0, v30
	v_add_f32_e32 v34, 1.0, v30
	v_add_f32_e32 v32, 1.0, v31
	v_add_f32_e32 v35, -1.0, v34
	v_sub_f32_e32 v32, v30, v32
	v_sub_f32_e32 v30, v30, v35
	v_add_f32_e32 v32, v25, v32
	v_add_f32_e32 v25, v25, v30
	v_add_f32_e32 v30, v34, v25
	v_rcp_f32_e32 v35, v30
	v_add_f32_e32 v33, v31, v32
	v_sub_f32_e32 v31, v31, v33
	v_add_f32_e32 v31, v32, v31
	v_sub_f32_e32 v32, v34, v30
	v_add_f32_e32 v25, v25, v32
	v_mul_f32_e32 v32, v33, v35
	v_mul_f32_e32 v34, v30, v32
	v_fma_f32 v36, v32, v30, -v34
	v_fmac_f32_e32 v36, v32, v25
	v_add_f32_e32 v37, v34, v36
	v_sub_f32_e32 v38, v33, v37
	v_sub_f32_e32 v33, v33, v38
	;; [unrolled: 1-line block ×4, first 2 shown]
	v_add_f32_e32 v31, v31, v33
	v_sub_f32_e32 v33, v34, v36
	v_add_f32_e32 v31, v33, v31
	v_add_f32_e32 v33, v38, v31
	v_mul_f32_e32 v34, v35, v33
	v_mul_f32_e32 v36, v30, v34
	v_fma_f32 v30, v34, v30, -v36
	v_fmac_f32_e32 v30, v34, v25
	v_sub_f32_e32 v25, v38, v33
	v_add_f32_e32 v25, v31, v25
	v_add_f32_e32 v31, v36, v30
	v_sub_f32_e32 v37, v33, v31
	v_sub_f32_e32 v33, v33, v37
	v_sub_f32_e32 v36, v31, v36
	v_sub_f32_e32 v31, v33, v31
	v_add_f32_e32 v25, v25, v31
	v_sub_f32_e32 v30, v36, v30
	v_add_f32_e32 v25, v30, v25
	v_add_f32_e32 v30, v32, v34
	;; [unrolled: 1-line block ×3, first 2 shown]
	v_sub_f32_e32 v31, v30, v32
	v_mul_f32_e32 v25, v35, v25
	v_sub_f32_e32 v31, v34, v31
	v_add_f32_e32 v25, v31, v25
	v_cvt_f32_i32_e32 v24, v24
	v_add_f32_e32 v31, v30, v25
	v_mul_f32_e32 v32, v31, v31
	v_mov_b32_e32 v33, 0x3ecc95a3
	v_fmac_f32_e32 v33, 0x3e9b6dac, v32
	v_mov_b32_e32 v34, 0x3f2aaada
	v_fmac_f32_e32 v34, v32, v33
	v_mul_f32_e32 v33, 0x3f317218, v24
	v_fma_f32 v35, v24, s3, -v33
	v_fmac_f32_e32 v35, 0xb102e308, v24
	v_sub_f32_e32 v24, v31, v30
	v_sub_f32_e32 v24, v25, v24
	v_add_f32_e32 v25, v33, v35
	v_sub_f32_e32 v30, v25, v33
	v_ldexp_f32 v33, v31, 1
	v_mul_f32_e32 v31, v31, v32
	v_mul_f32_e32 v31, v31, v34
	v_add_f32_e32 v32, v33, v31
	v_sub_f32_e32 v33, v32, v33
	v_ldexp_f32 v24, v24, 1
	v_sub_f32_e32 v31, v31, v33
	v_add_f32_e32 v24, v24, v31
	v_add_f32_e32 v31, v32, v24
	v_sub_f32_e32 v32, v31, v32
	v_sub_f32_e32 v24, v24, v32
	v_add_f32_e32 v32, v25, v31
	v_sub_f32_e32 v33, v32, v25
	v_sub_f32_e32 v34, v32, v33
	;; [unrolled: 1-line block ×5, first 2 shown]
	v_add_f32_e32 v25, v31, v25
	v_add_f32_e32 v31, v30, v24
	v_sub_f32_e32 v33, v31, v30
	v_sub_f32_e32 v34, v31, v33
	;; [unrolled: 1-line block ×4, first 2 shown]
	v_add_f32_e32 v25, v31, v25
	v_add_f32_e32 v24, v24, v30
	;; [unrolled: 1-line block ×3, first 2 shown]
	v_sub_f32_e32 v31, v30, v32
	v_sub_f32_e32 v25, v25, v31
	v_add_f32_e32 v24, v24, v25
	v_add_f32_e32 v24, v30, v24
	v_cmp_neq_f32_e64 s[76:77], s2, v27
	s_mov_b32 s2, 0x33800000
	v_cndmask_b32_e64 v24, v26, v24, s[76:77]
	v_cmp_lt_f32_e64 s[76:77], |v27|, s2
	v_cndmask_b32_e64 v24, v24, v27, s[76:77]
	v_add_f32_e32 v23, v23, v24
	v_cvt_f16_f32_e32 v31, v23
	v_cvt_f32_f16_e32 v32, v31
	v_mov_b32_e32 v30, v31
.LBB429_76:
	s_or_b64 exec, exec, s[0:1]
	v_cvt_f32_f16_sdwa v23, v12 dst_sel:DWORD dst_unused:UNUSED_PAD src0_sel:WORD_1
	v_max_f32_e32 v25, v32, v32
	v_cmp_u_f16_e64 s[78:79], v31, v31
	v_cmp_u_f16_sdwa s[76:77], v12, v12 src0_sel:WORD_1 src1_sel:WORD_1
	v_min_f32_e32 v24, v25, v23
	v_max_f32_e32 v12, v25, v23
	v_cndmask_b32_e64 v24, v24, v32, s[78:79]
	v_cndmask_b32_e64 v12, v12, v32, s[78:79]
	;; [unrolled: 1-line block ×4, first 2 shown]
	s_movk_i32 s2, 0x1f8
	v_cmp_neq_f32_e64 s[78:79], v24, v12
	v_cmp_class_f32_e64 s[0:1], v24, s2
	s_or_b64 s[6:7], s[78:79], s[0:1]
	s_and_saveexec_b64 s[0:1], s[6:7]
	s_cbranch_execz .LBB429_78
; %bb.77:
	v_sub_f32_e32 v24, v24, v12
	s_mov_b32 s3, 0x3fb8aa3b
	v_mul_f32_e32 v25, 0x3fb8aa3b, v24
	v_fma_f32 v26, v24, s3, -v25
	v_rndne_f32_e32 v27, v25
	v_fmac_f32_e32 v26, 0x32a5705f, v24
	v_sub_f32_e32 v25, v25, v27
	v_add_f32_e32 v25, v25, v26
	v_exp_f32_e32 v25, v25
	v_cvt_i32_f32_e32 v26, v27
	s_mov_b32 s3, 0xc2ce8ed0
	v_cmp_ngt_f32_e64 s[78:79], s3, v24
	s_mov_b32 s3, 0x42b17218
	v_ldexp_f32 v25, v25, v26
	v_cndmask_b32_e64 v25, 0, v25, s[78:79]
	v_mov_b32_e32 v26, 0x7f800000
	v_cmp_nlt_f32_e64 s[78:79], s3, v24
	v_cndmask_b32_e64 v27, v26, v25, s[78:79]
	v_add_f32_e32 v30, 1.0, v27
	v_cvt_f64_f32_e32 v[24:25], v30
	v_add_f32_e32 v31, -1.0, v30
	v_sub_f32_e32 v32, v31, v30
	v_sub_f32_e32 v31, v27, v31
	v_frexp_exp_i32_f64_e32 v24, v[24:25]
	v_add_f32_e32 v25, 1.0, v32
	v_add_f32_e32 v25, v31, v25
	v_frexp_mant_f32_e32 v31, v30
	s_mov_b32 s6, 0x3f2aaaab
	v_cmp_gt_f32_e64 s[78:79], s6, v31
	s_mov_b32 s6, 0x3f317218
	s_mov_b32 s3, 0x7f800000
	v_subbrev_co_u32_e64 v24, s[78:79], 0, v24, s[78:79]
	v_sub_u32_e32 v31, 0, v24
	v_ldexp_f32 v30, v30, v31
	v_ldexp_f32 v25, v25, v31
	v_add_f32_e32 v31, -1.0, v30
	v_add_f32_e32 v34, 1.0, v30
	v_add_f32_e32 v32, 1.0, v31
	v_add_f32_e32 v35, -1.0, v34
	v_sub_f32_e32 v32, v30, v32
	v_sub_f32_e32 v30, v30, v35
	v_add_f32_e32 v32, v25, v32
	v_add_f32_e32 v25, v25, v30
	;; [unrolled: 1-line block ×3, first 2 shown]
	v_rcp_f32_e32 v35, v30
	v_add_f32_e32 v33, v31, v32
	v_sub_f32_e32 v31, v31, v33
	v_add_f32_e32 v31, v32, v31
	v_sub_f32_e32 v32, v34, v30
	v_add_f32_e32 v25, v25, v32
	v_mul_f32_e32 v32, v33, v35
	v_mul_f32_e32 v34, v30, v32
	v_fma_f32 v36, v32, v30, -v34
	v_fmac_f32_e32 v36, v32, v25
	v_add_f32_e32 v37, v34, v36
	v_sub_f32_e32 v38, v33, v37
	v_sub_f32_e32 v33, v33, v38
	;; [unrolled: 1-line block ×4, first 2 shown]
	v_add_f32_e32 v31, v31, v33
	v_sub_f32_e32 v33, v34, v36
	v_add_f32_e32 v31, v33, v31
	v_add_f32_e32 v33, v38, v31
	v_mul_f32_e32 v34, v35, v33
	v_mul_f32_e32 v36, v30, v34
	v_fma_f32 v30, v34, v30, -v36
	v_fmac_f32_e32 v30, v34, v25
	v_sub_f32_e32 v25, v38, v33
	v_add_f32_e32 v25, v31, v25
	v_add_f32_e32 v31, v36, v30
	v_sub_f32_e32 v37, v33, v31
	v_sub_f32_e32 v33, v33, v37
	v_sub_f32_e32 v36, v31, v36
	v_sub_f32_e32 v31, v33, v31
	v_add_f32_e32 v25, v25, v31
	v_sub_f32_e32 v30, v36, v30
	v_add_f32_e32 v25, v30, v25
	v_add_f32_e32 v30, v32, v34
	;; [unrolled: 1-line block ×3, first 2 shown]
	v_sub_f32_e32 v31, v30, v32
	v_mul_f32_e32 v25, v35, v25
	v_sub_f32_e32 v31, v34, v31
	v_add_f32_e32 v25, v31, v25
	v_cvt_f32_i32_e32 v24, v24
	v_add_f32_e32 v31, v30, v25
	v_mul_f32_e32 v32, v31, v31
	v_mov_b32_e32 v33, 0x3ecc95a3
	v_fmac_f32_e32 v33, 0x3e9b6dac, v32
	v_mov_b32_e32 v34, 0x3f2aaada
	v_fmac_f32_e32 v34, v32, v33
	v_mul_f32_e32 v33, 0x3f317218, v24
	v_fma_f32 v35, v24, s6, -v33
	v_fmac_f32_e32 v35, 0xb102e308, v24
	v_sub_f32_e32 v24, v31, v30
	v_sub_f32_e32 v24, v25, v24
	v_add_f32_e32 v25, v33, v35
	v_sub_f32_e32 v30, v25, v33
	v_ldexp_f32 v33, v31, 1
	v_mul_f32_e32 v31, v31, v32
	v_mul_f32_e32 v31, v31, v34
	v_add_f32_e32 v32, v33, v31
	v_sub_f32_e32 v33, v32, v33
	v_ldexp_f32 v24, v24, 1
	v_sub_f32_e32 v31, v31, v33
	v_add_f32_e32 v24, v24, v31
	v_add_f32_e32 v31, v32, v24
	v_sub_f32_e32 v32, v31, v32
	v_sub_f32_e32 v24, v24, v32
	v_add_f32_e32 v32, v25, v31
	v_sub_f32_e32 v33, v32, v25
	v_sub_f32_e32 v34, v32, v33
	v_sub_f32_e32 v30, v35, v30
	v_sub_f32_e32 v25, v25, v34
	v_sub_f32_e32 v31, v31, v33
	v_add_f32_e32 v25, v31, v25
	v_add_f32_e32 v31, v30, v24
	v_sub_f32_e32 v33, v31, v30
	v_sub_f32_e32 v34, v31, v33
	;; [unrolled: 1-line block ×4, first 2 shown]
	v_add_f32_e32 v25, v31, v25
	v_add_f32_e32 v24, v24, v30
	;; [unrolled: 1-line block ×3, first 2 shown]
	v_sub_f32_e32 v31, v30, v32
	v_sub_f32_e32 v25, v25, v31
	v_add_f32_e32 v24, v24, v25
	v_add_f32_e32 v24, v30, v24
	v_cmp_neq_f32_e64 s[78:79], s3, v27
	s_mov_b32 s3, 0x33800000
	v_cndmask_b32_e64 v24, v26, v24, s[78:79]
	v_cmp_lt_f32_e64 s[78:79], |v27|, s3
	v_cndmask_b32_e64 v24, v24, v27, s[78:79]
	v_add_f32_e32 v12, v12, v24
	v_cvt_f16_f32_e32 v31, v12
	v_cvt_f32_f16_e32 v32, v31
	v_mov_b32_e32 v30, v31
.LBB429_78:
	s_or_b64 exec, exec, s[0:1]
	v_cvt_f32_f16_e32 v12, v5
	v_max_f32_e32 v24, v32, v32
	v_cmp_u_f16_e64 s[80:81], v31, v31
	v_cmp_u_f16_e64 s[78:79], v5, v5
	v_min_f32_e32 v25, v24, v12
	v_max_f32_e32 v24, v24, v12
	v_cndmask_b32_e64 v25, v25, v32, s[80:81]
	v_cndmask_b32_e64 v24, v24, v32, s[80:81]
	;; [unrolled: 1-line block ×4, first 2 shown]
	v_cmp_neq_f32_e64 s[80:81], v25, v24
	v_cmp_class_f32_e64 s[0:1], v25, s2
	s_or_b64 s[2:3], s[80:81], s[0:1]
	s_and_saveexec_b64 s[0:1], s[2:3]
	s_cbranch_execz .LBB429_80
; %bb.79:
	v_sub_f32_e32 v25, v25, v24
	s_mov_b32 s2, 0x3fb8aa3b
	v_mul_f32_e32 v26, 0x3fb8aa3b, v25
	v_fma_f32 v27, v25, s2, -v26
	v_rndne_f32_e32 v30, v26
	v_fmac_f32_e32 v27, 0x32a5705f, v25
	v_sub_f32_e32 v26, v26, v30
	v_add_f32_e32 v26, v26, v27
	v_exp_f32_e32 v26, v26
	v_cvt_i32_f32_e32 v27, v30
	s_mov_b32 s2, 0xc2ce8ed0
	v_cmp_ngt_f32_e64 s[80:81], s2, v25
	s_mov_b32 s2, 0x42b17218
	v_ldexp_f32 v26, v26, v27
	v_cndmask_b32_e64 v26, 0, v26, s[80:81]
	v_mov_b32_e32 v27, 0x7f800000
	v_cmp_nlt_f32_e64 s[80:81], s2, v25
	v_cndmask_b32_e64 v30, v27, v26, s[80:81]
	v_add_f32_e32 v31, 1.0, v30
	v_cvt_f64_f32_e32 v[25:26], v31
	v_add_f32_e32 v32, -1.0, v31
	v_sub_f32_e32 v33, v32, v31
	v_sub_f32_e32 v32, v30, v32
	v_frexp_exp_i32_f64_e32 v25, v[25:26]
	v_add_f32_e32 v26, 1.0, v33
	v_add_f32_e32 v26, v32, v26
	v_frexp_mant_f32_e32 v32, v31
	s_mov_b32 s3, 0x3f2aaaab
	v_cmp_gt_f32_e64 s[80:81], s3, v32
	s_mov_b32 s3, 0x3f317218
	s_mov_b32 s2, 0x7f800000
	v_subbrev_co_u32_e64 v25, s[80:81], 0, v25, s[80:81]
	v_sub_u32_e32 v32, 0, v25
	v_ldexp_f32 v31, v31, v32
	v_ldexp_f32 v26, v26, v32
	v_add_f32_e32 v32, -1.0, v31
	v_add_f32_e32 v35, 1.0, v31
	v_add_f32_e32 v33, 1.0, v32
	v_add_f32_e32 v36, -1.0, v35
	v_sub_f32_e32 v33, v31, v33
	v_sub_f32_e32 v31, v31, v36
	v_add_f32_e32 v33, v26, v33
	v_add_f32_e32 v26, v26, v31
	;; [unrolled: 1-line block ×3, first 2 shown]
	v_rcp_f32_e32 v36, v31
	v_add_f32_e32 v34, v32, v33
	v_sub_f32_e32 v32, v32, v34
	v_add_f32_e32 v32, v33, v32
	v_sub_f32_e32 v33, v35, v31
	v_add_f32_e32 v26, v26, v33
	v_mul_f32_e32 v33, v34, v36
	v_mul_f32_e32 v35, v31, v33
	v_fma_f32 v37, v33, v31, -v35
	v_fmac_f32_e32 v37, v33, v26
	v_add_f32_e32 v38, v35, v37
	v_sub_f32_e32 v39, v34, v38
	v_sub_f32_e32 v34, v34, v39
	;; [unrolled: 1-line block ×4, first 2 shown]
	v_add_f32_e32 v32, v32, v34
	v_sub_f32_e32 v34, v35, v37
	v_add_f32_e32 v32, v34, v32
	v_add_f32_e32 v34, v39, v32
	v_mul_f32_e32 v35, v36, v34
	v_mul_f32_e32 v37, v31, v35
	v_fma_f32 v31, v35, v31, -v37
	v_fmac_f32_e32 v31, v35, v26
	v_sub_f32_e32 v26, v39, v34
	v_add_f32_e32 v26, v32, v26
	v_add_f32_e32 v32, v37, v31
	v_sub_f32_e32 v38, v34, v32
	v_sub_f32_e32 v34, v34, v38
	;; [unrolled: 1-line block ×4, first 2 shown]
	v_add_f32_e32 v26, v26, v32
	v_sub_f32_e32 v31, v37, v31
	v_add_f32_e32 v26, v31, v26
	v_add_f32_e32 v31, v33, v35
	;; [unrolled: 1-line block ×3, first 2 shown]
	v_sub_f32_e32 v32, v31, v33
	v_mul_f32_e32 v26, v36, v26
	v_sub_f32_e32 v32, v35, v32
	v_add_f32_e32 v26, v32, v26
	v_cvt_f32_i32_e32 v25, v25
	v_add_f32_e32 v32, v31, v26
	v_mul_f32_e32 v33, v32, v32
	v_mov_b32_e32 v34, 0x3ecc95a3
	v_fmac_f32_e32 v34, 0x3e9b6dac, v33
	v_mov_b32_e32 v35, 0x3f2aaada
	v_fmac_f32_e32 v35, v33, v34
	v_mul_f32_e32 v34, 0x3f317218, v25
	v_fma_f32 v36, v25, s3, -v34
	v_fmac_f32_e32 v36, 0xb102e308, v25
	v_sub_f32_e32 v25, v32, v31
	v_sub_f32_e32 v25, v26, v25
	v_add_f32_e32 v26, v34, v36
	v_sub_f32_e32 v31, v26, v34
	v_ldexp_f32 v34, v32, 1
	v_mul_f32_e32 v32, v32, v33
	v_mul_f32_e32 v32, v32, v35
	v_add_f32_e32 v33, v34, v32
	v_sub_f32_e32 v34, v33, v34
	v_ldexp_f32 v25, v25, 1
	v_sub_f32_e32 v32, v32, v34
	v_add_f32_e32 v25, v25, v32
	v_add_f32_e32 v32, v33, v25
	v_sub_f32_e32 v33, v32, v33
	v_sub_f32_e32 v25, v25, v33
	v_add_f32_e32 v33, v26, v32
	v_sub_f32_e32 v34, v33, v26
	v_sub_f32_e32 v35, v33, v34
	;; [unrolled: 1-line block ×5, first 2 shown]
	v_add_f32_e32 v26, v32, v26
	v_add_f32_e32 v32, v31, v25
	v_sub_f32_e32 v34, v32, v31
	v_sub_f32_e32 v35, v32, v34
	v_sub_f32_e32 v31, v31, v35
	v_sub_f32_e32 v25, v25, v34
	v_add_f32_e32 v26, v32, v26
	v_add_f32_e32 v25, v25, v31
	;; [unrolled: 1-line block ×3, first 2 shown]
	v_sub_f32_e32 v32, v31, v33
	v_sub_f32_e32 v26, v26, v32
	v_add_f32_e32 v25, v25, v26
	v_add_f32_e32 v25, v31, v25
	v_cmp_neq_f32_e64 s[80:81], s2, v30
	s_mov_b32 s2, 0x33800000
	v_cndmask_b32_e64 v25, v27, v25, s[80:81]
	v_cmp_lt_f32_e64 s[80:81], |v30|, s2
	v_cndmask_b32_e64 v25, v25, v30, s[80:81]
	v_add_f32_e32 v24, v24, v25
	v_cvt_f16_f32_e32 v31, v24
	v_cvt_f32_f16_e32 v32, v31
	v_mov_b32_e32 v30, v31
.LBB429_80:
	s_or_b64 exec, exec, s[0:1]
	v_cvt_f32_f16_sdwa v24, v5 dst_sel:DWORD dst_unused:UNUSED_PAD src0_sel:WORD_1
	v_max_f32_e32 v26, v32, v32
	v_cmp_u_f16_e64 s[82:83], v31, v31
	v_cmp_u_f16_sdwa s[80:81], v5, v5 src0_sel:WORD_1 src1_sel:WORD_1
	v_min_f32_e32 v25, v26, v24
	v_max_f32_e32 v5, v26, v24
	v_cndmask_b32_e64 v25, v25, v32, s[82:83]
	v_cndmask_b32_e64 v5, v5, v32, s[82:83]
	;; [unrolled: 1-line block ×4, first 2 shown]
	s_movk_i32 s2, 0x1f8
	v_cmp_neq_f32_e64 s[82:83], v25, v5
	v_cmp_class_f32_e64 s[0:1], v25, s2
	s_or_b64 s[6:7], s[82:83], s[0:1]
	s_and_saveexec_b64 s[0:1], s[6:7]
	s_cbranch_execz .LBB429_82
; %bb.81:
	v_sub_f32_e32 v25, v25, v5
	s_mov_b32 s3, 0x3fb8aa3b
	v_mul_f32_e32 v26, 0x3fb8aa3b, v25
	v_fma_f32 v27, v25, s3, -v26
	v_rndne_f32_e32 v30, v26
	v_fmac_f32_e32 v27, 0x32a5705f, v25
	v_sub_f32_e32 v26, v26, v30
	v_add_f32_e32 v26, v26, v27
	v_exp_f32_e32 v26, v26
	v_cvt_i32_f32_e32 v27, v30
	s_mov_b32 s3, 0xc2ce8ed0
	v_cmp_ngt_f32_e64 s[82:83], s3, v25
	s_mov_b32 s3, 0x42b17218
	v_ldexp_f32 v26, v26, v27
	v_cndmask_b32_e64 v26, 0, v26, s[82:83]
	v_mov_b32_e32 v27, 0x7f800000
	v_cmp_nlt_f32_e64 s[82:83], s3, v25
	v_cndmask_b32_e64 v30, v27, v26, s[82:83]
	v_add_f32_e32 v31, 1.0, v30
	v_cvt_f64_f32_e32 v[25:26], v31
	v_add_f32_e32 v32, -1.0, v31
	v_sub_f32_e32 v33, v32, v31
	v_sub_f32_e32 v32, v30, v32
	v_frexp_exp_i32_f64_e32 v25, v[25:26]
	v_add_f32_e32 v26, 1.0, v33
	v_add_f32_e32 v26, v32, v26
	v_frexp_mant_f32_e32 v32, v31
	s_mov_b32 s6, 0x3f2aaaab
	v_cmp_gt_f32_e64 s[82:83], s6, v32
	s_mov_b32 s6, 0x3f317218
	s_mov_b32 s3, 0x7f800000
	v_subbrev_co_u32_e64 v25, s[82:83], 0, v25, s[82:83]
	v_sub_u32_e32 v32, 0, v25
	v_ldexp_f32 v31, v31, v32
	v_ldexp_f32 v26, v26, v32
	v_add_f32_e32 v32, -1.0, v31
	v_add_f32_e32 v35, 1.0, v31
	v_add_f32_e32 v33, 1.0, v32
	v_add_f32_e32 v36, -1.0, v35
	v_sub_f32_e32 v33, v31, v33
	v_sub_f32_e32 v31, v31, v36
	v_add_f32_e32 v33, v26, v33
	v_add_f32_e32 v26, v26, v31
	;; [unrolled: 1-line block ×3, first 2 shown]
	v_rcp_f32_e32 v36, v31
	v_add_f32_e32 v34, v32, v33
	v_sub_f32_e32 v32, v32, v34
	v_add_f32_e32 v32, v33, v32
	v_sub_f32_e32 v33, v35, v31
	v_add_f32_e32 v26, v26, v33
	v_mul_f32_e32 v33, v34, v36
	v_mul_f32_e32 v35, v31, v33
	v_fma_f32 v37, v33, v31, -v35
	v_fmac_f32_e32 v37, v33, v26
	v_add_f32_e32 v38, v35, v37
	v_sub_f32_e32 v39, v34, v38
	v_sub_f32_e32 v34, v34, v39
	;; [unrolled: 1-line block ×4, first 2 shown]
	v_add_f32_e32 v32, v32, v34
	v_sub_f32_e32 v34, v35, v37
	v_add_f32_e32 v32, v34, v32
	v_add_f32_e32 v34, v39, v32
	v_mul_f32_e32 v35, v36, v34
	v_mul_f32_e32 v37, v31, v35
	v_fma_f32 v31, v35, v31, -v37
	v_fmac_f32_e32 v31, v35, v26
	v_sub_f32_e32 v26, v39, v34
	v_add_f32_e32 v26, v32, v26
	v_add_f32_e32 v32, v37, v31
	v_sub_f32_e32 v38, v34, v32
	v_sub_f32_e32 v34, v34, v38
	;; [unrolled: 1-line block ×4, first 2 shown]
	v_add_f32_e32 v26, v26, v32
	v_sub_f32_e32 v31, v37, v31
	v_add_f32_e32 v26, v31, v26
	v_add_f32_e32 v31, v33, v35
	;; [unrolled: 1-line block ×3, first 2 shown]
	v_sub_f32_e32 v32, v31, v33
	v_mul_f32_e32 v26, v36, v26
	v_sub_f32_e32 v32, v35, v32
	v_add_f32_e32 v26, v32, v26
	v_cvt_f32_i32_e32 v25, v25
	v_add_f32_e32 v32, v31, v26
	v_mul_f32_e32 v33, v32, v32
	v_mov_b32_e32 v34, 0x3ecc95a3
	v_fmac_f32_e32 v34, 0x3e9b6dac, v33
	v_mov_b32_e32 v35, 0x3f2aaada
	v_fmac_f32_e32 v35, v33, v34
	v_mul_f32_e32 v34, 0x3f317218, v25
	v_fma_f32 v36, v25, s6, -v34
	v_fmac_f32_e32 v36, 0xb102e308, v25
	v_sub_f32_e32 v25, v32, v31
	v_sub_f32_e32 v25, v26, v25
	v_add_f32_e32 v26, v34, v36
	v_sub_f32_e32 v31, v26, v34
	v_ldexp_f32 v34, v32, 1
	v_mul_f32_e32 v32, v32, v33
	v_mul_f32_e32 v32, v32, v35
	v_add_f32_e32 v33, v34, v32
	v_sub_f32_e32 v34, v33, v34
	v_ldexp_f32 v25, v25, 1
	v_sub_f32_e32 v32, v32, v34
	v_add_f32_e32 v25, v25, v32
	v_add_f32_e32 v32, v33, v25
	v_sub_f32_e32 v33, v32, v33
	v_sub_f32_e32 v25, v25, v33
	v_add_f32_e32 v33, v26, v32
	v_sub_f32_e32 v34, v33, v26
	v_sub_f32_e32 v35, v33, v34
	v_sub_f32_e32 v31, v36, v31
	v_sub_f32_e32 v26, v26, v35
	v_sub_f32_e32 v32, v32, v34
	v_add_f32_e32 v26, v32, v26
	v_add_f32_e32 v32, v31, v25
	v_sub_f32_e32 v34, v32, v31
	v_sub_f32_e32 v35, v32, v34
	;; [unrolled: 1-line block ×4, first 2 shown]
	v_add_f32_e32 v26, v32, v26
	v_add_f32_e32 v25, v25, v31
	v_add_f32_e32 v31, v33, v26
	v_sub_f32_e32 v32, v31, v33
	v_sub_f32_e32 v26, v26, v32
	v_add_f32_e32 v25, v25, v26
	v_add_f32_e32 v25, v31, v25
	v_cmp_neq_f32_e64 s[82:83], s3, v30
	s_mov_b32 s3, 0x33800000
	v_cndmask_b32_e64 v25, v27, v25, s[82:83]
	v_cmp_lt_f32_e64 s[82:83], |v30|, s3
	v_cndmask_b32_e64 v25, v25, v30, s[82:83]
	v_add_f32_e32 v5, v5, v25
	v_cvt_f16_f32_e32 v31, v5
	v_cvt_f32_f16_e32 v32, v31
	v_mov_b32_e32 v30, v31
.LBB429_82:
	s_or_b64 exec, exec, s[0:1]
	v_cvt_f32_f16_e32 v5, v6
	v_max_f32_e32 v25, v32, v32
	v_cmp_u_f16_e64 s[84:85], v31, v31
	v_cmp_u_f16_e64 s[82:83], v6, v6
	v_min_f32_e32 v26, v25, v5
	v_max_f32_e32 v25, v25, v5
	v_cndmask_b32_e64 v26, v26, v32, s[84:85]
	v_cndmask_b32_e64 v25, v25, v32, s[84:85]
	;; [unrolled: 1-line block ×4, first 2 shown]
	v_cmp_neq_f32_e64 s[84:85], v26, v25
	v_cmp_class_f32_e64 s[0:1], v26, s2
	s_or_b64 s[2:3], s[84:85], s[0:1]
	s_and_saveexec_b64 s[0:1], s[2:3]
	s_cbranch_execz .LBB429_84
; %bb.83:
	v_sub_f32_e32 v26, v26, v25
	s_mov_b32 s2, 0x3fb8aa3b
	v_mul_f32_e32 v27, 0x3fb8aa3b, v26
	v_fma_f32 v30, v26, s2, -v27
	v_rndne_f32_e32 v31, v27
	v_fmac_f32_e32 v30, 0x32a5705f, v26
	v_sub_f32_e32 v27, v27, v31
	v_add_f32_e32 v27, v27, v30
	v_exp_f32_e32 v27, v27
	v_cvt_i32_f32_e32 v30, v31
	s_mov_b32 s2, 0xc2ce8ed0
	v_cmp_ngt_f32_e64 s[84:85], s2, v26
	s_mov_b32 s2, 0x42b17218
	v_ldexp_f32 v27, v27, v30
	v_cndmask_b32_e64 v27, 0, v27, s[84:85]
	v_mov_b32_e32 v30, 0x7f800000
	v_cmp_nlt_f32_e64 s[84:85], s2, v26
	v_cndmask_b32_e64 v31, v30, v27, s[84:85]
	v_add_f32_e32 v32, 1.0, v31
	v_cvt_f64_f32_e32 v[26:27], v32
	v_add_f32_e32 v33, -1.0, v32
	v_sub_f32_e32 v34, v33, v32
	v_sub_f32_e32 v33, v31, v33
	v_frexp_exp_i32_f64_e32 v26, v[26:27]
	v_add_f32_e32 v27, 1.0, v34
	v_add_f32_e32 v27, v33, v27
	v_frexp_mant_f32_e32 v33, v32
	s_mov_b32 s3, 0x3f2aaaab
	v_cmp_gt_f32_e64 s[84:85], s3, v33
	s_mov_b32 s3, 0x3f317218
	s_mov_b32 s2, 0x7f800000
	v_subbrev_co_u32_e64 v26, s[84:85], 0, v26, s[84:85]
	v_sub_u32_e32 v33, 0, v26
	v_ldexp_f32 v32, v32, v33
	v_ldexp_f32 v27, v27, v33
	v_add_f32_e32 v33, -1.0, v32
	v_add_f32_e32 v36, 1.0, v32
	v_add_f32_e32 v34, 1.0, v33
	v_add_f32_e32 v37, -1.0, v36
	v_sub_f32_e32 v34, v32, v34
	v_sub_f32_e32 v32, v32, v37
	v_add_f32_e32 v34, v27, v34
	v_add_f32_e32 v27, v27, v32
	;; [unrolled: 1-line block ×3, first 2 shown]
	v_rcp_f32_e32 v37, v32
	v_add_f32_e32 v35, v33, v34
	v_sub_f32_e32 v33, v33, v35
	v_add_f32_e32 v33, v34, v33
	v_sub_f32_e32 v34, v36, v32
	v_add_f32_e32 v27, v27, v34
	v_mul_f32_e32 v34, v35, v37
	v_mul_f32_e32 v36, v32, v34
	v_fma_f32 v38, v34, v32, -v36
	v_fmac_f32_e32 v38, v34, v27
	v_add_f32_e32 v39, v36, v38
	v_sub_f32_e32 v40, v35, v39
	v_sub_f32_e32 v35, v35, v40
	;; [unrolled: 1-line block ×4, first 2 shown]
	v_add_f32_e32 v33, v33, v35
	v_sub_f32_e32 v35, v36, v38
	v_add_f32_e32 v33, v35, v33
	v_add_f32_e32 v35, v40, v33
	v_mul_f32_e32 v36, v37, v35
	v_mul_f32_e32 v38, v32, v36
	v_fma_f32 v32, v36, v32, -v38
	v_fmac_f32_e32 v32, v36, v27
	v_sub_f32_e32 v27, v40, v35
	v_add_f32_e32 v27, v33, v27
	v_add_f32_e32 v33, v38, v32
	v_sub_f32_e32 v39, v35, v33
	v_sub_f32_e32 v35, v35, v39
	;; [unrolled: 1-line block ×4, first 2 shown]
	v_add_f32_e32 v27, v27, v33
	v_sub_f32_e32 v32, v38, v32
	v_add_f32_e32 v27, v32, v27
	v_add_f32_e32 v32, v34, v36
	;; [unrolled: 1-line block ×3, first 2 shown]
	v_sub_f32_e32 v33, v32, v34
	v_mul_f32_e32 v27, v37, v27
	v_sub_f32_e32 v33, v36, v33
	v_add_f32_e32 v27, v33, v27
	v_cvt_f32_i32_e32 v26, v26
	v_add_f32_e32 v33, v32, v27
	v_mul_f32_e32 v34, v33, v33
	v_mov_b32_e32 v35, 0x3ecc95a3
	v_fmac_f32_e32 v35, 0x3e9b6dac, v34
	v_mov_b32_e32 v36, 0x3f2aaada
	v_fmac_f32_e32 v36, v34, v35
	v_mul_f32_e32 v35, 0x3f317218, v26
	v_fma_f32 v37, v26, s3, -v35
	v_fmac_f32_e32 v37, 0xb102e308, v26
	v_sub_f32_e32 v26, v33, v32
	v_sub_f32_e32 v26, v27, v26
	v_add_f32_e32 v27, v35, v37
	v_sub_f32_e32 v32, v27, v35
	v_ldexp_f32 v35, v33, 1
	v_mul_f32_e32 v33, v33, v34
	v_mul_f32_e32 v33, v33, v36
	v_add_f32_e32 v34, v35, v33
	v_sub_f32_e32 v35, v34, v35
	v_ldexp_f32 v26, v26, 1
	v_sub_f32_e32 v33, v33, v35
	v_add_f32_e32 v26, v26, v33
	v_add_f32_e32 v33, v34, v26
	v_sub_f32_e32 v34, v33, v34
	v_sub_f32_e32 v26, v26, v34
	v_add_f32_e32 v34, v27, v33
	v_sub_f32_e32 v35, v34, v27
	v_sub_f32_e32 v36, v34, v35
	;; [unrolled: 1-line block ×5, first 2 shown]
	v_add_f32_e32 v27, v33, v27
	v_add_f32_e32 v33, v32, v26
	v_sub_f32_e32 v35, v33, v32
	v_sub_f32_e32 v36, v33, v35
	;; [unrolled: 1-line block ×4, first 2 shown]
	v_add_f32_e32 v27, v33, v27
	v_add_f32_e32 v26, v26, v32
	;; [unrolled: 1-line block ×3, first 2 shown]
	v_sub_f32_e32 v33, v32, v34
	v_sub_f32_e32 v27, v27, v33
	v_add_f32_e32 v26, v26, v27
	v_add_f32_e32 v26, v32, v26
	v_cmp_neq_f32_e64 s[84:85], s2, v31
	s_mov_b32 s2, 0x33800000
	v_cndmask_b32_e64 v26, v30, v26, s[84:85]
	v_cmp_lt_f32_e64 s[84:85], |v31|, s2
	v_cndmask_b32_e64 v26, v26, v31, s[84:85]
	v_add_f32_e32 v25, v25, v26
	v_cvt_f16_f32_e32 v31, v25
	v_cvt_f32_f16_e32 v32, v31
	v_mov_b32_e32 v30, v31
.LBB429_84:
	s_or_b64 exec, exec, s[0:1]
	v_cvt_f32_f16_sdwa v25, v6 dst_sel:DWORD dst_unused:UNUSED_PAD src0_sel:WORD_1
	v_max_f32_e32 v27, v32, v32
	v_cmp_u_f16_e64 s[86:87], v31, v31
	v_cmp_u_f16_sdwa s[84:85], v6, v6 src0_sel:WORD_1 src1_sel:WORD_1
	v_min_f32_e32 v26, v27, v25
	v_max_f32_e32 v6, v27, v25
	v_cndmask_b32_e64 v26, v26, v32, s[86:87]
	v_cndmask_b32_e64 v6, v6, v32, s[86:87]
	;; [unrolled: 1-line block ×4, first 2 shown]
	s_movk_i32 s2, 0x1f8
	v_cmp_neq_f32_e64 s[86:87], v26, v6
	v_cmp_class_f32_e64 s[0:1], v26, s2
	s_or_b64 s[6:7], s[86:87], s[0:1]
	s_and_saveexec_b64 s[0:1], s[6:7]
	s_cbranch_execz .LBB429_86
; %bb.85:
	v_sub_f32_e32 v26, v26, v6
	s_mov_b32 s3, 0x3fb8aa3b
	v_mul_f32_e32 v27, 0x3fb8aa3b, v26
	v_fma_f32 v30, v26, s3, -v27
	v_rndne_f32_e32 v31, v27
	v_fmac_f32_e32 v30, 0x32a5705f, v26
	v_sub_f32_e32 v27, v27, v31
	v_add_f32_e32 v27, v27, v30
	v_exp_f32_e32 v27, v27
	v_cvt_i32_f32_e32 v30, v31
	s_mov_b32 s3, 0xc2ce8ed0
	v_cmp_ngt_f32_e64 s[86:87], s3, v26
	s_mov_b32 s3, 0x42b17218
	v_ldexp_f32 v27, v27, v30
	v_cndmask_b32_e64 v27, 0, v27, s[86:87]
	v_mov_b32_e32 v30, 0x7f800000
	v_cmp_nlt_f32_e64 s[86:87], s3, v26
	v_cndmask_b32_e64 v31, v30, v27, s[86:87]
	v_add_f32_e32 v32, 1.0, v31
	v_cvt_f64_f32_e32 v[26:27], v32
	v_add_f32_e32 v33, -1.0, v32
	v_sub_f32_e32 v34, v33, v32
	v_sub_f32_e32 v33, v31, v33
	v_frexp_exp_i32_f64_e32 v26, v[26:27]
	v_add_f32_e32 v27, 1.0, v34
	v_add_f32_e32 v27, v33, v27
	v_frexp_mant_f32_e32 v33, v32
	s_mov_b32 s6, 0x3f2aaaab
	v_cmp_gt_f32_e64 s[86:87], s6, v33
	s_mov_b32 s6, 0x3f317218
	s_mov_b32 s3, 0x7f800000
	v_subbrev_co_u32_e64 v26, s[86:87], 0, v26, s[86:87]
	v_sub_u32_e32 v33, 0, v26
	v_ldexp_f32 v32, v32, v33
	v_ldexp_f32 v27, v27, v33
	v_add_f32_e32 v33, -1.0, v32
	v_add_f32_e32 v36, 1.0, v32
	v_add_f32_e32 v34, 1.0, v33
	v_add_f32_e32 v37, -1.0, v36
	v_sub_f32_e32 v34, v32, v34
	v_sub_f32_e32 v32, v32, v37
	v_add_f32_e32 v34, v27, v34
	v_add_f32_e32 v27, v27, v32
	;; [unrolled: 1-line block ×3, first 2 shown]
	v_rcp_f32_e32 v37, v32
	v_add_f32_e32 v35, v33, v34
	v_sub_f32_e32 v33, v33, v35
	v_add_f32_e32 v33, v34, v33
	v_sub_f32_e32 v34, v36, v32
	v_add_f32_e32 v27, v27, v34
	v_mul_f32_e32 v34, v35, v37
	v_mul_f32_e32 v36, v32, v34
	v_fma_f32 v38, v34, v32, -v36
	v_fmac_f32_e32 v38, v34, v27
	v_add_f32_e32 v39, v36, v38
	v_sub_f32_e32 v40, v35, v39
	v_sub_f32_e32 v35, v35, v40
	;; [unrolled: 1-line block ×4, first 2 shown]
	v_add_f32_e32 v33, v33, v35
	v_sub_f32_e32 v35, v36, v38
	v_add_f32_e32 v33, v35, v33
	v_add_f32_e32 v35, v40, v33
	v_mul_f32_e32 v36, v37, v35
	v_mul_f32_e32 v38, v32, v36
	v_fma_f32 v32, v36, v32, -v38
	v_fmac_f32_e32 v32, v36, v27
	v_sub_f32_e32 v27, v40, v35
	v_add_f32_e32 v27, v33, v27
	v_add_f32_e32 v33, v38, v32
	v_sub_f32_e32 v39, v35, v33
	v_sub_f32_e32 v35, v35, v39
	;; [unrolled: 1-line block ×4, first 2 shown]
	v_add_f32_e32 v27, v27, v33
	v_sub_f32_e32 v32, v38, v32
	v_add_f32_e32 v27, v32, v27
	v_add_f32_e32 v32, v34, v36
	;; [unrolled: 1-line block ×3, first 2 shown]
	v_sub_f32_e32 v33, v32, v34
	v_mul_f32_e32 v27, v37, v27
	v_sub_f32_e32 v33, v36, v33
	v_add_f32_e32 v27, v33, v27
	v_cvt_f32_i32_e32 v26, v26
	v_add_f32_e32 v33, v32, v27
	v_mul_f32_e32 v34, v33, v33
	v_mov_b32_e32 v35, 0x3ecc95a3
	v_fmac_f32_e32 v35, 0x3e9b6dac, v34
	v_mov_b32_e32 v36, 0x3f2aaada
	v_fmac_f32_e32 v36, v34, v35
	v_mul_f32_e32 v35, 0x3f317218, v26
	v_fma_f32 v37, v26, s6, -v35
	v_fmac_f32_e32 v37, 0xb102e308, v26
	v_sub_f32_e32 v26, v33, v32
	v_sub_f32_e32 v26, v27, v26
	v_add_f32_e32 v27, v35, v37
	v_sub_f32_e32 v32, v27, v35
	v_ldexp_f32 v35, v33, 1
	v_mul_f32_e32 v33, v33, v34
	v_mul_f32_e32 v33, v33, v36
	v_add_f32_e32 v34, v35, v33
	v_sub_f32_e32 v35, v34, v35
	v_ldexp_f32 v26, v26, 1
	v_sub_f32_e32 v33, v33, v35
	v_add_f32_e32 v26, v26, v33
	v_add_f32_e32 v33, v34, v26
	v_sub_f32_e32 v34, v33, v34
	v_sub_f32_e32 v26, v26, v34
	v_add_f32_e32 v34, v27, v33
	v_sub_f32_e32 v35, v34, v27
	v_sub_f32_e32 v36, v34, v35
	;; [unrolled: 1-line block ×5, first 2 shown]
	v_add_f32_e32 v27, v33, v27
	v_add_f32_e32 v33, v32, v26
	v_sub_f32_e32 v35, v33, v32
	v_sub_f32_e32 v36, v33, v35
	v_sub_f32_e32 v32, v32, v36
	v_sub_f32_e32 v26, v26, v35
	v_add_f32_e32 v27, v33, v27
	v_add_f32_e32 v26, v26, v32
	;; [unrolled: 1-line block ×3, first 2 shown]
	v_sub_f32_e32 v33, v32, v34
	v_sub_f32_e32 v27, v27, v33
	v_add_f32_e32 v26, v26, v27
	v_add_f32_e32 v26, v32, v26
	v_cmp_neq_f32_e64 s[86:87], s3, v31
	s_mov_b32 s3, 0x33800000
	v_cndmask_b32_e64 v26, v30, v26, s[86:87]
	v_cmp_lt_f32_e64 s[86:87], |v31|, s3
	v_cndmask_b32_e64 v26, v26, v31, s[86:87]
	v_add_f32_e32 v6, v6, v26
	v_cvt_f16_f32_e32 v31, v6
	v_cvt_f32_f16_e32 v32, v31
	v_mov_b32_e32 v30, v31
.LBB429_86:
	s_or_b64 exec, exec, s[0:1]
	v_cvt_f32_f16_e32 v6, v7
	v_max_f32_e32 v26, v32, v32
	v_cmp_u_f16_e64 s[88:89], v31, v31
	v_cmp_u_f16_e64 s[86:87], v7, v7
	v_min_f32_e32 v27, v26, v6
	v_max_f32_e32 v26, v26, v6
	v_cndmask_b32_e64 v27, v27, v32, s[88:89]
	v_cndmask_b32_e64 v26, v26, v32, s[88:89]
	;; [unrolled: 1-line block ×4, first 2 shown]
	v_cmp_neq_f32_e64 s[88:89], v27, v26
	v_cmp_class_f32_e64 s[0:1], v27, s2
	s_or_b64 s[2:3], s[88:89], s[0:1]
	s_and_saveexec_b64 s[0:1], s[2:3]
	s_cbranch_execz .LBB429_88
; %bb.87:
	v_sub_f32_e32 v27, v27, v26
	s_mov_b32 s2, 0x3fb8aa3b
	v_mul_f32_e32 v30, 0x3fb8aa3b, v27
	v_fma_f32 v31, v27, s2, -v30
	v_rndne_f32_e32 v32, v30
	v_fmac_f32_e32 v31, 0x32a5705f, v27
	v_sub_f32_e32 v30, v30, v32
	v_add_f32_e32 v30, v30, v31
	v_exp_f32_e32 v30, v30
	v_cvt_i32_f32_e32 v31, v32
	s_mov_b32 s2, 0xc2ce8ed0
	v_cmp_ngt_f32_e64 s[88:89], s2, v27
	s_mov_b32 s2, 0x42b17218
	v_ldexp_f32 v30, v30, v31
	v_cndmask_b32_e64 v30, 0, v30, s[88:89]
	v_mov_b32_e32 v32, 0x7f800000
	v_cmp_nlt_f32_e64 s[88:89], s2, v27
	v_cndmask_b32_e64 v27, v32, v30, s[88:89]
	v_add_f32_e32 v33, 1.0, v27
	v_cvt_f64_f32_e32 v[30:31], v33
	v_add_f32_e32 v34, -1.0, v33
	v_sub_f32_e32 v35, v34, v33
	v_sub_f32_e32 v34, v27, v34
	v_frexp_exp_i32_f64_e32 v30, v[30:31]
	v_add_f32_e32 v31, 1.0, v35
	v_add_f32_e32 v31, v34, v31
	v_frexp_mant_f32_e32 v34, v33
	s_mov_b32 s3, 0x3f2aaaab
	v_cmp_gt_f32_e64 s[88:89], s3, v34
	s_mov_b32 s3, 0x3f317218
	s_mov_b32 s2, 0x7f800000
	v_subbrev_co_u32_e64 v30, s[88:89], 0, v30, s[88:89]
	v_sub_u32_e32 v34, 0, v30
	v_ldexp_f32 v33, v33, v34
	v_ldexp_f32 v31, v31, v34
	v_add_f32_e32 v34, -1.0, v33
	v_add_f32_e32 v37, 1.0, v33
	v_add_f32_e32 v35, 1.0, v34
	v_add_f32_e32 v38, -1.0, v37
	v_sub_f32_e32 v35, v33, v35
	v_sub_f32_e32 v33, v33, v38
	v_add_f32_e32 v35, v31, v35
	v_add_f32_e32 v31, v31, v33
	;; [unrolled: 1-line block ×3, first 2 shown]
	v_rcp_f32_e32 v38, v33
	v_add_f32_e32 v36, v34, v35
	v_sub_f32_e32 v34, v34, v36
	v_add_f32_e32 v34, v35, v34
	v_sub_f32_e32 v35, v37, v33
	v_add_f32_e32 v31, v31, v35
	v_mul_f32_e32 v35, v36, v38
	v_mul_f32_e32 v37, v33, v35
	v_fma_f32 v39, v35, v33, -v37
	v_fmac_f32_e32 v39, v35, v31
	v_add_f32_e32 v40, v37, v39
	v_sub_f32_e32 v41, v36, v40
	v_sub_f32_e32 v36, v36, v41
	;; [unrolled: 1-line block ×4, first 2 shown]
	v_add_f32_e32 v34, v34, v36
	v_sub_f32_e32 v36, v37, v39
	v_add_f32_e32 v34, v36, v34
	v_add_f32_e32 v36, v41, v34
	v_mul_f32_e32 v37, v38, v36
	v_mul_f32_e32 v39, v33, v37
	v_fma_f32 v33, v37, v33, -v39
	v_fmac_f32_e32 v33, v37, v31
	v_sub_f32_e32 v31, v41, v36
	v_add_f32_e32 v31, v34, v31
	v_add_f32_e32 v34, v39, v33
	v_sub_f32_e32 v40, v36, v34
	v_sub_f32_e32 v36, v36, v40
	;; [unrolled: 1-line block ×4, first 2 shown]
	v_add_f32_e32 v31, v31, v34
	v_sub_f32_e32 v33, v39, v33
	v_add_f32_e32 v31, v33, v31
	v_add_f32_e32 v33, v35, v37
	v_add_f32_e32 v31, v40, v31
	v_sub_f32_e32 v34, v33, v35
	v_mul_f32_e32 v31, v38, v31
	v_sub_f32_e32 v34, v37, v34
	v_add_f32_e32 v31, v34, v31
	v_cvt_f32_i32_e32 v30, v30
	v_add_f32_e32 v34, v33, v31
	v_mul_f32_e32 v35, v34, v34
	v_mov_b32_e32 v36, 0x3ecc95a3
	v_fmac_f32_e32 v36, 0x3e9b6dac, v35
	v_mov_b32_e32 v37, 0x3f2aaada
	v_fmac_f32_e32 v37, v35, v36
	v_mul_f32_e32 v36, 0x3f317218, v30
	v_fma_f32 v38, v30, s3, -v36
	v_fmac_f32_e32 v38, 0xb102e308, v30
	v_sub_f32_e32 v30, v34, v33
	v_sub_f32_e32 v30, v31, v30
	v_add_f32_e32 v31, v36, v38
	v_sub_f32_e32 v33, v31, v36
	v_ldexp_f32 v36, v34, 1
	v_mul_f32_e32 v34, v34, v35
	v_mul_f32_e32 v34, v34, v37
	v_add_f32_e32 v35, v36, v34
	v_sub_f32_e32 v36, v35, v36
	v_ldexp_f32 v30, v30, 1
	v_sub_f32_e32 v34, v34, v36
	v_add_f32_e32 v30, v30, v34
	v_add_f32_e32 v34, v35, v30
	v_sub_f32_e32 v35, v34, v35
	v_sub_f32_e32 v30, v30, v35
	v_add_f32_e32 v35, v31, v34
	v_sub_f32_e32 v36, v35, v31
	v_sub_f32_e32 v37, v35, v36
	;; [unrolled: 1-line block ×5, first 2 shown]
	v_add_f32_e32 v31, v34, v31
	v_add_f32_e32 v34, v33, v30
	v_sub_f32_e32 v36, v34, v33
	v_sub_f32_e32 v37, v34, v36
	;; [unrolled: 1-line block ×4, first 2 shown]
	v_add_f32_e32 v31, v34, v31
	v_add_f32_e32 v30, v30, v33
	;; [unrolled: 1-line block ×3, first 2 shown]
	v_sub_f32_e32 v34, v33, v35
	v_sub_f32_e32 v31, v31, v34
	v_add_f32_e32 v30, v30, v31
	v_add_f32_e32 v30, v33, v30
	v_cmp_neq_f32_e64 s[88:89], s2, v27
	s_mov_b32 s2, 0x33800000
	v_cndmask_b32_e64 v30, v32, v30, s[88:89]
	v_cmp_lt_f32_e64 s[88:89], |v27|, s2
	v_cndmask_b32_e64 v27, v30, v27, s[88:89]
	v_add_f32_e32 v26, v26, v27
	v_cvt_f16_f32_e32 v31, v26
	v_cvt_f32_f16_e32 v32, v31
	v_mov_b32_e32 v30, v31
.LBB429_88:
	s_or_b64 exec, exec, s[0:1]
	v_cvt_f32_f16_sdwa v26, v7 dst_sel:DWORD dst_unused:UNUSED_PAD src0_sel:WORD_1
	v_max_f32_e32 v33, v32, v32
	v_cmp_u_f16_e64 s[90:91], v31, v31
	v_cmp_u_f16_sdwa s[88:89], v7, v7 src0_sel:WORD_1 src1_sel:WORD_1
	v_min_f32_e32 v27, v33, v26
	v_max_f32_e32 v7, v33, v26
	v_cndmask_b32_e64 v27, v27, v32, s[90:91]
	v_cndmask_b32_e64 v7, v7, v32, s[90:91]
	;; [unrolled: 1-line block ×4, first 2 shown]
	s_movk_i32 s2, 0x1f8
	v_cmp_neq_f32_e64 s[90:91], v27, v7
	v_cmp_class_f32_e64 s[0:1], v27, s2
	s_or_b64 s[6:7], s[90:91], s[0:1]
	s_and_saveexec_b64 s[0:1], s[6:7]
	s_cbranch_execz .LBB429_90
; %bb.89:
	v_sub_f32_e32 v27, v27, v7
	s_mov_b32 s3, 0x3fb8aa3b
	v_mul_f32_e32 v30, 0x3fb8aa3b, v27
	v_fma_f32 v31, v27, s3, -v30
	v_rndne_f32_e32 v32, v30
	v_fmac_f32_e32 v31, 0x32a5705f, v27
	v_sub_f32_e32 v30, v30, v32
	v_add_f32_e32 v30, v30, v31
	v_exp_f32_e32 v30, v30
	v_cvt_i32_f32_e32 v31, v32
	s_mov_b32 s3, 0xc2ce8ed0
	v_cmp_ngt_f32_e64 s[90:91], s3, v27
	s_mov_b32 s3, 0x42b17218
	v_ldexp_f32 v30, v30, v31
	v_cndmask_b32_e64 v30, 0, v30, s[90:91]
	v_mov_b32_e32 v32, 0x7f800000
	v_cmp_nlt_f32_e64 s[90:91], s3, v27
	v_cndmask_b32_e64 v27, v32, v30, s[90:91]
	v_add_f32_e32 v33, 1.0, v27
	v_cvt_f64_f32_e32 v[30:31], v33
	v_add_f32_e32 v34, -1.0, v33
	v_sub_f32_e32 v35, v34, v33
	v_sub_f32_e32 v34, v27, v34
	v_frexp_exp_i32_f64_e32 v30, v[30:31]
	v_add_f32_e32 v31, 1.0, v35
	v_add_f32_e32 v31, v34, v31
	v_frexp_mant_f32_e32 v34, v33
	s_mov_b32 s6, 0x3f2aaaab
	v_cmp_gt_f32_e64 s[90:91], s6, v34
	s_mov_b32 s6, 0x3f317218
	s_mov_b32 s3, 0x7f800000
	v_subbrev_co_u32_e64 v30, s[90:91], 0, v30, s[90:91]
	v_sub_u32_e32 v34, 0, v30
	v_ldexp_f32 v33, v33, v34
	v_ldexp_f32 v31, v31, v34
	v_add_f32_e32 v34, -1.0, v33
	v_add_f32_e32 v37, 1.0, v33
	v_add_f32_e32 v35, 1.0, v34
	v_add_f32_e32 v38, -1.0, v37
	v_sub_f32_e32 v35, v33, v35
	v_sub_f32_e32 v33, v33, v38
	v_add_f32_e32 v35, v31, v35
	v_add_f32_e32 v31, v31, v33
	;; [unrolled: 1-line block ×3, first 2 shown]
	v_rcp_f32_e32 v38, v33
	v_add_f32_e32 v36, v34, v35
	v_sub_f32_e32 v34, v34, v36
	v_add_f32_e32 v34, v35, v34
	v_sub_f32_e32 v35, v37, v33
	v_add_f32_e32 v31, v31, v35
	v_mul_f32_e32 v35, v36, v38
	v_mul_f32_e32 v37, v33, v35
	v_fma_f32 v39, v35, v33, -v37
	v_fmac_f32_e32 v39, v35, v31
	v_add_f32_e32 v40, v37, v39
	v_sub_f32_e32 v41, v36, v40
	v_sub_f32_e32 v36, v36, v41
	;; [unrolled: 1-line block ×4, first 2 shown]
	v_add_f32_e32 v34, v34, v36
	v_sub_f32_e32 v36, v37, v39
	v_add_f32_e32 v34, v36, v34
	v_add_f32_e32 v36, v41, v34
	v_mul_f32_e32 v37, v38, v36
	v_mul_f32_e32 v39, v33, v37
	v_fma_f32 v33, v37, v33, -v39
	v_fmac_f32_e32 v33, v37, v31
	v_sub_f32_e32 v31, v41, v36
	v_add_f32_e32 v31, v34, v31
	v_add_f32_e32 v34, v39, v33
	v_sub_f32_e32 v40, v36, v34
	v_sub_f32_e32 v36, v36, v40
	;; [unrolled: 1-line block ×4, first 2 shown]
	v_add_f32_e32 v31, v31, v34
	v_sub_f32_e32 v33, v39, v33
	v_add_f32_e32 v31, v33, v31
	v_add_f32_e32 v33, v35, v37
	;; [unrolled: 1-line block ×3, first 2 shown]
	v_sub_f32_e32 v34, v33, v35
	v_mul_f32_e32 v31, v38, v31
	v_sub_f32_e32 v34, v37, v34
	v_add_f32_e32 v31, v34, v31
	v_cvt_f32_i32_e32 v30, v30
	v_add_f32_e32 v34, v33, v31
	v_mul_f32_e32 v35, v34, v34
	v_mov_b32_e32 v36, 0x3ecc95a3
	v_fmac_f32_e32 v36, 0x3e9b6dac, v35
	v_mov_b32_e32 v37, 0x3f2aaada
	v_fmac_f32_e32 v37, v35, v36
	v_mul_f32_e32 v36, 0x3f317218, v30
	v_fma_f32 v38, v30, s6, -v36
	v_fmac_f32_e32 v38, 0xb102e308, v30
	v_sub_f32_e32 v30, v34, v33
	v_sub_f32_e32 v30, v31, v30
	v_add_f32_e32 v31, v36, v38
	v_sub_f32_e32 v33, v31, v36
	v_ldexp_f32 v36, v34, 1
	v_mul_f32_e32 v34, v34, v35
	v_mul_f32_e32 v34, v34, v37
	v_add_f32_e32 v35, v36, v34
	v_sub_f32_e32 v36, v35, v36
	v_ldexp_f32 v30, v30, 1
	v_sub_f32_e32 v34, v34, v36
	v_add_f32_e32 v30, v30, v34
	v_add_f32_e32 v34, v35, v30
	v_sub_f32_e32 v35, v34, v35
	v_sub_f32_e32 v30, v30, v35
	v_add_f32_e32 v35, v31, v34
	v_sub_f32_e32 v36, v35, v31
	v_sub_f32_e32 v37, v35, v36
	;; [unrolled: 1-line block ×5, first 2 shown]
	v_add_f32_e32 v31, v34, v31
	v_add_f32_e32 v34, v33, v30
	v_sub_f32_e32 v36, v34, v33
	v_sub_f32_e32 v37, v34, v36
	;; [unrolled: 1-line block ×4, first 2 shown]
	v_add_f32_e32 v31, v34, v31
	v_add_f32_e32 v30, v30, v33
	;; [unrolled: 1-line block ×3, first 2 shown]
	v_sub_f32_e32 v34, v33, v35
	v_sub_f32_e32 v31, v31, v34
	v_add_f32_e32 v30, v30, v31
	v_add_f32_e32 v30, v33, v30
	v_cmp_neq_f32_e64 s[90:91], s3, v27
	s_mov_b32 s3, 0x33800000
	v_cndmask_b32_e64 v30, v32, v30, s[90:91]
	v_cmp_lt_f32_e64 s[90:91], |v27|, s3
	v_cndmask_b32_e64 v27, v30, v27, s[90:91]
	v_add_f32_e32 v7, v7, v27
	v_cvt_f16_f32_e32 v31, v7
	v_cvt_f32_f16_e32 v32, v31
	v_mov_b32_e32 v30, v31
.LBB429_90:
	s_or_b64 exec, exec, s[0:1]
	v_cvt_f32_f16_e32 v7, v8
	v_max_f32_e32 v27, v32, v32
	v_cmp_u_f16_e64 s[92:93], v31, v31
	v_cmp_u_f16_e64 s[90:91], v8, v8
	v_min_f32_e32 v33, v27, v7
	v_max_f32_e32 v27, v27, v7
	v_cndmask_b32_e64 v33, v33, v32, s[92:93]
	v_cndmask_b32_e64 v27, v27, v32, s[92:93]
	;; [unrolled: 1-line block ×4, first 2 shown]
	v_cmp_neq_f32_e64 s[92:93], v33, v27
	v_cmp_class_f32_e64 s[0:1], v33, s2
	s_or_b64 s[2:3], s[92:93], s[0:1]
	s_and_saveexec_b64 s[0:1], s[2:3]
	s_cbranch_execz .LBB429_92
; %bb.91:
	v_sub_f32_e32 v30, v33, v27
	s_mov_b32 s2, 0x3fb8aa3b
	v_mul_f32_e32 v31, 0x3fb8aa3b, v30
	v_fma_f32 v32, v30, s2, -v31
	v_rndne_f32_e32 v33, v31
	v_fmac_f32_e32 v32, 0x32a5705f, v30
	v_sub_f32_e32 v31, v31, v33
	v_add_f32_e32 v31, v31, v32
	v_exp_f32_e32 v31, v31
	v_cvt_i32_f32_e32 v32, v33
	s_mov_b32 s2, 0xc2ce8ed0
	v_cmp_ngt_f32_e64 s[92:93], s2, v30
	s_mov_b32 s2, 0x42b17218
	v_ldexp_f32 v31, v31, v32
	v_cndmask_b32_e64 v31, 0, v31, s[92:93]
	v_mov_b32_e32 v32, 0x7f800000
	v_cmp_nlt_f32_e64 s[92:93], s2, v30
	v_cndmask_b32_e64 v33, v32, v31, s[92:93]
	v_add_f32_e32 v34, 1.0, v33
	v_cvt_f64_f32_e32 v[30:31], v34
	v_add_f32_e32 v35, -1.0, v34
	v_sub_f32_e32 v36, v35, v34
	v_sub_f32_e32 v35, v33, v35
	v_frexp_exp_i32_f64_e32 v30, v[30:31]
	v_add_f32_e32 v31, 1.0, v36
	v_add_f32_e32 v31, v35, v31
	v_frexp_mant_f32_e32 v35, v34
	s_mov_b32 s3, 0x3f2aaaab
	v_cmp_gt_f32_e64 s[92:93], s3, v35
	s_mov_b32 s3, 0x3f317218
	s_mov_b32 s2, 0x7f800000
	v_subbrev_co_u32_e64 v30, s[92:93], 0, v30, s[92:93]
	v_sub_u32_e32 v35, 0, v30
	v_ldexp_f32 v34, v34, v35
	v_ldexp_f32 v31, v31, v35
	v_add_f32_e32 v35, -1.0, v34
	v_add_f32_e32 v38, 1.0, v34
	v_add_f32_e32 v36, 1.0, v35
	v_add_f32_e32 v39, -1.0, v38
	v_sub_f32_e32 v36, v34, v36
	v_sub_f32_e32 v34, v34, v39
	v_add_f32_e32 v36, v31, v36
	v_add_f32_e32 v31, v31, v34
	;; [unrolled: 1-line block ×3, first 2 shown]
	v_rcp_f32_e32 v39, v34
	v_add_f32_e32 v37, v35, v36
	v_sub_f32_e32 v35, v35, v37
	v_add_f32_e32 v35, v36, v35
	v_sub_f32_e32 v36, v38, v34
	v_add_f32_e32 v31, v31, v36
	v_mul_f32_e32 v36, v37, v39
	v_mul_f32_e32 v38, v34, v36
	v_fma_f32 v40, v36, v34, -v38
	v_fmac_f32_e32 v40, v36, v31
	v_add_f32_e32 v41, v38, v40
	v_sub_f32_e32 v42, v37, v41
	v_sub_f32_e32 v37, v37, v42
	;; [unrolled: 1-line block ×4, first 2 shown]
	v_add_f32_e32 v35, v35, v37
	v_sub_f32_e32 v37, v38, v40
	v_add_f32_e32 v35, v37, v35
	v_add_f32_e32 v37, v42, v35
	v_mul_f32_e32 v38, v39, v37
	v_mul_f32_e32 v40, v34, v38
	v_fma_f32 v34, v38, v34, -v40
	v_fmac_f32_e32 v34, v38, v31
	v_sub_f32_e32 v31, v42, v37
	v_add_f32_e32 v31, v35, v31
	v_add_f32_e32 v35, v40, v34
	v_sub_f32_e32 v41, v37, v35
	v_sub_f32_e32 v37, v37, v41
	;; [unrolled: 1-line block ×4, first 2 shown]
	v_add_f32_e32 v31, v31, v35
	v_sub_f32_e32 v34, v40, v34
	v_add_f32_e32 v31, v34, v31
	v_add_f32_e32 v34, v36, v38
	;; [unrolled: 1-line block ×3, first 2 shown]
	v_sub_f32_e32 v35, v34, v36
	v_mul_f32_e32 v31, v39, v31
	v_sub_f32_e32 v35, v38, v35
	v_add_f32_e32 v31, v35, v31
	v_cvt_f32_i32_e32 v30, v30
	v_add_f32_e32 v35, v34, v31
	v_mul_f32_e32 v36, v35, v35
	v_mov_b32_e32 v37, 0x3ecc95a3
	v_fmac_f32_e32 v37, 0x3e9b6dac, v36
	v_mov_b32_e32 v38, 0x3f2aaada
	v_fmac_f32_e32 v38, v36, v37
	v_mul_f32_e32 v37, 0x3f317218, v30
	v_fma_f32 v39, v30, s3, -v37
	v_fmac_f32_e32 v39, 0xb102e308, v30
	v_sub_f32_e32 v30, v35, v34
	v_sub_f32_e32 v30, v31, v30
	v_add_f32_e32 v31, v37, v39
	v_sub_f32_e32 v34, v31, v37
	v_ldexp_f32 v37, v35, 1
	v_mul_f32_e32 v35, v35, v36
	v_mul_f32_e32 v35, v35, v38
	v_add_f32_e32 v36, v37, v35
	v_sub_f32_e32 v37, v36, v37
	v_ldexp_f32 v30, v30, 1
	v_sub_f32_e32 v35, v35, v37
	v_add_f32_e32 v30, v30, v35
	v_add_f32_e32 v35, v36, v30
	v_sub_f32_e32 v36, v35, v36
	v_sub_f32_e32 v30, v30, v36
	v_add_f32_e32 v36, v31, v35
	v_sub_f32_e32 v37, v36, v31
	v_sub_f32_e32 v38, v36, v37
	;; [unrolled: 1-line block ×5, first 2 shown]
	v_add_f32_e32 v31, v35, v31
	v_add_f32_e32 v35, v34, v30
	v_sub_f32_e32 v37, v35, v34
	v_sub_f32_e32 v38, v35, v37
	;; [unrolled: 1-line block ×4, first 2 shown]
	v_add_f32_e32 v31, v35, v31
	v_add_f32_e32 v30, v30, v34
	;; [unrolled: 1-line block ×3, first 2 shown]
	v_sub_f32_e32 v35, v34, v36
	v_sub_f32_e32 v31, v31, v35
	v_add_f32_e32 v30, v30, v31
	v_add_f32_e32 v30, v34, v30
	v_cmp_neq_f32_e64 s[92:93], s2, v33
	s_mov_b32 s2, 0x33800000
	v_cndmask_b32_e64 v30, v32, v30, s[92:93]
	v_cmp_lt_f32_e64 s[92:93], |v33|, s2
	v_cndmask_b32_e64 v30, v30, v33, s[92:93]
	v_add_f32_e32 v27, v27, v30
	v_cvt_f16_f32_e32 v31, v27
	v_cvt_f32_f16_e32 v32, v31
	v_mov_b32_e32 v30, v31
.LBB429_92:
	s_or_b64 exec, exec, s[0:1]
	v_cvt_f32_f16_sdwa v27, v8 dst_sel:DWORD dst_unused:UNUSED_PAD src0_sel:WORD_1
	v_max_f32_e32 v33, v32, v32
	v_cmp_u_f16_e32 vcc, v31, v31
	v_cmp_u_f16_sdwa s[92:93], v8, v8 src0_sel:WORD_1 src1_sel:WORD_1
	v_min_f32_e32 v34, v33, v27
	v_max_f32_e32 v8, v33, v27
	v_cndmask_b32_e32 v31, v34, v32, vcc
	v_cndmask_b32_e32 v8, v8, v32, vcc
	v_cndmask_b32_e64 v31, v31, v27, s[92:93]
	v_cndmask_b32_e64 v8, v8, v27, s[92:93]
	s_movk_i32 s0, 0x1f8
	v_cmp_neq_f32_e32 vcc, v31, v8
	v_cmp_class_f32_e64 s[0:1], v31, s0
	s_or_b64 s[2:3], vcc, s[0:1]
	s_and_saveexec_b64 s[0:1], s[2:3]
	s_cbranch_execz .LBB429_94
; %bb.93:
	v_sub_f32_e32 v30, v31, v8
	s_mov_b32 s2, 0x3fb8aa3b
	v_mul_f32_e32 v31, 0x3fb8aa3b, v30
	v_fma_f32 v32, v30, s2, -v31
	v_rndne_f32_e32 v33, v31
	v_fmac_f32_e32 v32, 0x32a5705f, v30
	v_sub_f32_e32 v31, v31, v33
	v_add_f32_e32 v31, v31, v32
	v_exp_f32_e32 v31, v31
	v_cvt_i32_f32_e32 v32, v33
	s_mov_b32 s2, 0xc2ce8ed0
	v_cmp_ngt_f32_e32 vcc, s2, v30
	s_mov_b32 s2, 0x42b17218
	v_ldexp_f32 v31, v31, v32
	v_cndmask_b32_e32 v31, 0, v31, vcc
	v_mov_b32_e32 v32, 0x7f800000
	v_cmp_nlt_f32_e32 vcc, s2, v30
	v_cndmask_b32_e32 v33, v32, v31, vcc
	v_add_f32_e32 v34, 1.0, v33
	v_cvt_f64_f32_e32 v[30:31], v34
	v_add_f32_e32 v35, -1.0, v34
	v_sub_f32_e32 v36, v35, v34
	v_sub_f32_e32 v35, v33, v35
	v_frexp_exp_i32_f64_e32 v30, v[30:31]
	v_add_f32_e32 v31, 1.0, v36
	v_add_f32_e32 v31, v35, v31
	v_frexp_mant_f32_e32 v35, v34
	s_mov_b32 s3, 0x3f2aaaab
	v_cmp_gt_f32_e32 vcc, s3, v35
	s_mov_b32 s3, 0x3f317218
	s_mov_b32 s2, 0x7f800000
	v_subbrev_co_u32_e32 v30, vcc, 0, v30, vcc
	v_sub_u32_e32 v35, 0, v30
	v_ldexp_f32 v34, v34, v35
	v_ldexp_f32 v31, v31, v35
	v_add_f32_e32 v35, -1.0, v34
	v_add_f32_e32 v38, 1.0, v34
	v_add_f32_e32 v36, 1.0, v35
	v_add_f32_e32 v39, -1.0, v38
	v_sub_f32_e32 v36, v34, v36
	v_sub_f32_e32 v34, v34, v39
	v_add_f32_e32 v36, v31, v36
	v_add_f32_e32 v31, v31, v34
	;; [unrolled: 1-line block ×3, first 2 shown]
	v_rcp_f32_e32 v39, v34
	v_add_f32_e32 v37, v35, v36
	v_sub_f32_e32 v35, v35, v37
	v_add_f32_e32 v35, v36, v35
	v_sub_f32_e32 v36, v38, v34
	v_add_f32_e32 v31, v31, v36
	v_mul_f32_e32 v36, v37, v39
	v_mul_f32_e32 v38, v34, v36
	v_fma_f32 v40, v36, v34, -v38
	v_fmac_f32_e32 v40, v36, v31
	v_add_f32_e32 v41, v38, v40
	v_sub_f32_e32 v42, v37, v41
	v_sub_f32_e32 v37, v37, v42
	;; [unrolled: 1-line block ×4, first 2 shown]
	v_add_f32_e32 v35, v35, v37
	v_sub_f32_e32 v37, v38, v40
	v_add_f32_e32 v35, v37, v35
	v_add_f32_e32 v37, v42, v35
	v_mul_f32_e32 v38, v39, v37
	v_mul_f32_e32 v40, v34, v38
	v_fma_f32 v34, v38, v34, -v40
	v_fmac_f32_e32 v34, v38, v31
	v_sub_f32_e32 v31, v42, v37
	v_add_f32_e32 v31, v35, v31
	v_add_f32_e32 v35, v40, v34
	v_sub_f32_e32 v41, v37, v35
	v_sub_f32_e32 v37, v37, v41
	;; [unrolled: 1-line block ×4, first 2 shown]
	v_add_f32_e32 v31, v31, v35
	v_sub_f32_e32 v34, v40, v34
	v_add_f32_e32 v31, v34, v31
	v_add_f32_e32 v34, v36, v38
	;; [unrolled: 1-line block ×3, first 2 shown]
	v_sub_f32_e32 v35, v34, v36
	v_mul_f32_e32 v31, v39, v31
	v_sub_f32_e32 v35, v38, v35
	v_add_f32_e32 v31, v35, v31
	v_cvt_f32_i32_e32 v30, v30
	v_add_f32_e32 v35, v34, v31
	v_mul_f32_e32 v36, v35, v35
	v_mov_b32_e32 v37, 0x3ecc95a3
	v_fmac_f32_e32 v37, 0x3e9b6dac, v36
	v_mov_b32_e32 v38, 0x3f2aaada
	v_fmac_f32_e32 v38, v36, v37
	v_mul_f32_e32 v37, 0x3f317218, v30
	v_fma_f32 v39, v30, s3, -v37
	v_fmac_f32_e32 v39, 0xb102e308, v30
	v_sub_f32_e32 v30, v35, v34
	v_sub_f32_e32 v30, v31, v30
	v_add_f32_e32 v31, v37, v39
	v_sub_f32_e32 v34, v31, v37
	v_ldexp_f32 v37, v35, 1
	v_mul_f32_e32 v35, v35, v36
	v_mul_f32_e32 v35, v35, v38
	v_add_f32_e32 v36, v37, v35
	v_sub_f32_e32 v37, v36, v37
	v_ldexp_f32 v30, v30, 1
	v_sub_f32_e32 v35, v35, v37
	v_add_f32_e32 v30, v30, v35
	v_add_f32_e32 v35, v36, v30
	v_sub_f32_e32 v36, v35, v36
	v_sub_f32_e32 v30, v30, v36
	v_add_f32_e32 v36, v31, v35
	v_sub_f32_e32 v37, v36, v31
	v_sub_f32_e32 v38, v36, v37
	;; [unrolled: 1-line block ×5, first 2 shown]
	v_add_f32_e32 v31, v35, v31
	v_add_f32_e32 v35, v34, v30
	v_sub_f32_e32 v37, v35, v34
	v_sub_f32_e32 v38, v35, v37
	;; [unrolled: 1-line block ×4, first 2 shown]
	v_add_f32_e32 v31, v35, v31
	v_add_f32_e32 v30, v30, v34
	;; [unrolled: 1-line block ×3, first 2 shown]
	v_sub_f32_e32 v35, v34, v36
	v_sub_f32_e32 v31, v31, v35
	v_add_f32_e32 v30, v30, v31
	v_add_f32_e32 v30, v34, v30
	v_cmp_neq_f32_e32 vcc, s2, v33
	s_mov_b32 s2, 0x33800000
	v_cndmask_b32_e32 v30, v32, v30, vcc
	v_cmp_lt_f32_e64 vcc, |v33|, s2
	v_cndmask_b32_e32 v30, v30, v33, vcc
	v_add_f32_e32 v8, v8, v30
	v_cvt_f16_f32_e32 v30, v8
.LBB429_94:
	s_or_b64 exec, exec, s[0:1]
	s_load_dwordx2 s[0:1], s[4:5], 0x18
	v_lshrrev_b32_e32 v8, 4, v0
	v_and_b32_e32 v8, 14, v8
	v_lshl_add_u32 v8, v0, 1, v8
	v_cmp_gt_u32_e32 vcc, 64, v0
	ds_write_b16 v8, v30
	s_waitcnt lgkmcnt(0)
	s_barrier
	s_and_saveexec_b64 s[6:7], vcc
	s_cbranch_execz .LBB429_134
; %bb.95:
	v_lshrrev_b32_e32 v8, 2, v0
	v_and_b32_e32 v8, 62, v8
	v_lshlrev_b32_e32 v31, 3, v0
	v_add_u32_e32 v8, v8, v31
	ds_read_u16 v34, v8
	ds_read_u16 v32, v8 offset:2
	s_movk_i32 s8, 0x1f8
	s_waitcnt lgkmcnt(1)
	v_cvt_f32_f16_e32 v31, v34
	s_waitcnt lgkmcnt(0)
	v_cvt_f32_f16_e32 v33, v32
	v_cmp_u_f16_e64 s[4:5], v34, v34
	v_cmp_u_f16_e32 vcc, v32, v32
	v_min_f32_e32 v35, v31, v33
	v_max_f32_e32 v36, v31, v33
	v_cndmask_b32_e64 v35, v35, v31, s[4:5]
	v_cndmask_b32_e64 v36, v36, v31, s[4:5]
	v_cndmask_b32_e32 v35, v35, v33, vcc
	v_cndmask_b32_e32 v32, v36, v33, vcc
	v_cmp_neq_f32_e32 vcc, v35, v32
	v_cmp_class_f32_e64 s[2:3], v35, s8
	s_or_b64 vcc, vcc, s[2:3]
	v_mov_b32_e32 v33, v31
	s_and_saveexec_b64 s[2:3], vcc
	s_cbranch_execz .LBB429_97
; %bb.96:
	v_sub_f32_e32 v33, v35, v32
	s_mov_b32 s9, 0x3fb8aa3b
	v_mul_f32_e32 v34, 0x3fb8aa3b, v33
	v_fma_f32 v35, v33, s9, -v34
	v_rndne_f32_e32 v36, v34
	v_fmac_f32_e32 v35, 0x32a5705f, v33
	v_sub_f32_e32 v34, v34, v36
	v_add_f32_e32 v34, v34, v35
	v_exp_f32_e32 v34, v34
	v_cvt_i32_f32_e32 v35, v36
	s_mov_b32 s9, 0xc2ce8ed0
	v_cmp_ngt_f32_e32 vcc, s9, v33
	s_mov_b32 s9, 0x42b17218
	v_ldexp_f32 v34, v34, v35
	v_cndmask_b32_e32 v34, 0, v34, vcc
	v_mov_b32_e32 v35, 0x7f800000
	v_cmp_nlt_f32_e32 vcc, s9, v33
	v_cndmask_b32_e32 v36, v35, v34, vcc
	v_add_f32_e32 v37, 1.0, v36
	v_cvt_f64_f32_e32 v[33:34], v37
	v_add_f32_e32 v38, -1.0, v37
	v_sub_f32_e32 v39, v38, v37
	v_sub_f32_e32 v38, v36, v38
	v_frexp_exp_i32_f64_e32 v33, v[33:34]
	v_add_f32_e32 v34, 1.0, v39
	v_add_f32_e32 v34, v38, v34
	v_frexp_mant_f32_e32 v38, v37
	s_mov_b32 s10, 0x3f2aaaab
	v_cmp_gt_f32_e32 vcc, s10, v38
	s_mov_b32 s10, 0x3f317218
	s_mov_b32 s9, 0x7f800000
	v_subbrev_co_u32_e32 v33, vcc, 0, v33, vcc
	v_sub_u32_e32 v38, 0, v33
	v_ldexp_f32 v37, v37, v38
	v_ldexp_f32 v34, v34, v38
	v_add_f32_e32 v38, -1.0, v37
	v_add_f32_e32 v41, 1.0, v37
	v_add_f32_e32 v39, 1.0, v38
	v_add_f32_e32 v42, -1.0, v41
	v_sub_f32_e32 v39, v37, v39
	v_sub_f32_e32 v37, v37, v42
	v_add_f32_e32 v39, v34, v39
	v_add_f32_e32 v34, v34, v37
	;; [unrolled: 1-line block ×3, first 2 shown]
	v_rcp_f32_e32 v42, v37
	v_add_f32_e32 v40, v38, v39
	v_sub_f32_e32 v38, v38, v40
	v_add_f32_e32 v38, v39, v38
	v_sub_f32_e32 v39, v41, v37
	v_add_f32_e32 v34, v34, v39
	v_mul_f32_e32 v39, v40, v42
	v_mul_f32_e32 v41, v37, v39
	v_fma_f32 v43, v39, v37, -v41
	v_fmac_f32_e32 v43, v39, v34
	v_add_f32_e32 v44, v41, v43
	v_sub_f32_e32 v45, v40, v44
	v_sub_f32_e32 v40, v40, v45
	v_sub_f32_e32 v41, v44, v41
	v_sub_f32_e32 v40, v40, v44
	v_add_f32_e32 v38, v38, v40
	v_sub_f32_e32 v40, v41, v43
	v_add_f32_e32 v38, v40, v38
	v_add_f32_e32 v40, v45, v38
	v_mul_f32_e32 v41, v42, v40
	v_mul_f32_e32 v43, v37, v41
	v_fma_f32 v37, v41, v37, -v43
	v_fmac_f32_e32 v37, v41, v34
	v_sub_f32_e32 v34, v45, v40
	v_add_f32_e32 v34, v38, v34
	v_add_f32_e32 v38, v43, v37
	v_sub_f32_e32 v44, v40, v38
	v_sub_f32_e32 v40, v40, v44
	;; [unrolled: 1-line block ×4, first 2 shown]
	v_add_f32_e32 v34, v34, v38
	v_sub_f32_e32 v37, v43, v37
	v_add_f32_e32 v34, v37, v34
	v_add_f32_e32 v37, v39, v41
	;; [unrolled: 1-line block ×3, first 2 shown]
	v_sub_f32_e32 v38, v37, v39
	v_mul_f32_e32 v34, v42, v34
	v_sub_f32_e32 v38, v41, v38
	v_add_f32_e32 v34, v38, v34
	v_cvt_f32_i32_e32 v33, v33
	v_add_f32_e32 v38, v37, v34
	v_mul_f32_e32 v39, v38, v38
	v_mov_b32_e32 v40, 0x3ecc95a3
	v_fmac_f32_e32 v40, 0x3e9b6dac, v39
	v_mov_b32_e32 v41, 0x3f2aaada
	v_fmac_f32_e32 v41, v39, v40
	v_mul_f32_e32 v40, 0x3f317218, v33
	v_fma_f32 v42, v33, s10, -v40
	v_fmac_f32_e32 v42, 0xb102e308, v33
	v_sub_f32_e32 v33, v38, v37
	v_sub_f32_e32 v33, v34, v33
	v_add_f32_e32 v34, v40, v42
	v_sub_f32_e32 v37, v34, v40
	v_ldexp_f32 v40, v38, 1
	v_mul_f32_e32 v38, v38, v39
	v_mul_f32_e32 v38, v38, v41
	v_add_f32_e32 v39, v40, v38
	v_sub_f32_e32 v40, v39, v40
	v_ldexp_f32 v33, v33, 1
	v_sub_f32_e32 v38, v38, v40
	v_add_f32_e32 v33, v33, v38
	v_add_f32_e32 v38, v39, v33
	v_sub_f32_e32 v39, v38, v39
	v_sub_f32_e32 v33, v33, v39
	v_add_f32_e32 v39, v34, v38
	v_sub_f32_e32 v40, v39, v34
	v_sub_f32_e32 v41, v39, v40
	;; [unrolled: 1-line block ×5, first 2 shown]
	v_add_f32_e32 v34, v38, v34
	v_add_f32_e32 v38, v37, v33
	v_sub_f32_e32 v40, v38, v37
	v_sub_f32_e32 v41, v38, v40
	;; [unrolled: 1-line block ×4, first 2 shown]
	v_add_f32_e32 v34, v38, v34
	v_add_f32_e32 v33, v33, v37
	;; [unrolled: 1-line block ×3, first 2 shown]
	v_sub_f32_e32 v38, v37, v39
	v_sub_f32_e32 v34, v34, v38
	v_add_f32_e32 v33, v33, v34
	v_add_f32_e32 v33, v37, v33
	v_cmp_neq_f32_e32 vcc, s9, v36
	s_mov_b32 s9, 0x33800000
	v_cndmask_b32_e32 v33, v35, v33, vcc
	v_cmp_lt_f32_e64 vcc, |v36|, s9
	v_cndmask_b32_e32 v33, v33, v36, vcc
	v_add_f32_e32 v32, v32, v33
	v_cvt_f16_f32_e32 v34, v32
	v_cvt_f32_f16_e32 v33, v34
.LBB429_97:
	s_or_b64 exec, exec, s[2:3]
	ds_read_u16 v32, v8 offset:4
	v_max_f32_e32 v35, v33, v33
	v_cmp_u_f16_e32 vcc, v34, v34
	s_waitcnt lgkmcnt(0)
	v_cvt_f32_f16_e32 v36, v32
	v_min_f32_e32 v37, v35, v36
	v_max_f32_e32 v35, v35, v36
	v_cndmask_b32_e32 v37, v37, v33, vcc
	v_cndmask_b32_e32 v38, v35, v33, vcc
	v_cmp_u_f16_e32 vcc, v32, v32
	v_cndmask_b32_e32 v35, v37, v36, vcc
	v_cndmask_b32_e32 v32, v38, v36, vcc
	v_cmp_neq_f32_e32 vcc, v35, v32
	v_cmp_class_f32_e64 s[2:3], v35, s8
	s_or_b64 s[8:9], vcc, s[2:3]
	s_and_saveexec_b64 s[2:3], s[8:9]
	s_cbranch_execz .LBB429_99
; %bb.98:
	v_sub_f32_e32 v33, v35, v32
	s_mov_b32 s8, 0x3fb8aa3b
	v_mul_f32_e32 v34, 0x3fb8aa3b, v33
	v_fma_f32 v35, v33, s8, -v34
	v_rndne_f32_e32 v36, v34
	v_fmac_f32_e32 v35, 0x32a5705f, v33
	v_sub_f32_e32 v34, v34, v36
	v_add_f32_e32 v34, v34, v35
	v_exp_f32_e32 v34, v34
	v_cvt_i32_f32_e32 v35, v36
	s_mov_b32 s8, 0xc2ce8ed0
	v_cmp_ngt_f32_e32 vcc, s8, v33
	s_mov_b32 s8, 0x42b17218
	v_ldexp_f32 v34, v34, v35
	v_cndmask_b32_e32 v34, 0, v34, vcc
	v_mov_b32_e32 v35, 0x7f800000
	v_cmp_nlt_f32_e32 vcc, s8, v33
	v_cndmask_b32_e32 v36, v35, v34, vcc
	v_add_f32_e32 v37, 1.0, v36
	v_cvt_f64_f32_e32 v[33:34], v37
	v_add_f32_e32 v38, -1.0, v37
	v_sub_f32_e32 v39, v38, v37
	v_sub_f32_e32 v38, v36, v38
	v_frexp_exp_i32_f64_e32 v33, v[33:34]
	v_add_f32_e32 v34, 1.0, v39
	v_add_f32_e32 v34, v38, v34
	v_frexp_mant_f32_e32 v38, v37
	s_mov_b32 s9, 0x3f2aaaab
	v_cmp_gt_f32_e32 vcc, s9, v38
	s_mov_b32 s9, 0x3f317218
	s_mov_b32 s8, 0x7f800000
	v_subbrev_co_u32_e32 v33, vcc, 0, v33, vcc
	v_sub_u32_e32 v38, 0, v33
	v_ldexp_f32 v37, v37, v38
	v_ldexp_f32 v34, v34, v38
	v_add_f32_e32 v38, -1.0, v37
	v_add_f32_e32 v41, 1.0, v37
	v_add_f32_e32 v39, 1.0, v38
	v_add_f32_e32 v42, -1.0, v41
	v_sub_f32_e32 v39, v37, v39
	v_sub_f32_e32 v37, v37, v42
	v_add_f32_e32 v39, v34, v39
	v_add_f32_e32 v34, v34, v37
	;; [unrolled: 1-line block ×3, first 2 shown]
	v_rcp_f32_e32 v42, v37
	v_add_f32_e32 v40, v38, v39
	v_sub_f32_e32 v38, v38, v40
	v_add_f32_e32 v38, v39, v38
	v_sub_f32_e32 v39, v41, v37
	v_add_f32_e32 v34, v34, v39
	v_mul_f32_e32 v39, v40, v42
	v_mul_f32_e32 v41, v37, v39
	v_fma_f32 v43, v39, v37, -v41
	v_fmac_f32_e32 v43, v39, v34
	v_add_f32_e32 v44, v41, v43
	v_sub_f32_e32 v45, v40, v44
	v_sub_f32_e32 v40, v40, v45
	;; [unrolled: 1-line block ×4, first 2 shown]
	v_add_f32_e32 v38, v38, v40
	v_sub_f32_e32 v40, v41, v43
	v_add_f32_e32 v38, v40, v38
	v_add_f32_e32 v40, v45, v38
	v_mul_f32_e32 v41, v42, v40
	v_mul_f32_e32 v43, v37, v41
	v_fma_f32 v37, v41, v37, -v43
	v_fmac_f32_e32 v37, v41, v34
	v_sub_f32_e32 v34, v45, v40
	v_add_f32_e32 v34, v38, v34
	v_add_f32_e32 v38, v43, v37
	v_sub_f32_e32 v44, v40, v38
	v_sub_f32_e32 v40, v40, v44
	;; [unrolled: 1-line block ×4, first 2 shown]
	v_add_f32_e32 v34, v34, v38
	v_sub_f32_e32 v37, v43, v37
	v_add_f32_e32 v34, v37, v34
	v_add_f32_e32 v37, v39, v41
	;; [unrolled: 1-line block ×3, first 2 shown]
	v_sub_f32_e32 v38, v37, v39
	v_mul_f32_e32 v34, v42, v34
	v_sub_f32_e32 v38, v41, v38
	v_add_f32_e32 v34, v38, v34
	v_cvt_f32_i32_e32 v33, v33
	v_add_f32_e32 v38, v37, v34
	v_mul_f32_e32 v39, v38, v38
	v_mov_b32_e32 v40, 0x3ecc95a3
	v_fmac_f32_e32 v40, 0x3e9b6dac, v39
	v_mov_b32_e32 v41, 0x3f2aaada
	v_fmac_f32_e32 v41, v39, v40
	v_mul_f32_e32 v40, 0x3f317218, v33
	v_fma_f32 v42, v33, s9, -v40
	v_fmac_f32_e32 v42, 0xb102e308, v33
	v_sub_f32_e32 v33, v38, v37
	v_sub_f32_e32 v33, v34, v33
	v_add_f32_e32 v34, v40, v42
	v_sub_f32_e32 v37, v34, v40
	v_ldexp_f32 v40, v38, 1
	v_mul_f32_e32 v38, v38, v39
	v_mul_f32_e32 v38, v38, v41
	v_add_f32_e32 v39, v40, v38
	v_sub_f32_e32 v40, v39, v40
	v_ldexp_f32 v33, v33, 1
	v_sub_f32_e32 v38, v38, v40
	v_add_f32_e32 v33, v33, v38
	v_add_f32_e32 v38, v39, v33
	v_sub_f32_e32 v39, v38, v39
	v_sub_f32_e32 v33, v33, v39
	v_add_f32_e32 v39, v34, v38
	v_sub_f32_e32 v40, v39, v34
	v_sub_f32_e32 v41, v39, v40
	;; [unrolled: 1-line block ×5, first 2 shown]
	v_add_f32_e32 v34, v38, v34
	v_add_f32_e32 v38, v37, v33
	v_sub_f32_e32 v40, v38, v37
	v_sub_f32_e32 v41, v38, v40
	;; [unrolled: 1-line block ×4, first 2 shown]
	v_add_f32_e32 v34, v38, v34
	v_add_f32_e32 v33, v33, v37
	;; [unrolled: 1-line block ×3, first 2 shown]
	v_sub_f32_e32 v38, v37, v39
	v_sub_f32_e32 v34, v34, v38
	v_add_f32_e32 v33, v33, v34
	v_add_f32_e32 v33, v37, v33
	v_cmp_neq_f32_e32 vcc, s8, v36
	s_mov_b32 s8, 0x33800000
	v_cndmask_b32_e32 v33, v35, v33, vcc
	v_cmp_lt_f32_e64 vcc, |v36|, s8
	v_cndmask_b32_e32 v33, v33, v36, vcc
	v_add_f32_e32 v32, v32, v33
	v_cvt_f16_f32_e32 v34, v32
	v_cvt_f32_f16_e32 v33, v34
.LBB429_99:
	s_or_b64 exec, exec, s[2:3]
	ds_read_u16 v32, v8 offset:6
	v_max_f32_e32 v36, v33, v33
	v_cmp_u_f16_e32 vcc, v34, v34
	s_movk_i32 s2, 0x1f8
	s_waitcnt lgkmcnt(0)
	v_cvt_f32_f16_e32 v35, v32
	v_min_f32_e32 v37, v36, v35
	v_max_f32_e32 v36, v36, v35
	v_cndmask_b32_e32 v37, v37, v33, vcc
	v_cndmask_b32_e32 v36, v36, v33, vcc
	v_cmp_u_f16_e32 vcc, v32, v32
	v_cndmask_b32_e32 v33, v37, v35, vcc
	v_cndmask_b32_e32 v32, v36, v35, vcc
	v_cmp_neq_f32_e32 vcc, v33, v32
	v_cmp_class_f32_e64 s[2:3], v33, s2
	s_or_b64 s[8:9], vcc, s[2:3]
	s_and_saveexec_b64 s[2:3], s[8:9]
	s_cbranch_execz .LBB429_101
; %bb.100:
	v_sub_f32_e32 v33, v33, v32
	s_mov_b32 s8, 0x3fb8aa3b
	v_mul_f32_e32 v34, 0x3fb8aa3b, v33
	v_fma_f32 v35, v33, s8, -v34
	v_rndne_f32_e32 v36, v34
	v_fmac_f32_e32 v35, 0x32a5705f, v33
	v_sub_f32_e32 v34, v34, v36
	v_add_f32_e32 v34, v34, v35
	v_exp_f32_e32 v34, v34
	v_cvt_i32_f32_e32 v35, v36
	s_mov_b32 s8, 0xc2ce8ed0
	v_cmp_ngt_f32_e32 vcc, s8, v33
	s_mov_b32 s8, 0x42b17218
	v_ldexp_f32 v34, v34, v35
	v_cndmask_b32_e32 v34, 0, v34, vcc
	v_mov_b32_e32 v35, 0x7f800000
	v_cmp_nlt_f32_e32 vcc, s8, v33
	v_cndmask_b32_e32 v36, v35, v34, vcc
	v_add_f32_e32 v37, 1.0, v36
	v_cvt_f64_f32_e32 v[33:34], v37
	v_add_f32_e32 v38, -1.0, v37
	v_sub_f32_e32 v39, v38, v37
	v_sub_f32_e32 v38, v36, v38
	v_frexp_exp_i32_f64_e32 v33, v[33:34]
	v_add_f32_e32 v34, 1.0, v39
	v_add_f32_e32 v34, v38, v34
	v_frexp_mant_f32_e32 v38, v37
	s_mov_b32 s9, 0x3f2aaaab
	v_cmp_gt_f32_e32 vcc, s9, v38
	s_mov_b32 s9, 0x3f317218
	s_mov_b32 s8, 0x7f800000
	v_subbrev_co_u32_e32 v33, vcc, 0, v33, vcc
	v_sub_u32_e32 v38, 0, v33
	v_ldexp_f32 v37, v37, v38
	v_ldexp_f32 v34, v34, v38
	v_add_f32_e32 v38, -1.0, v37
	v_add_f32_e32 v41, 1.0, v37
	v_add_f32_e32 v39, 1.0, v38
	v_add_f32_e32 v42, -1.0, v41
	v_sub_f32_e32 v39, v37, v39
	v_sub_f32_e32 v37, v37, v42
	v_add_f32_e32 v39, v34, v39
	v_add_f32_e32 v34, v34, v37
	;; [unrolled: 1-line block ×3, first 2 shown]
	v_rcp_f32_e32 v42, v37
	v_add_f32_e32 v40, v38, v39
	v_sub_f32_e32 v38, v38, v40
	v_add_f32_e32 v38, v39, v38
	v_sub_f32_e32 v39, v41, v37
	v_add_f32_e32 v34, v34, v39
	v_mul_f32_e32 v39, v40, v42
	v_mul_f32_e32 v41, v37, v39
	v_fma_f32 v43, v39, v37, -v41
	v_fmac_f32_e32 v43, v39, v34
	v_add_f32_e32 v44, v41, v43
	v_sub_f32_e32 v45, v40, v44
	v_sub_f32_e32 v40, v40, v45
	;; [unrolled: 1-line block ×4, first 2 shown]
	v_add_f32_e32 v38, v38, v40
	v_sub_f32_e32 v40, v41, v43
	v_add_f32_e32 v38, v40, v38
	v_add_f32_e32 v40, v45, v38
	v_mul_f32_e32 v41, v42, v40
	v_mul_f32_e32 v43, v37, v41
	v_fma_f32 v37, v41, v37, -v43
	v_fmac_f32_e32 v37, v41, v34
	v_sub_f32_e32 v34, v45, v40
	v_add_f32_e32 v34, v38, v34
	v_add_f32_e32 v38, v43, v37
	v_sub_f32_e32 v44, v40, v38
	v_sub_f32_e32 v40, v40, v44
	;; [unrolled: 1-line block ×4, first 2 shown]
	v_add_f32_e32 v34, v34, v38
	v_sub_f32_e32 v37, v43, v37
	v_add_f32_e32 v34, v37, v34
	v_add_f32_e32 v37, v39, v41
	;; [unrolled: 1-line block ×3, first 2 shown]
	v_sub_f32_e32 v38, v37, v39
	v_mul_f32_e32 v34, v42, v34
	v_sub_f32_e32 v38, v41, v38
	v_add_f32_e32 v34, v38, v34
	v_cvt_f32_i32_e32 v33, v33
	v_add_f32_e32 v38, v37, v34
	v_mul_f32_e32 v39, v38, v38
	v_mov_b32_e32 v40, 0x3ecc95a3
	v_fmac_f32_e32 v40, 0x3e9b6dac, v39
	v_mov_b32_e32 v41, 0x3f2aaada
	v_fmac_f32_e32 v41, v39, v40
	v_mul_f32_e32 v40, 0x3f317218, v33
	v_fma_f32 v42, v33, s9, -v40
	v_fmac_f32_e32 v42, 0xb102e308, v33
	v_sub_f32_e32 v33, v38, v37
	v_sub_f32_e32 v33, v34, v33
	v_add_f32_e32 v34, v40, v42
	v_sub_f32_e32 v37, v34, v40
	v_ldexp_f32 v40, v38, 1
	v_mul_f32_e32 v38, v38, v39
	v_mul_f32_e32 v38, v38, v41
	v_add_f32_e32 v39, v40, v38
	v_sub_f32_e32 v40, v39, v40
	v_ldexp_f32 v33, v33, 1
	v_sub_f32_e32 v38, v38, v40
	v_add_f32_e32 v33, v33, v38
	v_add_f32_e32 v38, v39, v33
	v_sub_f32_e32 v39, v38, v39
	v_sub_f32_e32 v33, v33, v39
	v_add_f32_e32 v39, v34, v38
	v_sub_f32_e32 v40, v39, v34
	v_sub_f32_e32 v41, v39, v40
	;; [unrolled: 1-line block ×5, first 2 shown]
	v_add_f32_e32 v34, v38, v34
	v_add_f32_e32 v38, v37, v33
	v_sub_f32_e32 v40, v38, v37
	v_sub_f32_e32 v41, v38, v40
	;; [unrolled: 1-line block ×4, first 2 shown]
	v_add_f32_e32 v34, v38, v34
	v_add_f32_e32 v33, v33, v37
	;; [unrolled: 1-line block ×3, first 2 shown]
	v_sub_f32_e32 v38, v37, v39
	v_sub_f32_e32 v34, v34, v38
	v_add_f32_e32 v33, v33, v34
	v_add_f32_e32 v33, v37, v33
	v_cmp_neq_f32_e32 vcc, s8, v36
	s_mov_b32 s8, 0x33800000
	v_cndmask_b32_e32 v33, v35, v33, vcc
	v_cmp_lt_f32_e64 vcc, |v36|, s8
	v_cndmask_b32_e32 v33, v33, v36, vcc
	v_add_f32_e32 v32, v32, v33
	v_cvt_f16_f32_e32 v34, v32
.LBB429_101:
	s_or_b64 exec, exec, s[2:3]
	v_mbcnt_lo_u32_b32 v32, -1, 0
	v_mbcnt_hi_u32_b32 v32, -1, v32
	v_and_b32_e32 v33, 15, v32
	v_and_b32_e32 v35, 0xffff, v34
	v_cmp_ne_u32_e32 vcc, 0, v33
	s_nop 0
	v_mov_b32_dpp v36, v35 row_shr:1 row_mask:0xf bank_mask:0xf
	s_and_saveexec_b64 s[2:3], vcc
	s_xor_b64 s[8:9], exec, s[2:3]
	s_cbranch_execz .LBB429_105
; %bb.102:
	v_cvt_f32_f16_e32 v37, v36
	v_cvt_f32_f16_e32 v38, v34
	v_cmp_u_f16_e64 s[2:3], v36, v36
	v_cmp_u_f16_e32 vcc, v34, v34
	v_min_f32_e32 v35, v37, v38
	v_max_f32_e32 v34, v37, v38
	v_cndmask_b32_e64 v35, v35, v37, s[2:3]
	v_cndmask_b32_e64 v34, v34, v37, s[2:3]
	v_cndmask_b32_e32 v35, v35, v38, vcc
	v_cndmask_b32_e32 v34, v34, v38, vcc
	s_movk_i32 s2, 0x1f8
	v_cmp_neq_f32_e32 vcc, v35, v34
	v_cmp_class_f32_e64 s[2:3], v35, s2
	s_or_b64 vcc, vcc, s[2:3]
	s_and_saveexec_b64 s[2:3], vcc
	s_cbranch_execz .LBB429_104
; %bb.103:
	v_sub_f32_e32 v35, v35, v34
	s_mov_b32 s33, 0x3fb8aa3b
	v_mul_f32_e32 v36, 0x3fb8aa3b, v35
	v_fma_f32 v37, v35, s33, -v36
	v_rndne_f32_e32 v38, v36
	v_fmac_f32_e32 v37, 0x32a5705f, v35
	v_sub_f32_e32 v36, v36, v38
	v_add_f32_e32 v36, v36, v37
	v_exp_f32_e32 v36, v36
	v_cvt_i32_f32_e32 v37, v38
	s_mov_b32 s33, 0xc2ce8ed0
	v_cmp_ngt_f32_e32 vcc, s33, v35
	s_mov_b32 s33, 0x42b17218
	v_ldexp_f32 v36, v36, v37
	v_cndmask_b32_e32 v36, 0, v36, vcc
	v_mov_b32_e32 v37, 0x7f800000
	v_cmp_nlt_f32_e32 vcc, s33, v35
	v_cndmask_b32_e32 v38, v37, v36, vcc
	v_add_f32_e32 v39, 1.0, v38
	v_cvt_f64_f32_e32 v[35:36], v39
	v_add_f32_e32 v40, -1.0, v39
	v_sub_f32_e32 v41, v40, v39
	v_sub_f32_e32 v40, v38, v40
	v_frexp_exp_i32_f64_e32 v35, v[35:36]
	v_add_f32_e32 v36, 1.0, v41
	v_add_f32_e32 v36, v40, v36
	v_frexp_mant_f32_e32 v40, v39
	s_mov_b32 s10, 0x3f2aaaab
	v_cmp_gt_f32_e32 vcc, s10, v40
	s_mov_b32 s10, 0x3f317218
	s_mov_b32 s33, 0x7f800000
	v_subbrev_co_u32_e32 v35, vcc, 0, v35, vcc
	v_sub_u32_e32 v40, 0, v35
	v_ldexp_f32 v39, v39, v40
	v_ldexp_f32 v36, v36, v40
	v_add_f32_e32 v40, -1.0, v39
	v_add_f32_e32 v43, 1.0, v39
	v_add_f32_e32 v41, 1.0, v40
	v_add_f32_e32 v44, -1.0, v43
	v_sub_f32_e32 v41, v39, v41
	v_sub_f32_e32 v39, v39, v44
	v_add_f32_e32 v41, v36, v41
	v_add_f32_e32 v36, v36, v39
	;; [unrolled: 1-line block ×3, first 2 shown]
	v_rcp_f32_e32 v44, v39
	v_add_f32_e32 v42, v40, v41
	v_sub_f32_e32 v40, v40, v42
	v_add_f32_e32 v40, v41, v40
	v_sub_f32_e32 v41, v43, v39
	v_add_f32_e32 v36, v36, v41
	v_mul_f32_e32 v41, v42, v44
	v_mul_f32_e32 v43, v39, v41
	v_fma_f32 v45, v41, v39, -v43
	v_fmac_f32_e32 v45, v41, v36
	v_add_f32_e32 v46, v43, v45
	v_sub_f32_e32 v47, v42, v46
	v_sub_f32_e32 v42, v42, v47
	;; [unrolled: 1-line block ×4, first 2 shown]
	v_add_f32_e32 v40, v40, v42
	v_sub_f32_e32 v42, v43, v45
	v_add_f32_e32 v40, v42, v40
	v_add_f32_e32 v42, v47, v40
	v_mul_f32_e32 v43, v44, v42
	v_mul_f32_e32 v45, v39, v43
	v_fma_f32 v39, v43, v39, -v45
	v_fmac_f32_e32 v39, v43, v36
	v_sub_f32_e32 v36, v47, v42
	v_add_f32_e32 v36, v40, v36
	v_add_f32_e32 v40, v45, v39
	v_sub_f32_e32 v46, v42, v40
	v_sub_f32_e32 v42, v42, v46
	;; [unrolled: 1-line block ×4, first 2 shown]
	v_add_f32_e32 v36, v36, v40
	v_sub_f32_e32 v39, v45, v39
	v_add_f32_e32 v36, v39, v36
	v_add_f32_e32 v39, v41, v43
	;; [unrolled: 1-line block ×3, first 2 shown]
	v_sub_f32_e32 v40, v39, v41
	v_mul_f32_e32 v36, v44, v36
	v_sub_f32_e32 v40, v43, v40
	v_add_f32_e32 v36, v40, v36
	v_cvt_f32_i32_e32 v35, v35
	v_add_f32_e32 v40, v39, v36
	v_mul_f32_e32 v41, v40, v40
	v_mov_b32_e32 v42, 0x3ecc95a3
	v_fmac_f32_e32 v42, 0x3e9b6dac, v41
	v_mov_b32_e32 v43, 0x3f2aaada
	v_fmac_f32_e32 v43, v41, v42
	v_mul_f32_e32 v42, 0x3f317218, v35
	v_fma_f32 v44, v35, s10, -v42
	v_fmac_f32_e32 v44, 0xb102e308, v35
	v_sub_f32_e32 v35, v40, v39
	v_sub_f32_e32 v35, v36, v35
	v_add_f32_e32 v36, v42, v44
	v_sub_f32_e32 v39, v36, v42
	v_ldexp_f32 v42, v40, 1
	v_mul_f32_e32 v40, v40, v41
	v_mul_f32_e32 v40, v40, v43
	v_add_f32_e32 v41, v42, v40
	v_sub_f32_e32 v42, v41, v42
	v_ldexp_f32 v35, v35, 1
	v_sub_f32_e32 v40, v40, v42
	v_add_f32_e32 v35, v35, v40
	v_add_f32_e32 v40, v41, v35
	v_sub_f32_e32 v41, v40, v41
	v_sub_f32_e32 v35, v35, v41
	v_add_f32_e32 v41, v36, v40
	v_sub_f32_e32 v42, v41, v36
	v_sub_f32_e32 v43, v41, v42
	v_sub_f32_e32 v39, v44, v39
	v_sub_f32_e32 v36, v36, v43
	v_sub_f32_e32 v40, v40, v42
	v_add_f32_e32 v36, v40, v36
	v_add_f32_e32 v40, v39, v35
	v_sub_f32_e32 v42, v40, v39
	v_sub_f32_e32 v43, v40, v42
	;; [unrolled: 1-line block ×4, first 2 shown]
	v_add_f32_e32 v36, v40, v36
	v_add_f32_e32 v35, v35, v39
	;; [unrolled: 1-line block ×3, first 2 shown]
	v_sub_f32_e32 v40, v39, v41
	v_sub_f32_e32 v36, v36, v40
	v_add_f32_e32 v35, v35, v36
	v_add_f32_e32 v35, v39, v35
	v_cmp_neq_f32_e32 vcc, s33, v38
	s_mov_b32 s10, 0x33800000
	v_cndmask_b32_e32 v35, v37, v35, vcc
	v_cmp_lt_f32_e64 vcc, |v38|, s10
	v_cndmask_b32_e32 v35, v35, v38, vcc
	v_add_f32_e32 v34, v34, v35
	v_cvt_f16_f32_e32 v36, v34
.LBB429_104:
	s_or_b64 exec, exec, s[2:3]
	v_and_b32_e32 v35, 0xffff, v36
	v_mov_b32_e32 v34, v36
.LBB429_105:
	s_or_b64 exec, exec, s[8:9]
	v_mov_b32_dpp v36, v35 row_shr:2 row_mask:0xf bank_mask:0xf
	v_cmp_lt_u32_e32 vcc, 1, v33
	s_and_saveexec_b64 s[8:9], vcc
	s_cbranch_execz .LBB429_109
; %bb.106:
	v_cvt_f32_f16_e32 v37, v36
	v_cvt_f32_f16_e32 v38, v34
	v_cmp_u_f16_e32 vcc, v36, v36
	v_cmp_u_f16_e64 s[2:3], v34, v34
	v_min_f32_e32 v35, v37, v38
	v_max_f32_e32 v34, v37, v38
	v_cndmask_b32_e32 v35, v35, v37, vcc
	v_cndmask_b32_e32 v34, v34, v37, vcc
	v_cndmask_b32_e64 v35, v35, v38, s[2:3]
	v_cndmask_b32_e64 v34, v34, v38, s[2:3]
	s_movk_i32 s2, 0x1f8
	v_cmp_neq_f32_e32 vcc, v35, v34
	v_cmp_class_f32_e64 s[2:3], v35, s2
	s_or_b64 vcc, vcc, s[2:3]
	s_and_saveexec_b64 s[2:3], vcc
	s_cbranch_execz .LBB429_108
; %bb.107:
	v_sub_f32_e32 v35, v35, v34
	s_mov_b32 s10, 0x3fb8aa3b
	v_mul_f32_e32 v36, 0x3fb8aa3b, v35
	v_fma_f32 v37, v35, s10, -v36
	v_rndne_f32_e32 v38, v36
	v_fmac_f32_e32 v37, 0x32a5705f, v35
	v_sub_f32_e32 v36, v36, v38
	v_add_f32_e32 v36, v36, v37
	v_exp_f32_e32 v36, v36
	v_cvt_i32_f32_e32 v37, v38
	s_mov_b32 s10, 0xc2ce8ed0
	v_cmp_ngt_f32_e32 vcc, s10, v35
	s_mov_b32 s10, 0x42b17218
	v_ldexp_f32 v36, v36, v37
	v_cndmask_b32_e32 v36, 0, v36, vcc
	v_mov_b32_e32 v37, 0x7f800000
	v_cmp_nlt_f32_e32 vcc, s10, v35
	v_cndmask_b32_e32 v38, v37, v36, vcc
	v_add_f32_e32 v39, 1.0, v38
	v_cvt_f64_f32_e32 v[35:36], v39
	v_add_f32_e32 v40, -1.0, v39
	v_sub_f32_e32 v41, v40, v39
	v_sub_f32_e32 v40, v38, v40
	v_frexp_exp_i32_f64_e32 v35, v[35:36]
	v_add_f32_e32 v36, 1.0, v41
	v_add_f32_e32 v36, v40, v36
	v_frexp_mant_f32_e32 v40, v39
	s_mov_b32 s11, 0x3f2aaaab
	v_cmp_gt_f32_e32 vcc, s11, v40
	s_mov_b32 s11, 0x3f317218
	s_mov_b32 s10, 0x7f800000
	v_subbrev_co_u32_e32 v35, vcc, 0, v35, vcc
	v_sub_u32_e32 v40, 0, v35
	v_ldexp_f32 v39, v39, v40
	v_ldexp_f32 v36, v36, v40
	v_add_f32_e32 v40, -1.0, v39
	v_add_f32_e32 v43, 1.0, v39
	v_add_f32_e32 v41, 1.0, v40
	v_add_f32_e32 v44, -1.0, v43
	v_sub_f32_e32 v41, v39, v41
	v_sub_f32_e32 v39, v39, v44
	v_add_f32_e32 v41, v36, v41
	v_add_f32_e32 v36, v36, v39
	;; [unrolled: 1-line block ×3, first 2 shown]
	v_rcp_f32_e32 v44, v39
	v_add_f32_e32 v42, v40, v41
	v_sub_f32_e32 v40, v40, v42
	v_add_f32_e32 v40, v41, v40
	v_sub_f32_e32 v41, v43, v39
	v_add_f32_e32 v36, v36, v41
	v_mul_f32_e32 v41, v42, v44
	v_mul_f32_e32 v43, v39, v41
	v_fma_f32 v45, v41, v39, -v43
	v_fmac_f32_e32 v45, v41, v36
	v_add_f32_e32 v46, v43, v45
	v_sub_f32_e32 v47, v42, v46
	v_sub_f32_e32 v42, v42, v47
	;; [unrolled: 1-line block ×4, first 2 shown]
	v_add_f32_e32 v40, v40, v42
	v_sub_f32_e32 v42, v43, v45
	v_add_f32_e32 v40, v42, v40
	v_add_f32_e32 v42, v47, v40
	v_mul_f32_e32 v43, v44, v42
	v_mul_f32_e32 v45, v39, v43
	v_fma_f32 v39, v43, v39, -v45
	v_fmac_f32_e32 v39, v43, v36
	v_sub_f32_e32 v36, v47, v42
	v_add_f32_e32 v36, v40, v36
	v_add_f32_e32 v40, v45, v39
	v_sub_f32_e32 v46, v42, v40
	v_sub_f32_e32 v42, v42, v46
	;; [unrolled: 1-line block ×4, first 2 shown]
	v_add_f32_e32 v36, v36, v40
	v_sub_f32_e32 v39, v45, v39
	v_add_f32_e32 v36, v39, v36
	v_add_f32_e32 v39, v41, v43
	;; [unrolled: 1-line block ×3, first 2 shown]
	v_sub_f32_e32 v40, v39, v41
	v_mul_f32_e32 v36, v44, v36
	v_sub_f32_e32 v40, v43, v40
	v_add_f32_e32 v36, v40, v36
	v_cvt_f32_i32_e32 v35, v35
	v_add_f32_e32 v40, v39, v36
	v_mul_f32_e32 v41, v40, v40
	v_mov_b32_e32 v42, 0x3ecc95a3
	v_fmac_f32_e32 v42, 0x3e9b6dac, v41
	v_mov_b32_e32 v43, 0x3f2aaada
	v_fmac_f32_e32 v43, v41, v42
	v_mul_f32_e32 v42, 0x3f317218, v35
	v_fma_f32 v44, v35, s11, -v42
	v_fmac_f32_e32 v44, 0xb102e308, v35
	v_sub_f32_e32 v35, v40, v39
	v_sub_f32_e32 v35, v36, v35
	v_add_f32_e32 v36, v42, v44
	v_sub_f32_e32 v39, v36, v42
	v_ldexp_f32 v42, v40, 1
	v_mul_f32_e32 v40, v40, v41
	v_mul_f32_e32 v40, v40, v43
	v_add_f32_e32 v41, v42, v40
	v_sub_f32_e32 v42, v41, v42
	v_ldexp_f32 v35, v35, 1
	v_sub_f32_e32 v40, v40, v42
	v_add_f32_e32 v35, v35, v40
	v_add_f32_e32 v40, v41, v35
	v_sub_f32_e32 v41, v40, v41
	v_sub_f32_e32 v35, v35, v41
	v_add_f32_e32 v41, v36, v40
	v_sub_f32_e32 v42, v41, v36
	v_sub_f32_e32 v43, v41, v42
	;; [unrolled: 1-line block ×5, first 2 shown]
	v_add_f32_e32 v36, v40, v36
	v_add_f32_e32 v40, v39, v35
	v_sub_f32_e32 v42, v40, v39
	v_sub_f32_e32 v43, v40, v42
	;; [unrolled: 1-line block ×4, first 2 shown]
	v_add_f32_e32 v36, v40, v36
	v_add_f32_e32 v35, v35, v39
	;; [unrolled: 1-line block ×3, first 2 shown]
	v_sub_f32_e32 v40, v39, v41
	v_sub_f32_e32 v36, v36, v40
	v_add_f32_e32 v35, v35, v36
	v_add_f32_e32 v35, v39, v35
	v_cmp_neq_f32_e32 vcc, s10, v38
	s_mov_b32 s10, 0x33800000
	v_cndmask_b32_e32 v35, v37, v35, vcc
	v_cmp_lt_f32_e64 vcc, |v38|, s10
	v_cndmask_b32_e32 v35, v35, v38, vcc
	v_add_f32_e32 v34, v34, v35
	v_cvt_f16_f32_e32 v36, v34
.LBB429_108:
	s_or_b64 exec, exec, s[2:3]
	v_and_b32_e32 v35, 0xffff, v36
	v_mov_b32_e32 v34, v36
.LBB429_109:
	s_or_b64 exec, exec, s[8:9]
	v_mov_b32_dpp v36, v35 row_shr:4 row_mask:0xf bank_mask:0xf
	v_cmp_lt_u32_e32 vcc, 3, v33
	s_and_saveexec_b64 s[8:9], vcc
	s_cbranch_execz .LBB429_113
; %bb.110:
	v_cvt_f32_f16_e32 v37, v36
	v_cvt_f32_f16_e32 v38, v34
	v_cmp_u_f16_e32 vcc, v36, v36
	v_cmp_u_f16_e64 s[2:3], v34, v34
	v_min_f32_e32 v35, v37, v38
	v_max_f32_e32 v34, v37, v38
	v_cndmask_b32_e32 v35, v35, v37, vcc
	v_cndmask_b32_e32 v34, v34, v37, vcc
	v_cndmask_b32_e64 v35, v35, v38, s[2:3]
	v_cndmask_b32_e64 v34, v34, v38, s[2:3]
	s_movk_i32 s2, 0x1f8
	v_cmp_neq_f32_e32 vcc, v35, v34
	v_cmp_class_f32_e64 s[2:3], v35, s2
	s_or_b64 vcc, vcc, s[2:3]
	s_and_saveexec_b64 s[2:3], vcc
	s_cbranch_execz .LBB429_112
; %bb.111:
	v_sub_f32_e32 v35, v35, v34
	s_mov_b32 s10, 0x3fb8aa3b
	v_mul_f32_e32 v36, 0x3fb8aa3b, v35
	v_fma_f32 v37, v35, s10, -v36
	v_rndne_f32_e32 v38, v36
	v_fmac_f32_e32 v37, 0x32a5705f, v35
	v_sub_f32_e32 v36, v36, v38
	v_add_f32_e32 v36, v36, v37
	v_exp_f32_e32 v36, v36
	v_cvt_i32_f32_e32 v37, v38
	s_mov_b32 s10, 0xc2ce8ed0
	v_cmp_ngt_f32_e32 vcc, s10, v35
	s_mov_b32 s10, 0x42b17218
	v_ldexp_f32 v36, v36, v37
	v_cndmask_b32_e32 v36, 0, v36, vcc
	v_mov_b32_e32 v37, 0x7f800000
	v_cmp_nlt_f32_e32 vcc, s10, v35
	v_cndmask_b32_e32 v38, v37, v36, vcc
	v_add_f32_e32 v39, 1.0, v38
	v_cvt_f64_f32_e32 v[35:36], v39
	v_add_f32_e32 v40, -1.0, v39
	v_sub_f32_e32 v41, v40, v39
	v_sub_f32_e32 v40, v38, v40
	v_frexp_exp_i32_f64_e32 v35, v[35:36]
	v_add_f32_e32 v36, 1.0, v41
	v_add_f32_e32 v36, v40, v36
	v_frexp_mant_f32_e32 v40, v39
	s_mov_b32 s11, 0x3f2aaaab
	v_cmp_gt_f32_e32 vcc, s11, v40
	s_mov_b32 s11, 0x3f317218
	s_mov_b32 s10, 0x7f800000
	v_subbrev_co_u32_e32 v35, vcc, 0, v35, vcc
	v_sub_u32_e32 v40, 0, v35
	v_ldexp_f32 v39, v39, v40
	v_ldexp_f32 v36, v36, v40
	v_add_f32_e32 v40, -1.0, v39
	v_add_f32_e32 v43, 1.0, v39
	v_add_f32_e32 v41, 1.0, v40
	v_add_f32_e32 v44, -1.0, v43
	v_sub_f32_e32 v41, v39, v41
	v_sub_f32_e32 v39, v39, v44
	v_add_f32_e32 v41, v36, v41
	v_add_f32_e32 v36, v36, v39
	;; [unrolled: 1-line block ×3, first 2 shown]
	v_rcp_f32_e32 v44, v39
	v_add_f32_e32 v42, v40, v41
	v_sub_f32_e32 v40, v40, v42
	v_add_f32_e32 v40, v41, v40
	v_sub_f32_e32 v41, v43, v39
	v_add_f32_e32 v36, v36, v41
	v_mul_f32_e32 v41, v42, v44
	v_mul_f32_e32 v43, v39, v41
	v_fma_f32 v45, v41, v39, -v43
	v_fmac_f32_e32 v45, v41, v36
	v_add_f32_e32 v46, v43, v45
	v_sub_f32_e32 v47, v42, v46
	v_sub_f32_e32 v42, v42, v47
	;; [unrolled: 1-line block ×4, first 2 shown]
	v_add_f32_e32 v40, v40, v42
	v_sub_f32_e32 v42, v43, v45
	v_add_f32_e32 v40, v42, v40
	v_add_f32_e32 v42, v47, v40
	v_mul_f32_e32 v43, v44, v42
	v_mul_f32_e32 v45, v39, v43
	v_fma_f32 v39, v43, v39, -v45
	v_fmac_f32_e32 v39, v43, v36
	v_sub_f32_e32 v36, v47, v42
	v_add_f32_e32 v36, v40, v36
	v_add_f32_e32 v40, v45, v39
	v_sub_f32_e32 v46, v42, v40
	v_sub_f32_e32 v42, v42, v46
	;; [unrolled: 1-line block ×4, first 2 shown]
	v_add_f32_e32 v36, v36, v40
	v_sub_f32_e32 v39, v45, v39
	v_add_f32_e32 v36, v39, v36
	v_add_f32_e32 v39, v41, v43
	;; [unrolled: 1-line block ×3, first 2 shown]
	v_sub_f32_e32 v40, v39, v41
	v_mul_f32_e32 v36, v44, v36
	v_sub_f32_e32 v40, v43, v40
	v_add_f32_e32 v36, v40, v36
	v_cvt_f32_i32_e32 v35, v35
	v_add_f32_e32 v40, v39, v36
	v_mul_f32_e32 v41, v40, v40
	v_mov_b32_e32 v42, 0x3ecc95a3
	v_fmac_f32_e32 v42, 0x3e9b6dac, v41
	v_mov_b32_e32 v43, 0x3f2aaada
	v_fmac_f32_e32 v43, v41, v42
	v_mul_f32_e32 v42, 0x3f317218, v35
	v_fma_f32 v44, v35, s11, -v42
	v_fmac_f32_e32 v44, 0xb102e308, v35
	v_sub_f32_e32 v35, v40, v39
	v_sub_f32_e32 v35, v36, v35
	v_add_f32_e32 v36, v42, v44
	v_sub_f32_e32 v39, v36, v42
	v_ldexp_f32 v42, v40, 1
	v_mul_f32_e32 v40, v40, v41
	v_mul_f32_e32 v40, v40, v43
	v_add_f32_e32 v41, v42, v40
	v_sub_f32_e32 v42, v41, v42
	v_ldexp_f32 v35, v35, 1
	v_sub_f32_e32 v40, v40, v42
	v_add_f32_e32 v35, v35, v40
	v_add_f32_e32 v40, v41, v35
	v_sub_f32_e32 v41, v40, v41
	v_sub_f32_e32 v35, v35, v41
	v_add_f32_e32 v41, v36, v40
	v_sub_f32_e32 v42, v41, v36
	v_sub_f32_e32 v43, v41, v42
	;; [unrolled: 1-line block ×5, first 2 shown]
	v_add_f32_e32 v36, v40, v36
	v_add_f32_e32 v40, v39, v35
	v_sub_f32_e32 v42, v40, v39
	v_sub_f32_e32 v43, v40, v42
	;; [unrolled: 1-line block ×4, first 2 shown]
	v_add_f32_e32 v36, v40, v36
	v_add_f32_e32 v35, v35, v39
	;; [unrolled: 1-line block ×3, first 2 shown]
	v_sub_f32_e32 v40, v39, v41
	v_sub_f32_e32 v36, v36, v40
	v_add_f32_e32 v35, v35, v36
	v_add_f32_e32 v35, v39, v35
	v_cmp_neq_f32_e32 vcc, s10, v38
	s_mov_b32 s10, 0x33800000
	v_cndmask_b32_e32 v35, v37, v35, vcc
	v_cmp_lt_f32_e64 vcc, |v38|, s10
	v_cndmask_b32_e32 v35, v35, v38, vcc
	v_add_f32_e32 v34, v34, v35
	v_cvt_f16_f32_e32 v36, v34
.LBB429_112:
	s_or_b64 exec, exec, s[2:3]
	v_and_b32_e32 v35, 0xffff, v36
	v_mov_b32_e32 v34, v36
.LBB429_113:
	s_or_b64 exec, exec, s[8:9]
	v_mov_b32_dpp v36, v35 row_shr:8 row_mask:0xf bank_mask:0xf
	v_cmp_lt_u32_e32 vcc, 7, v33
	s_and_saveexec_b64 s[8:9], vcc
	s_cbranch_execz .LBB429_117
; %bb.114:
	v_cvt_f32_f16_e32 v33, v36
	v_cvt_f32_f16_e32 v35, v34
	v_cmp_u_f16_e32 vcc, v36, v36
	v_cmp_u_f16_e64 s[2:3], v34, v34
	v_min_f32_e32 v37, v33, v35
	v_cndmask_b32_e32 v37, v37, v33, vcc
	v_cndmask_b32_e64 v34, v37, v35, s[2:3]
	v_max_f32_e32 v37, v33, v35
	v_cndmask_b32_e32 v33, v37, v33, vcc
	v_cndmask_b32_e64 v33, v33, v35, s[2:3]
	s_movk_i32 s2, 0x1f8
	v_cmp_neq_f32_e32 vcc, v34, v33
	v_cmp_class_f32_e64 s[2:3], v34, s2
	s_or_b64 vcc, vcc, s[2:3]
	s_and_saveexec_b64 s[2:3], vcc
	s_cbranch_execz .LBB429_116
; %bb.115:
	v_sub_f32_e32 v34, v34, v33
	s_mov_b32 s10, 0x3fb8aa3b
	v_mul_f32_e32 v35, 0x3fb8aa3b, v34
	v_fma_f32 v36, v34, s10, -v35
	v_rndne_f32_e32 v37, v35
	v_fmac_f32_e32 v36, 0x32a5705f, v34
	v_sub_f32_e32 v35, v35, v37
	v_add_f32_e32 v35, v35, v36
	v_exp_f32_e32 v35, v35
	v_cvt_i32_f32_e32 v36, v37
	s_mov_b32 s10, 0xc2ce8ed0
	v_cmp_ngt_f32_e32 vcc, s10, v34
	s_mov_b32 s10, 0x42b17218
	v_ldexp_f32 v35, v35, v36
	v_cndmask_b32_e32 v35, 0, v35, vcc
	v_mov_b32_e32 v36, 0x7f800000
	v_cmp_nlt_f32_e32 vcc, s10, v34
	v_cndmask_b32_e32 v37, v36, v35, vcc
	v_add_f32_e32 v38, 1.0, v37
	v_cvt_f64_f32_e32 v[34:35], v38
	v_add_f32_e32 v39, -1.0, v38
	v_sub_f32_e32 v40, v39, v38
	v_sub_f32_e32 v39, v37, v39
	v_frexp_exp_i32_f64_e32 v34, v[34:35]
	v_add_f32_e32 v35, 1.0, v40
	v_add_f32_e32 v35, v39, v35
	v_frexp_mant_f32_e32 v39, v38
	s_mov_b32 s11, 0x3f2aaaab
	v_cmp_gt_f32_e32 vcc, s11, v39
	s_mov_b32 s11, 0x3f317218
	s_mov_b32 s10, 0x7f800000
	v_subbrev_co_u32_e32 v34, vcc, 0, v34, vcc
	v_sub_u32_e32 v39, 0, v34
	v_ldexp_f32 v38, v38, v39
	v_ldexp_f32 v35, v35, v39
	v_add_f32_e32 v39, -1.0, v38
	v_add_f32_e32 v42, 1.0, v38
	v_add_f32_e32 v40, 1.0, v39
	v_add_f32_e32 v43, -1.0, v42
	v_sub_f32_e32 v40, v38, v40
	v_sub_f32_e32 v38, v38, v43
	v_add_f32_e32 v40, v35, v40
	v_add_f32_e32 v35, v35, v38
	v_add_f32_e32 v38, v42, v35
	v_rcp_f32_e32 v43, v38
	v_add_f32_e32 v41, v39, v40
	v_sub_f32_e32 v39, v39, v41
	v_add_f32_e32 v39, v40, v39
	v_sub_f32_e32 v40, v42, v38
	v_add_f32_e32 v35, v35, v40
	v_mul_f32_e32 v40, v41, v43
	v_mul_f32_e32 v42, v38, v40
	v_fma_f32 v44, v40, v38, -v42
	v_fmac_f32_e32 v44, v40, v35
	v_add_f32_e32 v45, v42, v44
	v_sub_f32_e32 v46, v41, v45
	v_sub_f32_e32 v41, v41, v46
	;; [unrolled: 1-line block ×4, first 2 shown]
	v_add_f32_e32 v39, v39, v41
	v_sub_f32_e32 v41, v42, v44
	v_add_f32_e32 v39, v41, v39
	v_add_f32_e32 v41, v46, v39
	v_mul_f32_e32 v42, v43, v41
	v_mul_f32_e32 v44, v38, v42
	v_fma_f32 v38, v42, v38, -v44
	v_fmac_f32_e32 v38, v42, v35
	v_sub_f32_e32 v35, v46, v41
	v_add_f32_e32 v35, v39, v35
	v_add_f32_e32 v39, v44, v38
	v_sub_f32_e32 v45, v41, v39
	v_sub_f32_e32 v41, v41, v45
	;; [unrolled: 1-line block ×4, first 2 shown]
	v_add_f32_e32 v35, v35, v39
	v_sub_f32_e32 v38, v44, v38
	v_add_f32_e32 v35, v38, v35
	v_add_f32_e32 v38, v40, v42
	;; [unrolled: 1-line block ×3, first 2 shown]
	v_sub_f32_e32 v39, v38, v40
	v_mul_f32_e32 v35, v43, v35
	v_sub_f32_e32 v39, v42, v39
	v_add_f32_e32 v35, v39, v35
	v_cvt_f32_i32_e32 v34, v34
	v_add_f32_e32 v39, v38, v35
	v_mul_f32_e32 v40, v39, v39
	v_mov_b32_e32 v41, 0x3ecc95a3
	v_fmac_f32_e32 v41, 0x3e9b6dac, v40
	v_mov_b32_e32 v42, 0x3f2aaada
	v_fmac_f32_e32 v42, v40, v41
	v_mul_f32_e32 v41, 0x3f317218, v34
	v_fma_f32 v43, v34, s11, -v41
	v_fmac_f32_e32 v43, 0xb102e308, v34
	v_sub_f32_e32 v34, v39, v38
	v_sub_f32_e32 v34, v35, v34
	v_add_f32_e32 v35, v41, v43
	v_sub_f32_e32 v38, v35, v41
	v_ldexp_f32 v41, v39, 1
	v_mul_f32_e32 v39, v39, v40
	v_mul_f32_e32 v39, v39, v42
	v_add_f32_e32 v40, v41, v39
	v_sub_f32_e32 v41, v40, v41
	v_ldexp_f32 v34, v34, 1
	v_sub_f32_e32 v39, v39, v41
	v_add_f32_e32 v34, v34, v39
	v_add_f32_e32 v39, v40, v34
	v_sub_f32_e32 v40, v39, v40
	v_sub_f32_e32 v34, v34, v40
	v_add_f32_e32 v40, v35, v39
	v_sub_f32_e32 v41, v40, v35
	v_sub_f32_e32 v42, v40, v41
	v_sub_f32_e32 v38, v43, v38
	v_sub_f32_e32 v35, v35, v42
	v_sub_f32_e32 v39, v39, v41
	v_add_f32_e32 v35, v39, v35
	v_add_f32_e32 v39, v38, v34
	v_sub_f32_e32 v41, v39, v38
	v_sub_f32_e32 v42, v39, v41
	;; [unrolled: 1-line block ×4, first 2 shown]
	v_add_f32_e32 v35, v39, v35
	v_add_f32_e32 v34, v34, v38
	;; [unrolled: 1-line block ×3, first 2 shown]
	v_sub_f32_e32 v39, v38, v40
	v_sub_f32_e32 v35, v35, v39
	v_add_f32_e32 v34, v34, v35
	v_add_f32_e32 v34, v38, v34
	v_cmp_neq_f32_e32 vcc, s10, v37
	s_mov_b32 s10, 0x33800000
	v_cndmask_b32_e32 v34, v36, v34, vcc
	v_cmp_lt_f32_e64 vcc, |v37|, s10
	v_cndmask_b32_e32 v34, v34, v37, vcc
	v_add_f32_e32 v33, v33, v34
	v_cvt_f16_f32_e32 v36, v33
.LBB429_116:
	s_or_b64 exec, exec, s[2:3]
	v_and_b32_e32 v35, 0xffff, v36
	v_mov_b32_e32 v34, v36
.LBB429_117:
	s_or_b64 exec, exec, s[8:9]
	v_and_b32_e32 v33, 16, v32
	v_mov_b32_dpp v36, v35 row_bcast:15 row_mask:0xf bank_mask:0xf
	v_cmp_ne_u32_e32 vcc, 0, v33
	s_and_saveexec_b64 s[8:9], vcc
	s_cbranch_execz .LBB429_121
; %bb.118:
	v_cvt_f32_f16_e32 v33, v36
	v_cvt_f32_f16_e32 v35, v34
	v_cmp_u_f16_e32 vcc, v36, v36
	v_cmp_u_f16_e64 s[2:3], v34, v34
	v_min_f32_e32 v37, v33, v35
	v_cndmask_b32_e32 v37, v37, v33, vcc
	v_cndmask_b32_e64 v34, v37, v35, s[2:3]
	v_max_f32_e32 v37, v33, v35
	v_cndmask_b32_e32 v33, v37, v33, vcc
	v_cndmask_b32_e64 v33, v33, v35, s[2:3]
	s_movk_i32 s2, 0x1f8
	v_cmp_neq_f32_e32 vcc, v34, v33
	v_cmp_class_f32_e64 s[2:3], v34, s2
	s_or_b64 vcc, vcc, s[2:3]
	s_and_saveexec_b64 s[2:3], vcc
	s_cbranch_execz .LBB429_120
; %bb.119:
	v_sub_f32_e32 v34, v34, v33
	s_mov_b32 s10, 0x3fb8aa3b
	v_mul_f32_e32 v35, 0x3fb8aa3b, v34
	v_fma_f32 v36, v34, s10, -v35
	v_rndne_f32_e32 v37, v35
	v_fmac_f32_e32 v36, 0x32a5705f, v34
	v_sub_f32_e32 v35, v35, v37
	v_add_f32_e32 v35, v35, v36
	v_exp_f32_e32 v35, v35
	v_cvt_i32_f32_e32 v36, v37
	s_mov_b32 s10, 0xc2ce8ed0
	v_cmp_ngt_f32_e32 vcc, s10, v34
	s_mov_b32 s10, 0x42b17218
	v_ldexp_f32 v35, v35, v36
	v_cndmask_b32_e32 v35, 0, v35, vcc
	v_mov_b32_e32 v36, 0x7f800000
	v_cmp_nlt_f32_e32 vcc, s10, v34
	v_cndmask_b32_e32 v37, v36, v35, vcc
	v_add_f32_e32 v38, 1.0, v37
	v_cvt_f64_f32_e32 v[34:35], v38
	v_add_f32_e32 v39, -1.0, v38
	v_sub_f32_e32 v40, v39, v38
	v_sub_f32_e32 v39, v37, v39
	v_frexp_exp_i32_f64_e32 v34, v[34:35]
	v_add_f32_e32 v35, 1.0, v40
	v_add_f32_e32 v35, v39, v35
	v_frexp_mant_f32_e32 v39, v38
	s_mov_b32 s11, 0x3f2aaaab
	v_cmp_gt_f32_e32 vcc, s11, v39
	s_mov_b32 s11, 0x3f317218
	s_mov_b32 s10, 0x7f800000
	v_subbrev_co_u32_e32 v34, vcc, 0, v34, vcc
	v_sub_u32_e32 v39, 0, v34
	v_ldexp_f32 v38, v38, v39
	v_ldexp_f32 v35, v35, v39
	v_add_f32_e32 v39, -1.0, v38
	v_add_f32_e32 v42, 1.0, v38
	v_add_f32_e32 v40, 1.0, v39
	v_add_f32_e32 v43, -1.0, v42
	v_sub_f32_e32 v40, v38, v40
	v_sub_f32_e32 v38, v38, v43
	v_add_f32_e32 v40, v35, v40
	v_add_f32_e32 v35, v35, v38
	;; [unrolled: 1-line block ×3, first 2 shown]
	v_rcp_f32_e32 v43, v38
	v_add_f32_e32 v41, v39, v40
	v_sub_f32_e32 v39, v39, v41
	v_add_f32_e32 v39, v40, v39
	v_sub_f32_e32 v40, v42, v38
	v_add_f32_e32 v35, v35, v40
	v_mul_f32_e32 v40, v41, v43
	v_mul_f32_e32 v42, v38, v40
	v_fma_f32 v44, v40, v38, -v42
	v_fmac_f32_e32 v44, v40, v35
	v_add_f32_e32 v45, v42, v44
	v_sub_f32_e32 v46, v41, v45
	v_sub_f32_e32 v41, v41, v46
	;; [unrolled: 1-line block ×4, first 2 shown]
	v_add_f32_e32 v39, v39, v41
	v_sub_f32_e32 v41, v42, v44
	v_add_f32_e32 v39, v41, v39
	v_add_f32_e32 v41, v46, v39
	v_mul_f32_e32 v42, v43, v41
	v_mul_f32_e32 v44, v38, v42
	v_fma_f32 v38, v42, v38, -v44
	v_fmac_f32_e32 v38, v42, v35
	v_sub_f32_e32 v35, v46, v41
	v_add_f32_e32 v35, v39, v35
	v_add_f32_e32 v39, v44, v38
	v_sub_f32_e32 v45, v41, v39
	v_sub_f32_e32 v41, v41, v45
	;; [unrolled: 1-line block ×4, first 2 shown]
	v_add_f32_e32 v35, v35, v39
	v_sub_f32_e32 v38, v44, v38
	v_add_f32_e32 v35, v38, v35
	v_add_f32_e32 v38, v40, v42
	;; [unrolled: 1-line block ×3, first 2 shown]
	v_sub_f32_e32 v39, v38, v40
	v_mul_f32_e32 v35, v43, v35
	v_sub_f32_e32 v39, v42, v39
	v_add_f32_e32 v35, v39, v35
	v_cvt_f32_i32_e32 v34, v34
	v_add_f32_e32 v39, v38, v35
	v_mul_f32_e32 v40, v39, v39
	v_mov_b32_e32 v41, 0x3ecc95a3
	v_fmac_f32_e32 v41, 0x3e9b6dac, v40
	v_mov_b32_e32 v42, 0x3f2aaada
	v_fmac_f32_e32 v42, v40, v41
	v_mul_f32_e32 v41, 0x3f317218, v34
	v_fma_f32 v43, v34, s11, -v41
	v_fmac_f32_e32 v43, 0xb102e308, v34
	v_sub_f32_e32 v34, v39, v38
	v_sub_f32_e32 v34, v35, v34
	v_add_f32_e32 v35, v41, v43
	v_sub_f32_e32 v38, v35, v41
	v_ldexp_f32 v41, v39, 1
	v_mul_f32_e32 v39, v39, v40
	v_mul_f32_e32 v39, v39, v42
	v_add_f32_e32 v40, v41, v39
	v_sub_f32_e32 v41, v40, v41
	v_ldexp_f32 v34, v34, 1
	v_sub_f32_e32 v39, v39, v41
	v_add_f32_e32 v34, v34, v39
	v_add_f32_e32 v39, v40, v34
	v_sub_f32_e32 v40, v39, v40
	v_sub_f32_e32 v34, v34, v40
	v_add_f32_e32 v40, v35, v39
	v_sub_f32_e32 v41, v40, v35
	v_sub_f32_e32 v42, v40, v41
	;; [unrolled: 1-line block ×5, first 2 shown]
	v_add_f32_e32 v35, v39, v35
	v_add_f32_e32 v39, v38, v34
	v_sub_f32_e32 v41, v39, v38
	v_sub_f32_e32 v42, v39, v41
	;; [unrolled: 1-line block ×4, first 2 shown]
	v_add_f32_e32 v35, v39, v35
	v_add_f32_e32 v34, v34, v38
	;; [unrolled: 1-line block ×3, first 2 shown]
	v_sub_f32_e32 v39, v38, v40
	v_sub_f32_e32 v35, v35, v39
	v_add_f32_e32 v34, v34, v35
	v_add_f32_e32 v34, v38, v34
	v_cmp_neq_f32_e32 vcc, s10, v37
	s_mov_b32 s10, 0x33800000
	v_cndmask_b32_e32 v34, v36, v34, vcc
	v_cmp_lt_f32_e64 vcc, |v37|, s10
	v_cndmask_b32_e32 v34, v34, v37, vcc
	v_add_f32_e32 v33, v33, v34
	v_cvt_f16_f32_e32 v36, v33
.LBB429_120:
	s_or_b64 exec, exec, s[2:3]
	v_and_b32_e32 v35, 0xffff, v36
	v_mov_b32_e32 v34, v36
.LBB429_121:
	s_or_b64 exec, exec, s[8:9]
	v_mov_b32_dpp v35, v35 row_bcast:31 row_mask:0xf bank_mask:0xf
	v_cmp_lt_u32_e32 vcc, 31, v32
	s_and_saveexec_b64 s[8:9], vcc
	s_cbranch_execz .LBB429_125
; %bb.122:
	v_cvt_f32_f16_e32 v33, v35
	v_cvt_f32_f16_e32 v36, v34
	v_cmp_u_f16_e32 vcc, v35, v35
	v_cmp_u_f16_e64 s[2:3], v34, v34
	v_min_f32_e32 v37, v33, v36
	v_cndmask_b32_e32 v37, v37, v33, vcc
	v_cndmask_b32_e64 v34, v37, v36, s[2:3]
	v_max_f32_e32 v37, v33, v36
	v_cndmask_b32_e32 v33, v37, v33, vcc
	v_cndmask_b32_e64 v33, v33, v36, s[2:3]
	s_movk_i32 s2, 0x1f8
	v_cmp_neq_f32_e32 vcc, v34, v33
	v_cmp_class_f32_e64 s[2:3], v34, s2
	s_or_b64 vcc, vcc, s[2:3]
	s_and_saveexec_b64 s[2:3], vcc
	s_cbranch_execz .LBB429_124
; %bb.123:
	v_sub_f32_e32 v34, v34, v33
	s_mov_b32 s10, 0x3fb8aa3b
	v_mul_f32_e32 v35, 0x3fb8aa3b, v34
	v_fma_f32 v36, v34, s10, -v35
	v_rndne_f32_e32 v37, v35
	v_fmac_f32_e32 v36, 0x32a5705f, v34
	v_sub_f32_e32 v35, v35, v37
	v_add_f32_e32 v35, v35, v36
	v_exp_f32_e32 v35, v35
	v_cvt_i32_f32_e32 v36, v37
	s_mov_b32 s10, 0xc2ce8ed0
	v_cmp_ngt_f32_e32 vcc, s10, v34
	s_mov_b32 s10, 0x42b17218
	v_ldexp_f32 v35, v35, v36
	v_cndmask_b32_e32 v35, 0, v35, vcc
	v_mov_b32_e32 v36, 0x7f800000
	v_cmp_nlt_f32_e32 vcc, s10, v34
	v_cndmask_b32_e32 v37, v36, v35, vcc
	v_add_f32_e32 v38, 1.0, v37
	v_cvt_f64_f32_e32 v[34:35], v38
	v_add_f32_e32 v39, -1.0, v38
	v_sub_f32_e32 v40, v39, v38
	v_sub_f32_e32 v39, v37, v39
	v_frexp_exp_i32_f64_e32 v34, v[34:35]
	v_add_f32_e32 v35, 1.0, v40
	v_add_f32_e32 v35, v39, v35
	v_frexp_mant_f32_e32 v39, v38
	s_mov_b32 s11, 0x3f2aaaab
	v_cmp_gt_f32_e32 vcc, s11, v39
	s_mov_b32 s11, 0x3f317218
	s_mov_b32 s10, 0x7f800000
	v_subbrev_co_u32_e32 v34, vcc, 0, v34, vcc
	v_sub_u32_e32 v39, 0, v34
	v_ldexp_f32 v38, v38, v39
	v_ldexp_f32 v35, v35, v39
	v_add_f32_e32 v39, -1.0, v38
	v_add_f32_e32 v42, 1.0, v38
	v_add_f32_e32 v40, 1.0, v39
	v_add_f32_e32 v43, -1.0, v42
	v_sub_f32_e32 v40, v38, v40
	v_sub_f32_e32 v38, v38, v43
	v_add_f32_e32 v40, v35, v40
	v_add_f32_e32 v35, v35, v38
	;; [unrolled: 1-line block ×3, first 2 shown]
	v_rcp_f32_e32 v43, v38
	v_add_f32_e32 v41, v39, v40
	v_sub_f32_e32 v39, v39, v41
	v_add_f32_e32 v39, v40, v39
	v_sub_f32_e32 v40, v42, v38
	v_add_f32_e32 v35, v35, v40
	v_mul_f32_e32 v40, v41, v43
	v_mul_f32_e32 v42, v38, v40
	v_fma_f32 v44, v40, v38, -v42
	v_fmac_f32_e32 v44, v40, v35
	v_add_f32_e32 v45, v42, v44
	v_sub_f32_e32 v46, v41, v45
	v_sub_f32_e32 v41, v41, v46
	;; [unrolled: 1-line block ×4, first 2 shown]
	v_add_f32_e32 v39, v39, v41
	v_sub_f32_e32 v41, v42, v44
	v_add_f32_e32 v39, v41, v39
	v_add_f32_e32 v41, v46, v39
	v_mul_f32_e32 v42, v43, v41
	v_mul_f32_e32 v44, v38, v42
	v_fma_f32 v38, v42, v38, -v44
	v_fmac_f32_e32 v38, v42, v35
	v_sub_f32_e32 v35, v46, v41
	v_add_f32_e32 v35, v39, v35
	v_add_f32_e32 v39, v44, v38
	v_sub_f32_e32 v45, v41, v39
	v_sub_f32_e32 v41, v41, v45
	;; [unrolled: 1-line block ×4, first 2 shown]
	v_add_f32_e32 v35, v35, v39
	v_sub_f32_e32 v38, v44, v38
	v_add_f32_e32 v35, v38, v35
	v_add_f32_e32 v38, v40, v42
	;; [unrolled: 1-line block ×3, first 2 shown]
	v_sub_f32_e32 v39, v38, v40
	v_mul_f32_e32 v35, v43, v35
	v_sub_f32_e32 v39, v42, v39
	v_add_f32_e32 v35, v39, v35
	v_cvt_f32_i32_e32 v34, v34
	v_add_f32_e32 v39, v38, v35
	v_mul_f32_e32 v40, v39, v39
	v_mov_b32_e32 v41, 0x3ecc95a3
	v_fmac_f32_e32 v41, 0x3e9b6dac, v40
	v_mov_b32_e32 v42, 0x3f2aaada
	v_fmac_f32_e32 v42, v40, v41
	v_mul_f32_e32 v41, 0x3f317218, v34
	v_fma_f32 v43, v34, s11, -v41
	v_fmac_f32_e32 v43, 0xb102e308, v34
	v_sub_f32_e32 v34, v39, v38
	v_sub_f32_e32 v34, v35, v34
	v_add_f32_e32 v35, v41, v43
	v_sub_f32_e32 v38, v35, v41
	v_ldexp_f32 v41, v39, 1
	v_mul_f32_e32 v39, v39, v40
	v_mul_f32_e32 v39, v39, v42
	v_add_f32_e32 v40, v41, v39
	v_sub_f32_e32 v41, v40, v41
	v_ldexp_f32 v34, v34, 1
	v_sub_f32_e32 v39, v39, v41
	v_add_f32_e32 v34, v34, v39
	v_add_f32_e32 v39, v40, v34
	v_sub_f32_e32 v40, v39, v40
	v_sub_f32_e32 v34, v34, v40
	v_add_f32_e32 v40, v35, v39
	v_sub_f32_e32 v41, v40, v35
	v_sub_f32_e32 v42, v40, v41
	;; [unrolled: 1-line block ×5, first 2 shown]
	v_add_f32_e32 v35, v39, v35
	v_add_f32_e32 v39, v38, v34
	v_sub_f32_e32 v41, v39, v38
	v_sub_f32_e32 v42, v39, v41
	;; [unrolled: 1-line block ×4, first 2 shown]
	v_add_f32_e32 v35, v39, v35
	v_add_f32_e32 v34, v34, v38
	;; [unrolled: 1-line block ×3, first 2 shown]
	v_sub_f32_e32 v39, v38, v40
	v_sub_f32_e32 v35, v35, v39
	v_add_f32_e32 v34, v34, v35
	v_add_f32_e32 v34, v38, v34
	v_cmp_neq_f32_e32 vcc, s10, v37
	s_mov_b32 s10, 0x33800000
	v_cndmask_b32_e32 v34, v36, v34, vcc
	v_cmp_lt_f32_e64 vcc, |v37|, s10
	v_cndmask_b32_e32 v34, v34, v37, vcc
	v_add_f32_e32 v33, v33, v34
	v_cvt_f16_f32_e32 v35, v33
.LBB429_124:
	s_or_b64 exec, exec, s[2:3]
	v_mov_b32_e32 v34, v35
.LBB429_125:
	s_or_b64 exec, exec, s[8:9]
	v_add_u32_e32 v33, -1, v32
	v_and_b32_e32 v35, 64, v32
	v_cmp_lt_i32_e32 vcc, v33, v35
	v_cndmask_b32_e32 v32, v33, v32, vcc
	v_lshlrev_b32_e32 v32, 2, v32
	v_and_b32_e32 v33, 0xffff, v34
	ds_bpermute_b32 v32, v32, v33
	v_max_f32_e32 v34, v31, v31
	s_waitcnt lgkmcnt(0)
	v_cvt_f32_f16_e32 v33, v32
	v_cmp_u_f16_e32 vcc, v32, v32
	v_min_f32_e32 v35, v33, v34
	v_max_f32_e32 v34, v33, v34
	v_cndmask_b32_e32 v35, v35, v33, vcc
	v_cndmask_b32_e32 v34, v34, v33, vcc
	v_cndmask_b32_e64 v33, v35, v31, s[4:5]
	v_cndmask_b32_e64 v31, v34, v31, s[4:5]
	s_movk_i32 s4, 0x1f8
	v_cmp_neq_f32_e32 vcc, v33, v31
	v_cmp_class_f32_e64 s[2:3], v33, s4
	s_or_b64 s[8:9], vcc, s[2:3]
	s_and_saveexec_b64 s[2:3], s[8:9]
	s_cbranch_execz .LBB429_127
; %bb.126:
	v_sub_f32_e32 v32, v33, v31
	s_mov_b32 s5, 0x3fb8aa3b
	v_mul_f32_e32 v33, 0x3fb8aa3b, v32
	v_fma_f32 v34, v32, s5, -v33
	v_rndne_f32_e32 v35, v33
	v_fmac_f32_e32 v34, 0x32a5705f, v32
	v_sub_f32_e32 v33, v33, v35
	v_add_f32_e32 v33, v33, v34
	v_exp_f32_e32 v33, v33
	v_cvt_i32_f32_e32 v34, v35
	s_mov_b32 s5, 0xc2ce8ed0
	v_cmp_ngt_f32_e32 vcc, s5, v32
	s_mov_b32 s5, 0x42b17218
	v_ldexp_f32 v33, v33, v34
	v_cndmask_b32_e32 v33, 0, v33, vcc
	v_mov_b32_e32 v34, 0x7f800000
	v_cmp_nlt_f32_e32 vcc, s5, v32
	v_cndmask_b32_e32 v35, v34, v33, vcc
	v_add_f32_e32 v36, 1.0, v35
	v_cvt_f64_f32_e32 v[32:33], v36
	v_add_f32_e32 v37, -1.0, v36
	v_sub_f32_e32 v38, v37, v36
	v_sub_f32_e32 v37, v35, v37
	v_frexp_exp_i32_f64_e32 v32, v[32:33]
	v_add_f32_e32 v33, 1.0, v38
	v_add_f32_e32 v33, v37, v33
	v_frexp_mant_f32_e32 v37, v36
	s_mov_b32 s8, 0x3f2aaaab
	v_cmp_gt_f32_e32 vcc, s8, v37
	s_mov_b32 s8, 0x3f317218
	s_mov_b32 s5, 0x7f800000
	v_subbrev_co_u32_e32 v32, vcc, 0, v32, vcc
	v_sub_u32_e32 v37, 0, v32
	v_ldexp_f32 v36, v36, v37
	v_ldexp_f32 v33, v33, v37
	v_add_f32_e32 v37, -1.0, v36
	v_add_f32_e32 v40, 1.0, v36
	v_add_f32_e32 v38, 1.0, v37
	v_add_f32_e32 v41, -1.0, v40
	v_sub_f32_e32 v38, v36, v38
	v_sub_f32_e32 v36, v36, v41
	v_add_f32_e32 v38, v33, v38
	v_add_f32_e32 v33, v33, v36
	;; [unrolled: 1-line block ×3, first 2 shown]
	v_rcp_f32_e32 v41, v36
	v_add_f32_e32 v39, v37, v38
	v_sub_f32_e32 v37, v37, v39
	v_add_f32_e32 v37, v38, v37
	v_sub_f32_e32 v38, v40, v36
	v_add_f32_e32 v33, v33, v38
	v_mul_f32_e32 v38, v39, v41
	v_mul_f32_e32 v40, v36, v38
	v_fma_f32 v42, v38, v36, -v40
	v_fmac_f32_e32 v42, v38, v33
	v_add_f32_e32 v43, v40, v42
	v_sub_f32_e32 v44, v39, v43
	v_sub_f32_e32 v39, v39, v44
	;; [unrolled: 1-line block ×4, first 2 shown]
	v_add_f32_e32 v37, v37, v39
	v_sub_f32_e32 v39, v40, v42
	v_add_f32_e32 v37, v39, v37
	v_add_f32_e32 v39, v44, v37
	v_mul_f32_e32 v40, v41, v39
	v_mul_f32_e32 v42, v36, v40
	v_fma_f32 v36, v40, v36, -v42
	v_fmac_f32_e32 v36, v40, v33
	v_sub_f32_e32 v33, v44, v39
	v_add_f32_e32 v33, v37, v33
	v_add_f32_e32 v37, v42, v36
	v_sub_f32_e32 v43, v39, v37
	v_sub_f32_e32 v39, v39, v43
	;; [unrolled: 1-line block ×4, first 2 shown]
	v_add_f32_e32 v33, v33, v37
	v_sub_f32_e32 v36, v42, v36
	v_add_f32_e32 v33, v36, v33
	v_add_f32_e32 v36, v38, v40
	;; [unrolled: 1-line block ×3, first 2 shown]
	v_sub_f32_e32 v37, v36, v38
	v_mul_f32_e32 v33, v41, v33
	v_sub_f32_e32 v37, v40, v37
	v_add_f32_e32 v33, v37, v33
	v_cvt_f32_i32_e32 v32, v32
	v_add_f32_e32 v37, v36, v33
	v_mul_f32_e32 v38, v37, v37
	v_mov_b32_e32 v39, 0x3ecc95a3
	v_fmac_f32_e32 v39, 0x3e9b6dac, v38
	v_mov_b32_e32 v40, 0x3f2aaada
	v_fmac_f32_e32 v40, v38, v39
	v_mul_f32_e32 v39, 0x3f317218, v32
	v_fma_f32 v41, v32, s8, -v39
	v_fmac_f32_e32 v41, 0xb102e308, v32
	v_sub_f32_e32 v32, v37, v36
	v_sub_f32_e32 v32, v33, v32
	v_add_f32_e32 v33, v39, v41
	v_sub_f32_e32 v36, v33, v39
	v_ldexp_f32 v39, v37, 1
	v_mul_f32_e32 v37, v37, v38
	v_mul_f32_e32 v37, v37, v40
	v_add_f32_e32 v38, v39, v37
	v_sub_f32_e32 v39, v38, v39
	v_ldexp_f32 v32, v32, 1
	v_sub_f32_e32 v37, v37, v39
	v_add_f32_e32 v32, v32, v37
	v_add_f32_e32 v37, v38, v32
	v_sub_f32_e32 v38, v37, v38
	v_sub_f32_e32 v32, v32, v38
	v_add_f32_e32 v38, v33, v37
	v_sub_f32_e32 v39, v38, v33
	v_sub_f32_e32 v40, v38, v39
	v_sub_f32_e32 v36, v41, v36
	v_sub_f32_e32 v33, v33, v40
	v_sub_f32_e32 v37, v37, v39
	v_add_f32_e32 v33, v37, v33
	v_add_f32_e32 v37, v36, v32
	v_sub_f32_e32 v39, v37, v36
	v_sub_f32_e32 v40, v37, v39
	;; [unrolled: 1-line block ×4, first 2 shown]
	v_add_f32_e32 v33, v37, v33
	v_add_f32_e32 v32, v32, v36
	;; [unrolled: 1-line block ×3, first 2 shown]
	v_sub_f32_e32 v37, v36, v38
	v_sub_f32_e32 v33, v33, v37
	v_add_f32_e32 v32, v32, v33
	v_add_f32_e32 v32, v36, v32
	v_cmp_neq_f32_e32 vcc, s5, v35
	s_mov_b32 s5, 0x33800000
	v_cndmask_b32_e32 v32, v34, v32, vcc
	v_cmp_lt_f32_e64 vcc, |v35|, s5
	v_cndmask_b32_e32 v32, v32, v35, vcc
	v_add_f32_e32 v31, v31, v32
	v_cvt_f16_f32_e32 v32, v31
.LBB429_127:
	s_or_b64 exec, exec, s[2:3]
	v_cmp_eq_u32_e32 vcc, 0, v0
	v_cndmask_b32_e32 v31, v32, v30, vcc
	; wave barrier
	ds_write_b16 v8, v31
	; wave barrier
	ds_read_u16 v30, v8 offset:2
	v_cvt_f32_f16_e32 v32, v31
	v_cmp_u_f16_e32 vcc, v31, v31
	s_waitcnt lgkmcnt(0)
	v_cvt_f32_f16_e32 v34, v30
	v_cmp_u_f16_e64 s[2:3], v30, v30
	v_min_f32_e32 v33, v32, v34
	v_max_f32_e32 v30, v32, v34
	v_cndmask_b32_e32 v33, v33, v32, vcc
	v_cndmask_b32_e32 v30, v30, v32, vcc
	v_cndmask_b32_e64 v33, v33, v34, s[2:3]
	v_cndmask_b32_e64 v30, v30, v34, s[2:3]
	v_cmp_neq_f32_e32 vcc, v33, v30
	v_cmp_class_f32_e64 s[2:3], v33, s4
	s_or_b64 s[4:5], vcc, s[2:3]
	s_and_saveexec_b64 s[2:3], s[4:5]
	s_cbranch_execz .LBB429_129
; %bb.128:
	v_sub_f32_e32 v31, v33, v30
	s_mov_b32 s4, 0x3fb8aa3b
	v_mul_f32_e32 v32, 0x3fb8aa3b, v31
	v_fma_f32 v33, v31, s4, -v32
	v_rndne_f32_e32 v34, v32
	v_fmac_f32_e32 v33, 0x32a5705f, v31
	v_sub_f32_e32 v32, v32, v34
	v_add_f32_e32 v32, v32, v33
	v_exp_f32_e32 v32, v32
	v_cvt_i32_f32_e32 v33, v34
	s_mov_b32 s4, 0xc2ce8ed0
	v_cmp_ngt_f32_e32 vcc, s4, v31
	s_mov_b32 s4, 0x42b17218
	v_ldexp_f32 v32, v32, v33
	v_cndmask_b32_e32 v32, 0, v32, vcc
	v_mov_b32_e32 v33, 0x7f800000
	v_cmp_nlt_f32_e32 vcc, s4, v31
	v_cndmask_b32_e32 v34, v33, v32, vcc
	v_add_f32_e32 v35, 1.0, v34
	v_cvt_f64_f32_e32 v[31:32], v35
	v_add_f32_e32 v36, -1.0, v35
	v_sub_f32_e32 v37, v36, v35
	v_sub_f32_e32 v36, v34, v36
	v_frexp_exp_i32_f64_e32 v31, v[31:32]
	v_add_f32_e32 v32, 1.0, v37
	v_add_f32_e32 v32, v36, v32
	v_frexp_mant_f32_e32 v36, v35
	s_mov_b32 s5, 0x3f2aaaab
	v_cmp_gt_f32_e32 vcc, s5, v36
	s_mov_b32 s5, 0x3f317218
	s_mov_b32 s4, 0x7f800000
	v_subbrev_co_u32_e32 v31, vcc, 0, v31, vcc
	v_sub_u32_e32 v36, 0, v31
	v_ldexp_f32 v35, v35, v36
	v_ldexp_f32 v32, v32, v36
	v_add_f32_e32 v36, -1.0, v35
	v_add_f32_e32 v39, 1.0, v35
	v_add_f32_e32 v37, 1.0, v36
	v_add_f32_e32 v40, -1.0, v39
	v_sub_f32_e32 v37, v35, v37
	v_sub_f32_e32 v35, v35, v40
	v_add_f32_e32 v37, v32, v37
	v_add_f32_e32 v32, v32, v35
	;; [unrolled: 1-line block ×3, first 2 shown]
	v_rcp_f32_e32 v40, v35
	v_add_f32_e32 v38, v36, v37
	v_sub_f32_e32 v36, v36, v38
	v_add_f32_e32 v36, v37, v36
	v_sub_f32_e32 v37, v39, v35
	v_add_f32_e32 v32, v32, v37
	v_mul_f32_e32 v37, v38, v40
	v_mul_f32_e32 v39, v35, v37
	v_fma_f32 v41, v37, v35, -v39
	v_fmac_f32_e32 v41, v37, v32
	v_add_f32_e32 v42, v39, v41
	v_sub_f32_e32 v43, v38, v42
	v_sub_f32_e32 v38, v38, v43
	;; [unrolled: 1-line block ×4, first 2 shown]
	v_add_f32_e32 v36, v36, v38
	v_sub_f32_e32 v38, v39, v41
	v_add_f32_e32 v36, v38, v36
	v_add_f32_e32 v38, v43, v36
	v_mul_f32_e32 v39, v40, v38
	v_mul_f32_e32 v41, v35, v39
	v_fma_f32 v35, v39, v35, -v41
	v_fmac_f32_e32 v35, v39, v32
	v_sub_f32_e32 v32, v43, v38
	v_add_f32_e32 v32, v36, v32
	v_add_f32_e32 v36, v41, v35
	v_sub_f32_e32 v42, v38, v36
	v_sub_f32_e32 v38, v38, v42
	;; [unrolled: 1-line block ×4, first 2 shown]
	v_add_f32_e32 v32, v32, v36
	v_sub_f32_e32 v35, v41, v35
	v_add_f32_e32 v32, v35, v32
	v_add_f32_e32 v35, v37, v39
	;; [unrolled: 1-line block ×3, first 2 shown]
	v_sub_f32_e32 v36, v35, v37
	v_mul_f32_e32 v32, v40, v32
	v_sub_f32_e32 v36, v39, v36
	v_add_f32_e32 v32, v36, v32
	v_cvt_f32_i32_e32 v31, v31
	v_add_f32_e32 v36, v35, v32
	v_mul_f32_e32 v37, v36, v36
	v_mov_b32_e32 v38, 0x3ecc95a3
	v_fmac_f32_e32 v38, 0x3e9b6dac, v37
	v_mov_b32_e32 v39, 0x3f2aaada
	v_fmac_f32_e32 v39, v37, v38
	v_mul_f32_e32 v38, 0x3f317218, v31
	v_fma_f32 v40, v31, s5, -v38
	v_fmac_f32_e32 v40, 0xb102e308, v31
	v_sub_f32_e32 v31, v36, v35
	v_sub_f32_e32 v31, v32, v31
	v_add_f32_e32 v32, v38, v40
	v_sub_f32_e32 v35, v32, v38
	v_ldexp_f32 v38, v36, 1
	v_mul_f32_e32 v36, v36, v37
	v_mul_f32_e32 v36, v36, v39
	v_add_f32_e32 v37, v38, v36
	v_sub_f32_e32 v38, v37, v38
	v_ldexp_f32 v31, v31, 1
	v_sub_f32_e32 v36, v36, v38
	v_add_f32_e32 v31, v31, v36
	v_add_f32_e32 v36, v37, v31
	v_sub_f32_e32 v37, v36, v37
	v_sub_f32_e32 v31, v31, v37
	v_add_f32_e32 v37, v32, v36
	v_sub_f32_e32 v38, v37, v32
	v_sub_f32_e32 v39, v37, v38
	;; [unrolled: 1-line block ×5, first 2 shown]
	v_add_f32_e32 v32, v36, v32
	v_add_f32_e32 v36, v35, v31
	v_sub_f32_e32 v38, v36, v35
	v_sub_f32_e32 v39, v36, v38
	;; [unrolled: 1-line block ×4, first 2 shown]
	v_add_f32_e32 v32, v36, v32
	v_add_f32_e32 v31, v31, v35
	;; [unrolled: 1-line block ×3, first 2 shown]
	v_sub_f32_e32 v36, v35, v37
	v_sub_f32_e32 v32, v32, v36
	v_add_f32_e32 v31, v31, v32
	v_add_f32_e32 v31, v35, v31
	v_cmp_neq_f32_e32 vcc, s4, v34
	s_mov_b32 s4, 0x33800000
	v_cndmask_b32_e32 v31, v33, v31, vcc
	v_cmp_lt_f32_e64 vcc, |v34|, s4
	v_cndmask_b32_e32 v31, v31, v34, vcc
	v_add_f32_e32 v30, v30, v31
	v_cvt_f16_f32_e32 v31, v30
	v_cvt_f32_f16_e32 v32, v31
.LBB429_129:
	s_or_b64 exec, exec, s[2:3]
	ds_read_u16 v30, v8 offset:4
	v_max_f32_e32 v33, v32, v32
	v_cmp_u_f16_e32 vcc, v31, v31
	s_movk_i32 s4, 0x1f8
	ds_write_b16 v8, v31 offset:2
	s_waitcnt lgkmcnt(1)
	v_cvt_f32_f16_e32 v34, v30
	v_min_f32_e32 v35, v33, v34
	v_max_f32_e32 v33, v33, v34
	v_cndmask_b32_e32 v35, v35, v32, vcc
	v_cndmask_b32_e32 v36, v33, v32, vcc
	v_cmp_u_f16_e32 vcc, v30, v30
	v_cndmask_b32_e32 v33, v35, v34, vcc
	v_cndmask_b32_e32 v30, v36, v34, vcc
	v_cmp_neq_f32_e32 vcc, v33, v30
	v_cmp_class_f32_e64 s[2:3], v33, s4
	s_or_b64 s[8:9], vcc, s[2:3]
	s_and_saveexec_b64 s[2:3], s[8:9]
	s_cbranch_execz .LBB429_131
; %bb.130:
	v_sub_f32_e32 v31, v33, v30
	s_mov_b32 s5, 0x3fb8aa3b
	v_mul_f32_e32 v32, 0x3fb8aa3b, v31
	v_fma_f32 v33, v31, s5, -v32
	v_rndne_f32_e32 v34, v32
	v_fmac_f32_e32 v33, 0x32a5705f, v31
	v_sub_f32_e32 v32, v32, v34
	v_add_f32_e32 v32, v32, v33
	v_exp_f32_e32 v32, v32
	v_cvt_i32_f32_e32 v33, v34
	s_mov_b32 s5, 0xc2ce8ed0
	v_cmp_ngt_f32_e32 vcc, s5, v31
	s_mov_b32 s5, 0x42b17218
	v_ldexp_f32 v32, v32, v33
	v_cndmask_b32_e32 v32, 0, v32, vcc
	v_mov_b32_e32 v33, 0x7f800000
	v_cmp_nlt_f32_e32 vcc, s5, v31
	v_cndmask_b32_e32 v34, v33, v32, vcc
	v_add_f32_e32 v35, 1.0, v34
	v_cvt_f64_f32_e32 v[31:32], v35
	v_add_f32_e32 v36, -1.0, v35
	v_sub_f32_e32 v37, v36, v35
	v_sub_f32_e32 v36, v34, v36
	v_frexp_exp_i32_f64_e32 v31, v[31:32]
	v_add_f32_e32 v32, 1.0, v37
	v_add_f32_e32 v32, v36, v32
	v_frexp_mant_f32_e32 v36, v35
	s_mov_b32 s8, 0x3f2aaaab
	v_cmp_gt_f32_e32 vcc, s8, v36
	s_mov_b32 s8, 0x3f317218
	s_mov_b32 s5, 0x7f800000
	v_subbrev_co_u32_e32 v31, vcc, 0, v31, vcc
	v_sub_u32_e32 v36, 0, v31
	v_ldexp_f32 v35, v35, v36
	v_ldexp_f32 v32, v32, v36
	v_add_f32_e32 v36, -1.0, v35
	v_add_f32_e32 v39, 1.0, v35
	v_add_f32_e32 v37, 1.0, v36
	v_add_f32_e32 v40, -1.0, v39
	v_sub_f32_e32 v37, v35, v37
	v_sub_f32_e32 v35, v35, v40
	v_add_f32_e32 v37, v32, v37
	v_add_f32_e32 v32, v32, v35
	;; [unrolled: 1-line block ×3, first 2 shown]
	v_rcp_f32_e32 v40, v35
	v_add_f32_e32 v38, v36, v37
	v_sub_f32_e32 v36, v36, v38
	v_add_f32_e32 v36, v37, v36
	v_sub_f32_e32 v37, v39, v35
	v_add_f32_e32 v32, v32, v37
	v_mul_f32_e32 v37, v38, v40
	v_mul_f32_e32 v39, v35, v37
	v_fma_f32 v41, v37, v35, -v39
	v_fmac_f32_e32 v41, v37, v32
	v_add_f32_e32 v42, v39, v41
	v_sub_f32_e32 v43, v38, v42
	v_sub_f32_e32 v38, v38, v43
	;; [unrolled: 1-line block ×4, first 2 shown]
	v_add_f32_e32 v36, v36, v38
	v_sub_f32_e32 v38, v39, v41
	v_add_f32_e32 v36, v38, v36
	v_add_f32_e32 v38, v43, v36
	v_mul_f32_e32 v39, v40, v38
	v_mul_f32_e32 v41, v35, v39
	v_fma_f32 v35, v39, v35, -v41
	v_fmac_f32_e32 v35, v39, v32
	v_sub_f32_e32 v32, v43, v38
	v_add_f32_e32 v32, v36, v32
	v_add_f32_e32 v36, v41, v35
	v_sub_f32_e32 v42, v38, v36
	v_sub_f32_e32 v38, v38, v42
	v_sub_f32_e32 v41, v36, v41
	v_sub_f32_e32 v36, v38, v36
	v_add_f32_e32 v32, v32, v36
	v_sub_f32_e32 v35, v41, v35
	v_add_f32_e32 v32, v35, v32
	v_add_f32_e32 v35, v37, v39
	;; [unrolled: 1-line block ×3, first 2 shown]
	v_sub_f32_e32 v36, v35, v37
	v_mul_f32_e32 v32, v40, v32
	v_sub_f32_e32 v36, v39, v36
	v_add_f32_e32 v32, v36, v32
	v_cvt_f32_i32_e32 v31, v31
	v_add_f32_e32 v36, v35, v32
	v_mul_f32_e32 v37, v36, v36
	v_mov_b32_e32 v38, 0x3ecc95a3
	v_fmac_f32_e32 v38, 0x3e9b6dac, v37
	v_mov_b32_e32 v39, 0x3f2aaada
	v_fmac_f32_e32 v39, v37, v38
	v_mul_f32_e32 v38, 0x3f317218, v31
	v_fma_f32 v40, v31, s8, -v38
	v_fmac_f32_e32 v40, 0xb102e308, v31
	v_sub_f32_e32 v31, v36, v35
	v_sub_f32_e32 v31, v32, v31
	v_add_f32_e32 v32, v38, v40
	v_sub_f32_e32 v35, v32, v38
	v_ldexp_f32 v38, v36, 1
	v_mul_f32_e32 v36, v36, v37
	v_mul_f32_e32 v36, v36, v39
	v_add_f32_e32 v37, v38, v36
	v_sub_f32_e32 v38, v37, v38
	v_ldexp_f32 v31, v31, 1
	v_sub_f32_e32 v36, v36, v38
	v_add_f32_e32 v31, v31, v36
	v_add_f32_e32 v36, v37, v31
	v_sub_f32_e32 v37, v36, v37
	v_sub_f32_e32 v31, v31, v37
	v_add_f32_e32 v37, v32, v36
	v_sub_f32_e32 v38, v37, v32
	v_sub_f32_e32 v39, v37, v38
	;; [unrolled: 1-line block ×5, first 2 shown]
	v_add_f32_e32 v32, v36, v32
	v_add_f32_e32 v36, v35, v31
	v_sub_f32_e32 v38, v36, v35
	v_sub_f32_e32 v39, v36, v38
	v_sub_f32_e32 v35, v35, v39
	v_sub_f32_e32 v31, v31, v38
	v_add_f32_e32 v32, v36, v32
	v_add_f32_e32 v31, v31, v35
	;; [unrolled: 1-line block ×3, first 2 shown]
	v_sub_f32_e32 v36, v35, v37
	v_sub_f32_e32 v32, v32, v36
	v_add_f32_e32 v31, v31, v32
	v_add_f32_e32 v31, v35, v31
	v_cmp_neq_f32_e32 vcc, s5, v34
	s_mov_b32 s5, 0x33800000
	v_cndmask_b32_e32 v31, v33, v31, vcc
	v_cmp_lt_f32_e64 vcc, |v34|, s5
	v_cndmask_b32_e32 v31, v31, v34, vcc
	v_add_f32_e32 v30, v30, v31
	v_cvt_f16_f32_e32 v31, v30
	v_cvt_f32_f16_e32 v32, v31
.LBB429_131:
	s_or_b64 exec, exec, s[2:3]
	ds_read_u16 v30, v8 offset:6
	v_max_f32_e32 v34, v32, v32
	v_cmp_u_f16_e32 vcc, v31, v31
	ds_write_b16 v8, v31 offset:4
	s_waitcnt lgkmcnt(1)
	v_cvt_f32_f16_e32 v33, v30
	v_min_f32_e32 v35, v34, v33
	v_max_f32_e32 v34, v34, v33
	v_cndmask_b32_e32 v35, v35, v32, vcc
	v_cndmask_b32_e32 v34, v34, v32, vcc
	v_cmp_u_f16_e32 vcc, v30, v30
	v_cndmask_b32_e32 v32, v35, v33, vcc
	v_cndmask_b32_e32 v30, v34, v33, vcc
	v_cmp_neq_f32_e32 vcc, v32, v30
	v_cmp_class_f32_e64 s[2:3], v32, s4
	s_or_b64 s[4:5], vcc, s[2:3]
	s_and_saveexec_b64 s[2:3], s[4:5]
	s_cbranch_execz .LBB429_133
; %bb.132:
	v_sub_f32_e32 v31, v32, v30
	s_mov_b32 s4, 0x3fb8aa3b
	v_mul_f32_e32 v32, 0x3fb8aa3b, v31
	v_fma_f32 v33, v31, s4, -v32
	v_rndne_f32_e32 v34, v32
	v_fmac_f32_e32 v33, 0x32a5705f, v31
	v_sub_f32_e32 v32, v32, v34
	v_add_f32_e32 v32, v32, v33
	v_exp_f32_e32 v32, v32
	v_cvt_i32_f32_e32 v33, v34
	s_mov_b32 s4, 0xc2ce8ed0
	v_cmp_ngt_f32_e32 vcc, s4, v31
	s_mov_b32 s4, 0x42b17218
	v_ldexp_f32 v32, v32, v33
	v_cndmask_b32_e32 v32, 0, v32, vcc
	v_mov_b32_e32 v33, 0x7f800000
	v_cmp_nlt_f32_e32 vcc, s4, v31
	v_cndmask_b32_e32 v34, v33, v32, vcc
	v_add_f32_e32 v35, 1.0, v34
	v_cvt_f64_f32_e32 v[31:32], v35
	v_add_f32_e32 v36, -1.0, v35
	v_sub_f32_e32 v37, v36, v35
	v_sub_f32_e32 v36, v34, v36
	v_frexp_exp_i32_f64_e32 v31, v[31:32]
	v_add_f32_e32 v32, 1.0, v37
	v_add_f32_e32 v32, v36, v32
	v_frexp_mant_f32_e32 v36, v35
	s_mov_b32 s5, 0x3f2aaaab
	v_cmp_gt_f32_e32 vcc, s5, v36
	s_mov_b32 s5, 0x3f317218
	s_mov_b32 s4, 0x7f800000
	v_subbrev_co_u32_e32 v31, vcc, 0, v31, vcc
	v_sub_u32_e32 v36, 0, v31
	v_ldexp_f32 v35, v35, v36
	v_ldexp_f32 v32, v32, v36
	v_add_f32_e32 v36, -1.0, v35
	v_add_f32_e32 v39, 1.0, v35
	v_add_f32_e32 v37, 1.0, v36
	v_add_f32_e32 v40, -1.0, v39
	v_sub_f32_e32 v37, v35, v37
	v_sub_f32_e32 v35, v35, v40
	v_add_f32_e32 v37, v32, v37
	v_add_f32_e32 v32, v32, v35
	;; [unrolled: 1-line block ×3, first 2 shown]
	v_rcp_f32_e32 v40, v35
	v_add_f32_e32 v38, v36, v37
	v_sub_f32_e32 v36, v36, v38
	v_add_f32_e32 v36, v37, v36
	v_sub_f32_e32 v37, v39, v35
	v_add_f32_e32 v32, v32, v37
	v_mul_f32_e32 v37, v38, v40
	v_mul_f32_e32 v39, v35, v37
	v_fma_f32 v41, v37, v35, -v39
	v_fmac_f32_e32 v41, v37, v32
	v_add_f32_e32 v42, v39, v41
	v_sub_f32_e32 v43, v38, v42
	v_sub_f32_e32 v38, v38, v43
	;; [unrolled: 1-line block ×4, first 2 shown]
	v_add_f32_e32 v36, v36, v38
	v_sub_f32_e32 v38, v39, v41
	v_add_f32_e32 v36, v38, v36
	v_add_f32_e32 v38, v43, v36
	v_mul_f32_e32 v39, v40, v38
	v_mul_f32_e32 v41, v35, v39
	v_fma_f32 v35, v39, v35, -v41
	v_fmac_f32_e32 v35, v39, v32
	v_sub_f32_e32 v32, v43, v38
	v_add_f32_e32 v32, v36, v32
	v_add_f32_e32 v36, v41, v35
	v_sub_f32_e32 v42, v38, v36
	v_sub_f32_e32 v38, v38, v42
	;; [unrolled: 1-line block ×4, first 2 shown]
	v_add_f32_e32 v32, v32, v36
	v_sub_f32_e32 v35, v41, v35
	v_add_f32_e32 v32, v35, v32
	v_add_f32_e32 v35, v37, v39
	;; [unrolled: 1-line block ×3, first 2 shown]
	v_sub_f32_e32 v36, v35, v37
	v_mul_f32_e32 v32, v40, v32
	v_sub_f32_e32 v36, v39, v36
	v_add_f32_e32 v32, v36, v32
	v_cvt_f32_i32_e32 v31, v31
	v_add_f32_e32 v36, v35, v32
	v_mul_f32_e32 v37, v36, v36
	v_mov_b32_e32 v38, 0x3ecc95a3
	v_fmac_f32_e32 v38, 0x3e9b6dac, v37
	v_mov_b32_e32 v39, 0x3f2aaada
	v_fmac_f32_e32 v39, v37, v38
	v_mul_f32_e32 v38, 0x3f317218, v31
	v_fma_f32 v40, v31, s5, -v38
	v_fmac_f32_e32 v40, 0xb102e308, v31
	v_sub_f32_e32 v31, v36, v35
	v_sub_f32_e32 v31, v32, v31
	v_add_f32_e32 v32, v38, v40
	v_sub_f32_e32 v35, v32, v38
	v_ldexp_f32 v38, v36, 1
	v_mul_f32_e32 v36, v36, v37
	v_mul_f32_e32 v36, v36, v39
	v_add_f32_e32 v37, v38, v36
	v_sub_f32_e32 v38, v37, v38
	v_ldexp_f32 v31, v31, 1
	v_sub_f32_e32 v36, v36, v38
	v_add_f32_e32 v31, v31, v36
	v_add_f32_e32 v36, v37, v31
	v_sub_f32_e32 v37, v36, v37
	v_sub_f32_e32 v31, v31, v37
	v_add_f32_e32 v37, v32, v36
	v_sub_f32_e32 v38, v37, v32
	v_sub_f32_e32 v39, v37, v38
	;; [unrolled: 1-line block ×5, first 2 shown]
	v_add_f32_e32 v32, v36, v32
	v_add_f32_e32 v36, v35, v31
	v_sub_f32_e32 v38, v36, v35
	v_sub_f32_e32 v39, v36, v38
	;; [unrolled: 1-line block ×4, first 2 shown]
	v_add_f32_e32 v32, v36, v32
	v_add_f32_e32 v31, v31, v35
	;; [unrolled: 1-line block ×3, first 2 shown]
	v_sub_f32_e32 v36, v35, v37
	v_sub_f32_e32 v32, v32, v36
	v_add_f32_e32 v31, v31, v32
	v_add_f32_e32 v31, v35, v31
	v_cmp_neq_f32_e32 vcc, s4, v34
	s_mov_b32 s4, 0x33800000
	v_cndmask_b32_e32 v31, v33, v31, vcc
	v_cmp_lt_f32_e64 vcc, |v34|, s4
	v_cndmask_b32_e32 v31, v31, v34, vcc
	v_add_f32_e32 v30, v30, v31
	v_cvt_f16_f32_e32 v31, v30
.LBB429_133:
	s_or_b64 exec, exec, s[2:3]
	ds_write_b16 v8, v31 offset:6
.LBB429_134:
	s_or_b64 exec, exec, s[6:7]
	v_mul_u32_u24_e32 v8, 46, v0
	v_cmp_ne_u32_e32 vcc, 0, v0
	v_mov_b32_e32 v30, v1
	s_waitcnt lgkmcnt(0)
	s_barrier
	s_and_saveexec_b64 s[2:3], vcc
	s_cbranch_execz .LBB429_138
; %bb.135:
	v_add_u32_e32 v0, -1, v0
	v_lshrrev_b32_e32 v1, 4, v0
	v_and_b32_e32 v1, 0xffffffe, v1
	v_lshl_add_u32 v0, v0, 1, v1
	ds_read_u16 v1, v0
	v_max_f32_e32 v0, v14, v14
	s_movk_i32 s4, 0x1f8
	s_waitcnt lgkmcnt(0)
	v_cvt_f32_f16_e32 v31, v1
	v_cmp_u_f16_e32 vcc, v1, v1
	v_min_f32_e32 v28, v31, v0
	v_max_f32_e32 v0, v31, v0
	v_cndmask_b32_e32 v28, v28, v31, vcc
	v_cndmask_b32_e32 v0, v0, v31, vcc
	v_cndmask_b32_e64 v28, v28, v14, s[94:95]
	v_cndmask_b32_e64 v0, v0, v14, s[94:95]
	v_cmp_neq_f32_e32 vcc, v28, v0
	v_cmp_class_f32_e64 s[4:5], v28, s4
	s_or_b64 s[6:7], vcc, s[4:5]
	s_and_saveexec_b64 s[4:5], s[6:7]
	s_cbranch_execz .LBB429_137
; %bb.136:
	v_sub_f32_e32 v1, v28, v0
	s_mov_b32 s6, 0x3fb8aa3b
	v_mul_f32_e32 v14, 0x3fb8aa3b, v1
	v_fma_f32 v28, v1, s6, -v14
	v_rndne_f32_e32 v29, v14
	v_fmac_f32_e32 v28, 0x32a5705f, v1
	v_sub_f32_e32 v14, v14, v29
	v_add_f32_e32 v14, v14, v28
	v_exp_f32_e32 v14, v14
	v_cvt_i32_f32_e32 v28, v29
	s_mov_b32 s6, 0xc2ce8ed0
	v_cmp_ngt_f32_e32 vcc, s6, v1
	s_mov_b32 s6, 0x42b17218
	v_ldexp_f32 v14, v14, v28
	v_cndmask_b32_e32 v14, 0, v14, vcc
	v_mov_b32_e32 v30, 0x7f800000
	v_cmp_nlt_f32_e32 vcc, s6, v1
	v_cndmask_b32_e32 v1, v30, v14, vcc
	v_add_f32_e32 v14, 1.0, v1
	v_cvt_f64_f32_e32 v[28:29], v14
	v_add_f32_e32 v31, -1.0, v14
	v_sub_f32_e32 v32, v31, v14
	v_sub_f32_e32 v31, v1, v31
	v_frexp_exp_i32_f64_e32 v28, v[28:29]
	v_add_f32_e32 v29, 1.0, v32
	v_add_f32_e32 v29, v31, v29
	v_frexp_mant_f32_e32 v31, v14
	s_mov_b32 s7, 0x3f2aaaab
	v_cmp_gt_f32_e32 vcc, s7, v31
	s_mov_b32 s7, 0x3f317218
	s_mov_b32 s6, 0x7f800000
	v_subbrev_co_u32_e32 v28, vcc, 0, v28, vcc
	v_sub_u32_e32 v31, 0, v28
	v_ldexp_f32 v14, v14, v31
	v_ldexp_f32 v29, v29, v31
	v_add_f32_e32 v31, -1.0, v14
	v_add_f32_e32 v34, 1.0, v14
	v_add_f32_e32 v32, 1.0, v31
	v_add_f32_e32 v35, -1.0, v34
	v_sub_f32_e32 v32, v14, v32
	v_sub_f32_e32 v14, v14, v35
	v_add_f32_e32 v14, v29, v14
	v_add_f32_e32 v32, v29, v32
	;; [unrolled: 1-line block ×3, first 2 shown]
	v_rcp_f32_e32 v35, v29
	v_add_f32_e32 v33, v31, v32
	v_sub_f32_e32 v31, v31, v33
	v_add_f32_e32 v31, v32, v31
	v_sub_f32_e32 v32, v34, v29
	v_add_f32_e32 v14, v14, v32
	v_mul_f32_e32 v32, v33, v35
	v_mul_f32_e32 v34, v29, v32
	v_fma_f32 v36, v32, v29, -v34
	v_fmac_f32_e32 v36, v32, v14
	v_add_f32_e32 v37, v34, v36
	v_sub_f32_e32 v38, v33, v37
	v_sub_f32_e32 v33, v33, v38
	;; [unrolled: 1-line block ×4, first 2 shown]
	v_add_f32_e32 v31, v31, v33
	v_sub_f32_e32 v33, v34, v36
	v_add_f32_e32 v31, v33, v31
	v_add_f32_e32 v33, v38, v31
	v_mul_f32_e32 v34, v35, v33
	v_mul_f32_e32 v36, v29, v34
	v_fma_f32 v29, v34, v29, -v36
	v_fmac_f32_e32 v29, v34, v14
	v_sub_f32_e32 v14, v38, v33
	v_add_f32_e32 v14, v31, v14
	v_add_f32_e32 v31, v36, v29
	v_sub_f32_e32 v37, v33, v31
	v_sub_f32_e32 v33, v33, v37
	;; [unrolled: 1-line block ×4, first 2 shown]
	v_add_f32_e32 v14, v14, v31
	v_sub_f32_e32 v29, v36, v29
	v_add_f32_e32 v14, v29, v14
	v_add_f32_e32 v29, v32, v34
	;; [unrolled: 1-line block ×3, first 2 shown]
	v_sub_f32_e32 v31, v29, v32
	v_mul_f32_e32 v14, v35, v14
	v_sub_f32_e32 v31, v34, v31
	v_add_f32_e32 v14, v31, v14
	v_cvt_f32_i32_e32 v28, v28
	v_add_f32_e32 v31, v29, v14
	v_mul_f32_e32 v32, v31, v31
	v_mov_b32_e32 v33, 0x3ecc95a3
	v_fmac_f32_e32 v33, 0x3e9b6dac, v32
	v_mov_b32_e32 v34, 0x3f2aaada
	v_fmac_f32_e32 v34, v32, v33
	v_mul_f32_e32 v33, 0x3f317218, v28
	v_fma_f32 v35, v28, s7, -v33
	v_fmac_f32_e32 v35, 0xb102e308, v28
	v_sub_f32_e32 v28, v31, v29
	v_sub_f32_e32 v14, v14, v28
	v_add_f32_e32 v28, v33, v35
	v_sub_f32_e32 v29, v28, v33
	v_ldexp_f32 v33, v31, 1
	v_mul_f32_e32 v31, v31, v32
	v_mul_f32_e32 v31, v31, v34
	v_add_f32_e32 v32, v33, v31
	v_sub_f32_e32 v33, v32, v33
	v_ldexp_f32 v14, v14, 1
	v_sub_f32_e32 v31, v31, v33
	v_add_f32_e32 v14, v14, v31
	v_add_f32_e32 v31, v32, v14
	v_sub_f32_e32 v32, v31, v32
	v_sub_f32_e32 v14, v14, v32
	v_add_f32_e32 v32, v28, v31
	v_sub_f32_e32 v33, v32, v28
	v_sub_f32_e32 v34, v32, v33
	;; [unrolled: 1-line block ×5, first 2 shown]
	v_add_f32_e32 v28, v31, v28
	v_add_f32_e32 v31, v29, v14
	v_sub_f32_e32 v33, v31, v29
	v_sub_f32_e32 v34, v31, v33
	;; [unrolled: 1-line block ×4, first 2 shown]
	v_add_f32_e32 v28, v31, v28
	v_add_f32_e32 v14, v14, v29
	v_add_f32_e32 v29, v32, v28
	v_sub_f32_e32 v31, v29, v32
	v_sub_f32_e32 v28, v28, v31
	v_add_f32_e32 v14, v14, v28
	v_add_f32_e32 v14, v29, v14
	v_cmp_neq_f32_e32 vcc, s6, v1
	s_mov_b32 s6, 0x33800000
	v_cndmask_b32_e32 v14, v30, v14, vcc
	v_cmp_lt_f32_e64 vcc, |v1|, s6
	v_cndmask_b32_e32 v1, v14, v1, vcc
	v_add_f32_e32 v0, v0, v1
	v_cvt_f16_f32_e32 v1, v0
	v_cvt_f32_f16_e32 v31, v1
.LBB429_137:
	s_or_b64 exec, exec, s[4:5]
	v_max_f32_e32 v0, v15, v15
	v_max_f32_e32 v14, v31, v31
	v_min_f32_e32 v28, v14, v0
	v_max_f32_e32 v29, v14, v0
	v_mov_b32_e32 v30, v1
	v_mov_b32_e32 v14, v31
	;;#ASMSTART
	;;#ASMEND
.LBB429_138:
	s_or_b64 exec, exec, s[2:3]
	v_cmp_u_f16_e32 vcc, v30, v30
	v_cndmask_b32_e32 v0, v28, v14, vcc
	v_cndmask_b32_e64 v28, v0, v15, s[48:49]
	v_cndmask_b32_e32 v0, v29, v14, vcc
	v_cndmask_b32_e64 v15, v0, v15, s[48:49]
	s_movk_i32 s4, 0x1f8
	v_cmp_neq_f32_e32 vcc, v28, v15
	v_cmp_class_f32_e64 s[2:3], v28, s4
	s_or_b64 s[6:7], vcc, s[2:3]
	v_mov_b32_e32 v0, v1
	s_and_saveexec_b64 s[2:3], s[6:7]
	s_cbranch_execz .LBB429_140
; %bb.139:
	v_sub_f32_e32 v0, v28, v15
	s_mov_b32 s5, 0x3fb8aa3b
	v_mul_f32_e32 v14, 0x3fb8aa3b, v0
	v_fma_f32 v28, v0, s5, -v14
	v_rndne_f32_e32 v29, v14
	v_fmac_f32_e32 v28, 0x32a5705f, v0
	v_sub_f32_e32 v14, v14, v29
	v_add_f32_e32 v14, v14, v28
	v_exp_f32_e32 v14, v14
	v_cvt_i32_f32_e32 v28, v29
	s_mov_b32 s5, 0xc2ce8ed0
	v_cmp_ngt_f32_e32 vcc, s5, v0
	s_mov_b32 s5, 0x42b17218
	v_ldexp_f32 v14, v14, v28
	v_cndmask_b32_e32 v14, 0, v14, vcc
	v_mov_b32_e32 v30, 0x7f800000
	v_cmp_nlt_f32_e32 vcc, s5, v0
	v_cndmask_b32_e32 v0, v30, v14, vcc
	v_add_f32_e32 v14, 1.0, v0
	v_cvt_f64_f32_e32 v[28:29], v14
	v_add_f32_e32 v31, -1.0, v14
	v_sub_f32_e32 v32, v31, v14
	v_sub_f32_e32 v31, v0, v31
	v_frexp_exp_i32_f64_e32 v28, v[28:29]
	v_add_f32_e32 v29, 1.0, v32
	v_add_f32_e32 v29, v31, v29
	v_frexp_mant_f32_e32 v31, v14
	s_mov_b32 s6, 0x3f2aaaab
	v_cmp_gt_f32_e32 vcc, s6, v31
	s_mov_b32 s6, 0x3f317218
	s_mov_b32 s5, 0x7f800000
	v_subbrev_co_u32_e32 v28, vcc, 0, v28, vcc
	v_sub_u32_e32 v31, 0, v28
	v_ldexp_f32 v14, v14, v31
	v_ldexp_f32 v29, v29, v31
	v_add_f32_e32 v31, -1.0, v14
	v_add_f32_e32 v34, 1.0, v14
	v_add_f32_e32 v32, 1.0, v31
	v_add_f32_e32 v35, -1.0, v34
	v_sub_f32_e32 v32, v14, v32
	v_sub_f32_e32 v14, v14, v35
	v_add_f32_e32 v14, v29, v14
	v_add_f32_e32 v32, v29, v32
	;; [unrolled: 1-line block ×3, first 2 shown]
	v_rcp_f32_e32 v35, v29
	v_add_f32_e32 v33, v31, v32
	v_sub_f32_e32 v31, v31, v33
	v_add_f32_e32 v31, v32, v31
	v_sub_f32_e32 v32, v34, v29
	v_add_f32_e32 v14, v14, v32
	v_mul_f32_e32 v32, v33, v35
	v_mul_f32_e32 v34, v29, v32
	v_fma_f32 v36, v32, v29, -v34
	v_fmac_f32_e32 v36, v32, v14
	v_add_f32_e32 v37, v34, v36
	v_sub_f32_e32 v38, v33, v37
	v_sub_f32_e32 v33, v33, v38
	;; [unrolled: 1-line block ×4, first 2 shown]
	v_add_f32_e32 v31, v31, v33
	v_sub_f32_e32 v33, v34, v36
	v_add_f32_e32 v31, v33, v31
	v_add_f32_e32 v33, v38, v31
	v_mul_f32_e32 v34, v35, v33
	v_mul_f32_e32 v36, v29, v34
	v_fma_f32 v29, v34, v29, -v36
	v_fmac_f32_e32 v29, v34, v14
	v_sub_f32_e32 v14, v38, v33
	v_add_f32_e32 v14, v31, v14
	v_add_f32_e32 v31, v36, v29
	v_sub_f32_e32 v37, v33, v31
	v_sub_f32_e32 v33, v33, v37
	;; [unrolled: 1-line block ×4, first 2 shown]
	v_add_f32_e32 v14, v14, v31
	v_sub_f32_e32 v29, v36, v29
	v_add_f32_e32 v14, v29, v14
	v_add_f32_e32 v29, v32, v34
	;; [unrolled: 1-line block ×3, first 2 shown]
	v_sub_f32_e32 v31, v29, v32
	v_mul_f32_e32 v14, v35, v14
	v_sub_f32_e32 v31, v34, v31
	v_add_f32_e32 v14, v31, v14
	v_cvt_f32_i32_e32 v28, v28
	v_add_f32_e32 v31, v29, v14
	v_mul_f32_e32 v32, v31, v31
	v_mov_b32_e32 v33, 0x3ecc95a3
	v_fmac_f32_e32 v33, 0x3e9b6dac, v32
	v_mov_b32_e32 v34, 0x3f2aaada
	v_fmac_f32_e32 v34, v32, v33
	v_mul_f32_e32 v33, 0x3f317218, v28
	v_fma_f32 v35, v28, s6, -v33
	v_fmac_f32_e32 v35, 0xb102e308, v28
	v_sub_f32_e32 v28, v31, v29
	v_sub_f32_e32 v14, v14, v28
	v_add_f32_e32 v28, v33, v35
	v_sub_f32_e32 v29, v28, v33
	v_ldexp_f32 v33, v31, 1
	v_mul_f32_e32 v31, v31, v32
	v_mul_f32_e32 v31, v31, v34
	v_add_f32_e32 v32, v33, v31
	v_sub_f32_e32 v33, v32, v33
	v_ldexp_f32 v14, v14, 1
	v_sub_f32_e32 v31, v31, v33
	v_add_f32_e32 v14, v14, v31
	v_add_f32_e32 v31, v32, v14
	v_sub_f32_e32 v32, v31, v32
	v_sub_f32_e32 v14, v14, v32
	v_add_f32_e32 v32, v28, v31
	v_sub_f32_e32 v33, v32, v28
	v_sub_f32_e32 v34, v32, v33
	;; [unrolled: 1-line block ×5, first 2 shown]
	v_add_f32_e32 v28, v31, v28
	v_add_f32_e32 v31, v29, v14
	v_sub_f32_e32 v33, v31, v29
	v_sub_f32_e32 v34, v31, v33
	;; [unrolled: 1-line block ×4, first 2 shown]
	v_add_f32_e32 v28, v31, v28
	v_add_f32_e32 v14, v14, v29
	;; [unrolled: 1-line block ×3, first 2 shown]
	v_sub_f32_e32 v31, v29, v32
	v_sub_f32_e32 v28, v28, v31
	v_add_f32_e32 v14, v14, v28
	v_add_f32_e32 v14, v29, v14
	v_cmp_neq_f32_e32 vcc, s5, v0
	s_mov_b32 s5, 0x33800000
	v_cndmask_b32_e32 v14, v30, v14, vcc
	v_cmp_lt_f32_e64 vcc, |v0|, s5
	v_cndmask_b32_e32 v0, v14, v0, vcc
	v_add_f32_e32 v0, v15, v0
	v_cvt_f16_f32_e32 v30, v0
	v_cvt_f32_f16_e32 v14, v30
	v_mov_b32_e32 v0, v30
.LBB429_140:
	s_or_b64 exec, exec, s[2:3]
	v_max_f32_e32 v15, v16, v16
	v_max_f32_e32 v29, v14, v14
	v_min_f32_e32 v28, v29, v15
	v_cmp_u_f16_e32 vcc, v30, v30
	v_max_f32_e32 v15, v29, v15
	v_cndmask_b32_e32 v28, v28, v14, vcc
	v_cndmask_b32_e32 v15, v15, v14, vcc
	v_cndmask_b32_e64 v28, v28, v16, s[50:51]
	v_cndmask_b32_e64 v16, v15, v16, s[50:51]
	v_cmp_neq_f32_e32 vcc, v28, v16
	v_cmp_class_f32_e64 s[2:3], v28, s4
	s_or_b64 s[4:5], vcc, s[2:3]
	v_mov_b32_e32 v15, v0
	s_and_saveexec_b64 s[2:3], s[4:5]
	s_cbranch_execz .LBB429_142
; %bb.141:
	v_sub_f32_e32 v14, v28, v16
	s_mov_b32 s4, 0x3fb8aa3b
	v_mul_f32_e32 v15, 0x3fb8aa3b, v14
	v_fma_f32 v28, v14, s4, -v15
	v_rndne_f32_e32 v29, v15
	v_fmac_f32_e32 v28, 0x32a5705f, v14
	v_sub_f32_e32 v15, v15, v29
	v_add_f32_e32 v15, v15, v28
	v_exp_f32_e32 v15, v15
	v_cvt_i32_f32_e32 v28, v29
	s_mov_b32 s4, 0xc2ce8ed0
	v_cmp_ngt_f32_e32 vcc, s4, v14
	s_mov_b32 s4, 0x42b17218
	v_ldexp_f32 v15, v15, v28
	v_cndmask_b32_e32 v15, 0, v15, vcc
	v_mov_b32_e32 v28, 0x7f800000
	v_cmp_nlt_f32_e32 vcc, s4, v14
	v_cndmask_b32_e32 v29, v28, v15, vcc
	v_add_f32_e32 v30, 1.0, v29
	v_cvt_f64_f32_e32 v[14:15], v30
	v_add_f32_e32 v31, -1.0, v30
	v_sub_f32_e32 v32, v31, v30
	v_sub_f32_e32 v31, v29, v31
	v_frexp_exp_i32_f64_e32 v14, v[14:15]
	v_add_f32_e32 v15, 1.0, v32
	v_add_f32_e32 v15, v31, v15
	v_frexp_mant_f32_e32 v31, v30
	s_mov_b32 s5, 0x3f2aaaab
	v_cmp_gt_f32_e32 vcc, s5, v31
	s_mov_b32 s5, 0x3f317218
	s_mov_b32 s4, 0x7f800000
	v_subbrev_co_u32_e32 v14, vcc, 0, v14, vcc
	v_sub_u32_e32 v31, 0, v14
	v_ldexp_f32 v30, v30, v31
	v_ldexp_f32 v15, v15, v31
	v_add_f32_e32 v31, -1.0, v30
	v_add_f32_e32 v34, 1.0, v30
	v_add_f32_e32 v32, 1.0, v31
	v_add_f32_e32 v35, -1.0, v34
	v_sub_f32_e32 v32, v30, v32
	v_sub_f32_e32 v30, v30, v35
	v_add_f32_e32 v32, v15, v32
	v_add_f32_e32 v15, v15, v30
	;; [unrolled: 1-line block ×3, first 2 shown]
	v_rcp_f32_e32 v35, v30
	v_add_f32_e32 v33, v31, v32
	v_sub_f32_e32 v31, v31, v33
	v_add_f32_e32 v31, v32, v31
	v_sub_f32_e32 v32, v34, v30
	v_add_f32_e32 v15, v15, v32
	v_mul_f32_e32 v32, v33, v35
	v_mul_f32_e32 v34, v30, v32
	v_fma_f32 v36, v32, v30, -v34
	v_fmac_f32_e32 v36, v32, v15
	v_add_f32_e32 v37, v34, v36
	v_sub_f32_e32 v38, v33, v37
	v_sub_f32_e32 v33, v33, v38
	;; [unrolled: 1-line block ×4, first 2 shown]
	v_add_f32_e32 v31, v31, v33
	v_sub_f32_e32 v33, v34, v36
	v_add_f32_e32 v31, v33, v31
	v_add_f32_e32 v33, v38, v31
	v_mul_f32_e32 v34, v35, v33
	v_mul_f32_e32 v36, v30, v34
	v_fma_f32 v30, v34, v30, -v36
	v_fmac_f32_e32 v30, v34, v15
	v_sub_f32_e32 v15, v38, v33
	v_add_f32_e32 v15, v31, v15
	v_add_f32_e32 v31, v36, v30
	v_sub_f32_e32 v37, v33, v31
	v_sub_f32_e32 v33, v33, v37
	;; [unrolled: 1-line block ×4, first 2 shown]
	v_add_f32_e32 v15, v15, v31
	v_sub_f32_e32 v30, v36, v30
	v_add_f32_e32 v15, v30, v15
	v_add_f32_e32 v30, v32, v34
	;; [unrolled: 1-line block ×3, first 2 shown]
	v_sub_f32_e32 v31, v30, v32
	v_mul_f32_e32 v15, v35, v15
	v_sub_f32_e32 v31, v34, v31
	v_add_f32_e32 v15, v31, v15
	v_cvt_f32_i32_e32 v14, v14
	v_add_f32_e32 v31, v30, v15
	v_mul_f32_e32 v32, v31, v31
	v_mov_b32_e32 v33, 0x3ecc95a3
	v_fmac_f32_e32 v33, 0x3e9b6dac, v32
	v_mov_b32_e32 v34, 0x3f2aaada
	v_fmac_f32_e32 v34, v32, v33
	v_mul_f32_e32 v33, 0x3f317218, v14
	v_fma_f32 v35, v14, s5, -v33
	v_fmac_f32_e32 v35, 0xb102e308, v14
	v_sub_f32_e32 v14, v31, v30
	v_sub_f32_e32 v14, v15, v14
	v_add_f32_e32 v15, v33, v35
	v_sub_f32_e32 v30, v15, v33
	v_ldexp_f32 v33, v31, 1
	v_mul_f32_e32 v31, v31, v32
	v_mul_f32_e32 v31, v31, v34
	v_add_f32_e32 v32, v33, v31
	v_sub_f32_e32 v33, v32, v33
	v_ldexp_f32 v14, v14, 1
	v_sub_f32_e32 v31, v31, v33
	v_add_f32_e32 v14, v14, v31
	v_add_f32_e32 v31, v32, v14
	v_sub_f32_e32 v32, v31, v32
	v_sub_f32_e32 v14, v14, v32
	v_add_f32_e32 v32, v15, v31
	v_sub_f32_e32 v33, v32, v15
	v_sub_f32_e32 v34, v32, v33
	;; [unrolled: 1-line block ×5, first 2 shown]
	v_add_f32_e32 v15, v31, v15
	v_add_f32_e32 v31, v30, v14
	v_sub_f32_e32 v33, v31, v30
	v_sub_f32_e32 v34, v31, v33
	;; [unrolled: 1-line block ×4, first 2 shown]
	v_add_f32_e32 v15, v31, v15
	v_add_f32_e32 v14, v14, v30
	;; [unrolled: 1-line block ×3, first 2 shown]
	v_sub_f32_e32 v31, v30, v32
	v_sub_f32_e32 v15, v15, v31
	v_add_f32_e32 v14, v14, v15
	v_add_f32_e32 v14, v30, v14
	v_cmp_neq_f32_e32 vcc, s4, v29
	s_mov_b32 s4, 0x33800000
	v_cndmask_b32_e32 v14, v28, v14, vcc
	v_cmp_lt_f32_e64 vcc, |v29|, s4
	v_cndmask_b32_e32 v14, v14, v29, vcc
	v_add_f32_e32 v14, v16, v14
	v_cvt_f16_f32_e32 v30, v14
	v_cvt_f32_f16_e32 v14, v30
	v_mov_b32_e32 v15, v30
.LBB429_142:
	s_or_b64 exec, exec, s[2:3]
	v_max_f32_e32 v16, v17, v17
	v_max_f32_e32 v29, v14, v14
	v_min_f32_e32 v28, v29, v16
	v_cmp_u_f16_e32 vcc, v30, v30
	v_max_f32_e32 v16, v29, v16
	v_cndmask_b32_e32 v28, v28, v14, vcc
	v_cndmask_b32_e32 v16, v16, v14, vcc
	v_cndmask_b32_e64 v28, v28, v17, s[52:53]
	v_cndmask_b32_e64 v17, v16, v17, s[52:53]
	s_movk_i32 s4, 0x1f8
	v_cmp_neq_f32_e32 vcc, v28, v17
	v_cmp_class_f32_e64 s[2:3], v28, s4
	s_or_b64 s[6:7], vcc, s[2:3]
	v_mov_b32_e32 v16, v15
	s_and_saveexec_b64 s[2:3], s[6:7]
	s_cbranch_execz .LBB429_144
; %bb.143:
	v_sub_f32_e32 v14, v28, v17
	s_mov_b32 s5, 0x3fb8aa3b
	v_mul_f32_e32 v16, 0x3fb8aa3b, v14
	v_fma_f32 v28, v14, s5, -v16
	v_rndne_f32_e32 v29, v16
	v_fmac_f32_e32 v28, 0x32a5705f, v14
	v_sub_f32_e32 v16, v16, v29
	v_add_f32_e32 v16, v16, v28
	v_exp_f32_e32 v16, v16
	v_cvt_i32_f32_e32 v28, v29
	s_mov_b32 s5, 0xc2ce8ed0
	v_cmp_ngt_f32_e32 vcc, s5, v14
	s_mov_b32 s5, 0x42b17218
	v_ldexp_f32 v16, v16, v28
	v_cndmask_b32_e32 v16, 0, v16, vcc
	v_mov_b32_e32 v30, 0x7f800000
	v_cmp_nlt_f32_e32 vcc, s5, v14
	v_cndmask_b32_e32 v14, v30, v16, vcc
	v_add_f32_e32 v16, 1.0, v14
	v_cvt_f64_f32_e32 v[28:29], v16
	v_add_f32_e32 v31, -1.0, v16
	v_sub_f32_e32 v32, v31, v16
	v_sub_f32_e32 v31, v14, v31
	v_frexp_exp_i32_f64_e32 v28, v[28:29]
	v_add_f32_e32 v29, 1.0, v32
	v_add_f32_e32 v29, v31, v29
	v_frexp_mant_f32_e32 v31, v16
	s_mov_b32 s6, 0x3f2aaaab
	v_cmp_gt_f32_e32 vcc, s6, v31
	s_mov_b32 s6, 0x3f317218
	s_mov_b32 s5, 0x7f800000
	v_subbrev_co_u32_e32 v28, vcc, 0, v28, vcc
	v_sub_u32_e32 v31, 0, v28
	v_ldexp_f32 v16, v16, v31
	v_ldexp_f32 v29, v29, v31
	v_add_f32_e32 v31, -1.0, v16
	v_add_f32_e32 v34, 1.0, v16
	v_add_f32_e32 v32, 1.0, v31
	v_add_f32_e32 v35, -1.0, v34
	v_sub_f32_e32 v32, v16, v32
	v_sub_f32_e32 v16, v16, v35
	v_add_f32_e32 v16, v29, v16
	v_add_f32_e32 v32, v29, v32
	;; [unrolled: 1-line block ×3, first 2 shown]
	v_rcp_f32_e32 v35, v29
	v_add_f32_e32 v33, v31, v32
	v_sub_f32_e32 v31, v31, v33
	v_add_f32_e32 v31, v32, v31
	v_sub_f32_e32 v32, v34, v29
	v_add_f32_e32 v16, v16, v32
	v_mul_f32_e32 v32, v33, v35
	v_mul_f32_e32 v34, v29, v32
	v_fma_f32 v36, v32, v29, -v34
	v_fmac_f32_e32 v36, v32, v16
	v_add_f32_e32 v37, v34, v36
	v_sub_f32_e32 v38, v33, v37
	v_sub_f32_e32 v33, v33, v38
	;; [unrolled: 1-line block ×4, first 2 shown]
	v_add_f32_e32 v31, v31, v33
	v_sub_f32_e32 v33, v34, v36
	v_add_f32_e32 v31, v33, v31
	v_add_f32_e32 v33, v38, v31
	v_mul_f32_e32 v34, v35, v33
	v_mul_f32_e32 v36, v29, v34
	v_fma_f32 v29, v34, v29, -v36
	v_fmac_f32_e32 v29, v34, v16
	v_sub_f32_e32 v16, v38, v33
	v_add_f32_e32 v16, v31, v16
	v_add_f32_e32 v31, v36, v29
	v_sub_f32_e32 v37, v33, v31
	v_sub_f32_e32 v33, v33, v37
	v_sub_f32_e32 v36, v31, v36
	v_sub_f32_e32 v31, v33, v31
	v_add_f32_e32 v16, v16, v31
	v_sub_f32_e32 v29, v36, v29
	v_add_f32_e32 v16, v29, v16
	v_add_f32_e32 v29, v32, v34
	;; [unrolled: 1-line block ×3, first 2 shown]
	v_sub_f32_e32 v31, v29, v32
	v_mul_f32_e32 v16, v35, v16
	v_sub_f32_e32 v31, v34, v31
	v_add_f32_e32 v16, v31, v16
	v_cvt_f32_i32_e32 v28, v28
	v_add_f32_e32 v31, v29, v16
	v_mul_f32_e32 v32, v31, v31
	v_mov_b32_e32 v33, 0x3ecc95a3
	v_fmac_f32_e32 v33, 0x3e9b6dac, v32
	v_mov_b32_e32 v34, 0x3f2aaada
	v_fmac_f32_e32 v34, v32, v33
	v_mul_f32_e32 v33, 0x3f317218, v28
	v_fma_f32 v35, v28, s6, -v33
	v_fmac_f32_e32 v35, 0xb102e308, v28
	v_sub_f32_e32 v28, v31, v29
	v_sub_f32_e32 v16, v16, v28
	v_add_f32_e32 v28, v33, v35
	v_sub_f32_e32 v29, v28, v33
	v_ldexp_f32 v33, v31, 1
	v_mul_f32_e32 v31, v31, v32
	v_mul_f32_e32 v31, v31, v34
	v_add_f32_e32 v32, v33, v31
	v_sub_f32_e32 v33, v32, v33
	v_ldexp_f32 v16, v16, 1
	v_sub_f32_e32 v31, v31, v33
	v_add_f32_e32 v16, v16, v31
	v_add_f32_e32 v31, v32, v16
	v_sub_f32_e32 v32, v31, v32
	v_sub_f32_e32 v16, v16, v32
	v_add_f32_e32 v32, v28, v31
	v_sub_f32_e32 v33, v32, v28
	v_sub_f32_e32 v34, v32, v33
	;; [unrolled: 1-line block ×5, first 2 shown]
	v_add_f32_e32 v28, v31, v28
	v_add_f32_e32 v31, v29, v16
	v_sub_f32_e32 v33, v31, v29
	v_sub_f32_e32 v34, v31, v33
	;; [unrolled: 1-line block ×4, first 2 shown]
	v_add_f32_e32 v28, v31, v28
	v_add_f32_e32 v16, v16, v29
	v_add_f32_e32 v29, v32, v28
	v_sub_f32_e32 v31, v29, v32
	v_sub_f32_e32 v28, v28, v31
	v_add_f32_e32 v16, v16, v28
	v_add_f32_e32 v16, v29, v16
	v_cmp_neq_f32_e32 vcc, s5, v14
	s_mov_b32 s5, 0x33800000
	v_cndmask_b32_e32 v16, v30, v16, vcc
	v_cmp_lt_f32_e64 vcc, |v14|, s5
	v_cndmask_b32_e32 v14, v16, v14, vcc
	v_add_f32_e32 v14, v17, v14
	v_cvt_f16_f32_e32 v30, v14
	v_cvt_f32_f16_e32 v14, v30
	v_mov_b32_e32 v16, v30
.LBB429_144:
	s_or_b64 exec, exec, s[2:3]
	v_max_f32_e32 v17, v2, v2
	v_max_f32_e32 v29, v14, v14
	v_min_f32_e32 v28, v29, v17
	v_cmp_u_f16_e32 vcc, v30, v30
	v_max_f32_e32 v17, v29, v17
	v_cndmask_b32_e32 v28, v28, v14, vcc
	v_cndmask_b32_e32 v17, v17, v14, vcc
	v_cndmask_b32_e64 v28, v28, v2, s[54:55]
	v_cndmask_b32_e64 v17, v17, v2, s[54:55]
	v_cmp_neq_f32_e32 vcc, v28, v17
	v_cmp_class_f32_e64 s[2:3], v28, s4
	s_or_b64 s[4:5], vcc, s[2:3]
	v_mov_b32_e32 v2, v16
	s_and_saveexec_b64 s[2:3], s[4:5]
	s_cbranch_execz .LBB429_146
; %bb.145:
	v_sub_f32_e32 v2, v28, v17
	s_mov_b32 s4, 0x3fb8aa3b
	v_mul_f32_e32 v14, 0x3fb8aa3b, v2
	v_fma_f32 v28, v2, s4, -v14
	v_rndne_f32_e32 v29, v14
	v_fmac_f32_e32 v28, 0x32a5705f, v2
	v_sub_f32_e32 v14, v14, v29
	v_add_f32_e32 v14, v14, v28
	v_exp_f32_e32 v14, v14
	v_cvt_i32_f32_e32 v28, v29
	s_mov_b32 s4, 0xc2ce8ed0
	v_cmp_ngt_f32_e32 vcc, s4, v2
	s_mov_b32 s4, 0x42b17218
	v_ldexp_f32 v14, v14, v28
	v_cndmask_b32_e32 v14, 0, v14, vcc
	v_mov_b32_e32 v30, 0x7f800000
	v_cmp_nlt_f32_e32 vcc, s4, v2
	v_cndmask_b32_e32 v2, v30, v14, vcc
	v_add_f32_e32 v14, 1.0, v2
	v_cvt_f64_f32_e32 v[28:29], v14
	v_add_f32_e32 v31, -1.0, v14
	v_sub_f32_e32 v32, v31, v14
	v_sub_f32_e32 v31, v2, v31
	v_frexp_exp_i32_f64_e32 v28, v[28:29]
	v_add_f32_e32 v29, 1.0, v32
	v_add_f32_e32 v29, v31, v29
	v_frexp_mant_f32_e32 v31, v14
	s_mov_b32 s5, 0x3f2aaaab
	v_cmp_gt_f32_e32 vcc, s5, v31
	s_mov_b32 s5, 0x3f317218
	s_mov_b32 s4, 0x7f800000
	v_subbrev_co_u32_e32 v28, vcc, 0, v28, vcc
	v_sub_u32_e32 v31, 0, v28
	v_ldexp_f32 v14, v14, v31
	v_ldexp_f32 v29, v29, v31
	v_add_f32_e32 v31, -1.0, v14
	v_add_f32_e32 v34, 1.0, v14
	v_add_f32_e32 v32, 1.0, v31
	v_add_f32_e32 v35, -1.0, v34
	v_sub_f32_e32 v32, v14, v32
	v_sub_f32_e32 v14, v14, v35
	v_add_f32_e32 v14, v29, v14
	v_add_f32_e32 v32, v29, v32
	;; [unrolled: 1-line block ×3, first 2 shown]
	v_rcp_f32_e32 v35, v29
	v_add_f32_e32 v33, v31, v32
	v_sub_f32_e32 v31, v31, v33
	v_add_f32_e32 v31, v32, v31
	v_sub_f32_e32 v32, v34, v29
	v_add_f32_e32 v14, v14, v32
	v_mul_f32_e32 v32, v33, v35
	v_mul_f32_e32 v34, v29, v32
	v_fma_f32 v36, v32, v29, -v34
	v_fmac_f32_e32 v36, v32, v14
	v_add_f32_e32 v37, v34, v36
	v_sub_f32_e32 v38, v33, v37
	v_sub_f32_e32 v33, v33, v38
	;; [unrolled: 1-line block ×4, first 2 shown]
	v_add_f32_e32 v31, v31, v33
	v_sub_f32_e32 v33, v34, v36
	v_add_f32_e32 v31, v33, v31
	v_add_f32_e32 v33, v38, v31
	v_mul_f32_e32 v34, v35, v33
	v_mul_f32_e32 v36, v29, v34
	v_fma_f32 v29, v34, v29, -v36
	v_fmac_f32_e32 v29, v34, v14
	v_sub_f32_e32 v14, v38, v33
	v_add_f32_e32 v14, v31, v14
	v_add_f32_e32 v31, v36, v29
	v_sub_f32_e32 v37, v33, v31
	v_sub_f32_e32 v33, v33, v37
	v_sub_f32_e32 v36, v31, v36
	v_sub_f32_e32 v31, v33, v31
	v_add_f32_e32 v14, v14, v31
	v_sub_f32_e32 v29, v36, v29
	v_add_f32_e32 v14, v29, v14
	v_add_f32_e32 v29, v32, v34
	;; [unrolled: 1-line block ×3, first 2 shown]
	v_sub_f32_e32 v31, v29, v32
	v_mul_f32_e32 v14, v35, v14
	v_sub_f32_e32 v31, v34, v31
	v_add_f32_e32 v14, v31, v14
	v_cvt_f32_i32_e32 v28, v28
	v_add_f32_e32 v31, v29, v14
	v_mul_f32_e32 v32, v31, v31
	v_mov_b32_e32 v33, 0x3ecc95a3
	v_fmac_f32_e32 v33, 0x3e9b6dac, v32
	v_mov_b32_e32 v34, 0x3f2aaada
	v_fmac_f32_e32 v34, v32, v33
	v_mul_f32_e32 v33, 0x3f317218, v28
	v_fma_f32 v35, v28, s5, -v33
	v_fmac_f32_e32 v35, 0xb102e308, v28
	v_sub_f32_e32 v28, v31, v29
	v_sub_f32_e32 v14, v14, v28
	v_add_f32_e32 v28, v33, v35
	v_sub_f32_e32 v29, v28, v33
	v_ldexp_f32 v33, v31, 1
	v_mul_f32_e32 v31, v31, v32
	v_mul_f32_e32 v31, v31, v34
	v_add_f32_e32 v32, v33, v31
	v_sub_f32_e32 v33, v32, v33
	v_ldexp_f32 v14, v14, 1
	v_sub_f32_e32 v31, v31, v33
	v_add_f32_e32 v14, v14, v31
	v_add_f32_e32 v31, v32, v14
	v_sub_f32_e32 v32, v31, v32
	v_sub_f32_e32 v14, v14, v32
	v_add_f32_e32 v32, v28, v31
	v_sub_f32_e32 v33, v32, v28
	v_sub_f32_e32 v34, v32, v33
	;; [unrolled: 1-line block ×5, first 2 shown]
	v_add_f32_e32 v28, v31, v28
	v_add_f32_e32 v31, v29, v14
	v_sub_f32_e32 v33, v31, v29
	v_sub_f32_e32 v34, v31, v33
	;; [unrolled: 1-line block ×4, first 2 shown]
	v_add_f32_e32 v28, v31, v28
	v_add_f32_e32 v14, v14, v29
	;; [unrolled: 1-line block ×3, first 2 shown]
	v_sub_f32_e32 v31, v29, v32
	v_sub_f32_e32 v28, v28, v31
	v_add_f32_e32 v14, v14, v28
	v_add_f32_e32 v14, v29, v14
	v_cmp_neq_f32_e32 vcc, s4, v2
	s_mov_b32 s4, 0x33800000
	v_cndmask_b32_e32 v14, v30, v14, vcc
	v_cmp_lt_f32_e64 vcc, |v2|, s4
	v_cndmask_b32_e32 v2, v14, v2, vcc
	v_add_f32_e32 v2, v17, v2
	v_cvt_f16_f32_e32 v30, v2
	v_cvt_f32_f16_e32 v14, v30
	v_mov_b32_e32 v2, v30
.LBB429_146:
	s_or_b64 exec, exec, s[2:3]
	v_max_f32_e32 v17, v18, v18
	v_max_f32_e32 v29, v14, v14
	v_min_f32_e32 v28, v29, v17
	v_cmp_u_f16_e32 vcc, v30, v30
	v_max_f32_e32 v17, v29, v17
	v_cndmask_b32_e32 v28, v28, v14, vcc
	v_cndmask_b32_e32 v17, v17, v14, vcc
	v_cndmask_b32_e64 v28, v28, v18, s[56:57]
	v_cndmask_b32_e64 v18, v17, v18, s[56:57]
	s_movk_i32 s4, 0x1f8
	v_cmp_neq_f32_e32 vcc, v28, v18
	v_cmp_class_f32_e64 s[2:3], v28, s4
	s_or_b64 s[6:7], vcc, s[2:3]
	v_mov_b32_e32 v17, v2
	s_and_saveexec_b64 s[2:3], s[6:7]
	s_cbranch_execz .LBB429_148
; %bb.147:
	v_sub_f32_e32 v14, v28, v18
	s_mov_b32 s5, 0x3fb8aa3b
	v_mul_f32_e32 v17, 0x3fb8aa3b, v14
	v_fma_f32 v28, v14, s5, -v17
	v_rndne_f32_e32 v29, v17
	v_fmac_f32_e32 v28, 0x32a5705f, v14
	v_sub_f32_e32 v17, v17, v29
	v_add_f32_e32 v17, v17, v28
	v_exp_f32_e32 v17, v17
	v_cvt_i32_f32_e32 v28, v29
	s_mov_b32 s5, 0xc2ce8ed0
	v_cmp_ngt_f32_e32 vcc, s5, v14
	s_mov_b32 s5, 0x42b17218
	v_ldexp_f32 v17, v17, v28
	v_cndmask_b32_e32 v17, 0, v17, vcc
	v_mov_b32_e32 v30, 0x7f800000
	v_cmp_nlt_f32_e32 vcc, s5, v14
	v_cndmask_b32_e32 v14, v30, v17, vcc
	v_add_f32_e32 v17, 1.0, v14
	v_cvt_f64_f32_e32 v[28:29], v17
	v_add_f32_e32 v31, -1.0, v17
	v_sub_f32_e32 v32, v31, v17
	v_sub_f32_e32 v31, v14, v31
	v_frexp_exp_i32_f64_e32 v28, v[28:29]
	v_add_f32_e32 v29, 1.0, v32
	v_add_f32_e32 v29, v31, v29
	v_frexp_mant_f32_e32 v31, v17
	s_mov_b32 s6, 0x3f2aaaab
	v_cmp_gt_f32_e32 vcc, s6, v31
	s_mov_b32 s6, 0x3f317218
	s_mov_b32 s5, 0x7f800000
	v_subbrev_co_u32_e32 v28, vcc, 0, v28, vcc
	v_sub_u32_e32 v31, 0, v28
	v_ldexp_f32 v17, v17, v31
	v_ldexp_f32 v29, v29, v31
	v_add_f32_e32 v31, -1.0, v17
	v_add_f32_e32 v34, 1.0, v17
	v_add_f32_e32 v32, 1.0, v31
	v_add_f32_e32 v35, -1.0, v34
	v_sub_f32_e32 v32, v17, v32
	v_sub_f32_e32 v17, v17, v35
	v_add_f32_e32 v17, v29, v17
	v_add_f32_e32 v32, v29, v32
	;; [unrolled: 1-line block ×3, first 2 shown]
	v_rcp_f32_e32 v35, v29
	v_add_f32_e32 v33, v31, v32
	v_sub_f32_e32 v31, v31, v33
	v_add_f32_e32 v31, v32, v31
	v_sub_f32_e32 v32, v34, v29
	v_add_f32_e32 v17, v17, v32
	v_mul_f32_e32 v32, v33, v35
	v_mul_f32_e32 v34, v29, v32
	v_fma_f32 v36, v32, v29, -v34
	v_fmac_f32_e32 v36, v32, v17
	v_add_f32_e32 v37, v34, v36
	v_sub_f32_e32 v38, v33, v37
	v_sub_f32_e32 v33, v33, v38
	v_sub_f32_e32 v34, v37, v34
	v_sub_f32_e32 v33, v33, v37
	v_add_f32_e32 v31, v31, v33
	v_sub_f32_e32 v33, v34, v36
	v_add_f32_e32 v31, v33, v31
	v_add_f32_e32 v33, v38, v31
	v_mul_f32_e32 v34, v35, v33
	v_mul_f32_e32 v36, v29, v34
	v_fma_f32 v29, v34, v29, -v36
	v_fmac_f32_e32 v29, v34, v17
	v_sub_f32_e32 v17, v38, v33
	v_add_f32_e32 v17, v31, v17
	v_add_f32_e32 v31, v36, v29
	v_sub_f32_e32 v37, v33, v31
	v_sub_f32_e32 v33, v33, v37
	;; [unrolled: 1-line block ×4, first 2 shown]
	v_add_f32_e32 v17, v17, v31
	v_sub_f32_e32 v29, v36, v29
	v_add_f32_e32 v17, v29, v17
	v_add_f32_e32 v29, v32, v34
	;; [unrolled: 1-line block ×3, first 2 shown]
	v_sub_f32_e32 v31, v29, v32
	v_mul_f32_e32 v17, v35, v17
	v_sub_f32_e32 v31, v34, v31
	v_add_f32_e32 v17, v31, v17
	v_cvt_f32_i32_e32 v28, v28
	v_add_f32_e32 v31, v29, v17
	v_mul_f32_e32 v32, v31, v31
	v_mov_b32_e32 v33, 0x3ecc95a3
	v_fmac_f32_e32 v33, 0x3e9b6dac, v32
	v_mov_b32_e32 v34, 0x3f2aaada
	v_fmac_f32_e32 v34, v32, v33
	v_mul_f32_e32 v33, 0x3f317218, v28
	v_fma_f32 v35, v28, s6, -v33
	v_fmac_f32_e32 v35, 0xb102e308, v28
	v_sub_f32_e32 v28, v31, v29
	v_sub_f32_e32 v17, v17, v28
	v_add_f32_e32 v28, v33, v35
	v_sub_f32_e32 v29, v28, v33
	v_ldexp_f32 v33, v31, 1
	v_mul_f32_e32 v31, v31, v32
	v_mul_f32_e32 v31, v31, v34
	v_add_f32_e32 v32, v33, v31
	v_sub_f32_e32 v33, v32, v33
	v_ldexp_f32 v17, v17, 1
	v_sub_f32_e32 v31, v31, v33
	v_add_f32_e32 v17, v17, v31
	v_add_f32_e32 v31, v32, v17
	v_sub_f32_e32 v32, v31, v32
	v_sub_f32_e32 v17, v17, v32
	v_add_f32_e32 v32, v28, v31
	v_sub_f32_e32 v33, v32, v28
	v_sub_f32_e32 v34, v32, v33
	;; [unrolled: 1-line block ×5, first 2 shown]
	v_add_f32_e32 v28, v31, v28
	v_add_f32_e32 v31, v29, v17
	v_sub_f32_e32 v33, v31, v29
	v_sub_f32_e32 v34, v31, v33
	v_sub_f32_e32 v29, v29, v34
	v_sub_f32_e32 v17, v17, v33
	v_add_f32_e32 v28, v31, v28
	v_add_f32_e32 v17, v17, v29
	;; [unrolled: 1-line block ×3, first 2 shown]
	v_sub_f32_e32 v31, v29, v32
	v_sub_f32_e32 v28, v28, v31
	v_add_f32_e32 v17, v17, v28
	v_add_f32_e32 v17, v29, v17
	v_cmp_neq_f32_e32 vcc, s5, v14
	s_mov_b32 s5, 0x33800000
	v_cndmask_b32_e32 v17, v30, v17, vcc
	v_cmp_lt_f32_e64 vcc, |v14|, s5
	v_cndmask_b32_e32 v14, v17, v14, vcc
	v_add_f32_e32 v14, v18, v14
	v_cvt_f16_f32_e32 v30, v14
	v_cvt_f32_f16_e32 v14, v30
	v_mov_b32_e32 v17, v30
.LBB429_148:
	s_or_b64 exec, exec, s[2:3]
	v_max_f32_e32 v18, v3, v3
	v_max_f32_e32 v29, v14, v14
	v_min_f32_e32 v28, v29, v18
	v_cmp_u_f16_e32 vcc, v30, v30
	v_max_f32_e32 v18, v29, v18
	v_cndmask_b32_e32 v28, v28, v14, vcc
	v_cndmask_b32_e32 v18, v18, v14, vcc
	v_cndmask_b32_e64 v28, v28, v3, s[58:59]
	v_cndmask_b32_e64 v18, v18, v3, s[58:59]
	v_cmp_neq_f32_e32 vcc, v28, v18
	v_cmp_class_f32_e64 s[2:3], v28, s4
	s_or_b64 s[4:5], vcc, s[2:3]
	v_mov_b32_e32 v3, v17
	s_and_saveexec_b64 s[2:3], s[4:5]
	s_cbranch_execz .LBB429_150
; %bb.149:
	v_sub_f32_e32 v3, v28, v18
	s_mov_b32 s4, 0x3fb8aa3b
	v_mul_f32_e32 v14, 0x3fb8aa3b, v3
	v_fma_f32 v28, v3, s4, -v14
	v_rndne_f32_e32 v29, v14
	v_fmac_f32_e32 v28, 0x32a5705f, v3
	v_sub_f32_e32 v14, v14, v29
	v_add_f32_e32 v14, v14, v28
	v_exp_f32_e32 v14, v14
	v_cvt_i32_f32_e32 v28, v29
	s_mov_b32 s4, 0xc2ce8ed0
	v_cmp_ngt_f32_e32 vcc, s4, v3
	s_mov_b32 s4, 0x42b17218
	v_ldexp_f32 v14, v14, v28
	v_cndmask_b32_e32 v14, 0, v14, vcc
	v_mov_b32_e32 v30, 0x7f800000
	v_cmp_nlt_f32_e32 vcc, s4, v3
	v_cndmask_b32_e32 v3, v30, v14, vcc
	v_add_f32_e32 v14, 1.0, v3
	v_cvt_f64_f32_e32 v[28:29], v14
	v_add_f32_e32 v31, -1.0, v14
	v_sub_f32_e32 v32, v31, v14
	v_sub_f32_e32 v31, v3, v31
	v_frexp_exp_i32_f64_e32 v28, v[28:29]
	v_add_f32_e32 v29, 1.0, v32
	v_add_f32_e32 v29, v31, v29
	v_frexp_mant_f32_e32 v31, v14
	s_mov_b32 s5, 0x3f2aaaab
	v_cmp_gt_f32_e32 vcc, s5, v31
	s_mov_b32 s5, 0x3f317218
	s_mov_b32 s4, 0x7f800000
	v_subbrev_co_u32_e32 v28, vcc, 0, v28, vcc
	v_sub_u32_e32 v31, 0, v28
	v_ldexp_f32 v14, v14, v31
	v_ldexp_f32 v29, v29, v31
	v_add_f32_e32 v31, -1.0, v14
	v_add_f32_e32 v34, 1.0, v14
	v_add_f32_e32 v32, 1.0, v31
	v_add_f32_e32 v35, -1.0, v34
	v_sub_f32_e32 v32, v14, v32
	v_sub_f32_e32 v14, v14, v35
	v_add_f32_e32 v14, v29, v14
	v_add_f32_e32 v32, v29, v32
	;; [unrolled: 1-line block ×3, first 2 shown]
	v_rcp_f32_e32 v35, v29
	v_add_f32_e32 v33, v31, v32
	v_sub_f32_e32 v31, v31, v33
	v_add_f32_e32 v31, v32, v31
	v_sub_f32_e32 v32, v34, v29
	v_add_f32_e32 v14, v14, v32
	v_mul_f32_e32 v32, v33, v35
	v_mul_f32_e32 v34, v29, v32
	v_fma_f32 v36, v32, v29, -v34
	v_fmac_f32_e32 v36, v32, v14
	v_add_f32_e32 v37, v34, v36
	v_sub_f32_e32 v38, v33, v37
	v_sub_f32_e32 v33, v33, v38
	;; [unrolled: 1-line block ×4, first 2 shown]
	v_add_f32_e32 v31, v31, v33
	v_sub_f32_e32 v33, v34, v36
	v_add_f32_e32 v31, v33, v31
	v_add_f32_e32 v33, v38, v31
	v_mul_f32_e32 v34, v35, v33
	v_mul_f32_e32 v36, v29, v34
	v_fma_f32 v29, v34, v29, -v36
	v_fmac_f32_e32 v29, v34, v14
	v_sub_f32_e32 v14, v38, v33
	v_add_f32_e32 v14, v31, v14
	v_add_f32_e32 v31, v36, v29
	v_sub_f32_e32 v37, v33, v31
	v_sub_f32_e32 v33, v33, v37
	;; [unrolled: 1-line block ×4, first 2 shown]
	v_add_f32_e32 v14, v14, v31
	v_sub_f32_e32 v29, v36, v29
	v_add_f32_e32 v14, v29, v14
	v_add_f32_e32 v29, v32, v34
	;; [unrolled: 1-line block ×3, first 2 shown]
	v_sub_f32_e32 v31, v29, v32
	v_mul_f32_e32 v14, v35, v14
	v_sub_f32_e32 v31, v34, v31
	v_add_f32_e32 v14, v31, v14
	v_cvt_f32_i32_e32 v28, v28
	v_add_f32_e32 v31, v29, v14
	v_mul_f32_e32 v32, v31, v31
	v_mov_b32_e32 v33, 0x3ecc95a3
	v_fmac_f32_e32 v33, 0x3e9b6dac, v32
	v_mov_b32_e32 v34, 0x3f2aaada
	v_fmac_f32_e32 v34, v32, v33
	v_mul_f32_e32 v33, 0x3f317218, v28
	v_fma_f32 v35, v28, s5, -v33
	v_fmac_f32_e32 v35, 0xb102e308, v28
	v_sub_f32_e32 v28, v31, v29
	v_sub_f32_e32 v14, v14, v28
	v_add_f32_e32 v28, v33, v35
	v_sub_f32_e32 v29, v28, v33
	v_ldexp_f32 v33, v31, 1
	v_mul_f32_e32 v31, v31, v32
	v_mul_f32_e32 v31, v31, v34
	v_add_f32_e32 v32, v33, v31
	v_sub_f32_e32 v33, v32, v33
	v_ldexp_f32 v14, v14, 1
	v_sub_f32_e32 v31, v31, v33
	v_add_f32_e32 v14, v14, v31
	v_add_f32_e32 v31, v32, v14
	v_sub_f32_e32 v32, v31, v32
	v_sub_f32_e32 v14, v14, v32
	v_add_f32_e32 v32, v28, v31
	v_sub_f32_e32 v33, v32, v28
	v_sub_f32_e32 v34, v32, v33
	;; [unrolled: 1-line block ×5, first 2 shown]
	v_add_f32_e32 v28, v31, v28
	v_add_f32_e32 v31, v29, v14
	v_sub_f32_e32 v33, v31, v29
	v_sub_f32_e32 v34, v31, v33
	;; [unrolled: 1-line block ×4, first 2 shown]
	v_add_f32_e32 v28, v31, v28
	v_add_f32_e32 v14, v14, v29
	;; [unrolled: 1-line block ×3, first 2 shown]
	v_sub_f32_e32 v31, v29, v32
	v_sub_f32_e32 v28, v28, v31
	v_add_f32_e32 v14, v14, v28
	v_add_f32_e32 v14, v29, v14
	v_cmp_neq_f32_e32 vcc, s4, v3
	s_mov_b32 s4, 0x33800000
	v_cndmask_b32_e32 v14, v30, v14, vcc
	v_cmp_lt_f32_e64 vcc, |v3|, s4
	v_cndmask_b32_e32 v3, v14, v3, vcc
	v_add_f32_e32 v3, v18, v3
	v_cvt_f16_f32_e32 v30, v3
	v_cvt_f32_f16_e32 v14, v30
	v_mov_b32_e32 v3, v30
.LBB429_150:
	s_or_b64 exec, exec, s[2:3]
	v_max_f32_e32 v18, v19, v19
	v_max_f32_e32 v29, v14, v14
	v_min_f32_e32 v28, v29, v18
	v_cmp_u_f16_e32 vcc, v30, v30
	v_max_f32_e32 v18, v29, v18
	v_cndmask_b32_e32 v28, v28, v14, vcc
	v_cndmask_b32_e32 v18, v18, v14, vcc
	v_cndmask_b32_e64 v28, v28, v19, s[60:61]
	v_cndmask_b32_e64 v19, v18, v19, s[60:61]
	s_movk_i32 s4, 0x1f8
	v_cmp_neq_f32_e32 vcc, v28, v19
	v_cmp_class_f32_e64 s[2:3], v28, s4
	s_or_b64 s[6:7], vcc, s[2:3]
	v_mov_b32_e32 v18, v3
	s_and_saveexec_b64 s[2:3], s[6:7]
	s_cbranch_execz .LBB429_152
; %bb.151:
	v_sub_f32_e32 v14, v28, v19
	s_mov_b32 s5, 0x3fb8aa3b
	v_mul_f32_e32 v18, 0x3fb8aa3b, v14
	v_fma_f32 v28, v14, s5, -v18
	v_rndne_f32_e32 v29, v18
	v_fmac_f32_e32 v28, 0x32a5705f, v14
	v_sub_f32_e32 v18, v18, v29
	v_add_f32_e32 v18, v18, v28
	v_exp_f32_e32 v18, v18
	v_cvt_i32_f32_e32 v28, v29
	s_mov_b32 s5, 0xc2ce8ed0
	v_cmp_ngt_f32_e32 vcc, s5, v14
	s_mov_b32 s5, 0x42b17218
	v_ldexp_f32 v18, v18, v28
	v_cndmask_b32_e32 v18, 0, v18, vcc
	v_mov_b32_e32 v30, 0x7f800000
	v_cmp_nlt_f32_e32 vcc, s5, v14
	v_cndmask_b32_e32 v14, v30, v18, vcc
	v_add_f32_e32 v18, 1.0, v14
	v_cvt_f64_f32_e32 v[28:29], v18
	v_add_f32_e32 v31, -1.0, v18
	v_sub_f32_e32 v32, v31, v18
	v_sub_f32_e32 v31, v14, v31
	v_frexp_exp_i32_f64_e32 v28, v[28:29]
	v_add_f32_e32 v29, 1.0, v32
	v_add_f32_e32 v29, v31, v29
	v_frexp_mant_f32_e32 v31, v18
	s_mov_b32 s6, 0x3f2aaaab
	v_cmp_gt_f32_e32 vcc, s6, v31
	s_mov_b32 s6, 0x3f317218
	s_mov_b32 s5, 0x7f800000
	v_subbrev_co_u32_e32 v28, vcc, 0, v28, vcc
	v_sub_u32_e32 v31, 0, v28
	v_ldexp_f32 v18, v18, v31
	v_ldexp_f32 v29, v29, v31
	v_add_f32_e32 v31, -1.0, v18
	v_add_f32_e32 v34, 1.0, v18
	v_add_f32_e32 v32, 1.0, v31
	v_add_f32_e32 v35, -1.0, v34
	v_sub_f32_e32 v32, v18, v32
	v_sub_f32_e32 v18, v18, v35
	v_add_f32_e32 v18, v29, v18
	v_add_f32_e32 v32, v29, v32
	;; [unrolled: 1-line block ×3, first 2 shown]
	v_rcp_f32_e32 v35, v29
	v_add_f32_e32 v33, v31, v32
	v_sub_f32_e32 v31, v31, v33
	v_add_f32_e32 v31, v32, v31
	v_sub_f32_e32 v32, v34, v29
	v_add_f32_e32 v18, v18, v32
	v_mul_f32_e32 v32, v33, v35
	v_mul_f32_e32 v34, v29, v32
	v_fma_f32 v36, v32, v29, -v34
	v_fmac_f32_e32 v36, v32, v18
	v_add_f32_e32 v37, v34, v36
	v_sub_f32_e32 v38, v33, v37
	v_sub_f32_e32 v33, v33, v38
	;; [unrolled: 1-line block ×4, first 2 shown]
	v_add_f32_e32 v31, v31, v33
	v_sub_f32_e32 v33, v34, v36
	v_add_f32_e32 v31, v33, v31
	v_add_f32_e32 v33, v38, v31
	v_mul_f32_e32 v34, v35, v33
	v_mul_f32_e32 v36, v29, v34
	v_fma_f32 v29, v34, v29, -v36
	v_fmac_f32_e32 v29, v34, v18
	v_sub_f32_e32 v18, v38, v33
	v_add_f32_e32 v18, v31, v18
	v_add_f32_e32 v31, v36, v29
	v_sub_f32_e32 v37, v33, v31
	v_sub_f32_e32 v33, v33, v37
	;; [unrolled: 1-line block ×4, first 2 shown]
	v_add_f32_e32 v18, v18, v31
	v_sub_f32_e32 v29, v36, v29
	v_add_f32_e32 v18, v29, v18
	v_add_f32_e32 v29, v32, v34
	;; [unrolled: 1-line block ×3, first 2 shown]
	v_sub_f32_e32 v31, v29, v32
	v_mul_f32_e32 v18, v35, v18
	v_sub_f32_e32 v31, v34, v31
	v_add_f32_e32 v18, v31, v18
	v_cvt_f32_i32_e32 v28, v28
	v_add_f32_e32 v31, v29, v18
	v_mul_f32_e32 v32, v31, v31
	v_mov_b32_e32 v33, 0x3ecc95a3
	v_fmac_f32_e32 v33, 0x3e9b6dac, v32
	v_mov_b32_e32 v34, 0x3f2aaada
	v_fmac_f32_e32 v34, v32, v33
	v_mul_f32_e32 v33, 0x3f317218, v28
	v_fma_f32 v35, v28, s6, -v33
	v_fmac_f32_e32 v35, 0xb102e308, v28
	v_sub_f32_e32 v28, v31, v29
	v_sub_f32_e32 v18, v18, v28
	v_add_f32_e32 v28, v33, v35
	v_sub_f32_e32 v29, v28, v33
	v_ldexp_f32 v33, v31, 1
	v_mul_f32_e32 v31, v31, v32
	v_mul_f32_e32 v31, v31, v34
	v_add_f32_e32 v32, v33, v31
	v_sub_f32_e32 v33, v32, v33
	v_ldexp_f32 v18, v18, 1
	v_sub_f32_e32 v31, v31, v33
	v_add_f32_e32 v18, v18, v31
	v_add_f32_e32 v31, v32, v18
	v_sub_f32_e32 v32, v31, v32
	v_sub_f32_e32 v18, v18, v32
	v_add_f32_e32 v32, v28, v31
	v_sub_f32_e32 v33, v32, v28
	v_sub_f32_e32 v34, v32, v33
	;; [unrolled: 1-line block ×5, first 2 shown]
	v_add_f32_e32 v28, v31, v28
	v_add_f32_e32 v31, v29, v18
	v_sub_f32_e32 v33, v31, v29
	v_sub_f32_e32 v34, v31, v33
	;; [unrolled: 1-line block ×4, first 2 shown]
	v_add_f32_e32 v28, v31, v28
	v_add_f32_e32 v18, v18, v29
	;; [unrolled: 1-line block ×3, first 2 shown]
	v_sub_f32_e32 v31, v29, v32
	v_sub_f32_e32 v28, v28, v31
	v_add_f32_e32 v18, v18, v28
	v_add_f32_e32 v18, v29, v18
	v_cmp_neq_f32_e32 vcc, s5, v14
	s_mov_b32 s5, 0x33800000
	v_cndmask_b32_e32 v18, v30, v18, vcc
	v_cmp_lt_f32_e64 vcc, |v14|, s5
	v_cndmask_b32_e32 v14, v18, v14, vcc
	v_add_f32_e32 v14, v19, v14
	v_cvt_f16_f32_e32 v30, v14
	v_cvt_f32_f16_e32 v14, v30
	v_mov_b32_e32 v18, v30
.LBB429_152:
	s_or_b64 exec, exec, s[2:3]
	v_max_f32_e32 v19, v4, v4
	v_max_f32_e32 v29, v14, v14
	v_min_f32_e32 v28, v29, v19
	v_cmp_u_f16_e32 vcc, v30, v30
	v_max_f32_e32 v19, v29, v19
	v_cndmask_b32_e32 v28, v28, v14, vcc
	v_cndmask_b32_e32 v19, v19, v14, vcc
	v_cndmask_b32_e64 v28, v28, v4, s[62:63]
	v_cndmask_b32_e64 v19, v19, v4, s[62:63]
	v_cmp_neq_f32_e32 vcc, v28, v19
	v_cmp_class_f32_e64 s[2:3], v28, s4
	s_or_b64 s[4:5], vcc, s[2:3]
	v_mov_b32_e32 v4, v18
	s_and_saveexec_b64 s[2:3], s[4:5]
	s_cbranch_execz .LBB429_154
; %bb.153:
	v_sub_f32_e32 v4, v28, v19
	s_mov_b32 s4, 0x3fb8aa3b
	v_mul_f32_e32 v14, 0x3fb8aa3b, v4
	v_fma_f32 v28, v4, s4, -v14
	v_rndne_f32_e32 v29, v14
	v_fmac_f32_e32 v28, 0x32a5705f, v4
	v_sub_f32_e32 v14, v14, v29
	v_add_f32_e32 v14, v14, v28
	v_exp_f32_e32 v14, v14
	v_cvt_i32_f32_e32 v28, v29
	s_mov_b32 s4, 0xc2ce8ed0
	v_cmp_ngt_f32_e32 vcc, s4, v4
	s_mov_b32 s4, 0x42b17218
	v_ldexp_f32 v14, v14, v28
	v_cndmask_b32_e32 v14, 0, v14, vcc
	v_mov_b32_e32 v30, 0x7f800000
	v_cmp_nlt_f32_e32 vcc, s4, v4
	v_cndmask_b32_e32 v4, v30, v14, vcc
	v_add_f32_e32 v14, 1.0, v4
	v_cvt_f64_f32_e32 v[28:29], v14
	v_add_f32_e32 v31, -1.0, v14
	v_sub_f32_e32 v32, v31, v14
	v_sub_f32_e32 v31, v4, v31
	v_frexp_exp_i32_f64_e32 v28, v[28:29]
	v_add_f32_e32 v29, 1.0, v32
	v_add_f32_e32 v29, v31, v29
	v_frexp_mant_f32_e32 v31, v14
	s_mov_b32 s5, 0x3f2aaaab
	v_cmp_gt_f32_e32 vcc, s5, v31
	s_mov_b32 s5, 0x3f317218
	s_mov_b32 s4, 0x7f800000
	v_subbrev_co_u32_e32 v28, vcc, 0, v28, vcc
	v_sub_u32_e32 v31, 0, v28
	v_ldexp_f32 v14, v14, v31
	v_ldexp_f32 v29, v29, v31
	v_add_f32_e32 v31, -1.0, v14
	v_add_f32_e32 v34, 1.0, v14
	v_add_f32_e32 v32, 1.0, v31
	v_add_f32_e32 v35, -1.0, v34
	v_sub_f32_e32 v32, v14, v32
	v_sub_f32_e32 v14, v14, v35
	v_add_f32_e32 v14, v29, v14
	v_add_f32_e32 v32, v29, v32
	;; [unrolled: 1-line block ×3, first 2 shown]
	v_rcp_f32_e32 v35, v29
	v_add_f32_e32 v33, v31, v32
	v_sub_f32_e32 v31, v31, v33
	v_add_f32_e32 v31, v32, v31
	v_sub_f32_e32 v32, v34, v29
	v_add_f32_e32 v14, v14, v32
	v_mul_f32_e32 v32, v33, v35
	v_mul_f32_e32 v34, v29, v32
	v_fma_f32 v36, v32, v29, -v34
	v_fmac_f32_e32 v36, v32, v14
	v_add_f32_e32 v37, v34, v36
	v_sub_f32_e32 v38, v33, v37
	v_sub_f32_e32 v33, v33, v38
	;; [unrolled: 1-line block ×4, first 2 shown]
	v_add_f32_e32 v31, v31, v33
	v_sub_f32_e32 v33, v34, v36
	v_add_f32_e32 v31, v33, v31
	v_add_f32_e32 v33, v38, v31
	v_mul_f32_e32 v34, v35, v33
	v_mul_f32_e32 v36, v29, v34
	v_fma_f32 v29, v34, v29, -v36
	v_fmac_f32_e32 v29, v34, v14
	v_sub_f32_e32 v14, v38, v33
	v_add_f32_e32 v14, v31, v14
	v_add_f32_e32 v31, v36, v29
	v_sub_f32_e32 v37, v33, v31
	v_sub_f32_e32 v33, v33, v37
	;; [unrolled: 1-line block ×4, first 2 shown]
	v_add_f32_e32 v14, v14, v31
	v_sub_f32_e32 v29, v36, v29
	v_add_f32_e32 v14, v29, v14
	v_add_f32_e32 v29, v32, v34
	;; [unrolled: 1-line block ×3, first 2 shown]
	v_sub_f32_e32 v31, v29, v32
	v_mul_f32_e32 v14, v35, v14
	v_sub_f32_e32 v31, v34, v31
	v_add_f32_e32 v14, v31, v14
	v_cvt_f32_i32_e32 v28, v28
	v_add_f32_e32 v31, v29, v14
	v_mul_f32_e32 v32, v31, v31
	v_mov_b32_e32 v33, 0x3ecc95a3
	v_fmac_f32_e32 v33, 0x3e9b6dac, v32
	v_mov_b32_e32 v34, 0x3f2aaada
	v_fmac_f32_e32 v34, v32, v33
	v_mul_f32_e32 v33, 0x3f317218, v28
	v_fma_f32 v35, v28, s5, -v33
	v_fmac_f32_e32 v35, 0xb102e308, v28
	v_sub_f32_e32 v28, v31, v29
	v_sub_f32_e32 v14, v14, v28
	v_add_f32_e32 v28, v33, v35
	v_sub_f32_e32 v29, v28, v33
	v_ldexp_f32 v33, v31, 1
	v_mul_f32_e32 v31, v31, v32
	v_mul_f32_e32 v31, v31, v34
	v_add_f32_e32 v32, v33, v31
	v_sub_f32_e32 v33, v32, v33
	v_ldexp_f32 v14, v14, 1
	v_sub_f32_e32 v31, v31, v33
	v_add_f32_e32 v14, v14, v31
	v_add_f32_e32 v31, v32, v14
	v_sub_f32_e32 v32, v31, v32
	v_sub_f32_e32 v14, v14, v32
	v_add_f32_e32 v32, v28, v31
	v_sub_f32_e32 v33, v32, v28
	v_sub_f32_e32 v34, v32, v33
	;; [unrolled: 1-line block ×5, first 2 shown]
	v_add_f32_e32 v28, v31, v28
	v_add_f32_e32 v31, v29, v14
	v_sub_f32_e32 v33, v31, v29
	v_sub_f32_e32 v34, v31, v33
	;; [unrolled: 1-line block ×4, first 2 shown]
	v_add_f32_e32 v28, v31, v28
	v_add_f32_e32 v14, v14, v29
	;; [unrolled: 1-line block ×3, first 2 shown]
	v_sub_f32_e32 v31, v29, v32
	v_sub_f32_e32 v28, v28, v31
	v_add_f32_e32 v14, v14, v28
	v_add_f32_e32 v14, v29, v14
	v_cmp_neq_f32_e32 vcc, s4, v4
	s_mov_b32 s4, 0x33800000
	v_cndmask_b32_e32 v14, v30, v14, vcc
	v_cmp_lt_f32_e64 vcc, |v4|, s4
	v_cndmask_b32_e32 v4, v14, v4, vcc
	v_add_f32_e32 v4, v19, v4
	v_cvt_f16_f32_e32 v30, v4
	v_cvt_f32_f16_e32 v14, v30
	v_mov_b32_e32 v4, v30
.LBB429_154:
	s_or_b64 exec, exec, s[2:3]
	v_max_f32_e32 v19, v20, v20
	v_max_f32_e32 v29, v14, v14
	v_min_f32_e32 v28, v29, v19
	v_cmp_u_f16_e32 vcc, v30, v30
	v_max_f32_e32 v19, v29, v19
	v_cndmask_b32_e32 v28, v28, v14, vcc
	v_cndmask_b32_e32 v19, v19, v14, vcc
	v_cndmask_b32_e64 v28, v28, v20, s[64:65]
	v_cndmask_b32_e64 v20, v19, v20, s[64:65]
	s_movk_i32 s4, 0x1f8
	v_cmp_neq_f32_e32 vcc, v28, v20
	v_cmp_class_f32_e64 s[2:3], v28, s4
	s_or_b64 s[6:7], vcc, s[2:3]
	v_mov_b32_e32 v19, v4
	s_and_saveexec_b64 s[2:3], s[6:7]
	s_cbranch_execz .LBB429_156
; %bb.155:
	v_sub_f32_e32 v14, v28, v20
	s_mov_b32 s5, 0x3fb8aa3b
	v_mul_f32_e32 v19, 0x3fb8aa3b, v14
	v_fma_f32 v28, v14, s5, -v19
	v_rndne_f32_e32 v29, v19
	v_fmac_f32_e32 v28, 0x32a5705f, v14
	v_sub_f32_e32 v19, v19, v29
	v_add_f32_e32 v19, v19, v28
	v_exp_f32_e32 v19, v19
	v_cvt_i32_f32_e32 v28, v29
	s_mov_b32 s5, 0xc2ce8ed0
	v_cmp_ngt_f32_e32 vcc, s5, v14
	s_mov_b32 s5, 0x42b17218
	v_ldexp_f32 v19, v19, v28
	v_cndmask_b32_e32 v19, 0, v19, vcc
	v_mov_b32_e32 v30, 0x7f800000
	v_cmp_nlt_f32_e32 vcc, s5, v14
	v_cndmask_b32_e32 v14, v30, v19, vcc
	v_add_f32_e32 v19, 1.0, v14
	v_cvt_f64_f32_e32 v[28:29], v19
	v_add_f32_e32 v31, -1.0, v19
	v_sub_f32_e32 v32, v31, v19
	v_sub_f32_e32 v31, v14, v31
	v_frexp_exp_i32_f64_e32 v28, v[28:29]
	v_add_f32_e32 v29, 1.0, v32
	v_add_f32_e32 v29, v31, v29
	v_frexp_mant_f32_e32 v31, v19
	s_mov_b32 s6, 0x3f2aaaab
	v_cmp_gt_f32_e32 vcc, s6, v31
	s_mov_b32 s6, 0x3f317218
	s_mov_b32 s5, 0x7f800000
	v_subbrev_co_u32_e32 v28, vcc, 0, v28, vcc
	v_sub_u32_e32 v31, 0, v28
	v_ldexp_f32 v19, v19, v31
	v_ldexp_f32 v29, v29, v31
	v_add_f32_e32 v31, -1.0, v19
	v_add_f32_e32 v34, 1.0, v19
	v_add_f32_e32 v32, 1.0, v31
	v_add_f32_e32 v35, -1.0, v34
	v_sub_f32_e32 v32, v19, v32
	v_sub_f32_e32 v19, v19, v35
	v_add_f32_e32 v19, v29, v19
	v_add_f32_e32 v32, v29, v32
	;; [unrolled: 1-line block ×3, first 2 shown]
	v_rcp_f32_e32 v35, v29
	v_add_f32_e32 v33, v31, v32
	v_sub_f32_e32 v31, v31, v33
	v_add_f32_e32 v31, v32, v31
	v_sub_f32_e32 v32, v34, v29
	v_add_f32_e32 v19, v19, v32
	v_mul_f32_e32 v32, v33, v35
	v_mul_f32_e32 v34, v29, v32
	v_fma_f32 v36, v32, v29, -v34
	v_fmac_f32_e32 v36, v32, v19
	v_add_f32_e32 v37, v34, v36
	v_sub_f32_e32 v38, v33, v37
	v_sub_f32_e32 v33, v33, v38
	;; [unrolled: 1-line block ×4, first 2 shown]
	v_add_f32_e32 v31, v31, v33
	v_sub_f32_e32 v33, v34, v36
	v_add_f32_e32 v31, v33, v31
	v_add_f32_e32 v33, v38, v31
	v_mul_f32_e32 v34, v35, v33
	v_mul_f32_e32 v36, v29, v34
	v_fma_f32 v29, v34, v29, -v36
	v_fmac_f32_e32 v29, v34, v19
	v_sub_f32_e32 v19, v38, v33
	v_add_f32_e32 v19, v31, v19
	v_add_f32_e32 v31, v36, v29
	v_sub_f32_e32 v37, v33, v31
	v_sub_f32_e32 v33, v33, v37
	;; [unrolled: 1-line block ×4, first 2 shown]
	v_add_f32_e32 v19, v19, v31
	v_sub_f32_e32 v29, v36, v29
	v_add_f32_e32 v19, v29, v19
	v_add_f32_e32 v29, v32, v34
	;; [unrolled: 1-line block ×3, first 2 shown]
	v_sub_f32_e32 v31, v29, v32
	v_mul_f32_e32 v19, v35, v19
	v_sub_f32_e32 v31, v34, v31
	v_add_f32_e32 v19, v31, v19
	v_cvt_f32_i32_e32 v28, v28
	v_add_f32_e32 v31, v29, v19
	v_mul_f32_e32 v32, v31, v31
	v_mov_b32_e32 v33, 0x3ecc95a3
	v_fmac_f32_e32 v33, 0x3e9b6dac, v32
	v_mov_b32_e32 v34, 0x3f2aaada
	v_fmac_f32_e32 v34, v32, v33
	v_mul_f32_e32 v33, 0x3f317218, v28
	v_fma_f32 v35, v28, s6, -v33
	v_fmac_f32_e32 v35, 0xb102e308, v28
	v_sub_f32_e32 v28, v31, v29
	v_sub_f32_e32 v19, v19, v28
	v_add_f32_e32 v28, v33, v35
	v_sub_f32_e32 v29, v28, v33
	v_ldexp_f32 v33, v31, 1
	v_mul_f32_e32 v31, v31, v32
	v_mul_f32_e32 v31, v31, v34
	v_add_f32_e32 v32, v33, v31
	v_sub_f32_e32 v33, v32, v33
	v_ldexp_f32 v19, v19, 1
	v_sub_f32_e32 v31, v31, v33
	v_add_f32_e32 v19, v19, v31
	v_add_f32_e32 v31, v32, v19
	v_sub_f32_e32 v32, v31, v32
	v_sub_f32_e32 v19, v19, v32
	v_add_f32_e32 v32, v28, v31
	v_sub_f32_e32 v33, v32, v28
	v_sub_f32_e32 v34, v32, v33
	;; [unrolled: 1-line block ×5, first 2 shown]
	v_add_f32_e32 v28, v31, v28
	v_add_f32_e32 v31, v29, v19
	v_sub_f32_e32 v33, v31, v29
	v_sub_f32_e32 v34, v31, v33
	;; [unrolled: 1-line block ×4, first 2 shown]
	v_add_f32_e32 v28, v31, v28
	v_add_f32_e32 v19, v19, v29
	v_add_f32_e32 v29, v32, v28
	v_sub_f32_e32 v31, v29, v32
	v_sub_f32_e32 v28, v28, v31
	v_add_f32_e32 v19, v19, v28
	v_add_f32_e32 v19, v29, v19
	v_cmp_neq_f32_e32 vcc, s5, v14
	s_mov_b32 s5, 0x33800000
	v_cndmask_b32_e32 v19, v30, v19, vcc
	v_cmp_lt_f32_e64 vcc, |v14|, s5
	v_cndmask_b32_e32 v14, v19, v14, vcc
	v_add_f32_e32 v14, v20, v14
	v_cvt_f16_f32_e32 v30, v14
	v_cvt_f32_f16_e32 v14, v30
	v_mov_b32_e32 v19, v30
.LBB429_156:
	s_or_b64 exec, exec, s[2:3]
	v_max_f32_e32 v20, v9, v9
	v_max_f32_e32 v29, v14, v14
	v_min_f32_e32 v28, v29, v20
	v_cmp_u_f16_e32 vcc, v30, v30
	v_max_f32_e32 v20, v29, v20
	v_cndmask_b32_e32 v28, v28, v14, vcc
	v_cndmask_b32_e32 v20, v20, v14, vcc
	v_cndmask_b32_e64 v28, v28, v9, s[66:67]
	v_cndmask_b32_e64 v20, v20, v9, s[66:67]
	v_cmp_neq_f32_e32 vcc, v28, v20
	v_cmp_class_f32_e64 s[2:3], v28, s4
	s_or_b64 s[4:5], vcc, s[2:3]
	v_mov_b32_e32 v9, v19
	s_and_saveexec_b64 s[2:3], s[4:5]
	s_cbranch_execz .LBB429_158
; %bb.157:
	v_sub_f32_e32 v9, v28, v20
	s_mov_b32 s4, 0x3fb8aa3b
	v_mul_f32_e32 v14, 0x3fb8aa3b, v9
	v_fma_f32 v28, v9, s4, -v14
	v_rndne_f32_e32 v29, v14
	v_fmac_f32_e32 v28, 0x32a5705f, v9
	v_sub_f32_e32 v14, v14, v29
	v_add_f32_e32 v14, v14, v28
	v_exp_f32_e32 v14, v14
	v_cvt_i32_f32_e32 v28, v29
	s_mov_b32 s4, 0xc2ce8ed0
	v_cmp_ngt_f32_e32 vcc, s4, v9
	s_mov_b32 s4, 0x42b17218
	v_ldexp_f32 v14, v14, v28
	v_cndmask_b32_e32 v14, 0, v14, vcc
	v_mov_b32_e32 v30, 0x7f800000
	v_cmp_nlt_f32_e32 vcc, s4, v9
	v_cndmask_b32_e32 v9, v30, v14, vcc
	v_add_f32_e32 v14, 1.0, v9
	v_cvt_f64_f32_e32 v[28:29], v14
	v_add_f32_e32 v31, -1.0, v14
	v_sub_f32_e32 v32, v31, v14
	v_sub_f32_e32 v31, v9, v31
	v_frexp_exp_i32_f64_e32 v28, v[28:29]
	v_add_f32_e32 v29, 1.0, v32
	v_add_f32_e32 v29, v31, v29
	v_frexp_mant_f32_e32 v31, v14
	s_mov_b32 s5, 0x3f2aaaab
	v_cmp_gt_f32_e32 vcc, s5, v31
	s_mov_b32 s5, 0x3f317218
	s_mov_b32 s4, 0x7f800000
	v_subbrev_co_u32_e32 v28, vcc, 0, v28, vcc
	v_sub_u32_e32 v31, 0, v28
	v_ldexp_f32 v14, v14, v31
	v_ldexp_f32 v29, v29, v31
	v_add_f32_e32 v31, -1.0, v14
	v_add_f32_e32 v34, 1.0, v14
	v_add_f32_e32 v32, 1.0, v31
	v_add_f32_e32 v35, -1.0, v34
	v_sub_f32_e32 v32, v14, v32
	v_sub_f32_e32 v14, v14, v35
	v_add_f32_e32 v14, v29, v14
	v_add_f32_e32 v32, v29, v32
	;; [unrolled: 1-line block ×3, first 2 shown]
	v_rcp_f32_e32 v35, v29
	v_add_f32_e32 v33, v31, v32
	v_sub_f32_e32 v31, v31, v33
	v_add_f32_e32 v31, v32, v31
	v_sub_f32_e32 v32, v34, v29
	v_add_f32_e32 v14, v14, v32
	v_mul_f32_e32 v32, v33, v35
	v_mul_f32_e32 v34, v29, v32
	v_fma_f32 v36, v32, v29, -v34
	v_fmac_f32_e32 v36, v32, v14
	v_add_f32_e32 v37, v34, v36
	v_sub_f32_e32 v38, v33, v37
	v_sub_f32_e32 v33, v33, v38
	;; [unrolled: 1-line block ×4, first 2 shown]
	v_add_f32_e32 v31, v31, v33
	v_sub_f32_e32 v33, v34, v36
	v_add_f32_e32 v31, v33, v31
	v_add_f32_e32 v33, v38, v31
	v_mul_f32_e32 v34, v35, v33
	v_mul_f32_e32 v36, v29, v34
	v_fma_f32 v29, v34, v29, -v36
	v_fmac_f32_e32 v29, v34, v14
	v_sub_f32_e32 v14, v38, v33
	v_add_f32_e32 v14, v31, v14
	v_add_f32_e32 v31, v36, v29
	v_sub_f32_e32 v37, v33, v31
	v_sub_f32_e32 v33, v33, v37
	;; [unrolled: 1-line block ×4, first 2 shown]
	v_add_f32_e32 v14, v14, v31
	v_sub_f32_e32 v29, v36, v29
	v_add_f32_e32 v14, v29, v14
	v_add_f32_e32 v29, v32, v34
	;; [unrolled: 1-line block ×3, first 2 shown]
	v_sub_f32_e32 v31, v29, v32
	v_mul_f32_e32 v14, v35, v14
	v_sub_f32_e32 v31, v34, v31
	v_add_f32_e32 v14, v31, v14
	v_cvt_f32_i32_e32 v28, v28
	v_add_f32_e32 v31, v29, v14
	v_mul_f32_e32 v32, v31, v31
	v_mov_b32_e32 v33, 0x3ecc95a3
	v_fmac_f32_e32 v33, 0x3e9b6dac, v32
	v_mov_b32_e32 v34, 0x3f2aaada
	v_fmac_f32_e32 v34, v32, v33
	v_mul_f32_e32 v33, 0x3f317218, v28
	v_fma_f32 v35, v28, s5, -v33
	v_fmac_f32_e32 v35, 0xb102e308, v28
	v_sub_f32_e32 v28, v31, v29
	v_sub_f32_e32 v14, v14, v28
	v_add_f32_e32 v28, v33, v35
	v_sub_f32_e32 v29, v28, v33
	v_ldexp_f32 v33, v31, 1
	v_mul_f32_e32 v31, v31, v32
	v_mul_f32_e32 v31, v31, v34
	v_add_f32_e32 v32, v33, v31
	v_sub_f32_e32 v33, v32, v33
	v_ldexp_f32 v14, v14, 1
	v_sub_f32_e32 v31, v31, v33
	v_add_f32_e32 v14, v14, v31
	v_add_f32_e32 v31, v32, v14
	v_sub_f32_e32 v32, v31, v32
	v_sub_f32_e32 v14, v14, v32
	v_add_f32_e32 v32, v28, v31
	v_sub_f32_e32 v33, v32, v28
	v_sub_f32_e32 v34, v32, v33
	;; [unrolled: 1-line block ×5, first 2 shown]
	v_add_f32_e32 v28, v31, v28
	v_add_f32_e32 v31, v29, v14
	v_sub_f32_e32 v33, v31, v29
	v_sub_f32_e32 v34, v31, v33
	;; [unrolled: 1-line block ×4, first 2 shown]
	v_add_f32_e32 v28, v31, v28
	v_add_f32_e32 v14, v14, v29
	;; [unrolled: 1-line block ×3, first 2 shown]
	v_sub_f32_e32 v31, v29, v32
	v_sub_f32_e32 v28, v28, v31
	v_add_f32_e32 v14, v14, v28
	v_add_f32_e32 v14, v29, v14
	v_cmp_neq_f32_e32 vcc, s4, v9
	s_mov_b32 s4, 0x33800000
	v_cndmask_b32_e32 v14, v30, v14, vcc
	v_cmp_lt_f32_e64 vcc, |v9|, s4
	v_cndmask_b32_e32 v9, v14, v9, vcc
	v_add_f32_e32 v9, v20, v9
	v_cvt_f16_f32_e32 v30, v9
	v_cvt_f32_f16_e32 v14, v30
	v_mov_b32_e32 v9, v30
.LBB429_158:
	s_or_b64 exec, exec, s[2:3]
	v_max_f32_e32 v20, v21, v21
	v_max_f32_e32 v29, v14, v14
	v_min_f32_e32 v28, v29, v20
	v_cmp_u_f16_e32 vcc, v30, v30
	v_max_f32_e32 v20, v29, v20
	v_cndmask_b32_e32 v28, v28, v14, vcc
	v_cndmask_b32_e32 v20, v20, v14, vcc
	v_cndmask_b32_e64 v28, v28, v21, s[68:69]
	v_cndmask_b32_e64 v21, v20, v21, s[68:69]
	s_movk_i32 s4, 0x1f8
	v_cmp_neq_f32_e32 vcc, v28, v21
	v_cmp_class_f32_e64 s[2:3], v28, s4
	s_or_b64 s[6:7], vcc, s[2:3]
	v_mov_b32_e32 v20, v9
	s_and_saveexec_b64 s[2:3], s[6:7]
	s_cbranch_execz .LBB429_160
; %bb.159:
	v_sub_f32_e32 v14, v28, v21
	s_mov_b32 s5, 0x3fb8aa3b
	v_mul_f32_e32 v20, 0x3fb8aa3b, v14
	v_fma_f32 v28, v14, s5, -v20
	v_rndne_f32_e32 v29, v20
	v_fmac_f32_e32 v28, 0x32a5705f, v14
	v_sub_f32_e32 v20, v20, v29
	v_add_f32_e32 v20, v20, v28
	v_exp_f32_e32 v20, v20
	v_cvt_i32_f32_e32 v28, v29
	s_mov_b32 s5, 0xc2ce8ed0
	v_cmp_ngt_f32_e32 vcc, s5, v14
	s_mov_b32 s5, 0x42b17218
	v_ldexp_f32 v20, v20, v28
	v_cndmask_b32_e32 v20, 0, v20, vcc
	v_mov_b32_e32 v30, 0x7f800000
	v_cmp_nlt_f32_e32 vcc, s5, v14
	v_cndmask_b32_e32 v14, v30, v20, vcc
	v_add_f32_e32 v20, 1.0, v14
	v_cvt_f64_f32_e32 v[28:29], v20
	v_add_f32_e32 v31, -1.0, v20
	v_sub_f32_e32 v32, v31, v20
	v_sub_f32_e32 v31, v14, v31
	v_frexp_exp_i32_f64_e32 v28, v[28:29]
	v_add_f32_e32 v29, 1.0, v32
	v_add_f32_e32 v29, v31, v29
	v_frexp_mant_f32_e32 v31, v20
	s_mov_b32 s6, 0x3f2aaaab
	v_cmp_gt_f32_e32 vcc, s6, v31
	s_mov_b32 s6, 0x3f317218
	s_mov_b32 s5, 0x7f800000
	v_subbrev_co_u32_e32 v28, vcc, 0, v28, vcc
	v_sub_u32_e32 v31, 0, v28
	v_ldexp_f32 v20, v20, v31
	v_ldexp_f32 v29, v29, v31
	v_add_f32_e32 v31, -1.0, v20
	v_add_f32_e32 v34, 1.0, v20
	v_add_f32_e32 v32, 1.0, v31
	v_add_f32_e32 v35, -1.0, v34
	v_sub_f32_e32 v32, v20, v32
	v_sub_f32_e32 v20, v20, v35
	v_add_f32_e32 v20, v29, v20
	v_add_f32_e32 v32, v29, v32
	;; [unrolled: 1-line block ×3, first 2 shown]
	v_rcp_f32_e32 v35, v29
	v_add_f32_e32 v33, v31, v32
	v_sub_f32_e32 v31, v31, v33
	v_add_f32_e32 v31, v32, v31
	v_sub_f32_e32 v32, v34, v29
	v_add_f32_e32 v20, v20, v32
	v_mul_f32_e32 v32, v33, v35
	v_mul_f32_e32 v34, v29, v32
	v_fma_f32 v36, v32, v29, -v34
	v_fmac_f32_e32 v36, v32, v20
	v_add_f32_e32 v37, v34, v36
	v_sub_f32_e32 v38, v33, v37
	v_sub_f32_e32 v33, v33, v38
	;; [unrolled: 1-line block ×4, first 2 shown]
	v_add_f32_e32 v31, v31, v33
	v_sub_f32_e32 v33, v34, v36
	v_add_f32_e32 v31, v33, v31
	v_add_f32_e32 v33, v38, v31
	v_mul_f32_e32 v34, v35, v33
	v_mul_f32_e32 v36, v29, v34
	v_fma_f32 v29, v34, v29, -v36
	v_fmac_f32_e32 v29, v34, v20
	v_sub_f32_e32 v20, v38, v33
	v_add_f32_e32 v20, v31, v20
	v_add_f32_e32 v31, v36, v29
	v_sub_f32_e32 v37, v33, v31
	v_sub_f32_e32 v33, v33, v37
	;; [unrolled: 1-line block ×4, first 2 shown]
	v_add_f32_e32 v20, v20, v31
	v_sub_f32_e32 v29, v36, v29
	v_add_f32_e32 v20, v29, v20
	v_add_f32_e32 v29, v32, v34
	;; [unrolled: 1-line block ×3, first 2 shown]
	v_sub_f32_e32 v31, v29, v32
	v_mul_f32_e32 v20, v35, v20
	v_sub_f32_e32 v31, v34, v31
	v_add_f32_e32 v20, v31, v20
	v_cvt_f32_i32_e32 v28, v28
	v_add_f32_e32 v31, v29, v20
	v_mul_f32_e32 v32, v31, v31
	v_mov_b32_e32 v33, 0x3ecc95a3
	v_fmac_f32_e32 v33, 0x3e9b6dac, v32
	v_mov_b32_e32 v34, 0x3f2aaada
	v_fmac_f32_e32 v34, v32, v33
	v_mul_f32_e32 v33, 0x3f317218, v28
	v_fma_f32 v35, v28, s6, -v33
	v_fmac_f32_e32 v35, 0xb102e308, v28
	v_sub_f32_e32 v28, v31, v29
	v_sub_f32_e32 v20, v20, v28
	v_add_f32_e32 v28, v33, v35
	v_sub_f32_e32 v29, v28, v33
	v_ldexp_f32 v33, v31, 1
	v_mul_f32_e32 v31, v31, v32
	v_mul_f32_e32 v31, v31, v34
	v_add_f32_e32 v32, v33, v31
	v_sub_f32_e32 v33, v32, v33
	v_ldexp_f32 v20, v20, 1
	v_sub_f32_e32 v31, v31, v33
	v_add_f32_e32 v20, v20, v31
	v_add_f32_e32 v31, v32, v20
	v_sub_f32_e32 v32, v31, v32
	v_sub_f32_e32 v20, v20, v32
	v_add_f32_e32 v32, v28, v31
	v_sub_f32_e32 v33, v32, v28
	v_sub_f32_e32 v34, v32, v33
	;; [unrolled: 1-line block ×5, first 2 shown]
	v_add_f32_e32 v28, v31, v28
	v_add_f32_e32 v31, v29, v20
	v_sub_f32_e32 v33, v31, v29
	v_sub_f32_e32 v34, v31, v33
	;; [unrolled: 1-line block ×4, first 2 shown]
	v_add_f32_e32 v28, v31, v28
	v_add_f32_e32 v20, v20, v29
	;; [unrolled: 1-line block ×3, first 2 shown]
	v_sub_f32_e32 v31, v29, v32
	v_sub_f32_e32 v28, v28, v31
	v_add_f32_e32 v20, v20, v28
	v_add_f32_e32 v20, v29, v20
	v_cmp_neq_f32_e32 vcc, s5, v14
	s_mov_b32 s5, 0x33800000
	v_cndmask_b32_e32 v20, v30, v20, vcc
	v_cmp_lt_f32_e64 vcc, |v14|, s5
	v_cndmask_b32_e32 v14, v20, v14, vcc
	v_add_f32_e32 v14, v21, v14
	v_cvt_f16_f32_e32 v30, v14
	v_cvt_f32_f16_e32 v14, v30
	v_mov_b32_e32 v20, v30
.LBB429_160:
	s_or_b64 exec, exec, s[2:3]
	v_max_f32_e32 v21, v10, v10
	v_max_f32_e32 v29, v14, v14
	v_min_f32_e32 v28, v29, v21
	v_cmp_u_f16_e32 vcc, v30, v30
	v_max_f32_e32 v21, v29, v21
	v_cndmask_b32_e32 v28, v28, v14, vcc
	v_cndmask_b32_e32 v21, v21, v14, vcc
	v_cndmask_b32_e64 v28, v28, v10, s[70:71]
	v_cndmask_b32_e64 v21, v21, v10, s[70:71]
	v_cmp_neq_f32_e32 vcc, v28, v21
	v_cmp_class_f32_e64 s[2:3], v28, s4
	s_or_b64 s[4:5], vcc, s[2:3]
	v_mov_b32_e32 v10, v20
	s_and_saveexec_b64 s[2:3], s[4:5]
	s_cbranch_execz .LBB429_162
; %bb.161:
	v_sub_f32_e32 v10, v28, v21
	s_mov_b32 s4, 0x3fb8aa3b
	v_mul_f32_e32 v14, 0x3fb8aa3b, v10
	v_fma_f32 v28, v10, s4, -v14
	v_rndne_f32_e32 v29, v14
	v_fmac_f32_e32 v28, 0x32a5705f, v10
	v_sub_f32_e32 v14, v14, v29
	v_add_f32_e32 v14, v14, v28
	v_exp_f32_e32 v14, v14
	v_cvt_i32_f32_e32 v28, v29
	s_mov_b32 s4, 0xc2ce8ed0
	v_cmp_ngt_f32_e32 vcc, s4, v10
	s_mov_b32 s4, 0x42b17218
	v_ldexp_f32 v14, v14, v28
	v_cndmask_b32_e32 v14, 0, v14, vcc
	v_mov_b32_e32 v30, 0x7f800000
	v_cmp_nlt_f32_e32 vcc, s4, v10
	v_cndmask_b32_e32 v10, v30, v14, vcc
	v_add_f32_e32 v14, 1.0, v10
	v_cvt_f64_f32_e32 v[28:29], v14
	v_add_f32_e32 v31, -1.0, v14
	v_sub_f32_e32 v32, v31, v14
	v_sub_f32_e32 v31, v10, v31
	v_frexp_exp_i32_f64_e32 v28, v[28:29]
	v_add_f32_e32 v29, 1.0, v32
	v_add_f32_e32 v29, v31, v29
	v_frexp_mant_f32_e32 v31, v14
	s_mov_b32 s5, 0x3f2aaaab
	v_cmp_gt_f32_e32 vcc, s5, v31
	s_mov_b32 s5, 0x3f317218
	s_mov_b32 s4, 0x7f800000
	v_subbrev_co_u32_e32 v28, vcc, 0, v28, vcc
	v_sub_u32_e32 v31, 0, v28
	v_ldexp_f32 v14, v14, v31
	v_ldexp_f32 v29, v29, v31
	v_add_f32_e32 v31, -1.0, v14
	v_add_f32_e32 v34, 1.0, v14
	v_add_f32_e32 v32, 1.0, v31
	v_add_f32_e32 v35, -1.0, v34
	v_sub_f32_e32 v32, v14, v32
	v_sub_f32_e32 v14, v14, v35
	v_add_f32_e32 v14, v29, v14
	v_add_f32_e32 v32, v29, v32
	;; [unrolled: 1-line block ×3, first 2 shown]
	v_rcp_f32_e32 v35, v29
	v_add_f32_e32 v33, v31, v32
	v_sub_f32_e32 v31, v31, v33
	v_add_f32_e32 v31, v32, v31
	v_sub_f32_e32 v32, v34, v29
	v_add_f32_e32 v14, v14, v32
	v_mul_f32_e32 v32, v33, v35
	v_mul_f32_e32 v34, v29, v32
	v_fma_f32 v36, v32, v29, -v34
	v_fmac_f32_e32 v36, v32, v14
	v_add_f32_e32 v37, v34, v36
	v_sub_f32_e32 v38, v33, v37
	v_sub_f32_e32 v33, v33, v38
	;; [unrolled: 1-line block ×4, first 2 shown]
	v_add_f32_e32 v31, v31, v33
	v_sub_f32_e32 v33, v34, v36
	v_add_f32_e32 v31, v33, v31
	v_add_f32_e32 v33, v38, v31
	v_mul_f32_e32 v34, v35, v33
	v_mul_f32_e32 v36, v29, v34
	v_fma_f32 v29, v34, v29, -v36
	v_fmac_f32_e32 v29, v34, v14
	v_sub_f32_e32 v14, v38, v33
	v_add_f32_e32 v14, v31, v14
	v_add_f32_e32 v31, v36, v29
	v_sub_f32_e32 v37, v33, v31
	v_sub_f32_e32 v33, v33, v37
	v_sub_f32_e32 v36, v31, v36
	v_sub_f32_e32 v31, v33, v31
	v_add_f32_e32 v14, v14, v31
	v_sub_f32_e32 v29, v36, v29
	v_add_f32_e32 v14, v29, v14
	v_add_f32_e32 v29, v32, v34
	;; [unrolled: 1-line block ×3, first 2 shown]
	v_sub_f32_e32 v31, v29, v32
	v_mul_f32_e32 v14, v35, v14
	v_sub_f32_e32 v31, v34, v31
	v_add_f32_e32 v14, v31, v14
	v_cvt_f32_i32_e32 v28, v28
	v_add_f32_e32 v31, v29, v14
	v_mul_f32_e32 v32, v31, v31
	v_mov_b32_e32 v33, 0x3ecc95a3
	v_fmac_f32_e32 v33, 0x3e9b6dac, v32
	v_mov_b32_e32 v34, 0x3f2aaada
	v_fmac_f32_e32 v34, v32, v33
	v_mul_f32_e32 v33, 0x3f317218, v28
	v_fma_f32 v35, v28, s5, -v33
	v_fmac_f32_e32 v35, 0xb102e308, v28
	v_sub_f32_e32 v28, v31, v29
	v_sub_f32_e32 v14, v14, v28
	v_add_f32_e32 v28, v33, v35
	v_sub_f32_e32 v29, v28, v33
	v_ldexp_f32 v33, v31, 1
	v_mul_f32_e32 v31, v31, v32
	v_mul_f32_e32 v31, v31, v34
	v_add_f32_e32 v32, v33, v31
	v_sub_f32_e32 v33, v32, v33
	v_ldexp_f32 v14, v14, 1
	v_sub_f32_e32 v31, v31, v33
	v_add_f32_e32 v14, v14, v31
	v_add_f32_e32 v31, v32, v14
	v_sub_f32_e32 v32, v31, v32
	v_sub_f32_e32 v14, v14, v32
	v_add_f32_e32 v32, v28, v31
	v_sub_f32_e32 v33, v32, v28
	v_sub_f32_e32 v34, v32, v33
	;; [unrolled: 1-line block ×5, first 2 shown]
	v_add_f32_e32 v28, v31, v28
	v_add_f32_e32 v31, v29, v14
	v_sub_f32_e32 v33, v31, v29
	v_sub_f32_e32 v34, v31, v33
	;; [unrolled: 1-line block ×4, first 2 shown]
	v_add_f32_e32 v28, v31, v28
	v_add_f32_e32 v14, v14, v29
	;; [unrolled: 1-line block ×3, first 2 shown]
	v_sub_f32_e32 v31, v29, v32
	v_sub_f32_e32 v28, v28, v31
	v_add_f32_e32 v14, v14, v28
	v_add_f32_e32 v14, v29, v14
	v_cmp_neq_f32_e32 vcc, s4, v10
	s_mov_b32 s4, 0x33800000
	v_cndmask_b32_e32 v14, v30, v14, vcc
	v_cmp_lt_f32_e64 vcc, |v10|, s4
	v_cndmask_b32_e32 v10, v14, v10, vcc
	v_add_f32_e32 v10, v21, v10
	v_cvt_f16_f32_e32 v30, v10
	v_cvt_f32_f16_e32 v14, v30
	v_mov_b32_e32 v10, v30
.LBB429_162:
	s_or_b64 exec, exec, s[2:3]
	v_max_f32_e32 v21, v22, v22
	v_max_f32_e32 v29, v14, v14
	v_min_f32_e32 v28, v29, v21
	v_cmp_u_f16_e32 vcc, v30, v30
	v_max_f32_e32 v21, v29, v21
	v_cndmask_b32_e32 v28, v28, v14, vcc
	v_cndmask_b32_e32 v21, v21, v14, vcc
	v_cndmask_b32_e64 v28, v28, v22, s[72:73]
	v_cndmask_b32_e64 v22, v21, v22, s[72:73]
	s_movk_i32 s4, 0x1f8
	v_cmp_neq_f32_e32 vcc, v28, v22
	v_cmp_class_f32_e64 s[2:3], v28, s4
	s_or_b64 s[6:7], vcc, s[2:3]
	v_mov_b32_e32 v21, v10
	s_and_saveexec_b64 s[2:3], s[6:7]
	s_cbranch_execz .LBB429_164
; %bb.163:
	v_sub_f32_e32 v14, v28, v22
	s_mov_b32 s5, 0x3fb8aa3b
	v_mul_f32_e32 v21, 0x3fb8aa3b, v14
	v_fma_f32 v28, v14, s5, -v21
	v_rndne_f32_e32 v29, v21
	v_fmac_f32_e32 v28, 0x32a5705f, v14
	v_sub_f32_e32 v21, v21, v29
	v_add_f32_e32 v21, v21, v28
	v_exp_f32_e32 v21, v21
	v_cvt_i32_f32_e32 v28, v29
	s_mov_b32 s5, 0xc2ce8ed0
	v_cmp_ngt_f32_e32 vcc, s5, v14
	s_mov_b32 s5, 0x42b17218
	v_ldexp_f32 v21, v21, v28
	v_cndmask_b32_e32 v21, 0, v21, vcc
	v_mov_b32_e32 v30, 0x7f800000
	v_cmp_nlt_f32_e32 vcc, s5, v14
	v_cndmask_b32_e32 v14, v30, v21, vcc
	v_add_f32_e32 v21, 1.0, v14
	v_cvt_f64_f32_e32 v[28:29], v21
	v_add_f32_e32 v31, -1.0, v21
	v_sub_f32_e32 v32, v31, v21
	v_sub_f32_e32 v31, v14, v31
	v_frexp_exp_i32_f64_e32 v28, v[28:29]
	v_add_f32_e32 v29, 1.0, v32
	v_add_f32_e32 v29, v31, v29
	v_frexp_mant_f32_e32 v31, v21
	s_mov_b32 s6, 0x3f2aaaab
	v_cmp_gt_f32_e32 vcc, s6, v31
	s_mov_b32 s6, 0x3f317218
	s_mov_b32 s5, 0x7f800000
	v_subbrev_co_u32_e32 v28, vcc, 0, v28, vcc
	v_sub_u32_e32 v31, 0, v28
	v_ldexp_f32 v21, v21, v31
	v_ldexp_f32 v29, v29, v31
	v_add_f32_e32 v31, -1.0, v21
	v_add_f32_e32 v34, 1.0, v21
	v_add_f32_e32 v32, 1.0, v31
	v_add_f32_e32 v35, -1.0, v34
	v_sub_f32_e32 v32, v21, v32
	v_sub_f32_e32 v21, v21, v35
	v_add_f32_e32 v21, v29, v21
	v_add_f32_e32 v32, v29, v32
	;; [unrolled: 1-line block ×3, first 2 shown]
	v_rcp_f32_e32 v35, v29
	v_add_f32_e32 v33, v31, v32
	v_sub_f32_e32 v31, v31, v33
	v_add_f32_e32 v31, v32, v31
	v_sub_f32_e32 v32, v34, v29
	v_add_f32_e32 v21, v21, v32
	v_mul_f32_e32 v32, v33, v35
	v_mul_f32_e32 v34, v29, v32
	v_fma_f32 v36, v32, v29, -v34
	v_fmac_f32_e32 v36, v32, v21
	v_add_f32_e32 v37, v34, v36
	v_sub_f32_e32 v38, v33, v37
	v_sub_f32_e32 v33, v33, v38
	;; [unrolled: 1-line block ×4, first 2 shown]
	v_add_f32_e32 v31, v31, v33
	v_sub_f32_e32 v33, v34, v36
	v_add_f32_e32 v31, v33, v31
	v_add_f32_e32 v33, v38, v31
	v_mul_f32_e32 v34, v35, v33
	v_mul_f32_e32 v36, v29, v34
	v_fma_f32 v29, v34, v29, -v36
	v_fmac_f32_e32 v29, v34, v21
	v_sub_f32_e32 v21, v38, v33
	v_add_f32_e32 v21, v31, v21
	v_add_f32_e32 v31, v36, v29
	v_sub_f32_e32 v37, v33, v31
	v_sub_f32_e32 v33, v33, v37
	;; [unrolled: 1-line block ×4, first 2 shown]
	v_add_f32_e32 v21, v21, v31
	v_sub_f32_e32 v29, v36, v29
	v_add_f32_e32 v21, v29, v21
	v_add_f32_e32 v29, v32, v34
	;; [unrolled: 1-line block ×3, first 2 shown]
	v_sub_f32_e32 v31, v29, v32
	v_mul_f32_e32 v21, v35, v21
	v_sub_f32_e32 v31, v34, v31
	v_add_f32_e32 v21, v31, v21
	v_cvt_f32_i32_e32 v28, v28
	v_add_f32_e32 v31, v29, v21
	v_mul_f32_e32 v32, v31, v31
	v_mov_b32_e32 v33, 0x3ecc95a3
	v_fmac_f32_e32 v33, 0x3e9b6dac, v32
	v_mov_b32_e32 v34, 0x3f2aaada
	v_fmac_f32_e32 v34, v32, v33
	v_mul_f32_e32 v33, 0x3f317218, v28
	v_fma_f32 v35, v28, s6, -v33
	v_fmac_f32_e32 v35, 0xb102e308, v28
	v_sub_f32_e32 v28, v31, v29
	v_sub_f32_e32 v21, v21, v28
	v_add_f32_e32 v28, v33, v35
	v_sub_f32_e32 v29, v28, v33
	v_ldexp_f32 v33, v31, 1
	v_mul_f32_e32 v31, v31, v32
	v_mul_f32_e32 v31, v31, v34
	v_add_f32_e32 v32, v33, v31
	v_sub_f32_e32 v33, v32, v33
	v_ldexp_f32 v21, v21, 1
	v_sub_f32_e32 v31, v31, v33
	v_add_f32_e32 v21, v21, v31
	v_add_f32_e32 v31, v32, v21
	v_sub_f32_e32 v32, v31, v32
	v_sub_f32_e32 v21, v21, v32
	v_add_f32_e32 v32, v28, v31
	v_sub_f32_e32 v33, v32, v28
	v_sub_f32_e32 v34, v32, v33
	;; [unrolled: 1-line block ×5, first 2 shown]
	v_add_f32_e32 v28, v31, v28
	v_add_f32_e32 v31, v29, v21
	v_sub_f32_e32 v33, v31, v29
	v_sub_f32_e32 v34, v31, v33
	;; [unrolled: 1-line block ×4, first 2 shown]
	v_add_f32_e32 v28, v31, v28
	v_add_f32_e32 v21, v21, v29
	;; [unrolled: 1-line block ×3, first 2 shown]
	v_sub_f32_e32 v31, v29, v32
	v_sub_f32_e32 v28, v28, v31
	v_add_f32_e32 v21, v21, v28
	v_add_f32_e32 v21, v29, v21
	v_cmp_neq_f32_e32 vcc, s5, v14
	s_mov_b32 s5, 0x33800000
	v_cndmask_b32_e32 v21, v30, v21, vcc
	v_cmp_lt_f32_e64 vcc, |v14|, s5
	v_cndmask_b32_e32 v14, v21, v14, vcc
	v_add_f32_e32 v14, v22, v14
	v_cvt_f16_f32_e32 v30, v14
	v_cvt_f32_f16_e32 v14, v30
	v_mov_b32_e32 v21, v30
.LBB429_164:
	s_or_b64 exec, exec, s[2:3]
	v_max_f32_e32 v22, v11, v11
	v_max_f32_e32 v29, v14, v14
	v_min_f32_e32 v28, v29, v22
	v_cmp_u_f16_e32 vcc, v30, v30
	v_max_f32_e32 v22, v29, v22
	v_cndmask_b32_e32 v28, v28, v14, vcc
	v_cndmask_b32_e32 v22, v22, v14, vcc
	v_cndmask_b32_e64 v28, v28, v11, s[74:75]
	v_cndmask_b32_e64 v22, v22, v11, s[74:75]
	v_cmp_neq_f32_e32 vcc, v28, v22
	v_cmp_class_f32_e64 s[2:3], v28, s4
	s_or_b64 s[4:5], vcc, s[2:3]
	v_mov_b32_e32 v11, v21
	s_and_saveexec_b64 s[2:3], s[4:5]
	s_cbranch_execz .LBB429_166
; %bb.165:
	v_sub_f32_e32 v11, v28, v22
	s_mov_b32 s4, 0x3fb8aa3b
	v_mul_f32_e32 v14, 0x3fb8aa3b, v11
	v_fma_f32 v28, v11, s4, -v14
	v_rndne_f32_e32 v29, v14
	v_fmac_f32_e32 v28, 0x32a5705f, v11
	v_sub_f32_e32 v14, v14, v29
	v_add_f32_e32 v14, v14, v28
	v_exp_f32_e32 v14, v14
	v_cvt_i32_f32_e32 v28, v29
	s_mov_b32 s4, 0xc2ce8ed0
	v_cmp_ngt_f32_e32 vcc, s4, v11
	s_mov_b32 s4, 0x42b17218
	v_ldexp_f32 v14, v14, v28
	v_cndmask_b32_e32 v14, 0, v14, vcc
	v_mov_b32_e32 v30, 0x7f800000
	v_cmp_nlt_f32_e32 vcc, s4, v11
	v_cndmask_b32_e32 v11, v30, v14, vcc
	v_add_f32_e32 v14, 1.0, v11
	v_cvt_f64_f32_e32 v[28:29], v14
	v_add_f32_e32 v31, -1.0, v14
	v_sub_f32_e32 v32, v31, v14
	v_sub_f32_e32 v31, v11, v31
	v_frexp_exp_i32_f64_e32 v28, v[28:29]
	v_add_f32_e32 v29, 1.0, v32
	v_add_f32_e32 v29, v31, v29
	v_frexp_mant_f32_e32 v31, v14
	s_mov_b32 s5, 0x3f2aaaab
	v_cmp_gt_f32_e32 vcc, s5, v31
	s_mov_b32 s5, 0x3f317218
	s_mov_b32 s4, 0x7f800000
	v_subbrev_co_u32_e32 v28, vcc, 0, v28, vcc
	v_sub_u32_e32 v31, 0, v28
	v_ldexp_f32 v14, v14, v31
	v_ldexp_f32 v29, v29, v31
	v_add_f32_e32 v31, -1.0, v14
	v_add_f32_e32 v34, 1.0, v14
	v_add_f32_e32 v32, 1.0, v31
	v_add_f32_e32 v35, -1.0, v34
	v_sub_f32_e32 v32, v14, v32
	v_sub_f32_e32 v14, v14, v35
	v_add_f32_e32 v14, v29, v14
	v_add_f32_e32 v32, v29, v32
	v_add_f32_e32 v29, v34, v14
	v_rcp_f32_e32 v35, v29
	v_add_f32_e32 v33, v31, v32
	v_sub_f32_e32 v31, v31, v33
	v_add_f32_e32 v31, v32, v31
	v_sub_f32_e32 v32, v34, v29
	v_add_f32_e32 v14, v14, v32
	v_mul_f32_e32 v32, v33, v35
	v_mul_f32_e32 v34, v29, v32
	v_fma_f32 v36, v32, v29, -v34
	v_fmac_f32_e32 v36, v32, v14
	v_add_f32_e32 v37, v34, v36
	v_sub_f32_e32 v38, v33, v37
	v_sub_f32_e32 v33, v33, v38
	;; [unrolled: 1-line block ×4, first 2 shown]
	v_add_f32_e32 v31, v31, v33
	v_sub_f32_e32 v33, v34, v36
	v_add_f32_e32 v31, v33, v31
	v_add_f32_e32 v33, v38, v31
	v_mul_f32_e32 v34, v35, v33
	v_mul_f32_e32 v36, v29, v34
	v_fma_f32 v29, v34, v29, -v36
	v_fmac_f32_e32 v29, v34, v14
	v_sub_f32_e32 v14, v38, v33
	v_add_f32_e32 v14, v31, v14
	v_add_f32_e32 v31, v36, v29
	v_sub_f32_e32 v37, v33, v31
	v_sub_f32_e32 v33, v33, v37
	;; [unrolled: 1-line block ×4, first 2 shown]
	v_add_f32_e32 v14, v14, v31
	v_sub_f32_e32 v29, v36, v29
	v_add_f32_e32 v14, v29, v14
	v_add_f32_e32 v29, v32, v34
	;; [unrolled: 1-line block ×3, first 2 shown]
	v_sub_f32_e32 v31, v29, v32
	v_mul_f32_e32 v14, v35, v14
	v_sub_f32_e32 v31, v34, v31
	v_add_f32_e32 v14, v31, v14
	v_cvt_f32_i32_e32 v28, v28
	v_add_f32_e32 v31, v29, v14
	v_mul_f32_e32 v32, v31, v31
	v_mov_b32_e32 v33, 0x3ecc95a3
	v_fmac_f32_e32 v33, 0x3e9b6dac, v32
	v_mov_b32_e32 v34, 0x3f2aaada
	v_fmac_f32_e32 v34, v32, v33
	v_mul_f32_e32 v33, 0x3f317218, v28
	v_fma_f32 v35, v28, s5, -v33
	v_fmac_f32_e32 v35, 0xb102e308, v28
	v_sub_f32_e32 v28, v31, v29
	v_sub_f32_e32 v14, v14, v28
	v_add_f32_e32 v28, v33, v35
	v_sub_f32_e32 v29, v28, v33
	v_ldexp_f32 v33, v31, 1
	v_mul_f32_e32 v31, v31, v32
	v_mul_f32_e32 v31, v31, v34
	v_add_f32_e32 v32, v33, v31
	v_sub_f32_e32 v33, v32, v33
	v_ldexp_f32 v14, v14, 1
	v_sub_f32_e32 v31, v31, v33
	v_add_f32_e32 v14, v14, v31
	v_add_f32_e32 v31, v32, v14
	v_sub_f32_e32 v32, v31, v32
	v_sub_f32_e32 v14, v14, v32
	v_add_f32_e32 v32, v28, v31
	v_sub_f32_e32 v33, v32, v28
	v_sub_f32_e32 v34, v32, v33
	;; [unrolled: 1-line block ×5, first 2 shown]
	v_add_f32_e32 v28, v31, v28
	v_add_f32_e32 v31, v29, v14
	v_sub_f32_e32 v33, v31, v29
	v_sub_f32_e32 v34, v31, v33
	;; [unrolled: 1-line block ×4, first 2 shown]
	v_add_f32_e32 v28, v31, v28
	v_add_f32_e32 v14, v14, v29
	;; [unrolled: 1-line block ×3, first 2 shown]
	v_sub_f32_e32 v31, v29, v32
	v_sub_f32_e32 v28, v28, v31
	v_add_f32_e32 v14, v14, v28
	v_add_f32_e32 v14, v29, v14
	v_cmp_neq_f32_e32 vcc, s4, v11
	s_mov_b32 s4, 0x33800000
	v_cndmask_b32_e32 v14, v30, v14, vcc
	v_cmp_lt_f32_e64 vcc, |v11|, s4
	v_cndmask_b32_e32 v11, v14, v11, vcc
	v_add_f32_e32 v11, v22, v11
	v_cvt_f16_f32_e32 v30, v11
	v_cvt_f32_f16_e32 v14, v30
	v_mov_b32_e32 v11, v30
.LBB429_166:
	s_or_b64 exec, exec, s[2:3]
	v_max_f32_e32 v22, v23, v23
	v_max_f32_e32 v29, v14, v14
	v_min_f32_e32 v28, v29, v22
	v_cmp_u_f16_e32 vcc, v30, v30
	v_max_f32_e32 v22, v29, v22
	v_cndmask_b32_e32 v28, v28, v14, vcc
	v_cndmask_b32_e32 v22, v22, v14, vcc
	v_cndmask_b32_e64 v28, v28, v23, s[76:77]
	v_cndmask_b32_e64 v23, v22, v23, s[76:77]
	s_movk_i32 s4, 0x1f8
	v_cmp_neq_f32_e32 vcc, v28, v23
	v_cmp_class_f32_e64 s[2:3], v28, s4
	s_or_b64 s[6:7], vcc, s[2:3]
	v_mov_b32_e32 v22, v11
	s_and_saveexec_b64 s[2:3], s[6:7]
	s_cbranch_execz .LBB429_168
; %bb.167:
	v_sub_f32_e32 v14, v28, v23
	s_mov_b32 s5, 0x3fb8aa3b
	v_mul_f32_e32 v22, 0x3fb8aa3b, v14
	v_fma_f32 v28, v14, s5, -v22
	v_rndne_f32_e32 v29, v22
	v_fmac_f32_e32 v28, 0x32a5705f, v14
	v_sub_f32_e32 v22, v22, v29
	v_add_f32_e32 v22, v22, v28
	v_exp_f32_e32 v22, v22
	v_cvt_i32_f32_e32 v28, v29
	s_mov_b32 s5, 0xc2ce8ed0
	v_cmp_ngt_f32_e32 vcc, s5, v14
	s_mov_b32 s5, 0x42b17218
	v_ldexp_f32 v22, v22, v28
	v_cndmask_b32_e32 v22, 0, v22, vcc
	v_mov_b32_e32 v30, 0x7f800000
	v_cmp_nlt_f32_e32 vcc, s5, v14
	v_cndmask_b32_e32 v14, v30, v22, vcc
	v_add_f32_e32 v22, 1.0, v14
	v_cvt_f64_f32_e32 v[28:29], v22
	v_add_f32_e32 v31, -1.0, v22
	v_sub_f32_e32 v32, v31, v22
	v_sub_f32_e32 v31, v14, v31
	v_frexp_exp_i32_f64_e32 v28, v[28:29]
	v_add_f32_e32 v29, 1.0, v32
	v_add_f32_e32 v29, v31, v29
	v_frexp_mant_f32_e32 v31, v22
	s_mov_b32 s6, 0x3f2aaaab
	v_cmp_gt_f32_e32 vcc, s6, v31
	s_mov_b32 s6, 0x3f317218
	s_mov_b32 s5, 0x7f800000
	v_subbrev_co_u32_e32 v28, vcc, 0, v28, vcc
	v_sub_u32_e32 v31, 0, v28
	v_ldexp_f32 v22, v22, v31
	v_ldexp_f32 v29, v29, v31
	v_add_f32_e32 v31, -1.0, v22
	v_add_f32_e32 v34, 1.0, v22
	v_add_f32_e32 v32, 1.0, v31
	v_add_f32_e32 v35, -1.0, v34
	v_sub_f32_e32 v32, v22, v32
	v_sub_f32_e32 v22, v22, v35
	v_add_f32_e32 v22, v29, v22
	v_add_f32_e32 v32, v29, v32
	;; [unrolled: 1-line block ×3, first 2 shown]
	v_rcp_f32_e32 v35, v29
	v_add_f32_e32 v33, v31, v32
	v_sub_f32_e32 v31, v31, v33
	v_add_f32_e32 v31, v32, v31
	v_sub_f32_e32 v32, v34, v29
	v_add_f32_e32 v22, v22, v32
	v_mul_f32_e32 v32, v33, v35
	v_mul_f32_e32 v34, v29, v32
	v_fma_f32 v36, v32, v29, -v34
	v_fmac_f32_e32 v36, v32, v22
	v_add_f32_e32 v37, v34, v36
	v_sub_f32_e32 v38, v33, v37
	v_sub_f32_e32 v33, v33, v38
	;; [unrolled: 1-line block ×4, first 2 shown]
	v_add_f32_e32 v31, v31, v33
	v_sub_f32_e32 v33, v34, v36
	v_add_f32_e32 v31, v33, v31
	v_add_f32_e32 v33, v38, v31
	v_mul_f32_e32 v34, v35, v33
	v_mul_f32_e32 v36, v29, v34
	v_fma_f32 v29, v34, v29, -v36
	v_fmac_f32_e32 v29, v34, v22
	v_sub_f32_e32 v22, v38, v33
	v_add_f32_e32 v22, v31, v22
	v_add_f32_e32 v31, v36, v29
	v_sub_f32_e32 v37, v33, v31
	v_sub_f32_e32 v33, v33, v37
	;; [unrolled: 1-line block ×4, first 2 shown]
	v_add_f32_e32 v22, v22, v31
	v_sub_f32_e32 v29, v36, v29
	v_add_f32_e32 v22, v29, v22
	v_add_f32_e32 v29, v32, v34
	;; [unrolled: 1-line block ×3, first 2 shown]
	v_sub_f32_e32 v31, v29, v32
	v_mul_f32_e32 v22, v35, v22
	v_sub_f32_e32 v31, v34, v31
	v_add_f32_e32 v22, v31, v22
	v_cvt_f32_i32_e32 v28, v28
	v_add_f32_e32 v31, v29, v22
	v_mul_f32_e32 v32, v31, v31
	v_mov_b32_e32 v33, 0x3ecc95a3
	v_fmac_f32_e32 v33, 0x3e9b6dac, v32
	v_mov_b32_e32 v34, 0x3f2aaada
	v_fmac_f32_e32 v34, v32, v33
	v_mul_f32_e32 v33, 0x3f317218, v28
	v_fma_f32 v35, v28, s6, -v33
	v_fmac_f32_e32 v35, 0xb102e308, v28
	v_sub_f32_e32 v28, v31, v29
	v_sub_f32_e32 v22, v22, v28
	v_add_f32_e32 v28, v33, v35
	v_sub_f32_e32 v29, v28, v33
	v_ldexp_f32 v33, v31, 1
	v_mul_f32_e32 v31, v31, v32
	v_mul_f32_e32 v31, v31, v34
	v_add_f32_e32 v32, v33, v31
	v_sub_f32_e32 v33, v32, v33
	v_ldexp_f32 v22, v22, 1
	v_sub_f32_e32 v31, v31, v33
	v_add_f32_e32 v22, v22, v31
	v_add_f32_e32 v31, v32, v22
	v_sub_f32_e32 v32, v31, v32
	v_sub_f32_e32 v22, v22, v32
	v_add_f32_e32 v32, v28, v31
	v_sub_f32_e32 v33, v32, v28
	v_sub_f32_e32 v34, v32, v33
	;; [unrolled: 1-line block ×5, first 2 shown]
	v_add_f32_e32 v28, v31, v28
	v_add_f32_e32 v31, v29, v22
	v_sub_f32_e32 v33, v31, v29
	v_sub_f32_e32 v34, v31, v33
	;; [unrolled: 1-line block ×4, first 2 shown]
	v_add_f32_e32 v28, v31, v28
	v_add_f32_e32 v22, v22, v29
	;; [unrolled: 1-line block ×3, first 2 shown]
	v_sub_f32_e32 v31, v29, v32
	v_sub_f32_e32 v28, v28, v31
	v_add_f32_e32 v22, v22, v28
	v_add_f32_e32 v22, v29, v22
	v_cmp_neq_f32_e32 vcc, s5, v14
	s_mov_b32 s5, 0x33800000
	v_cndmask_b32_e32 v22, v30, v22, vcc
	v_cmp_lt_f32_e64 vcc, |v14|, s5
	v_cndmask_b32_e32 v14, v22, v14, vcc
	v_add_f32_e32 v14, v23, v14
	v_cvt_f16_f32_e32 v30, v14
	v_cvt_f32_f16_e32 v14, v30
	v_mov_b32_e32 v22, v30
.LBB429_168:
	s_or_b64 exec, exec, s[2:3]
	v_max_f32_e32 v23, v12, v12
	v_max_f32_e32 v29, v14, v14
	v_min_f32_e32 v28, v29, v23
	v_cmp_u_f16_e32 vcc, v30, v30
	v_max_f32_e32 v23, v29, v23
	v_cndmask_b32_e32 v28, v28, v14, vcc
	v_cndmask_b32_e32 v23, v23, v14, vcc
	v_cndmask_b32_e64 v28, v28, v12, s[78:79]
	v_cndmask_b32_e64 v23, v23, v12, s[78:79]
	v_cmp_neq_f32_e32 vcc, v28, v23
	v_cmp_class_f32_e64 s[2:3], v28, s4
	s_or_b64 s[4:5], vcc, s[2:3]
	v_mov_b32_e32 v12, v22
	s_and_saveexec_b64 s[2:3], s[4:5]
	s_cbranch_execz .LBB429_170
; %bb.169:
	v_sub_f32_e32 v12, v28, v23
	s_mov_b32 s4, 0x3fb8aa3b
	v_mul_f32_e32 v14, 0x3fb8aa3b, v12
	v_fma_f32 v28, v12, s4, -v14
	v_rndne_f32_e32 v29, v14
	v_fmac_f32_e32 v28, 0x32a5705f, v12
	v_sub_f32_e32 v14, v14, v29
	v_add_f32_e32 v14, v14, v28
	v_exp_f32_e32 v14, v14
	v_cvt_i32_f32_e32 v28, v29
	s_mov_b32 s4, 0xc2ce8ed0
	v_cmp_ngt_f32_e32 vcc, s4, v12
	s_mov_b32 s4, 0x42b17218
	v_ldexp_f32 v14, v14, v28
	v_cndmask_b32_e32 v14, 0, v14, vcc
	v_mov_b32_e32 v30, 0x7f800000
	v_cmp_nlt_f32_e32 vcc, s4, v12
	v_cndmask_b32_e32 v12, v30, v14, vcc
	v_add_f32_e32 v14, 1.0, v12
	v_cvt_f64_f32_e32 v[28:29], v14
	v_add_f32_e32 v31, -1.0, v14
	v_sub_f32_e32 v32, v31, v14
	v_sub_f32_e32 v31, v12, v31
	v_frexp_exp_i32_f64_e32 v28, v[28:29]
	v_add_f32_e32 v29, 1.0, v32
	v_add_f32_e32 v29, v31, v29
	v_frexp_mant_f32_e32 v31, v14
	s_mov_b32 s5, 0x3f2aaaab
	v_cmp_gt_f32_e32 vcc, s5, v31
	s_mov_b32 s5, 0x3f317218
	s_mov_b32 s4, 0x7f800000
	v_subbrev_co_u32_e32 v28, vcc, 0, v28, vcc
	v_sub_u32_e32 v31, 0, v28
	v_ldexp_f32 v14, v14, v31
	v_ldexp_f32 v29, v29, v31
	v_add_f32_e32 v31, -1.0, v14
	v_add_f32_e32 v34, 1.0, v14
	v_add_f32_e32 v32, 1.0, v31
	v_add_f32_e32 v35, -1.0, v34
	v_sub_f32_e32 v32, v14, v32
	v_sub_f32_e32 v14, v14, v35
	v_add_f32_e32 v14, v29, v14
	v_add_f32_e32 v32, v29, v32
	;; [unrolled: 1-line block ×3, first 2 shown]
	v_rcp_f32_e32 v35, v29
	v_add_f32_e32 v33, v31, v32
	v_sub_f32_e32 v31, v31, v33
	v_add_f32_e32 v31, v32, v31
	v_sub_f32_e32 v32, v34, v29
	v_add_f32_e32 v14, v14, v32
	v_mul_f32_e32 v32, v33, v35
	v_mul_f32_e32 v34, v29, v32
	v_fma_f32 v36, v32, v29, -v34
	v_fmac_f32_e32 v36, v32, v14
	v_add_f32_e32 v37, v34, v36
	v_sub_f32_e32 v38, v33, v37
	v_sub_f32_e32 v33, v33, v38
	;; [unrolled: 1-line block ×4, first 2 shown]
	v_add_f32_e32 v31, v31, v33
	v_sub_f32_e32 v33, v34, v36
	v_add_f32_e32 v31, v33, v31
	v_add_f32_e32 v33, v38, v31
	v_mul_f32_e32 v34, v35, v33
	v_mul_f32_e32 v36, v29, v34
	v_fma_f32 v29, v34, v29, -v36
	v_fmac_f32_e32 v29, v34, v14
	v_sub_f32_e32 v14, v38, v33
	v_add_f32_e32 v14, v31, v14
	v_add_f32_e32 v31, v36, v29
	v_sub_f32_e32 v37, v33, v31
	v_sub_f32_e32 v33, v33, v37
	;; [unrolled: 1-line block ×4, first 2 shown]
	v_add_f32_e32 v14, v14, v31
	v_sub_f32_e32 v29, v36, v29
	v_add_f32_e32 v14, v29, v14
	v_add_f32_e32 v29, v32, v34
	;; [unrolled: 1-line block ×3, first 2 shown]
	v_sub_f32_e32 v31, v29, v32
	v_mul_f32_e32 v14, v35, v14
	v_sub_f32_e32 v31, v34, v31
	v_add_f32_e32 v14, v31, v14
	v_cvt_f32_i32_e32 v28, v28
	v_add_f32_e32 v31, v29, v14
	v_mul_f32_e32 v32, v31, v31
	v_mov_b32_e32 v33, 0x3ecc95a3
	v_fmac_f32_e32 v33, 0x3e9b6dac, v32
	v_mov_b32_e32 v34, 0x3f2aaada
	v_fmac_f32_e32 v34, v32, v33
	v_mul_f32_e32 v33, 0x3f317218, v28
	v_fma_f32 v35, v28, s5, -v33
	v_fmac_f32_e32 v35, 0xb102e308, v28
	v_sub_f32_e32 v28, v31, v29
	v_sub_f32_e32 v14, v14, v28
	v_add_f32_e32 v28, v33, v35
	v_sub_f32_e32 v29, v28, v33
	v_ldexp_f32 v33, v31, 1
	v_mul_f32_e32 v31, v31, v32
	v_mul_f32_e32 v31, v31, v34
	v_add_f32_e32 v32, v33, v31
	v_sub_f32_e32 v33, v32, v33
	v_ldexp_f32 v14, v14, 1
	v_sub_f32_e32 v31, v31, v33
	v_add_f32_e32 v14, v14, v31
	v_add_f32_e32 v31, v32, v14
	v_sub_f32_e32 v32, v31, v32
	v_sub_f32_e32 v14, v14, v32
	v_add_f32_e32 v32, v28, v31
	v_sub_f32_e32 v33, v32, v28
	v_sub_f32_e32 v34, v32, v33
	v_sub_f32_e32 v29, v35, v29
	v_sub_f32_e32 v28, v28, v34
	v_sub_f32_e32 v31, v31, v33
	v_add_f32_e32 v28, v31, v28
	v_add_f32_e32 v31, v29, v14
	v_sub_f32_e32 v33, v31, v29
	v_sub_f32_e32 v34, v31, v33
	v_sub_f32_e32 v29, v29, v34
	v_sub_f32_e32 v14, v14, v33
	v_add_f32_e32 v28, v31, v28
	v_add_f32_e32 v14, v14, v29
	;; [unrolled: 1-line block ×3, first 2 shown]
	v_sub_f32_e32 v31, v29, v32
	v_sub_f32_e32 v28, v28, v31
	v_add_f32_e32 v14, v14, v28
	v_add_f32_e32 v14, v29, v14
	v_cmp_neq_f32_e32 vcc, s4, v12
	s_mov_b32 s4, 0x33800000
	v_cndmask_b32_e32 v14, v30, v14, vcc
	v_cmp_lt_f32_e64 vcc, |v12|, s4
	v_cndmask_b32_e32 v12, v14, v12, vcc
	v_add_f32_e32 v12, v23, v12
	v_cvt_f16_f32_e32 v30, v12
	v_cvt_f32_f16_e32 v14, v30
	v_mov_b32_e32 v12, v30
.LBB429_170:
	s_or_b64 exec, exec, s[2:3]
	v_max_f32_e32 v23, v24, v24
	v_max_f32_e32 v29, v14, v14
	v_min_f32_e32 v28, v29, v23
	v_cmp_u_f16_e32 vcc, v30, v30
	v_max_f32_e32 v23, v29, v23
	v_cndmask_b32_e32 v28, v28, v14, vcc
	v_cndmask_b32_e32 v23, v23, v14, vcc
	v_cndmask_b32_e64 v28, v28, v24, s[80:81]
	v_cndmask_b32_e64 v24, v23, v24, s[80:81]
	s_movk_i32 s4, 0x1f8
	v_cmp_neq_f32_e32 vcc, v28, v24
	v_cmp_class_f32_e64 s[2:3], v28, s4
	s_or_b64 s[6:7], vcc, s[2:3]
	v_mov_b32_e32 v23, v12
	s_and_saveexec_b64 s[2:3], s[6:7]
	s_cbranch_execz .LBB429_172
; %bb.171:
	v_sub_f32_e32 v14, v28, v24
	s_mov_b32 s5, 0x3fb8aa3b
	v_mul_f32_e32 v23, 0x3fb8aa3b, v14
	v_fma_f32 v28, v14, s5, -v23
	v_rndne_f32_e32 v29, v23
	v_fmac_f32_e32 v28, 0x32a5705f, v14
	v_sub_f32_e32 v23, v23, v29
	v_add_f32_e32 v23, v23, v28
	v_exp_f32_e32 v23, v23
	v_cvt_i32_f32_e32 v28, v29
	s_mov_b32 s5, 0xc2ce8ed0
	v_cmp_ngt_f32_e32 vcc, s5, v14
	s_mov_b32 s5, 0x42b17218
	v_ldexp_f32 v23, v23, v28
	v_cndmask_b32_e32 v23, 0, v23, vcc
	v_mov_b32_e32 v30, 0x7f800000
	v_cmp_nlt_f32_e32 vcc, s5, v14
	v_cndmask_b32_e32 v14, v30, v23, vcc
	v_add_f32_e32 v23, 1.0, v14
	v_cvt_f64_f32_e32 v[28:29], v23
	v_add_f32_e32 v31, -1.0, v23
	v_sub_f32_e32 v32, v31, v23
	v_sub_f32_e32 v31, v14, v31
	v_frexp_exp_i32_f64_e32 v28, v[28:29]
	v_add_f32_e32 v29, 1.0, v32
	v_add_f32_e32 v29, v31, v29
	v_frexp_mant_f32_e32 v31, v23
	s_mov_b32 s6, 0x3f2aaaab
	v_cmp_gt_f32_e32 vcc, s6, v31
	s_mov_b32 s6, 0x3f317218
	s_mov_b32 s5, 0x7f800000
	v_subbrev_co_u32_e32 v28, vcc, 0, v28, vcc
	v_sub_u32_e32 v31, 0, v28
	v_ldexp_f32 v23, v23, v31
	v_ldexp_f32 v29, v29, v31
	v_add_f32_e32 v31, -1.0, v23
	v_add_f32_e32 v34, 1.0, v23
	v_add_f32_e32 v32, 1.0, v31
	v_add_f32_e32 v35, -1.0, v34
	v_sub_f32_e32 v32, v23, v32
	v_sub_f32_e32 v23, v23, v35
	v_add_f32_e32 v23, v29, v23
	v_add_f32_e32 v32, v29, v32
	;; [unrolled: 1-line block ×3, first 2 shown]
	v_rcp_f32_e32 v35, v29
	v_add_f32_e32 v33, v31, v32
	v_sub_f32_e32 v31, v31, v33
	v_add_f32_e32 v31, v32, v31
	v_sub_f32_e32 v32, v34, v29
	v_add_f32_e32 v23, v23, v32
	v_mul_f32_e32 v32, v33, v35
	v_mul_f32_e32 v34, v29, v32
	v_fma_f32 v36, v32, v29, -v34
	v_fmac_f32_e32 v36, v32, v23
	v_add_f32_e32 v37, v34, v36
	v_sub_f32_e32 v38, v33, v37
	v_sub_f32_e32 v33, v33, v38
	;; [unrolled: 1-line block ×4, first 2 shown]
	v_add_f32_e32 v31, v31, v33
	v_sub_f32_e32 v33, v34, v36
	v_add_f32_e32 v31, v33, v31
	v_add_f32_e32 v33, v38, v31
	v_mul_f32_e32 v34, v35, v33
	v_mul_f32_e32 v36, v29, v34
	v_fma_f32 v29, v34, v29, -v36
	v_fmac_f32_e32 v29, v34, v23
	v_sub_f32_e32 v23, v38, v33
	v_add_f32_e32 v23, v31, v23
	v_add_f32_e32 v31, v36, v29
	v_sub_f32_e32 v37, v33, v31
	v_sub_f32_e32 v33, v33, v37
	;; [unrolled: 1-line block ×4, first 2 shown]
	v_add_f32_e32 v23, v23, v31
	v_sub_f32_e32 v29, v36, v29
	v_add_f32_e32 v23, v29, v23
	v_add_f32_e32 v29, v32, v34
	;; [unrolled: 1-line block ×3, first 2 shown]
	v_sub_f32_e32 v31, v29, v32
	v_mul_f32_e32 v23, v35, v23
	v_sub_f32_e32 v31, v34, v31
	v_add_f32_e32 v23, v31, v23
	v_cvt_f32_i32_e32 v28, v28
	v_add_f32_e32 v31, v29, v23
	v_mul_f32_e32 v32, v31, v31
	v_mov_b32_e32 v33, 0x3ecc95a3
	v_fmac_f32_e32 v33, 0x3e9b6dac, v32
	v_mov_b32_e32 v34, 0x3f2aaada
	v_fmac_f32_e32 v34, v32, v33
	v_mul_f32_e32 v33, 0x3f317218, v28
	v_fma_f32 v35, v28, s6, -v33
	v_fmac_f32_e32 v35, 0xb102e308, v28
	v_sub_f32_e32 v28, v31, v29
	v_sub_f32_e32 v23, v23, v28
	v_add_f32_e32 v28, v33, v35
	v_sub_f32_e32 v29, v28, v33
	v_ldexp_f32 v33, v31, 1
	v_mul_f32_e32 v31, v31, v32
	v_mul_f32_e32 v31, v31, v34
	v_add_f32_e32 v32, v33, v31
	v_sub_f32_e32 v33, v32, v33
	v_ldexp_f32 v23, v23, 1
	v_sub_f32_e32 v31, v31, v33
	v_add_f32_e32 v23, v23, v31
	v_add_f32_e32 v31, v32, v23
	v_sub_f32_e32 v32, v31, v32
	v_sub_f32_e32 v23, v23, v32
	v_add_f32_e32 v32, v28, v31
	v_sub_f32_e32 v33, v32, v28
	v_sub_f32_e32 v34, v32, v33
	;; [unrolled: 1-line block ×5, first 2 shown]
	v_add_f32_e32 v28, v31, v28
	v_add_f32_e32 v31, v29, v23
	v_sub_f32_e32 v33, v31, v29
	v_sub_f32_e32 v34, v31, v33
	v_sub_f32_e32 v29, v29, v34
	v_sub_f32_e32 v23, v23, v33
	v_add_f32_e32 v28, v31, v28
	v_add_f32_e32 v23, v23, v29
	;; [unrolled: 1-line block ×3, first 2 shown]
	v_sub_f32_e32 v31, v29, v32
	v_sub_f32_e32 v28, v28, v31
	v_add_f32_e32 v23, v23, v28
	v_add_f32_e32 v23, v29, v23
	v_cmp_neq_f32_e32 vcc, s5, v14
	s_mov_b32 s5, 0x33800000
	v_cndmask_b32_e32 v23, v30, v23, vcc
	v_cmp_lt_f32_e64 vcc, |v14|, s5
	v_cndmask_b32_e32 v14, v23, v14, vcc
	v_add_f32_e32 v14, v24, v14
	v_cvt_f16_f32_e32 v30, v14
	v_cvt_f32_f16_e32 v14, v30
	v_mov_b32_e32 v23, v30
.LBB429_172:
	s_or_b64 exec, exec, s[2:3]
	v_max_f32_e32 v24, v5, v5
	v_max_f32_e32 v29, v14, v14
	v_min_f32_e32 v28, v29, v24
	v_cmp_u_f16_e32 vcc, v30, v30
	v_max_f32_e32 v24, v29, v24
	v_cndmask_b32_e32 v28, v28, v14, vcc
	v_cndmask_b32_e32 v24, v24, v14, vcc
	v_cndmask_b32_e64 v28, v28, v5, s[82:83]
	v_cndmask_b32_e64 v24, v24, v5, s[82:83]
	v_cmp_neq_f32_e32 vcc, v28, v24
	v_cmp_class_f32_e64 s[2:3], v28, s4
	s_or_b64 s[4:5], vcc, s[2:3]
	v_mov_b32_e32 v5, v23
	s_and_saveexec_b64 s[2:3], s[4:5]
	s_cbranch_execz .LBB429_174
; %bb.173:
	v_sub_f32_e32 v5, v28, v24
	s_mov_b32 s4, 0x3fb8aa3b
	v_mul_f32_e32 v14, 0x3fb8aa3b, v5
	v_fma_f32 v28, v5, s4, -v14
	v_rndne_f32_e32 v29, v14
	v_fmac_f32_e32 v28, 0x32a5705f, v5
	v_sub_f32_e32 v14, v14, v29
	v_add_f32_e32 v14, v14, v28
	v_exp_f32_e32 v14, v14
	v_cvt_i32_f32_e32 v28, v29
	s_mov_b32 s4, 0xc2ce8ed0
	v_cmp_ngt_f32_e32 vcc, s4, v5
	s_mov_b32 s4, 0x42b17218
	v_ldexp_f32 v14, v14, v28
	v_cndmask_b32_e32 v14, 0, v14, vcc
	v_mov_b32_e32 v30, 0x7f800000
	v_cmp_nlt_f32_e32 vcc, s4, v5
	v_cndmask_b32_e32 v5, v30, v14, vcc
	v_add_f32_e32 v14, 1.0, v5
	v_cvt_f64_f32_e32 v[28:29], v14
	v_add_f32_e32 v31, -1.0, v14
	v_sub_f32_e32 v32, v31, v14
	v_sub_f32_e32 v31, v5, v31
	v_frexp_exp_i32_f64_e32 v28, v[28:29]
	v_add_f32_e32 v29, 1.0, v32
	v_add_f32_e32 v29, v31, v29
	v_frexp_mant_f32_e32 v31, v14
	s_mov_b32 s5, 0x3f2aaaab
	v_cmp_gt_f32_e32 vcc, s5, v31
	s_mov_b32 s5, 0x3f317218
	s_mov_b32 s4, 0x7f800000
	v_subbrev_co_u32_e32 v28, vcc, 0, v28, vcc
	v_sub_u32_e32 v31, 0, v28
	v_ldexp_f32 v14, v14, v31
	v_ldexp_f32 v29, v29, v31
	v_add_f32_e32 v31, -1.0, v14
	v_add_f32_e32 v34, 1.0, v14
	v_add_f32_e32 v32, 1.0, v31
	v_add_f32_e32 v35, -1.0, v34
	v_sub_f32_e32 v32, v14, v32
	v_sub_f32_e32 v14, v14, v35
	v_add_f32_e32 v14, v29, v14
	v_add_f32_e32 v32, v29, v32
	;; [unrolled: 1-line block ×3, first 2 shown]
	v_rcp_f32_e32 v35, v29
	v_add_f32_e32 v33, v31, v32
	v_sub_f32_e32 v31, v31, v33
	v_add_f32_e32 v31, v32, v31
	v_sub_f32_e32 v32, v34, v29
	v_add_f32_e32 v14, v14, v32
	v_mul_f32_e32 v32, v33, v35
	v_mul_f32_e32 v34, v29, v32
	v_fma_f32 v36, v32, v29, -v34
	v_fmac_f32_e32 v36, v32, v14
	v_add_f32_e32 v37, v34, v36
	v_sub_f32_e32 v38, v33, v37
	v_sub_f32_e32 v33, v33, v38
	;; [unrolled: 1-line block ×4, first 2 shown]
	v_add_f32_e32 v31, v31, v33
	v_sub_f32_e32 v33, v34, v36
	v_add_f32_e32 v31, v33, v31
	v_add_f32_e32 v33, v38, v31
	v_mul_f32_e32 v34, v35, v33
	v_mul_f32_e32 v36, v29, v34
	v_fma_f32 v29, v34, v29, -v36
	v_fmac_f32_e32 v29, v34, v14
	v_sub_f32_e32 v14, v38, v33
	v_add_f32_e32 v14, v31, v14
	v_add_f32_e32 v31, v36, v29
	v_sub_f32_e32 v37, v33, v31
	v_sub_f32_e32 v33, v33, v37
	;; [unrolled: 1-line block ×4, first 2 shown]
	v_add_f32_e32 v14, v14, v31
	v_sub_f32_e32 v29, v36, v29
	v_add_f32_e32 v14, v29, v14
	v_add_f32_e32 v29, v32, v34
	;; [unrolled: 1-line block ×3, first 2 shown]
	v_sub_f32_e32 v31, v29, v32
	v_mul_f32_e32 v14, v35, v14
	v_sub_f32_e32 v31, v34, v31
	v_add_f32_e32 v14, v31, v14
	v_cvt_f32_i32_e32 v28, v28
	v_add_f32_e32 v31, v29, v14
	v_mul_f32_e32 v32, v31, v31
	v_mov_b32_e32 v33, 0x3ecc95a3
	v_fmac_f32_e32 v33, 0x3e9b6dac, v32
	v_mov_b32_e32 v34, 0x3f2aaada
	v_fmac_f32_e32 v34, v32, v33
	v_mul_f32_e32 v33, 0x3f317218, v28
	v_fma_f32 v35, v28, s5, -v33
	v_fmac_f32_e32 v35, 0xb102e308, v28
	v_sub_f32_e32 v28, v31, v29
	v_sub_f32_e32 v14, v14, v28
	v_add_f32_e32 v28, v33, v35
	v_sub_f32_e32 v29, v28, v33
	v_ldexp_f32 v33, v31, 1
	v_mul_f32_e32 v31, v31, v32
	v_mul_f32_e32 v31, v31, v34
	v_add_f32_e32 v32, v33, v31
	v_sub_f32_e32 v33, v32, v33
	v_ldexp_f32 v14, v14, 1
	v_sub_f32_e32 v31, v31, v33
	v_add_f32_e32 v14, v14, v31
	v_add_f32_e32 v31, v32, v14
	v_sub_f32_e32 v32, v31, v32
	v_sub_f32_e32 v14, v14, v32
	v_add_f32_e32 v32, v28, v31
	v_sub_f32_e32 v33, v32, v28
	v_sub_f32_e32 v34, v32, v33
	;; [unrolled: 1-line block ×5, first 2 shown]
	v_add_f32_e32 v28, v31, v28
	v_add_f32_e32 v31, v29, v14
	v_sub_f32_e32 v33, v31, v29
	v_sub_f32_e32 v34, v31, v33
	;; [unrolled: 1-line block ×4, first 2 shown]
	v_add_f32_e32 v28, v31, v28
	v_add_f32_e32 v14, v14, v29
	;; [unrolled: 1-line block ×3, first 2 shown]
	v_sub_f32_e32 v31, v29, v32
	v_sub_f32_e32 v28, v28, v31
	v_add_f32_e32 v14, v14, v28
	v_add_f32_e32 v14, v29, v14
	v_cmp_neq_f32_e32 vcc, s4, v5
	s_mov_b32 s4, 0x33800000
	v_cndmask_b32_e32 v14, v30, v14, vcc
	v_cmp_lt_f32_e64 vcc, |v5|, s4
	v_cndmask_b32_e32 v5, v14, v5, vcc
	v_add_f32_e32 v5, v24, v5
	v_cvt_f16_f32_e32 v30, v5
	v_cvt_f32_f16_e32 v14, v30
	v_mov_b32_e32 v5, v30
.LBB429_174:
	s_or_b64 exec, exec, s[2:3]
	v_max_f32_e32 v24, v25, v25
	v_max_f32_e32 v29, v14, v14
	v_min_f32_e32 v28, v29, v24
	v_cmp_u_f16_e32 vcc, v30, v30
	v_max_f32_e32 v24, v29, v24
	v_cndmask_b32_e32 v28, v28, v14, vcc
	v_cndmask_b32_e32 v24, v24, v14, vcc
	v_cndmask_b32_e64 v28, v28, v25, s[84:85]
	v_cndmask_b32_e64 v25, v24, v25, s[84:85]
	s_movk_i32 s4, 0x1f8
	v_cmp_neq_f32_e32 vcc, v28, v25
	v_cmp_class_f32_e64 s[2:3], v28, s4
	s_or_b64 s[6:7], vcc, s[2:3]
	v_mov_b32_e32 v24, v5
	s_and_saveexec_b64 s[2:3], s[6:7]
	s_cbranch_execz .LBB429_176
; %bb.175:
	v_sub_f32_e32 v14, v28, v25
	s_mov_b32 s5, 0x3fb8aa3b
	v_mul_f32_e32 v24, 0x3fb8aa3b, v14
	v_fma_f32 v28, v14, s5, -v24
	v_rndne_f32_e32 v29, v24
	v_fmac_f32_e32 v28, 0x32a5705f, v14
	v_sub_f32_e32 v24, v24, v29
	v_add_f32_e32 v24, v24, v28
	v_exp_f32_e32 v24, v24
	v_cvt_i32_f32_e32 v28, v29
	s_mov_b32 s5, 0xc2ce8ed0
	v_cmp_ngt_f32_e32 vcc, s5, v14
	s_mov_b32 s5, 0x42b17218
	v_ldexp_f32 v24, v24, v28
	v_cndmask_b32_e32 v24, 0, v24, vcc
	v_mov_b32_e32 v30, 0x7f800000
	v_cmp_nlt_f32_e32 vcc, s5, v14
	v_cndmask_b32_e32 v14, v30, v24, vcc
	v_add_f32_e32 v24, 1.0, v14
	v_cvt_f64_f32_e32 v[28:29], v24
	v_add_f32_e32 v31, -1.0, v24
	v_sub_f32_e32 v32, v31, v24
	v_sub_f32_e32 v31, v14, v31
	v_frexp_exp_i32_f64_e32 v28, v[28:29]
	v_add_f32_e32 v29, 1.0, v32
	v_add_f32_e32 v29, v31, v29
	v_frexp_mant_f32_e32 v31, v24
	s_mov_b32 s6, 0x3f2aaaab
	v_cmp_gt_f32_e32 vcc, s6, v31
	s_mov_b32 s6, 0x3f317218
	s_mov_b32 s5, 0x7f800000
	v_subbrev_co_u32_e32 v28, vcc, 0, v28, vcc
	v_sub_u32_e32 v31, 0, v28
	v_ldexp_f32 v24, v24, v31
	v_ldexp_f32 v29, v29, v31
	v_add_f32_e32 v31, -1.0, v24
	v_add_f32_e32 v34, 1.0, v24
	v_add_f32_e32 v32, 1.0, v31
	v_add_f32_e32 v35, -1.0, v34
	v_sub_f32_e32 v32, v24, v32
	v_sub_f32_e32 v24, v24, v35
	v_add_f32_e32 v24, v29, v24
	v_add_f32_e32 v32, v29, v32
	;; [unrolled: 1-line block ×3, first 2 shown]
	v_rcp_f32_e32 v35, v29
	v_add_f32_e32 v33, v31, v32
	v_sub_f32_e32 v31, v31, v33
	v_add_f32_e32 v31, v32, v31
	v_sub_f32_e32 v32, v34, v29
	v_add_f32_e32 v24, v24, v32
	v_mul_f32_e32 v32, v33, v35
	v_mul_f32_e32 v34, v29, v32
	v_fma_f32 v36, v32, v29, -v34
	v_fmac_f32_e32 v36, v32, v24
	v_add_f32_e32 v37, v34, v36
	v_sub_f32_e32 v38, v33, v37
	v_sub_f32_e32 v33, v33, v38
	;; [unrolled: 1-line block ×4, first 2 shown]
	v_add_f32_e32 v31, v31, v33
	v_sub_f32_e32 v33, v34, v36
	v_add_f32_e32 v31, v33, v31
	v_add_f32_e32 v33, v38, v31
	v_mul_f32_e32 v34, v35, v33
	v_mul_f32_e32 v36, v29, v34
	v_fma_f32 v29, v34, v29, -v36
	v_fmac_f32_e32 v29, v34, v24
	v_sub_f32_e32 v24, v38, v33
	v_add_f32_e32 v24, v31, v24
	v_add_f32_e32 v31, v36, v29
	v_sub_f32_e32 v37, v33, v31
	v_sub_f32_e32 v33, v33, v37
	;; [unrolled: 1-line block ×4, first 2 shown]
	v_add_f32_e32 v24, v24, v31
	v_sub_f32_e32 v29, v36, v29
	v_add_f32_e32 v24, v29, v24
	v_add_f32_e32 v29, v32, v34
	;; [unrolled: 1-line block ×3, first 2 shown]
	v_sub_f32_e32 v31, v29, v32
	v_mul_f32_e32 v24, v35, v24
	v_sub_f32_e32 v31, v34, v31
	v_add_f32_e32 v24, v31, v24
	v_cvt_f32_i32_e32 v28, v28
	v_add_f32_e32 v31, v29, v24
	v_mul_f32_e32 v32, v31, v31
	v_mov_b32_e32 v33, 0x3ecc95a3
	v_fmac_f32_e32 v33, 0x3e9b6dac, v32
	v_mov_b32_e32 v34, 0x3f2aaada
	v_fmac_f32_e32 v34, v32, v33
	v_mul_f32_e32 v33, 0x3f317218, v28
	v_fma_f32 v35, v28, s6, -v33
	v_fmac_f32_e32 v35, 0xb102e308, v28
	v_sub_f32_e32 v28, v31, v29
	v_sub_f32_e32 v24, v24, v28
	v_add_f32_e32 v28, v33, v35
	v_sub_f32_e32 v29, v28, v33
	v_ldexp_f32 v33, v31, 1
	v_mul_f32_e32 v31, v31, v32
	v_mul_f32_e32 v31, v31, v34
	v_add_f32_e32 v32, v33, v31
	v_sub_f32_e32 v33, v32, v33
	v_ldexp_f32 v24, v24, 1
	v_sub_f32_e32 v31, v31, v33
	v_add_f32_e32 v24, v24, v31
	v_add_f32_e32 v31, v32, v24
	v_sub_f32_e32 v32, v31, v32
	v_sub_f32_e32 v24, v24, v32
	v_add_f32_e32 v32, v28, v31
	v_sub_f32_e32 v33, v32, v28
	v_sub_f32_e32 v34, v32, v33
	;; [unrolled: 1-line block ×5, first 2 shown]
	v_add_f32_e32 v28, v31, v28
	v_add_f32_e32 v31, v29, v24
	v_sub_f32_e32 v33, v31, v29
	v_sub_f32_e32 v34, v31, v33
	;; [unrolled: 1-line block ×4, first 2 shown]
	v_add_f32_e32 v28, v31, v28
	v_add_f32_e32 v24, v24, v29
	;; [unrolled: 1-line block ×3, first 2 shown]
	v_sub_f32_e32 v31, v29, v32
	v_sub_f32_e32 v28, v28, v31
	v_add_f32_e32 v24, v24, v28
	v_add_f32_e32 v24, v29, v24
	v_cmp_neq_f32_e32 vcc, s5, v14
	s_mov_b32 s5, 0x33800000
	v_cndmask_b32_e32 v24, v30, v24, vcc
	v_cmp_lt_f32_e64 vcc, |v14|, s5
	v_cndmask_b32_e32 v14, v24, v14, vcc
	v_add_f32_e32 v14, v25, v14
	v_cvt_f16_f32_e32 v30, v14
	v_cvt_f32_f16_e32 v14, v30
	v_mov_b32_e32 v24, v30
.LBB429_176:
	s_or_b64 exec, exec, s[2:3]
	v_max_f32_e32 v25, v6, v6
	v_max_f32_e32 v29, v14, v14
	v_min_f32_e32 v28, v29, v25
	v_cmp_u_f16_e32 vcc, v30, v30
	v_max_f32_e32 v25, v29, v25
	v_cndmask_b32_e32 v28, v28, v14, vcc
	v_cndmask_b32_e32 v25, v25, v14, vcc
	v_cndmask_b32_e64 v28, v28, v6, s[86:87]
	v_cndmask_b32_e64 v25, v25, v6, s[86:87]
	v_cmp_neq_f32_e32 vcc, v28, v25
	v_cmp_class_f32_e64 s[2:3], v28, s4
	s_or_b64 s[4:5], vcc, s[2:3]
	v_mov_b32_e32 v6, v24
	s_and_saveexec_b64 s[2:3], s[4:5]
	s_cbranch_execz .LBB429_178
; %bb.177:
	v_sub_f32_e32 v6, v28, v25
	s_mov_b32 s4, 0x3fb8aa3b
	v_mul_f32_e32 v14, 0x3fb8aa3b, v6
	v_fma_f32 v28, v6, s4, -v14
	v_rndne_f32_e32 v29, v14
	v_fmac_f32_e32 v28, 0x32a5705f, v6
	v_sub_f32_e32 v14, v14, v29
	v_add_f32_e32 v14, v14, v28
	v_exp_f32_e32 v14, v14
	v_cvt_i32_f32_e32 v28, v29
	s_mov_b32 s4, 0xc2ce8ed0
	v_cmp_ngt_f32_e32 vcc, s4, v6
	s_mov_b32 s4, 0x42b17218
	v_ldexp_f32 v14, v14, v28
	v_cndmask_b32_e32 v14, 0, v14, vcc
	v_mov_b32_e32 v30, 0x7f800000
	v_cmp_nlt_f32_e32 vcc, s4, v6
	v_cndmask_b32_e32 v6, v30, v14, vcc
	v_add_f32_e32 v14, 1.0, v6
	v_cvt_f64_f32_e32 v[28:29], v14
	v_add_f32_e32 v31, -1.0, v14
	v_sub_f32_e32 v32, v31, v14
	v_sub_f32_e32 v31, v6, v31
	v_frexp_exp_i32_f64_e32 v28, v[28:29]
	v_add_f32_e32 v29, 1.0, v32
	v_add_f32_e32 v29, v31, v29
	v_frexp_mant_f32_e32 v31, v14
	s_mov_b32 s5, 0x3f2aaaab
	v_cmp_gt_f32_e32 vcc, s5, v31
	s_mov_b32 s5, 0x3f317218
	s_mov_b32 s4, 0x7f800000
	v_subbrev_co_u32_e32 v28, vcc, 0, v28, vcc
	v_sub_u32_e32 v31, 0, v28
	v_ldexp_f32 v14, v14, v31
	v_ldexp_f32 v29, v29, v31
	v_add_f32_e32 v31, -1.0, v14
	v_add_f32_e32 v34, 1.0, v14
	v_add_f32_e32 v32, 1.0, v31
	v_add_f32_e32 v35, -1.0, v34
	v_sub_f32_e32 v32, v14, v32
	v_sub_f32_e32 v14, v14, v35
	v_add_f32_e32 v14, v29, v14
	v_add_f32_e32 v32, v29, v32
	;; [unrolled: 1-line block ×3, first 2 shown]
	v_rcp_f32_e32 v35, v29
	v_add_f32_e32 v33, v31, v32
	v_sub_f32_e32 v31, v31, v33
	v_add_f32_e32 v31, v32, v31
	v_sub_f32_e32 v32, v34, v29
	v_add_f32_e32 v14, v14, v32
	v_mul_f32_e32 v32, v33, v35
	v_mul_f32_e32 v34, v29, v32
	v_fma_f32 v36, v32, v29, -v34
	v_fmac_f32_e32 v36, v32, v14
	v_add_f32_e32 v37, v34, v36
	v_sub_f32_e32 v38, v33, v37
	v_sub_f32_e32 v33, v33, v38
	;; [unrolled: 1-line block ×4, first 2 shown]
	v_add_f32_e32 v31, v31, v33
	v_sub_f32_e32 v33, v34, v36
	v_add_f32_e32 v31, v33, v31
	v_add_f32_e32 v33, v38, v31
	v_mul_f32_e32 v34, v35, v33
	v_mul_f32_e32 v36, v29, v34
	v_fma_f32 v29, v34, v29, -v36
	v_fmac_f32_e32 v29, v34, v14
	v_sub_f32_e32 v14, v38, v33
	v_add_f32_e32 v14, v31, v14
	v_add_f32_e32 v31, v36, v29
	v_sub_f32_e32 v37, v33, v31
	v_sub_f32_e32 v33, v33, v37
	;; [unrolled: 1-line block ×4, first 2 shown]
	v_add_f32_e32 v14, v14, v31
	v_sub_f32_e32 v29, v36, v29
	v_add_f32_e32 v14, v29, v14
	v_add_f32_e32 v29, v32, v34
	;; [unrolled: 1-line block ×3, first 2 shown]
	v_sub_f32_e32 v31, v29, v32
	v_mul_f32_e32 v14, v35, v14
	v_sub_f32_e32 v31, v34, v31
	v_add_f32_e32 v14, v31, v14
	v_cvt_f32_i32_e32 v28, v28
	v_add_f32_e32 v31, v29, v14
	v_mul_f32_e32 v32, v31, v31
	v_mov_b32_e32 v33, 0x3ecc95a3
	v_fmac_f32_e32 v33, 0x3e9b6dac, v32
	v_mov_b32_e32 v34, 0x3f2aaada
	v_fmac_f32_e32 v34, v32, v33
	v_mul_f32_e32 v33, 0x3f317218, v28
	v_fma_f32 v35, v28, s5, -v33
	v_fmac_f32_e32 v35, 0xb102e308, v28
	v_sub_f32_e32 v28, v31, v29
	v_sub_f32_e32 v14, v14, v28
	v_add_f32_e32 v28, v33, v35
	v_sub_f32_e32 v29, v28, v33
	v_ldexp_f32 v33, v31, 1
	v_mul_f32_e32 v31, v31, v32
	v_mul_f32_e32 v31, v31, v34
	v_add_f32_e32 v32, v33, v31
	v_sub_f32_e32 v33, v32, v33
	v_ldexp_f32 v14, v14, 1
	v_sub_f32_e32 v31, v31, v33
	v_add_f32_e32 v14, v14, v31
	v_add_f32_e32 v31, v32, v14
	v_sub_f32_e32 v32, v31, v32
	v_sub_f32_e32 v14, v14, v32
	v_add_f32_e32 v32, v28, v31
	v_sub_f32_e32 v33, v32, v28
	v_sub_f32_e32 v34, v32, v33
	;; [unrolled: 1-line block ×5, first 2 shown]
	v_add_f32_e32 v28, v31, v28
	v_add_f32_e32 v31, v29, v14
	v_sub_f32_e32 v33, v31, v29
	v_sub_f32_e32 v34, v31, v33
	;; [unrolled: 1-line block ×4, first 2 shown]
	v_add_f32_e32 v28, v31, v28
	v_add_f32_e32 v14, v14, v29
	;; [unrolled: 1-line block ×3, first 2 shown]
	v_sub_f32_e32 v31, v29, v32
	v_sub_f32_e32 v28, v28, v31
	v_add_f32_e32 v14, v14, v28
	v_add_f32_e32 v14, v29, v14
	v_cmp_neq_f32_e32 vcc, s4, v6
	s_mov_b32 s4, 0x33800000
	v_cndmask_b32_e32 v14, v30, v14, vcc
	v_cmp_lt_f32_e64 vcc, |v6|, s4
	v_cndmask_b32_e32 v6, v14, v6, vcc
	v_add_f32_e32 v6, v25, v6
	v_cvt_f16_f32_e32 v30, v6
	v_cvt_f32_f16_e32 v14, v30
	v_mov_b32_e32 v6, v30
.LBB429_178:
	s_or_b64 exec, exec, s[2:3]
	v_max_f32_e32 v25, v26, v26
	v_max_f32_e32 v29, v14, v14
	v_min_f32_e32 v28, v29, v25
	v_cmp_u_f16_e32 vcc, v30, v30
	v_max_f32_e32 v25, v29, v25
	v_cndmask_b32_e32 v28, v28, v14, vcc
	v_cndmask_b32_e32 v25, v25, v14, vcc
	v_cndmask_b32_e64 v28, v28, v26, s[88:89]
	v_cndmask_b32_e64 v26, v25, v26, s[88:89]
	s_movk_i32 s4, 0x1f8
	v_cmp_neq_f32_e32 vcc, v28, v26
	v_cmp_class_f32_e64 s[2:3], v28, s4
	s_or_b64 s[6:7], vcc, s[2:3]
	v_mov_b32_e32 v25, v6
	s_and_saveexec_b64 s[2:3], s[6:7]
	s_cbranch_execz .LBB429_180
; %bb.179:
	v_sub_f32_e32 v14, v28, v26
	s_mov_b32 s5, 0x3fb8aa3b
	v_mul_f32_e32 v25, 0x3fb8aa3b, v14
	v_fma_f32 v28, v14, s5, -v25
	v_rndne_f32_e32 v29, v25
	v_fmac_f32_e32 v28, 0x32a5705f, v14
	v_sub_f32_e32 v25, v25, v29
	v_add_f32_e32 v25, v25, v28
	v_exp_f32_e32 v25, v25
	v_cvt_i32_f32_e32 v28, v29
	s_mov_b32 s5, 0xc2ce8ed0
	v_cmp_ngt_f32_e32 vcc, s5, v14
	s_mov_b32 s5, 0x42b17218
	v_ldexp_f32 v25, v25, v28
	v_cndmask_b32_e32 v25, 0, v25, vcc
	v_mov_b32_e32 v30, 0x7f800000
	v_cmp_nlt_f32_e32 vcc, s5, v14
	v_cndmask_b32_e32 v14, v30, v25, vcc
	v_add_f32_e32 v25, 1.0, v14
	v_cvt_f64_f32_e32 v[28:29], v25
	v_add_f32_e32 v31, -1.0, v25
	v_sub_f32_e32 v32, v31, v25
	v_sub_f32_e32 v31, v14, v31
	v_frexp_exp_i32_f64_e32 v28, v[28:29]
	v_add_f32_e32 v29, 1.0, v32
	v_add_f32_e32 v29, v31, v29
	v_frexp_mant_f32_e32 v31, v25
	s_mov_b32 s6, 0x3f2aaaab
	v_cmp_gt_f32_e32 vcc, s6, v31
	s_mov_b32 s6, 0x3f317218
	s_mov_b32 s5, 0x7f800000
	v_subbrev_co_u32_e32 v28, vcc, 0, v28, vcc
	v_sub_u32_e32 v31, 0, v28
	v_ldexp_f32 v25, v25, v31
	v_ldexp_f32 v29, v29, v31
	v_add_f32_e32 v31, -1.0, v25
	v_add_f32_e32 v34, 1.0, v25
	v_add_f32_e32 v32, 1.0, v31
	v_add_f32_e32 v35, -1.0, v34
	v_sub_f32_e32 v32, v25, v32
	v_sub_f32_e32 v25, v25, v35
	v_add_f32_e32 v25, v29, v25
	v_add_f32_e32 v32, v29, v32
	;; [unrolled: 1-line block ×3, first 2 shown]
	v_rcp_f32_e32 v35, v29
	v_add_f32_e32 v33, v31, v32
	v_sub_f32_e32 v31, v31, v33
	v_add_f32_e32 v31, v32, v31
	v_sub_f32_e32 v32, v34, v29
	v_add_f32_e32 v25, v25, v32
	v_mul_f32_e32 v32, v33, v35
	v_mul_f32_e32 v34, v29, v32
	v_fma_f32 v36, v32, v29, -v34
	v_fmac_f32_e32 v36, v32, v25
	v_add_f32_e32 v37, v34, v36
	v_sub_f32_e32 v38, v33, v37
	v_sub_f32_e32 v33, v33, v38
	;; [unrolled: 1-line block ×4, first 2 shown]
	v_add_f32_e32 v31, v31, v33
	v_sub_f32_e32 v33, v34, v36
	v_add_f32_e32 v31, v33, v31
	v_add_f32_e32 v33, v38, v31
	v_mul_f32_e32 v34, v35, v33
	v_mul_f32_e32 v36, v29, v34
	v_fma_f32 v29, v34, v29, -v36
	v_fmac_f32_e32 v29, v34, v25
	v_sub_f32_e32 v25, v38, v33
	v_add_f32_e32 v25, v31, v25
	v_add_f32_e32 v31, v36, v29
	v_sub_f32_e32 v37, v33, v31
	v_sub_f32_e32 v33, v33, v37
	;; [unrolled: 1-line block ×4, first 2 shown]
	v_add_f32_e32 v25, v25, v31
	v_sub_f32_e32 v29, v36, v29
	v_add_f32_e32 v25, v29, v25
	v_add_f32_e32 v29, v32, v34
	;; [unrolled: 1-line block ×3, first 2 shown]
	v_sub_f32_e32 v31, v29, v32
	v_mul_f32_e32 v25, v35, v25
	v_sub_f32_e32 v31, v34, v31
	v_add_f32_e32 v25, v31, v25
	v_cvt_f32_i32_e32 v28, v28
	v_add_f32_e32 v31, v29, v25
	v_mul_f32_e32 v32, v31, v31
	v_mov_b32_e32 v33, 0x3ecc95a3
	v_fmac_f32_e32 v33, 0x3e9b6dac, v32
	v_mov_b32_e32 v34, 0x3f2aaada
	v_fmac_f32_e32 v34, v32, v33
	v_mul_f32_e32 v33, 0x3f317218, v28
	v_fma_f32 v35, v28, s6, -v33
	v_fmac_f32_e32 v35, 0xb102e308, v28
	v_sub_f32_e32 v28, v31, v29
	v_sub_f32_e32 v25, v25, v28
	v_add_f32_e32 v28, v33, v35
	v_sub_f32_e32 v29, v28, v33
	v_ldexp_f32 v33, v31, 1
	v_mul_f32_e32 v31, v31, v32
	v_mul_f32_e32 v31, v31, v34
	v_add_f32_e32 v32, v33, v31
	v_sub_f32_e32 v33, v32, v33
	v_ldexp_f32 v25, v25, 1
	v_sub_f32_e32 v31, v31, v33
	v_add_f32_e32 v25, v25, v31
	v_add_f32_e32 v31, v32, v25
	v_sub_f32_e32 v32, v31, v32
	v_sub_f32_e32 v25, v25, v32
	v_add_f32_e32 v32, v28, v31
	v_sub_f32_e32 v33, v32, v28
	v_sub_f32_e32 v34, v32, v33
	v_sub_f32_e32 v29, v35, v29
	v_sub_f32_e32 v28, v28, v34
	v_sub_f32_e32 v31, v31, v33
	v_add_f32_e32 v28, v31, v28
	v_add_f32_e32 v31, v29, v25
	v_sub_f32_e32 v33, v31, v29
	v_sub_f32_e32 v34, v31, v33
	;; [unrolled: 1-line block ×4, first 2 shown]
	v_add_f32_e32 v28, v31, v28
	v_add_f32_e32 v25, v25, v29
	v_add_f32_e32 v29, v32, v28
	v_sub_f32_e32 v31, v29, v32
	v_sub_f32_e32 v28, v28, v31
	v_add_f32_e32 v25, v25, v28
	v_add_f32_e32 v25, v29, v25
	v_cmp_neq_f32_e32 vcc, s5, v14
	s_mov_b32 s5, 0x33800000
	v_cndmask_b32_e32 v25, v30, v25, vcc
	v_cmp_lt_f32_e64 vcc, |v14|, s5
	v_cndmask_b32_e32 v14, v25, v14, vcc
	v_add_f32_e32 v14, v26, v14
	v_cvt_f16_f32_e32 v30, v14
	v_cvt_f32_f16_e32 v14, v30
	v_mov_b32_e32 v25, v30
.LBB429_180:
	s_or_b64 exec, exec, s[2:3]
	v_max_f32_e32 v26, v7, v7
	v_max_f32_e32 v29, v14, v14
	v_min_f32_e32 v28, v29, v26
	v_cmp_u_f16_e32 vcc, v30, v30
	v_max_f32_e32 v26, v29, v26
	v_cndmask_b32_e32 v28, v28, v14, vcc
	v_cndmask_b32_e32 v26, v26, v14, vcc
	v_cndmask_b32_e64 v28, v28, v7, s[90:91]
	v_cndmask_b32_e64 v26, v26, v7, s[90:91]
	v_cmp_neq_f32_e32 vcc, v28, v26
	v_cmp_class_f32_e64 s[2:3], v28, s4
	s_or_b64 s[4:5], vcc, s[2:3]
	v_mov_b32_e32 v7, v25
	s_and_saveexec_b64 s[2:3], s[4:5]
	s_cbranch_execz .LBB429_182
; %bb.181:
	v_sub_f32_e32 v7, v28, v26
	s_mov_b32 s4, 0x3fb8aa3b
	v_mul_f32_e32 v14, 0x3fb8aa3b, v7
	v_fma_f32 v28, v7, s4, -v14
	v_rndne_f32_e32 v29, v14
	v_fmac_f32_e32 v28, 0x32a5705f, v7
	v_sub_f32_e32 v14, v14, v29
	v_add_f32_e32 v14, v14, v28
	v_exp_f32_e32 v14, v14
	v_cvt_i32_f32_e32 v28, v29
	s_mov_b32 s4, 0xc2ce8ed0
	v_cmp_ngt_f32_e32 vcc, s4, v7
	s_mov_b32 s4, 0x42b17218
	v_ldexp_f32 v14, v14, v28
	v_cndmask_b32_e32 v14, 0, v14, vcc
	v_mov_b32_e32 v30, 0x7f800000
	v_cmp_nlt_f32_e32 vcc, s4, v7
	v_cndmask_b32_e32 v7, v30, v14, vcc
	v_add_f32_e32 v14, 1.0, v7
	v_cvt_f64_f32_e32 v[28:29], v14
	v_add_f32_e32 v31, -1.0, v14
	v_sub_f32_e32 v32, v31, v14
	v_sub_f32_e32 v31, v7, v31
	v_frexp_exp_i32_f64_e32 v28, v[28:29]
	v_add_f32_e32 v29, 1.0, v32
	v_add_f32_e32 v29, v31, v29
	v_frexp_mant_f32_e32 v31, v14
	s_mov_b32 s5, 0x3f2aaaab
	v_cmp_gt_f32_e32 vcc, s5, v31
	s_mov_b32 s5, 0x3f317218
	s_mov_b32 s4, 0x7f800000
	v_subbrev_co_u32_e32 v28, vcc, 0, v28, vcc
	v_sub_u32_e32 v31, 0, v28
	v_ldexp_f32 v14, v14, v31
	v_ldexp_f32 v29, v29, v31
	v_add_f32_e32 v31, -1.0, v14
	v_add_f32_e32 v34, 1.0, v14
	v_add_f32_e32 v32, 1.0, v31
	v_add_f32_e32 v35, -1.0, v34
	v_sub_f32_e32 v32, v14, v32
	v_sub_f32_e32 v14, v14, v35
	v_add_f32_e32 v14, v29, v14
	v_add_f32_e32 v32, v29, v32
	;; [unrolled: 1-line block ×3, first 2 shown]
	v_rcp_f32_e32 v35, v29
	v_add_f32_e32 v33, v31, v32
	v_sub_f32_e32 v31, v31, v33
	v_add_f32_e32 v31, v32, v31
	v_sub_f32_e32 v32, v34, v29
	v_add_f32_e32 v14, v14, v32
	v_mul_f32_e32 v32, v33, v35
	v_mul_f32_e32 v34, v29, v32
	v_fma_f32 v36, v32, v29, -v34
	v_fmac_f32_e32 v36, v32, v14
	v_add_f32_e32 v37, v34, v36
	v_sub_f32_e32 v38, v33, v37
	v_sub_f32_e32 v33, v33, v38
	;; [unrolled: 1-line block ×4, first 2 shown]
	v_add_f32_e32 v31, v31, v33
	v_sub_f32_e32 v33, v34, v36
	v_add_f32_e32 v31, v33, v31
	v_add_f32_e32 v33, v38, v31
	v_mul_f32_e32 v34, v35, v33
	v_mul_f32_e32 v36, v29, v34
	v_fma_f32 v29, v34, v29, -v36
	v_fmac_f32_e32 v29, v34, v14
	v_sub_f32_e32 v14, v38, v33
	v_add_f32_e32 v14, v31, v14
	v_add_f32_e32 v31, v36, v29
	v_sub_f32_e32 v37, v33, v31
	v_sub_f32_e32 v33, v33, v37
	;; [unrolled: 1-line block ×4, first 2 shown]
	v_add_f32_e32 v14, v14, v31
	v_sub_f32_e32 v29, v36, v29
	v_add_f32_e32 v14, v29, v14
	v_add_f32_e32 v29, v32, v34
	;; [unrolled: 1-line block ×3, first 2 shown]
	v_sub_f32_e32 v31, v29, v32
	v_mul_f32_e32 v14, v35, v14
	v_sub_f32_e32 v31, v34, v31
	v_add_f32_e32 v14, v31, v14
	v_cvt_f32_i32_e32 v28, v28
	v_add_f32_e32 v31, v29, v14
	v_mul_f32_e32 v32, v31, v31
	v_mov_b32_e32 v33, 0x3ecc95a3
	v_fmac_f32_e32 v33, 0x3e9b6dac, v32
	v_mov_b32_e32 v34, 0x3f2aaada
	v_fmac_f32_e32 v34, v32, v33
	v_mul_f32_e32 v33, 0x3f317218, v28
	v_fma_f32 v35, v28, s5, -v33
	v_fmac_f32_e32 v35, 0xb102e308, v28
	v_sub_f32_e32 v28, v31, v29
	v_sub_f32_e32 v14, v14, v28
	v_add_f32_e32 v28, v33, v35
	v_sub_f32_e32 v29, v28, v33
	v_ldexp_f32 v33, v31, 1
	v_mul_f32_e32 v31, v31, v32
	v_mul_f32_e32 v31, v31, v34
	v_add_f32_e32 v32, v33, v31
	v_sub_f32_e32 v33, v32, v33
	v_ldexp_f32 v14, v14, 1
	v_sub_f32_e32 v31, v31, v33
	v_add_f32_e32 v14, v14, v31
	v_add_f32_e32 v31, v32, v14
	v_sub_f32_e32 v32, v31, v32
	v_sub_f32_e32 v14, v14, v32
	v_add_f32_e32 v32, v28, v31
	v_sub_f32_e32 v33, v32, v28
	v_sub_f32_e32 v34, v32, v33
	;; [unrolled: 1-line block ×5, first 2 shown]
	v_add_f32_e32 v28, v31, v28
	v_add_f32_e32 v31, v29, v14
	v_sub_f32_e32 v33, v31, v29
	v_sub_f32_e32 v34, v31, v33
	;; [unrolled: 1-line block ×4, first 2 shown]
	v_add_f32_e32 v28, v31, v28
	v_add_f32_e32 v14, v14, v29
	;; [unrolled: 1-line block ×3, first 2 shown]
	v_sub_f32_e32 v31, v29, v32
	v_sub_f32_e32 v28, v28, v31
	v_add_f32_e32 v14, v14, v28
	v_add_f32_e32 v14, v29, v14
	v_cmp_neq_f32_e32 vcc, s4, v7
	s_mov_b32 s4, 0x33800000
	v_cndmask_b32_e32 v14, v30, v14, vcc
	v_cmp_lt_f32_e64 vcc, |v7|, s4
	v_cndmask_b32_e32 v7, v14, v7, vcc
	v_add_f32_e32 v7, v26, v7
	v_cvt_f16_f32_e32 v30, v7
	v_cvt_f32_f16_e32 v14, v30
	v_mov_b32_e32 v7, v30
.LBB429_182:
	s_or_b64 exec, exec, s[2:3]
	v_max_f32_e32 v26, v27, v27
	v_max_f32_e32 v29, v14, v14
	v_min_f32_e32 v28, v29, v26
	v_cmp_u_f16_e32 vcc, v30, v30
	v_max_f32_e32 v26, v29, v26
	v_cndmask_b32_e32 v28, v28, v14, vcc
	v_cndmask_b32_e32 v14, v26, v14, vcc
	v_cndmask_b32_e64 v28, v28, v27, s[92:93]
	v_cndmask_b32_e64 v14, v14, v27, s[92:93]
	s_movk_i32 s2, 0x1f8
	v_cmp_neq_f32_e32 vcc, v28, v14
	v_cmp_class_f32_e64 s[2:3], v28, s2
	s_or_b64 s[4:5], vcc, s[2:3]
	v_mov_b32_e32 v26, v7
	s_and_saveexec_b64 s[2:3], s[4:5]
	s_cbranch_execz .LBB429_184
; %bb.183:
	v_sub_f32_e32 v26, v28, v14
	s_mov_b32 s4, 0x3fb8aa3b
	v_mul_f32_e32 v27, 0x3fb8aa3b, v26
	v_fma_f32 v28, v26, s4, -v27
	v_rndne_f32_e32 v29, v27
	v_fmac_f32_e32 v28, 0x32a5705f, v26
	v_sub_f32_e32 v27, v27, v29
	v_add_f32_e32 v27, v27, v28
	v_exp_f32_e32 v27, v27
	v_cvt_i32_f32_e32 v28, v29
	s_mov_b32 s4, 0xc2ce8ed0
	v_cmp_ngt_f32_e32 vcc, s4, v26
	s_mov_b32 s4, 0x42b17218
	v_ldexp_f32 v27, v27, v28
	v_cndmask_b32_e32 v27, 0, v27, vcc
	v_mov_b32_e32 v28, 0x7f800000
	v_cmp_nlt_f32_e32 vcc, s4, v26
	v_cndmask_b32_e32 v29, v28, v27, vcc
	v_add_f32_e32 v30, 1.0, v29
	v_cvt_f64_f32_e32 v[26:27], v30
	v_add_f32_e32 v31, -1.0, v30
	v_sub_f32_e32 v32, v31, v30
	v_sub_f32_e32 v31, v29, v31
	v_frexp_exp_i32_f64_e32 v26, v[26:27]
	v_add_f32_e32 v27, 1.0, v32
	v_add_f32_e32 v27, v31, v27
	v_frexp_mant_f32_e32 v31, v30
	s_mov_b32 s5, 0x3f2aaaab
	v_cmp_gt_f32_e32 vcc, s5, v31
	s_mov_b32 s5, 0x3f317218
	s_mov_b32 s4, 0x7f800000
	v_subbrev_co_u32_e32 v26, vcc, 0, v26, vcc
	v_sub_u32_e32 v31, 0, v26
	v_ldexp_f32 v30, v30, v31
	v_ldexp_f32 v27, v27, v31
	v_add_f32_e32 v31, -1.0, v30
	v_add_f32_e32 v34, 1.0, v30
	v_add_f32_e32 v32, 1.0, v31
	v_add_f32_e32 v35, -1.0, v34
	v_sub_f32_e32 v32, v30, v32
	v_sub_f32_e32 v30, v30, v35
	v_add_f32_e32 v32, v27, v32
	v_add_f32_e32 v27, v27, v30
	;; [unrolled: 1-line block ×3, first 2 shown]
	v_rcp_f32_e32 v35, v30
	v_add_f32_e32 v33, v31, v32
	v_sub_f32_e32 v31, v31, v33
	v_add_f32_e32 v31, v32, v31
	v_sub_f32_e32 v32, v34, v30
	v_add_f32_e32 v27, v27, v32
	v_mul_f32_e32 v32, v33, v35
	v_mul_f32_e32 v34, v30, v32
	v_fma_f32 v36, v32, v30, -v34
	v_fmac_f32_e32 v36, v32, v27
	v_add_f32_e32 v37, v34, v36
	v_sub_f32_e32 v38, v33, v37
	v_sub_f32_e32 v33, v33, v38
	;; [unrolled: 1-line block ×4, first 2 shown]
	v_add_f32_e32 v31, v31, v33
	v_sub_f32_e32 v33, v34, v36
	v_add_f32_e32 v31, v33, v31
	v_add_f32_e32 v33, v38, v31
	v_mul_f32_e32 v34, v35, v33
	v_mul_f32_e32 v36, v30, v34
	v_fma_f32 v30, v34, v30, -v36
	v_fmac_f32_e32 v30, v34, v27
	v_sub_f32_e32 v27, v38, v33
	v_add_f32_e32 v27, v31, v27
	v_add_f32_e32 v31, v36, v30
	v_sub_f32_e32 v37, v33, v31
	v_sub_f32_e32 v33, v33, v37
	;; [unrolled: 1-line block ×4, first 2 shown]
	v_add_f32_e32 v27, v27, v31
	v_sub_f32_e32 v30, v36, v30
	v_add_f32_e32 v27, v30, v27
	v_add_f32_e32 v30, v32, v34
	;; [unrolled: 1-line block ×3, first 2 shown]
	v_sub_f32_e32 v31, v30, v32
	v_mul_f32_e32 v27, v35, v27
	v_sub_f32_e32 v31, v34, v31
	v_add_f32_e32 v27, v31, v27
	v_cvt_f32_i32_e32 v26, v26
	v_add_f32_e32 v31, v30, v27
	v_mul_f32_e32 v32, v31, v31
	v_mov_b32_e32 v33, 0x3ecc95a3
	v_fmac_f32_e32 v33, 0x3e9b6dac, v32
	v_mov_b32_e32 v34, 0x3f2aaada
	v_fmac_f32_e32 v34, v32, v33
	v_mul_f32_e32 v33, 0x3f317218, v26
	v_fma_f32 v35, v26, s5, -v33
	v_fmac_f32_e32 v35, 0xb102e308, v26
	v_sub_f32_e32 v26, v31, v30
	v_sub_f32_e32 v26, v27, v26
	v_add_f32_e32 v27, v33, v35
	v_sub_f32_e32 v30, v27, v33
	v_ldexp_f32 v33, v31, 1
	v_mul_f32_e32 v31, v31, v32
	v_mul_f32_e32 v31, v31, v34
	v_add_f32_e32 v32, v33, v31
	v_sub_f32_e32 v33, v32, v33
	v_ldexp_f32 v26, v26, 1
	v_sub_f32_e32 v31, v31, v33
	v_add_f32_e32 v26, v26, v31
	v_add_f32_e32 v31, v32, v26
	v_sub_f32_e32 v32, v31, v32
	v_sub_f32_e32 v26, v26, v32
	v_add_f32_e32 v32, v27, v31
	v_sub_f32_e32 v33, v32, v27
	v_sub_f32_e32 v34, v32, v33
	;; [unrolled: 1-line block ×5, first 2 shown]
	v_add_f32_e32 v27, v31, v27
	v_add_f32_e32 v31, v30, v26
	v_sub_f32_e32 v33, v31, v30
	v_sub_f32_e32 v34, v31, v33
	;; [unrolled: 1-line block ×4, first 2 shown]
	v_add_f32_e32 v27, v31, v27
	v_add_f32_e32 v26, v26, v30
	;; [unrolled: 1-line block ×3, first 2 shown]
	v_sub_f32_e32 v31, v30, v32
	v_sub_f32_e32 v27, v27, v31
	v_add_f32_e32 v26, v26, v27
	v_add_f32_e32 v26, v30, v26
	v_cmp_neq_f32_e32 vcc, s4, v29
	s_mov_b32 s4, 0x33800000
	v_cndmask_b32_e32 v26, v28, v26, vcc
	v_cmp_lt_f32_e64 vcc, |v29|, s4
	v_cndmask_b32_e32 v26, v26, v29, vcc
	v_add_f32_e32 v14, v14, v26
	v_cvt_f16_f32_e32 v26, v14
.LBB429_184:
	s_or_b64 exec, exec, s[2:3]
	s_mov_b32 s2, 0x5040100
	v_add_u32_e32 v8, v13, v8
	v_perm_b32 v18, v18, v3, s2
	v_perm_b32 v17, v17, v2, s2
	;; [unrolled: 1-line block ×8, first 2 shown]
	s_barrier
	ds_write_b128 v8, v[0:3] offset:16
	v_perm_b32 v3, v26, v7, s2
	v_perm_b32 v2, v25, v6, s2
	;; [unrolled: 1-line block ×4, first 2 shown]
	ds_write_b128 v8, v[15:18]
	ds_write_b128 v8, v[0:3] offset:32
	s_waitcnt lgkmcnt(0)
	s_barrier
	ds_read_u16 v25, v13 offset:512
	ds_read_u16 v24, v13 offset:1024
	;; [unrolled: 1-line block ×23, first 2 shown]
	v_mov_b32_e32 v1, s1
	v_add_co_u32_e32 v0, vcc, s0, v13
	v_addc_co_u32_e32 v1, vcc, 0, v1, vcc
	s_mov_b64 s[0:1], exec
	v_readlane_b32 s2, v48, 0
	v_readlane_b32 s3, v48, 1
	s_and_b64 s[2:3], s[0:1], s[2:3]
	s_mov_b64 exec, s[2:3]
	s_cbranch_execz .LBB429_186
; %bb.185:
	ds_read_u16 v13, v13
	s_waitcnt lgkmcnt(0)
	global_store_short v[0:1], v13, off
.LBB429_186:
	s_or_b64 exec, exec, s[0:1]
	s_mov_b64 s[0:1], exec
	v_readlane_b32 s2, v48, 2
	v_readlane_b32 s3, v48, 3
	s_and_b64 s[2:3], s[0:1], s[2:3]
	s_mov_b64 exec, s[2:3]
	s_cbranch_execz .LBB429_188
; %bb.187:
	s_waitcnt lgkmcnt(14)
	global_store_short v[0:1], v25, off offset:512
.LBB429_188:
	s_or_b64 exec, exec, s[0:1]
	s_mov_b64 s[0:1], exec
	v_readlane_b32 s2, v48, 4
	v_readlane_b32 s3, v48, 5
	s_and_b64 s[2:3], s[0:1], s[2:3]
	s_mov_b64 exec, s[2:3]
	s_cbranch_execz .LBB429_190
; %bb.189:
	s_waitcnt lgkmcnt(14)
	global_store_short v[0:1], v24, off offset:1024
.LBB429_190:
	;; [unrolled: 11-line block ×5, first 2 shown]
	s_or_b64 exec, exec, s[0:1]
	s_mov_b64 s[0:1], exec
	v_readlane_b32 s2, v48, 12
	v_readlane_b32 s3, v48, 13
	s_and_b64 s[2:3], s[0:1], s[2:3]
	s_mov_b64 exec, s[2:3]
	s_cbranch_execnz .LBB429_215
; %bb.197:
	s_or_b64 exec, exec, s[0:1]
	s_and_saveexec_b64 s[0:1], s[12:13]
	s_cbranch_execnz .LBB429_216
.LBB429_198:
	s_or_b64 exec, exec, s[0:1]
	s_and_saveexec_b64 s[0:1], s[14:15]
	s_cbranch_execnz .LBB429_217
.LBB429_199:
	s_or_b64 exec, exec, s[0:1]
	s_and_saveexec_b64 s[0:1], s[16:17]
	s_cbranch_execnz .LBB429_218
.LBB429_200:
	s_or_b64 exec, exec, s[0:1]
	s_and_saveexec_b64 s[0:1], s[18:19]
	s_cbranch_execnz .LBB429_219
.LBB429_201:
	s_or_b64 exec, exec, s[0:1]
	s_and_saveexec_b64 s[0:1], s[20:21]
	s_cbranch_execnz .LBB429_220
.LBB429_202:
	s_or_b64 exec, exec, s[0:1]
	s_and_saveexec_b64 s[0:1], s[22:23]
	s_cbranch_execnz .LBB429_221
.LBB429_203:
	s_or_b64 exec, exec, s[0:1]
	s_and_saveexec_b64 s[0:1], s[24:25]
	s_cbranch_execnz .LBB429_222
.LBB429_204:
	s_or_b64 exec, exec, s[0:1]
	s_and_saveexec_b64 s[0:1], s[26:27]
	s_cbranch_execnz .LBB429_223
.LBB429_205:
	s_or_b64 exec, exec, s[0:1]
	s_and_saveexec_b64 s[0:1], s[28:29]
	s_cbranch_execnz .LBB429_224
.LBB429_206:
	s_or_b64 exec, exec, s[0:1]
	s_and_saveexec_b64 s[0:1], s[30:31]
	s_cbranch_execnz .LBB429_225
.LBB429_207:
	s_or_b64 exec, exec, s[0:1]
	s_and_saveexec_b64 s[0:1], s[34:35]
	s_cbranch_execnz .LBB429_226
.LBB429_208:
	s_or_b64 exec, exec, s[0:1]
	s_and_saveexec_b64 s[0:1], s[36:37]
	s_cbranch_execnz .LBB429_227
.LBB429_209:
	s_or_b64 exec, exec, s[0:1]
	s_and_saveexec_b64 s[0:1], s[38:39]
	s_cbranch_execnz .LBB429_228
.LBB429_210:
	s_or_b64 exec, exec, s[0:1]
	s_and_saveexec_b64 s[0:1], s[40:41]
	s_cbranch_execnz .LBB429_229
.LBB429_211:
	s_or_b64 exec, exec, s[0:1]
	s_and_saveexec_b64 s[0:1], s[42:43]
	s_cbranch_execnz .LBB429_230
.LBB429_212:
	s_or_b64 exec, exec, s[0:1]
	s_and_saveexec_b64 s[0:1], s[44:45]
	s_cbranch_execnz .LBB429_231
.LBB429_213:
	s_or_b64 exec, exec, s[0:1]
	s_and_saveexec_b64 s[0:1], s[46:47]
	s_cbranch_execnz .LBB429_232
.LBB429_214:
	s_endpgm
.LBB429_215:
	s_waitcnt lgkmcnt(14)
	global_store_short v[0:1], v20, off offset:3072
	s_or_b64 exec, exec, s[0:1]
	s_and_saveexec_b64 s[0:1], s[12:13]
	s_cbranch_execz .LBB429_198
.LBB429_216:
	s_waitcnt lgkmcnt(14)
	global_store_short v[0:1], v19, off offset:3584
	s_or_b64 exec, exec, s[0:1]
	s_and_saveexec_b64 s[0:1], s[14:15]
	s_cbranch_execz .LBB429_199
.LBB429_217:
	s_waitcnt lgkmcnt(14)
	v_add_co_u32_e32 v19, vcc, 0x1000, v0
	v_addc_co_u32_e32 v20, vcc, 0, v1, vcc
	global_store_short v[19:20], v18, off
	s_or_b64 exec, exec, s[0:1]
	s_and_saveexec_b64 s[0:1], s[16:17]
	s_cbranch_execz .LBB429_200
.LBB429_218:
	s_waitcnt lgkmcnt(14)
	v_add_co_u32_e32 v18, vcc, 0x1000, v0
	v_addc_co_u32_e32 v19, vcc, 0, v1, vcc
	global_store_short v[18:19], v17, off offset:512
	s_or_b64 exec, exec, s[0:1]
	s_and_saveexec_b64 s[0:1], s[18:19]
	s_cbranch_execz .LBB429_201
.LBB429_219:
	s_waitcnt lgkmcnt(14)
	v_add_co_u32_e32 v17, vcc, 0x1000, v0
	v_addc_co_u32_e32 v18, vcc, 0, v1, vcc
	s_waitcnt lgkmcnt(13)
	global_store_short v[17:18], v16, off offset:1024
	s_or_b64 exec, exec, s[0:1]
	s_and_saveexec_b64 s[0:1], s[20:21]
	s_cbranch_execz .LBB429_202
.LBB429_220:
	s_waitcnt lgkmcnt(13)
	v_add_co_u32_e32 v16, vcc, 0x1000, v0
	v_addc_co_u32_e32 v17, vcc, 0, v1, vcc
	s_waitcnt lgkmcnt(12)
	global_store_short v[16:17], v15, off offset:1536
	s_or_b64 exec, exec, s[0:1]
	s_and_saveexec_b64 s[0:1], s[22:23]
	s_cbranch_execz .LBB429_203
.LBB429_221:
	s_waitcnt lgkmcnt(12)
	v_add_co_u32_e32 v15, vcc, 0x1000, v0
	v_addc_co_u32_e32 v16, vcc, 0, v1, vcc
	s_waitcnt lgkmcnt(11)
	global_store_short v[15:16], v14, off offset:2048
	s_or_b64 exec, exec, s[0:1]
	s_and_saveexec_b64 s[0:1], s[24:25]
	s_cbranch_execz .LBB429_204
.LBB429_222:
	v_add_co_u32_e32 v13, vcc, 0x1000, v0
	s_waitcnt lgkmcnt(11)
	v_addc_co_u32_e32 v14, vcc, 0, v1, vcc
	s_waitcnt lgkmcnt(10)
	global_store_short v[13:14], v12, off offset:2560
	s_or_b64 exec, exec, s[0:1]
	s_and_saveexec_b64 s[0:1], s[26:27]
	s_cbranch_execz .LBB429_205
.LBB429_223:
	s_waitcnt lgkmcnt(10)
	v_add_co_u32_e32 v12, vcc, 0x1000, v0
	v_addc_co_u32_e32 v13, vcc, 0, v1, vcc
	s_waitcnt lgkmcnt(9)
	global_store_short v[12:13], v11, off offset:3072
	s_or_b64 exec, exec, s[0:1]
	s_and_saveexec_b64 s[0:1], s[28:29]
	s_cbranch_execz .LBB429_206
.LBB429_224:
	s_waitcnt lgkmcnt(9)
	v_add_co_u32_e32 v11, vcc, 0x1000, v0
	v_addc_co_u32_e32 v12, vcc, 0, v1, vcc
	s_waitcnt lgkmcnt(8)
	global_store_short v[11:12], v10, off offset:3584
	s_or_b64 exec, exec, s[0:1]
	s_and_saveexec_b64 s[0:1], s[30:31]
	s_cbranch_execz .LBB429_207
.LBB429_225:
	s_waitcnt lgkmcnt(8)
	v_add_co_u32_e32 v10, vcc, 0x2000, v0
	v_addc_co_u32_e32 v11, vcc, 0, v1, vcc
	s_waitcnt lgkmcnt(7)
	global_store_short v[10:11], v9, off
	s_or_b64 exec, exec, s[0:1]
	s_and_saveexec_b64 s[0:1], s[34:35]
	s_cbranch_execz .LBB429_208
.LBB429_226:
	s_waitcnt lgkmcnt(7)
	v_add_co_u32_e32 v9, vcc, 0x2000, v0
	v_addc_co_u32_e32 v10, vcc, 0, v1, vcc
	s_waitcnt lgkmcnt(6)
	global_store_short v[9:10], v8, off offset:512
	s_or_b64 exec, exec, s[0:1]
	s_and_saveexec_b64 s[0:1], s[36:37]
	s_cbranch_execz .LBB429_209
.LBB429_227:
	s_waitcnt lgkmcnt(6)
	v_add_co_u32_e32 v8, vcc, 0x2000, v0
	v_addc_co_u32_e32 v9, vcc, 0, v1, vcc
	s_waitcnt lgkmcnt(5)
	global_store_short v[8:9], v7, off offset:1024
	s_or_b64 exec, exec, s[0:1]
	s_and_saveexec_b64 s[0:1], s[38:39]
	s_cbranch_execz .LBB429_210
.LBB429_228:
	s_waitcnt lgkmcnt(5)
	v_add_co_u32_e32 v7, vcc, 0x2000, v0
	v_addc_co_u32_e32 v8, vcc, 0, v1, vcc
	s_waitcnt lgkmcnt(4)
	global_store_short v[7:8], v6, off offset:1536
	s_or_b64 exec, exec, s[0:1]
	s_and_saveexec_b64 s[0:1], s[40:41]
	s_cbranch_execz .LBB429_211
.LBB429_229:
	s_waitcnt lgkmcnt(4)
	v_add_co_u32_e32 v6, vcc, 0x2000, v0
	v_addc_co_u32_e32 v7, vcc, 0, v1, vcc
	s_waitcnt lgkmcnt(3)
	global_store_short v[6:7], v5, off offset:2048
	s_or_b64 exec, exec, s[0:1]
	s_and_saveexec_b64 s[0:1], s[42:43]
	s_cbranch_execz .LBB429_212
.LBB429_230:
	s_waitcnt lgkmcnt(3)
	v_add_co_u32_e32 v5, vcc, 0x2000, v0
	v_addc_co_u32_e32 v6, vcc, 0, v1, vcc
	s_waitcnt lgkmcnt(2)
	global_store_short v[5:6], v4, off offset:2560
	s_or_b64 exec, exec, s[0:1]
	s_and_saveexec_b64 s[0:1], s[44:45]
	s_cbranch_execz .LBB429_213
.LBB429_231:
	s_waitcnt lgkmcnt(2)
	v_add_co_u32_e32 v4, vcc, 0x2000, v0
	v_addc_co_u32_e32 v5, vcc, 0, v1, vcc
	s_waitcnt lgkmcnt(1)
	global_store_short v[4:5], v3, off offset:3072
	s_or_b64 exec, exec, s[0:1]
	s_and_saveexec_b64 s[0:1], s[46:47]
	s_cbranch_execz .LBB429_214
.LBB429_232:
	v_add_co_u32_e32 v0, vcc, 0x2000, v0
	v_addc_co_u32_e32 v1, vcc, 0, v1, vcc
	s_waitcnt lgkmcnt(0)
	global_store_short v[0:1], v2, off offset:3584
	s_endpgm
	.section	.rodata,"a",@progbits
	.p2align	6, 0x0
	.amdhsa_kernel _ZN7rocprim17ROCPRIM_400000_NS6detail17trampoline_kernelINS0_14default_configENS1_20scan_config_selectorIN3c104HalfEEEZZNS1_9scan_implILNS1_25lookback_scan_determinismE0ELb0ELb0ES3_PKS6_PS6_S6_ZZZN2at6native31launch_logcumsumexp_cuda_kernelERKNSD_10TensorBaseESH_lENKUlvE_clEvENKUlvE3_clEvEUlS6_S6_E_S6_EEDaPvRmT3_T4_T5_mT6_P12ihipStream_tbENKUlT_T0_E_clISt17integral_constantIbLb0EESX_IbLb1EEEEDaST_SU_EUlST_E0_NS1_11comp_targetILNS1_3genE2ELNS1_11target_archE906ELNS1_3gpuE6ELNS1_3repE0EEENS1_30default_config_static_selectorELNS0_4arch9wavefront6targetE1EEEvT1_
		.amdhsa_group_segment_fixed_size 12288
		.amdhsa_private_segment_fixed_size 0
		.amdhsa_kernarg_size 32
		.amdhsa_user_sgpr_count 6
		.amdhsa_user_sgpr_private_segment_buffer 1
		.amdhsa_user_sgpr_dispatch_ptr 0
		.amdhsa_user_sgpr_queue_ptr 0
		.amdhsa_user_sgpr_kernarg_segment_ptr 1
		.amdhsa_user_sgpr_dispatch_id 0
		.amdhsa_user_sgpr_flat_scratch_init 0
		.amdhsa_user_sgpr_private_segment_size 0
		.amdhsa_uses_dynamic_stack 0
		.amdhsa_system_sgpr_private_segment_wavefront_offset 0
		.amdhsa_system_sgpr_workgroup_id_x 1
		.amdhsa_system_sgpr_workgroup_id_y 0
		.amdhsa_system_sgpr_workgroup_id_z 0
		.amdhsa_system_sgpr_workgroup_info 0
		.amdhsa_system_vgpr_workitem_id 0
		.amdhsa_next_free_vgpr 49
		.amdhsa_next_free_sgpr 98
		.amdhsa_reserve_vcc 1
		.amdhsa_reserve_flat_scratch 0
		.amdhsa_float_round_mode_32 0
		.amdhsa_float_round_mode_16_64 0
		.amdhsa_float_denorm_mode_32 3
		.amdhsa_float_denorm_mode_16_64 3
		.amdhsa_dx10_clamp 1
		.amdhsa_ieee_mode 1
		.amdhsa_fp16_overflow 0
		.amdhsa_exception_fp_ieee_invalid_op 0
		.amdhsa_exception_fp_denorm_src 0
		.amdhsa_exception_fp_ieee_div_zero 0
		.amdhsa_exception_fp_ieee_overflow 0
		.amdhsa_exception_fp_ieee_underflow 0
		.amdhsa_exception_fp_ieee_inexact 0
		.amdhsa_exception_int_div_zero 0
	.end_amdhsa_kernel
	.section	.text._ZN7rocprim17ROCPRIM_400000_NS6detail17trampoline_kernelINS0_14default_configENS1_20scan_config_selectorIN3c104HalfEEEZZNS1_9scan_implILNS1_25lookback_scan_determinismE0ELb0ELb0ES3_PKS6_PS6_S6_ZZZN2at6native31launch_logcumsumexp_cuda_kernelERKNSD_10TensorBaseESH_lENKUlvE_clEvENKUlvE3_clEvEUlS6_S6_E_S6_EEDaPvRmT3_T4_T5_mT6_P12ihipStream_tbENKUlT_T0_E_clISt17integral_constantIbLb0EESX_IbLb1EEEEDaST_SU_EUlST_E0_NS1_11comp_targetILNS1_3genE2ELNS1_11target_archE906ELNS1_3gpuE6ELNS1_3repE0EEENS1_30default_config_static_selectorELNS0_4arch9wavefront6targetE1EEEvT1_,"axG",@progbits,_ZN7rocprim17ROCPRIM_400000_NS6detail17trampoline_kernelINS0_14default_configENS1_20scan_config_selectorIN3c104HalfEEEZZNS1_9scan_implILNS1_25lookback_scan_determinismE0ELb0ELb0ES3_PKS6_PS6_S6_ZZZN2at6native31launch_logcumsumexp_cuda_kernelERKNSD_10TensorBaseESH_lENKUlvE_clEvENKUlvE3_clEvEUlS6_S6_E_S6_EEDaPvRmT3_T4_T5_mT6_P12ihipStream_tbENKUlT_T0_E_clISt17integral_constantIbLb0EESX_IbLb1EEEEDaST_SU_EUlST_E0_NS1_11comp_targetILNS1_3genE2ELNS1_11target_archE906ELNS1_3gpuE6ELNS1_3repE0EEENS1_30default_config_static_selectorELNS0_4arch9wavefront6targetE1EEEvT1_,comdat
.Lfunc_end429:
	.size	_ZN7rocprim17ROCPRIM_400000_NS6detail17trampoline_kernelINS0_14default_configENS1_20scan_config_selectorIN3c104HalfEEEZZNS1_9scan_implILNS1_25lookback_scan_determinismE0ELb0ELb0ES3_PKS6_PS6_S6_ZZZN2at6native31launch_logcumsumexp_cuda_kernelERKNSD_10TensorBaseESH_lENKUlvE_clEvENKUlvE3_clEvEUlS6_S6_E_S6_EEDaPvRmT3_T4_T5_mT6_P12ihipStream_tbENKUlT_T0_E_clISt17integral_constantIbLb0EESX_IbLb1EEEEDaST_SU_EUlST_E0_NS1_11comp_targetILNS1_3genE2ELNS1_11target_archE906ELNS1_3gpuE6ELNS1_3repE0EEENS1_30default_config_static_selectorELNS0_4arch9wavefront6targetE1EEEvT1_, .Lfunc_end429-_ZN7rocprim17ROCPRIM_400000_NS6detail17trampoline_kernelINS0_14default_configENS1_20scan_config_selectorIN3c104HalfEEEZZNS1_9scan_implILNS1_25lookback_scan_determinismE0ELb0ELb0ES3_PKS6_PS6_S6_ZZZN2at6native31launch_logcumsumexp_cuda_kernelERKNSD_10TensorBaseESH_lENKUlvE_clEvENKUlvE3_clEvEUlS6_S6_E_S6_EEDaPvRmT3_T4_T5_mT6_P12ihipStream_tbENKUlT_T0_E_clISt17integral_constantIbLb0EESX_IbLb1EEEEDaST_SU_EUlST_E0_NS1_11comp_targetILNS1_3genE2ELNS1_11target_archE906ELNS1_3gpuE6ELNS1_3repE0EEENS1_30default_config_static_selectorELNS0_4arch9wavefront6targetE1EEEvT1_
                                        ; -- End function
	.set _ZN7rocprim17ROCPRIM_400000_NS6detail17trampoline_kernelINS0_14default_configENS1_20scan_config_selectorIN3c104HalfEEEZZNS1_9scan_implILNS1_25lookback_scan_determinismE0ELb0ELb0ES3_PKS6_PS6_S6_ZZZN2at6native31launch_logcumsumexp_cuda_kernelERKNSD_10TensorBaseESH_lENKUlvE_clEvENKUlvE3_clEvEUlS6_S6_E_S6_EEDaPvRmT3_T4_T5_mT6_P12ihipStream_tbENKUlT_T0_E_clISt17integral_constantIbLb0EESX_IbLb1EEEEDaST_SU_EUlST_E0_NS1_11comp_targetILNS1_3genE2ELNS1_11target_archE906ELNS1_3gpuE6ELNS1_3repE0EEENS1_30default_config_static_selectorELNS0_4arch9wavefront6targetE1EEEvT1_.num_vgpr, 49
	.set _ZN7rocprim17ROCPRIM_400000_NS6detail17trampoline_kernelINS0_14default_configENS1_20scan_config_selectorIN3c104HalfEEEZZNS1_9scan_implILNS1_25lookback_scan_determinismE0ELb0ELb0ES3_PKS6_PS6_S6_ZZZN2at6native31launch_logcumsumexp_cuda_kernelERKNSD_10TensorBaseESH_lENKUlvE_clEvENKUlvE3_clEvEUlS6_S6_E_S6_EEDaPvRmT3_T4_T5_mT6_P12ihipStream_tbENKUlT_T0_E_clISt17integral_constantIbLb0EESX_IbLb1EEEEDaST_SU_EUlST_E0_NS1_11comp_targetILNS1_3genE2ELNS1_11target_archE906ELNS1_3gpuE6ELNS1_3repE0EEENS1_30default_config_static_selectorELNS0_4arch9wavefront6targetE1EEEvT1_.num_agpr, 0
	.set _ZN7rocprim17ROCPRIM_400000_NS6detail17trampoline_kernelINS0_14default_configENS1_20scan_config_selectorIN3c104HalfEEEZZNS1_9scan_implILNS1_25lookback_scan_determinismE0ELb0ELb0ES3_PKS6_PS6_S6_ZZZN2at6native31launch_logcumsumexp_cuda_kernelERKNSD_10TensorBaseESH_lENKUlvE_clEvENKUlvE3_clEvEUlS6_S6_E_S6_EEDaPvRmT3_T4_T5_mT6_P12ihipStream_tbENKUlT_T0_E_clISt17integral_constantIbLb0EESX_IbLb1EEEEDaST_SU_EUlST_E0_NS1_11comp_targetILNS1_3genE2ELNS1_11target_archE906ELNS1_3gpuE6ELNS1_3repE0EEENS1_30default_config_static_selectorELNS0_4arch9wavefront6targetE1EEEvT1_.numbered_sgpr, 96
	.set _ZN7rocprim17ROCPRIM_400000_NS6detail17trampoline_kernelINS0_14default_configENS1_20scan_config_selectorIN3c104HalfEEEZZNS1_9scan_implILNS1_25lookback_scan_determinismE0ELb0ELb0ES3_PKS6_PS6_S6_ZZZN2at6native31launch_logcumsumexp_cuda_kernelERKNSD_10TensorBaseESH_lENKUlvE_clEvENKUlvE3_clEvEUlS6_S6_E_S6_EEDaPvRmT3_T4_T5_mT6_P12ihipStream_tbENKUlT_T0_E_clISt17integral_constantIbLb0EESX_IbLb1EEEEDaST_SU_EUlST_E0_NS1_11comp_targetILNS1_3genE2ELNS1_11target_archE906ELNS1_3gpuE6ELNS1_3repE0EEENS1_30default_config_static_selectorELNS0_4arch9wavefront6targetE1EEEvT1_.num_named_barrier, 0
	.set _ZN7rocprim17ROCPRIM_400000_NS6detail17trampoline_kernelINS0_14default_configENS1_20scan_config_selectorIN3c104HalfEEEZZNS1_9scan_implILNS1_25lookback_scan_determinismE0ELb0ELb0ES3_PKS6_PS6_S6_ZZZN2at6native31launch_logcumsumexp_cuda_kernelERKNSD_10TensorBaseESH_lENKUlvE_clEvENKUlvE3_clEvEUlS6_S6_E_S6_EEDaPvRmT3_T4_T5_mT6_P12ihipStream_tbENKUlT_T0_E_clISt17integral_constantIbLb0EESX_IbLb1EEEEDaST_SU_EUlST_E0_NS1_11comp_targetILNS1_3genE2ELNS1_11target_archE906ELNS1_3gpuE6ELNS1_3repE0EEENS1_30default_config_static_selectorELNS0_4arch9wavefront6targetE1EEEvT1_.private_seg_size, 0
	.set _ZN7rocprim17ROCPRIM_400000_NS6detail17trampoline_kernelINS0_14default_configENS1_20scan_config_selectorIN3c104HalfEEEZZNS1_9scan_implILNS1_25lookback_scan_determinismE0ELb0ELb0ES3_PKS6_PS6_S6_ZZZN2at6native31launch_logcumsumexp_cuda_kernelERKNSD_10TensorBaseESH_lENKUlvE_clEvENKUlvE3_clEvEUlS6_S6_E_S6_EEDaPvRmT3_T4_T5_mT6_P12ihipStream_tbENKUlT_T0_E_clISt17integral_constantIbLb0EESX_IbLb1EEEEDaST_SU_EUlST_E0_NS1_11comp_targetILNS1_3genE2ELNS1_11target_archE906ELNS1_3gpuE6ELNS1_3repE0EEENS1_30default_config_static_selectorELNS0_4arch9wavefront6targetE1EEEvT1_.uses_vcc, 1
	.set _ZN7rocprim17ROCPRIM_400000_NS6detail17trampoline_kernelINS0_14default_configENS1_20scan_config_selectorIN3c104HalfEEEZZNS1_9scan_implILNS1_25lookback_scan_determinismE0ELb0ELb0ES3_PKS6_PS6_S6_ZZZN2at6native31launch_logcumsumexp_cuda_kernelERKNSD_10TensorBaseESH_lENKUlvE_clEvENKUlvE3_clEvEUlS6_S6_E_S6_EEDaPvRmT3_T4_T5_mT6_P12ihipStream_tbENKUlT_T0_E_clISt17integral_constantIbLb0EESX_IbLb1EEEEDaST_SU_EUlST_E0_NS1_11comp_targetILNS1_3genE2ELNS1_11target_archE906ELNS1_3gpuE6ELNS1_3repE0EEENS1_30default_config_static_selectorELNS0_4arch9wavefront6targetE1EEEvT1_.uses_flat_scratch, 0
	.set _ZN7rocprim17ROCPRIM_400000_NS6detail17trampoline_kernelINS0_14default_configENS1_20scan_config_selectorIN3c104HalfEEEZZNS1_9scan_implILNS1_25lookback_scan_determinismE0ELb0ELb0ES3_PKS6_PS6_S6_ZZZN2at6native31launch_logcumsumexp_cuda_kernelERKNSD_10TensorBaseESH_lENKUlvE_clEvENKUlvE3_clEvEUlS6_S6_E_S6_EEDaPvRmT3_T4_T5_mT6_P12ihipStream_tbENKUlT_T0_E_clISt17integral_constantIbLb0EESX_IbLb1EEEEDaST_SU_EUlST_E0_NS1_11comp_targetILNS1_3genE2ELNS1_11target_archE906ELNS1_3gpuE6ELNS1_3repE0EEENS1_30default_config_static_selectorELNS0_4arch9wavefront6targetE1EEEvT1_.has_dyn_sized_stack, 0
	.set _ZN7rocprim17ROCPRIM_400000_NS6detail17trampoline_kernelINS0_14default_configENS1_20scan_config_selectorIN3c104HalfEEEZZNS1_9scan_implILNS1_25lookback_scan_determinismE0ELb0ELb0ES3_PKS6_PS6_S6_ZZZN2at6native31launch_logcumsumexp_cuda_kernelERKNSD_10TensorBaseESH_lENKUlvE_clEvENKUlvE3_clEvEUlS6_S6_E_S6_EEDaPvRmT3_T4_T5_mT6_P12ihipStream_tbENKUlT_T0_E_clISt17integral_constantIbLb0EESX_IbLb1EEEEDaST_SU_EUlST_E0_NS1_11comp_targetILNS1_3genE2ELNS1_11target_archE906ELNS1_3gpuE6ELNS1_3repE0EEENS1_30default_config_static_selectorELNS0_4arch9wavefront6targetE1EEEvT1_.has_recursion, 0
	.set _ZN7rocprim17ROCPRIM_400000_NS6detail17trampoline_kernelINS0_14default_configENS1_20scan_config_selectorIN3c104HalfEEEZZNS1_9scan_implILNS1_25lookback_scan_determinismE0ELb0ELb0ES3_PKS6_PS6_S6_ZZZN2at6native31launch_logcumsumexp_cuda_kernelERKNSD_10TensorBaseESH_lENKUlvE_clEvENKUlvE3_clEvEUlS6_S6_E_S6_EEDaPvRmT3_T4_T5_mT6_P12ihipStream_tbENKUlT_T0_E_clISt17integral_constantIbLb0EESX_IbLb1EEEEDaST_SU_EUlST_E0_NS1_11comp_targetILNS1_3genE2ELNS1_11target_archE906ELNS1_3gpuE6ELNS1_3repE0EEENS1_30default_config_static_selectorELNS0_4arch9wavefront6targetE1EEEvT1_.has_indirect_call, 0
	.section	.AMDGPU.csdata,"",@progbits
; Kernel info:
; codeLenInByte = 48084
; TotalNumSgprs: 100
; NumVgprs: 49
; ScratchSize: 0
; MemoryBound: 0
; FloatMode: 240
; IeeeMode: 1
; LDSByteSize: 12288 bytes/workgroup (compile time only)
; SGPRBlocks: 12
; VGPRBlocks: 12
; NumSGPRsForWavesPerEU: 102
; NumVGPRsForWavesPerEU: 49
; Occupancy: 4
; WaveLimiterHint : 0
; COMPUTE_PGM_RSRC2:SCRATCH_EN: 0
; COMPUTE_PGM_RSRC2:USER_SGPR: 6
; COMPUTE_PGM_RSRC2:TRAP_HANDLER: 0
; COMPUTE_PGM_RSRC2:TGID_X_EN: 1
; COMPUTE_PGM_RSRC2:TGID_Y_EN: 0
; COMPUTE_PGM_RSRC2:TGID_Z_EN: 0
; COMPUTE_PGM_RSRC2:TIDIG_COMP_CNT: 0
	.section	.text._ZN7rocprim17ROCPRIM_400000_NS6detail17trampoline_kernelINS0_14default_configENS1_20scan_config_selectorIN3c104HalfEEEZZNS1_9scan_implILNS1_25lookback_scan_determinismE0ELb0ELb0ES3_PKS6_PS6_S6_ZZZN2at6native31launch_logcumsumexp_cuda_kernelERKNSD_10TensorBaseESH_lENKUlvE_clEvENKUlvE3_clEvEUlS6_S6_E_S6_EEDaPvRmT3_T4_T5_mT6_P12ihipStream_tbENKUlT_T0_E_clISt17integral_constantIbLb0EESX_IbLb1EEEEDaST_SU_EUlST_E0_NS1_11comp_targetILNS1_3genE10ELNS1_11target_archE1201ELNS1_3gpuE5ELNS1_3repE0EEENS1_30default_config_static_selectorELNS0_4arch9wavefront6targetE1EEEvT1_,"axG",@progbits,_ZN7rocprim17ROCPRIM_400000_NS6detail17trampoline_kernelINS0_14default_configENS1_20scan_config_selectorIN3c104HalfEEEZZNS1_9scan_implILNS1_25lookback_scan_determinismE0ELb0ELb0ES3_PKS6_PS6_S6_ZZZN2at6native31launch_logcumsumexp_cuda_kernelERKNSD_10TensorBaseESH_lENKUlvE_clEvENKUlvE3_clEvEUlS6_S6_E_S6_EEDaPvRmT3_T4_T5_mT6_P12ihipStream_tbENKUlT_T0_E_clISt17integral_constantIbLb0EESX_IbLb1EEEEDaST_SU_EUlST_E0_NS1_11comp_targetILNS1_3genE10ELNS1_11target_archE1201ELNS1_3gpuE5ELNS1_3repE0EEENS1_30default_config_static_selectorELNS0_4arch9wavefront6targetE1EEEvT1_,comdat
	.globl	_ZN7rocprim17ROCPRIM_400000_NS6detail17trampoline_kernelINS0_14default_configENS1_20scan_config_selectorIN3c104HalfEEEZZNS1_9scan_implILNS1_25lookback_scan_determinismE0ELb0ELb0ES3_PKS6_PS6_S6_ZZZN2at6native31launch_logcumsumexp_cuda_kernelERKNSD_10TensorBaseESH_lENKUlvE_clEvENKUlvE3_clEvEUlS6_S6_E_S6_EEDaPvRmT3_T4_T5_mT6_P12ihipStream_tbENKUlT_T0_E_clISt17integral_constantIbLb0EESX_IbLb1EEEEDaST_SU_EUlST_E0_NS1_11comp_targetILNS1_3genE10ELNS1_11target_archE1201ELNS1_3gpuE5ELNS1_3repE0EEENS1_30default_config_static_selectorELNS0_4arch9wavefront6targetE1EEEvT1_ ; -- Begin function _ZN7rocprim17ROCPRIM_400000_NS6detail17trampoline_kernelINS0_14default_configENS1_20scan_config_selectorIN3c104HalfEEEZZNS1_9scan_implILNS1_25lookback_scan_determinismE0ELb0ELb0ES3_PKS6_PS6_S6_ZZZN2at6native31launch_logcumsumexp_cuda_kernelERKNSD_10TensorBaseESH_lENKUlvE_clEvENKUlvE3_clEvEUlS6_S6_E_S6_EEDaPvRmT3_T4_T5_mT6_P12ihipStream_tbENKUlT_T0_E_clISt17integral_constantIbLb0EESX_IbLb1EEEEDaST_SU_EUlST_E0_NS1_11comp_targetILNS1_3genE10ELNS1_11target_archE1201ELNS1_3gpuE5ELNS1_3repE0EEENS1_30default_config_static_selectorELNS0_4arch9wavefront6targetE1EEEvT1_
	.p2align	8
	.type	_ZN7rocprim17ROCPRIM_400000_NS6detail17trampoline_kernelINS0_14default_configENS1_20scan_config_selectorIN3c104HalfEEEZZNS1_9scan_implILNS1_25lookback_scan_determinismE0ELb0ELb0ES3_PKS6_PS6_S6_ZZZN2at6native31launch_logcumsumexp_cuda_kernelERKNSD_10TensorBaseESH_lENKUlvE_clEvENKUlvE3_clEvEUlS6_S6_E_S6_EEDaPvRmT3_T4_T5_mT6_P12ihipStream_tbENKUlT_T0_E_clISt17integral_constantIbLb0EESX_IbLb1EEEEDaST_SU_EUlST_E0_NS1_11comp_targetILNS1_3genE10ELNS1_11target_archE1201ELNS1_3gpuE5ELNS1_3repE0EEENS1_30default_config_static_selectorELNS0_4arch9wavefront6targetE1EEEvT1_,@function
_ZN7rocprim17ROCPRIM_400000_NS6detail17trampoline_kernelINS0_14default_configENS1_20scan_config_selectorIN3c104HalfEEEZZNS1_9scan_implILNS1_25lookback_scan_determinismE0ELb0ELb0ES3_PKS6_PS6_S6_ZZZN2at6native31launch_logcumsumexp_cuda_kernelERKNSD_10TensorBaseESH_lENKUlvE_clEvENKUlvE3_clEvEUlS6_S6_E_S6_EEDaPvRmT3_T4_T5_mT6_P12ihipStream_tbENKUlT_T0_E_clISt17integral_constantIbLb0EESX_IbLb1EEEEDaST_SU_EUlST_E0_NS1_11comp_targetILNS1_3genE10ELNS1_11target_archE1201ELNS1_3gpuE5ELNS1_3repE0EEENS1_30default_config_static_selectorELNS0_4arch9wavefront6targetE1EEEvT1_: ; @_ZN7rocprim17ROCPRIM_400000_NS6detail17trampoline_kernelINS0_14default_configENS1_20scan_config_selectorIN3c104HalfEEEZZNS1_9scan_implILNS1_25lookback_scan_determinismE0ELb0ELb0ES3_PKS6_PS6_S6_ZZZN2at6native31launch_logcumsumexp_cuda_kernelERKNSD_10TensorBaseESH_lENKUlvE_clEvENKUlvE3_clEvEUlS6_S6_E_S6_EEDaPvRmT3_T4_T5_mT6_P12ihipStream_tbENKUlT_T0_E_clISt17integral_constantIbLb0EESX_IbLb1EEEEDaST_SU_EUlST_E0_NS1_11comp_targetILNS1_3genE10ELNS1_11target_archE1201ELNS1_3gpuE5ELNS1_3repE0EEENS1_30default_config_static_selectorELNS0_4arch9wavefront6targetE1EEEvT1_
; %bb.0:
	.section	.rodata,"a",@progbits
	.p2align	6, 0x0
	.amdhsa_kernel _ZN7rocprim17ROCPRIM_400000_NS6detail17trampoline_kernelINS0_14default_configENS1_20scan_config_selectorIN3c104HalfEEEZZNS1_9scan_implILNS1_25lookback_scan_determinismE0ELb0ELb0ES3_PKS6_PS6_S6_ZZZN2at6native31launch_logcumsumexp_cuda_kernelERKNSD_10TensorBaseESH_lENKUlvE_clEvENKUlvE3_clEvEUlS6_S6_E_S6_EEDaPvRmT3_T4_T5_mT6_P12ihipStream_tbENKUlT_T0_E_clISt17integral_constantIbLb0EESX_IbLb1EEEEDaST_SU_EUlST_E0_NS1_11comp_targetILNS1_3genE10ELNS1_11target_archE1201ELNS1_3gpuE5ELNS1_3repE0EEENS1_30default_config_static_selectorELNS0_4arch9wavefront6targetE1EEEvT1_
		.amdhsa_group_segment_fixed_size 0
		.amdhsa_private_segment_fixed_size 0
		.amdhsa_kernarg_size 32
		.amdhsa_user_sgpr_count 6
		.amdhsa_user_sgpr_private_segment_buffer 1
		.amdhsa_user_sgpr_dispatch_ptr 0
		.amdhsa_user_sgpr_queue_ptr 0
		.amdhsa_user_sgpr_kernarg_segment_ptr 1
		.amdhsa_user_sgpr_dispatch_id 0
		.amdhsa_user_sgpr_flat_scratch_init 0
		.amdhsa_user_sgpr_private_segment_size 0
		.amdhsa_uses_dynamic_stack 0
		.amdhsa_system_sgpr_private_segment_wavefront_offset 0
		.amdhsa_system_sgpr_workgroup_id_x 1
		.amdhsa_system_sgpr_workgroup_id_y 0
		.amdhsa_system_sgpr_workgroup_id_z 0
		.amdhsa_system_sgpr_workgroup_info 0
		.amdhsa_system_vgpr_workitem_id 0
		.amdhsa_next_free_vgpr 1
		.amdhsa_next_free_sgpr 0
		.amdhsa_reserve_vcc 0
		.amdhsa_reserve_flat_scratch 0
		.amdhsa_float_round_mode_32 0
		.amdhsa_float_round_mode_16_64 0
		.amdhsa_float_denorm_mode_32 3
		.amdhsa_float_denorm_mode_16_64 3
		.amdhsa_dx10_clamp 1
		.amdhsa_ieee_mode 1
		.amdhsa_fp16_overflow 0
		.amdhsa_exception_fp_ieee_invalid_op 0
		.amdhsa_exception_fp_denorm_src 0
		.amdhsa_exception_fp_ieee_div_zero 0
		.amdhsa_exception_fp_ieee_overflow 0
		.amdhsa_exception_fp_ieee_underflow 0
		.amdhsa_exception_fp_ieee_inexact 0
		.amdhsa_exception_int_div_zero 0
	.end_amdhsa_kernel
	.section	.text._ZN7rocprim17ROCPRIM_400000_NS6detail17trampoline_kernelINS0_14default_configENS1_20scan_config_selectorIN3c104HalfEEEZZNS1_9scan_implILNS1_25lookback_scan_determinismE0ELb0ELb0ES3_PKS6_PS6_S6_ZZZN2at6native31launch_logcumsumexp_cuda_kernelERKNSD_10TensorBaseESH_lENKUlvE_clEvENKUlvE3_clEvEUlS6_S6_E_S6_EEDaPvRmT3_T4_T5_mT6_P12ihipStream_tbENKUlT_T0_E_clISt17integral_constantIbLb0EESX_IbLb1EEEEDaST_SU_EUlST_E0_NS1_11comp_targetILNS1_3genE10ELNS1_11target_archE1201ELNS1_3gpuE5ELNS1_3repE0EEENS1_30default_config_static_selectorELNS0_4arch9wavefront6targetE1EEEvT1_,"axG",@progbits,_ZN7rocprim17ROCPRIM_400000_NS6detail17trampoline_kernelINS0_14default_configENS1_20scan_config_selectorIN3c104HalfEEEZZNS1_9scan_implILNS1_25lookback_scan_determinismE0ELb0ELb0ES3_PKS6_PS6_S6_ZZZN2at6native31launch_logcumsumexp_cuda_kernelERKNSD_10TensorBaseESH_lENKUlvE_clEvENKUlvE3_clEvEUlS6_S6_E_S6_EEDaPvRmT3_T4_T5_mT6_P12ihipStream_tbENKUlT_T0_E_clISt17integral_constantIbLb0EESX_IbLb1EEEEDaST_SU_EUlST_E0_NS1_11comp_targetILNS1_3genE10ELNS1_11target_archE1201ELNS1_3gpuE5ELNS1_3repE0EEENS1_30default_config_static_selectorELNS0_4arch9wavefront6targetE1EEEvT1_,comdat
.Lfunc_end430:
	.size	_ZN7rocprim17ROCPRIM_400000_NS6detail17trampoline_kernelINS0_14default_configENS1_20scan_config_selectorIN3c104HalfEEEZZNS1_9scan_implILNS1_25lookback_scan_determinismE0ELb0ELb0ES3_PKS6_PS6_S6_ZZZN2at6native31launch_logcumsumexp_cuda_kernelERKNSD_10TensorBaseESH_lENKUlvE_clEvENKUlvE3_clEvEUlS6_S6_E_S6_EEDaPvRmT3_T4_T5_mT6_P12ihipStream_tbENKUlT_T0_E_clISt17integral_constantIbLb0EESX_IbLb1EEEEDaST_SU_EUlST_E0_NS1_11comp_targetILNS1_3genE10ELNS1_11target_archE1201ELNS1_3gpuE5ELNS1_3repE0EEENS1_30default_config_static_selectorELNS0_4arch9wavefront6targetE1EEEvT1_, .Lfunc_end430-_ZN7rocprim17ROCPRIM_400000_NS6detail17trampoline_kernelINS0_14default_configENS1_20scan_config_selectorIN3c104HalfEEEZZNS1_9scan_implILNS1_25lookback_scan_determinismE0ELb0ELb0ES3_PKS6_PS6_S6_ZZZN2at6native31launch_logcumsumexp_cuda_kernelERKNSD_10TensorBaseESH_lENKUlvE_clEvENKUlvE3_clEvEUlS6_S6_E_S6_EEDaPvRmT3_T4_T5_mT6_P12ihipStream_tbENKUlT_T0_E_clISt17integral_constantIbLb0EESX_IbLb1EEEEDaST_SU_EUlST_E0_NS1_11comp_targetILNS1_3genE10ELNS1_11target_archE1201ELNS1_3gpuE5ELNS1_3repE0EEENS1_30default_config_static_selectorELNS0_4arch9wavefront6targetE1EEEvT1_
                                        ; -- End function
	.set _ZN7rocprim17ROCPRIM_400000_NS6detail17trampoline_kernelINS0_14default_configENS1_20scan_config_selectorIN3c104HalfEEEZZNS1_9scan_implILNS1_25lookback_scan_determinismE0ELb0ELb0ES3_PKS6_PS6_S6_ZZZN2at6native31launch_logcumsumexp_cuda_kernelERKNSD_10TensorBaseESH_lENKUlvE_clEvENKUlvE3_clEvEUlS6_S6_E_S6_EEDaPvRmT3_T4_T5_mT6_P12ihipStream_tbENKUlT_T0_E_clISt17integral_constantIbLb0EESX_IbLb1EEEEDaST_SU_EUlST_E0_NS1_11comp_targetILNS1_3genE10ELNS1_11target_archE1201ELNS1_3gpuE5ELNS1_3repE0EEENS1_30default_config_static_selectorELNS0_4arch9wavefront6targetE1EEEvT1_.num_vgpr, 0
	.set _ZN7rocprim17ROCPRIM_400000_NS6detail17trampoline_kernelINS0_14default_configENS1_20scan_config_selectorIN3c104HalfEEEZZNS1_9scan_implILNS1_25lookback_scan_determinismE0ELb0ELb0ES3_PKS6_PS6_S6_ZZZN2at6native31launch_logcumsumexp_cuda_kernelERKNSD_10TensorBaseESH_lENKUlvE_clEvENKUlvE3_clEvEUlS6_S6_E_S6_EEDaPvRmT3_T4_T5_mT6_P12ihipStream_tbENKUlT_T0_E_clISt17integral_constantIbLb0EESX_IbLb1EEEEDaST_SU_EUlST_E0_NS1_11comp_targetILNS1_3genE10ELNS1_11target_archE1201ELNS1_3gpuE5ELNS1_3repE0EEENS1_30default_config_static_selectorELNS0_4arch9wavefront6targetE1EEEvT1_.num_agpr, 0
	.set _ZN7rocprim17ROCPRIM_400000_NS6detail17trampoline_kernelINS0_14default_configENS1_20scan_config_selectorIN3c104HalfEEEZZNS1_9scan_implILNS1_25lookback_scan_determinismE0ELb0ELb0ES3_PKS6_PS6_S6_ZZZN2at6native31launch_logcumsumexp_cuda_kernelERKNSD_10TensorBaseESH_lENKUlvE_clEvENKUlvE3_clEvEUlS6_S6_E_S6_EEDaPvRmT3_T4_T5_mT6_P12ihipStream_tbENKUlT_T0_E_clISt17integral_constantIbLb0EESX_IbLb1EEEEDaST_SU_EUlST_E0_NS1_11comp_targetILNS1_3genE10ELNS1_11target_archE1201ELNS1_3gpuE5ELNS1_3repE0EEENS1_30default_config_static_selectorELNS0_4arch9wavefront6targetE1EEEvT1_.numbered_sgpr, 0
	.set _ZN7rocprim17ROCPRIM_400000_NS6detail17trampoline_kernelINS0_14default_configENS1_20scan_config_selectorIN3c104HalfEEEZZNS1_9scan_implILNS1_25lookback_scan_determinismE0ELb0ELb0ES3_PKS6_PS6_S6_ZZZN2at6native31launch_logcumsumexp_cuda_kernelERKNSD_10TensorBaseESH_lENKUlvE_clEvENKUlvE3_clEvEUlS6_S6_E_S6_EEDaPvRmT3_T4_T5_mT6_P12ihipStream_tbENKUlT_T0_E_clISt17integral_constantIbLb0EESX_IbLb1EEEEDaST_SU_EUlST_E0_NS1_11comp_targetILNS1_3genE10ELNS1_11target_archE1201ELNS1_3gpuE5ELNS1_3repE0EEENS1_30default_config_static_selectorELNS0_4arch9wavefront6targetE1EEEvT1_.num_named_barrier, 0
	.set _ZN7rocprim17ROCPRIM_400000_NS6detail17trampoline_kernelINS0_14default_configENS1_20scan_config_selectorIN3c104HalfEEEZZNS1_9scan_implILNS1_25lookback_scan_determinismE0ELb0ELb0ES3_PKS6_PS6_S6_ZZZN2at6native31launch_logcumsumexp_cuda_kernelERKNSD_10TensorBaseESH_lENKUlvE_clEvENKUlvE3_clEvEUlS6_S6_E_S6_EEDaPvRmT3_T4_T5_mT6_P12ihipStream_tbENKUlT_T0_E_clISt17integral_constantIbLb0EESX_IbLb1EEEEDaST_SU_EUlST_E0_NS1_11comp_targetILNS1_3genE10ELNS1_11target_archE1201ELNS1_3gpuE5ELNS1_3repE0EEENS1_30default_config_static_selectorELNS0_4arch9wavefront6targetE1EEEvT1_.private_seg_size, 0
	.set _ZN7rocprim17ROCPRIM_400000_NS6detail17trampoline_kernelINS0_14default_configENS1_20scan_config_selectorIN3c104HalfEEEZZNS1_9scan_implILNS1_25lookback_scan_determinismE0ELb0ELb0ES3_PKS6_PS6_S6_ZZZN2at6native31launch_logcumsumexp_cuda_kernelERKNSD_10TensorBaseESH_lENKUlvE_clEvENKUlvE3_clEvEUlS6_S6_E_S6_EEDaPvRmT3_T4_T5_mT6_P12ihipStream_tbENKUlT_T0_E_clISt17integral_constantIbLb0EESX_IbLb1EEEEDaST_SU_EUlST_E0_NS1_11comp_targetILNS1_3genE10ELNS1_11target_archE1201ELNS1_3gpuE5ELNS1_3repE0EEENS1_30default_config_static_selectorELNS0_4arch9wavefront6targetE1EEEvT1_.uses_vcc, 0
	.set _ZN7rocprim17ROCPRIM_400000_NS6detail17trampoline_kernelINS0_14default_configENS1_20scan_config_selectorIN3c104HalfEEEZZNS1_9scan_implILNS1_25lookback_scan_determinismE0ELb0ELb0ES3_PKS6_PS6_S6_ZZZN2at6native31launch_logcumsumexp_cuda_kernelERKNSD_10TensorBaseESH_lENKUlvE_clEvENKUlvE3_clEvEUlS6_S6_E_S6_EEDaPvRmT3_T4_T5_mT6_P12ihipStream_tbENKUlT_T0_E_clISt17integral_constantIbLb0EESX_IbLb1EEEEDaST_SU_EUlST_E0_NS1_11comp_targetILNS1_3genE10ELNS1_11target_archE1201ELNS1_3gpuE5ELNS1_3repE0EEENS1_30default_config_static_selectorELNS0_4arch9wavefront6targetE1EEEvT1_.uses_flat_scratch, 0
	.set _ZN7rocprim17ROCPRIM_400000_NS6detail17trampoline_kernelINS0_14default_configENS1_20scan_config_selectorIN3c104HalfEEEZZNS1_9scan_implILNS1_25lookback_scan_determinismE0ELb0ELb0ES3_PKS6_PS6_S6_ZZZN2at6native31launch_logcumsumexp_cuda_kernelERKNSD_10TensorBaseESH_lENKUlvE_clEvENKUlvE3_clEvEUlS6_S6_E_S6_EEDaPvRmT3_T4_T5_mT6_P12ihipStream_tbENKUlT_T0_E_clISt17integral_constantIbLb0EESX_IbLb1EEEEDaST_SU_EUlST_E0_NS1_11comp_targetILNS1_3genE10ELNS1_11target_archE1201ELNS1_3gpuE5ELNS1_3repE0EEENS1_30default_config_static_selectorELNS0_4arch9wavefront6targetE1EEEvT1_.has_dyn_sized_stack, 0
	.set _ZN7rocprim17ROCPRIM_400000_NS6detail17trampoline_kernelINS0_14default_configENS1_20scan_config_selectorIN3c104HalfEEEZZNS1_9scan_implILNS1_25lookback_scan_determinismE0ELb0ELb0ES3_PKS6_PS6_S6_ZZZN2at6native31launch_logcumsumexp_cuda_kernelERKNSD_10TensorBaseESH_lENKUlvE_clEvENKUlvE3_clEvEUlS6_S6_E_S6_EEDaPvRmT3_T4_T5_mT6_P12ihipStream_tbENKUlT_T0_E_clISt17integral_constantIbLb0EESX_IbLb1EEEEDaST_SU_EUlST_E0_NS1_11comp_targetILNS1_3genE10ELNS1_11target_archE1201ELNS1_3gpuE5ELNS1_3repE0EEENS1_30default_config_static_selectorELNS0_4arch9wavefront6targetE1EEEvT1_.has_recursion, 0
	.set _ZN7rocprim17ROCPRIM_400000_NS6detail17trampoline_kernelINS0_14default_configENS1_20scan_config_selectorIN3c104HalfEEEZZNS1_9scan_implILNS1_25lookback_scan_determinismE0ELb0ELb0ES3_PKS6_PS6_S6_ZZZN2at6native31launch_logcumsumexp_cuda_kernelERKNSD_10TensorBaseESH_lENKUlvE_clEvENKUlvE3_clEvEUlS6_S6_E_S6_EEDaPvRmT3_T4_T5_mT6_P12ihipStream_tbENKUlT_T0_E_clISt17integral_constantIbLb0EESX_IbLb1EEEEDaST_SU_EUlST_E0_NS1_11comp_targetILNS1_3genE10ELNS1_11target_archE1201ELNS1_3gpuE5ELNS1_3repE0EEENS1_30default_config_static_selectorELNS0_4arch9wavefront6targetE1EEEvT1_.has_indirect_call, 0
	.section	.AMDGPU.csdata,"",@progbits
; Kernel info:
; codeLenInByte = 0
; TotalNumSgprs: 4
; NumVgprs: 0
; ScratchSize: 0
; MemoryBound: 0
; FloatMode: 240
; IeeeMode: 1
; LDSByteSize: 0 bytes/workgroup (compile time only)
; SGPRBlocks: 0
; VGPRBlocks: 0
; NumSGPRsForWavesPerEU: 4
; NumVGPRsForWavesPerEU: 1
; Occupancy: 10
; WaveLimiterHint : 0
; COMPUTE_PGM_RSRC2:SCRATCH_EN: 0
; COMPUTE_PGM_RSRC2:USER_SGPR: 6
; COMPUTE_PGM_RSRC2:TRAP_HANDLER: 0
; COMPUTE_PGM_RSRC2:TGID_X_EN: 1
; COMPUTE_PGM_RSRC2:TGID_Y_EN: 0
; COMPUTE_PGM_RSRC2:TGID_Z_EN: 0
; COMPUTE_PGM_RSRC2:TIDIG_COMP_CNT: 0
	.section	.text._ZN7rocprim17ROCPRIM_400000_NS6detail17trampoline_kernelINS0_14default_configENS1_20scan_config_selectorIN3c104HalfEEEZZNS1_9scan_implILNS1_25lookback_scan_determinismE0ELb0ELb0ES3_PKS6_PS6_S6_ZZZN2at6native31launch_logcumsumexp_cuda_kernelERKNSD_10TensorBaseESH_lENKUlvE_clEvENKUlvE3_clEvEUlS6_S6_E_S6_EEDaPvRmT3_T4_T5_mT6_P12ihipStream_tbENKUlT_T0_E_clISt17integral_constantIbLb0EESX_IbLb1EEEEDaST_SU_EUlST_E0_NS1_11comp_targetILNS1_3genE10ELNS1_11target_archE1200ELNS1_3gpuE4ELNS1_3repE0EEENS1_30default_config_static_selectorELNS0_4arch9wavefront6targetE1EEEvT1_,"axG",@progbits,_ZN7rocprim17ROCPRIM_400000_NS6detail17trampoline_kernelINS0_14default_configENS1_20scan_config_selectorIN3c104HalfEEEZZNS1_9scan_implILNS1_25lookback_scan_determinismE0ELb0ELb0ES3_PKS6_PS6_S6_ZZZN2at6native31launch_logcumsumexp_cuda_kernelERKNSD_10TensorBaseESH_lENKUlvE_clEvENKUlvE3_clEvEUlS6_S6_E_S6_EEDaPvRmT3_T4_T5_mT6_P12ihipStream_tbENKUlT_T0_E_clISt17integral_constantIbLb0EESX_IbLb1EEEEDaST_SU_EUlST_E0_NS1_11comp_targetILNS1_3genE10ELNS1_11target_archE1200ELNS1_3gpuE4ELNS1_3repE0EEENS1_30default_config_static_selectorELNS0_4arch9wavefront6targetE1EEEvT1_,comdat
	.globl	_ZN7rocprim17ROCPRIM_400000_NS6detail17trampoline_kernelINS0_14default_configENS1_20scan_config_selectorIN3c104HalfEEEZZNS1_9scan_implILNS1_25lookback_scan_determinismE0ELb0ELb0ES3_PKS6_PS6_S6_ZZZN2at6native31launch_logcumsumexp_cuda_kernelERKNSD_10TensorBaseESH_lENKUlvE_clEvENKUlvE3_clEvEUlS6_S6_E_S6_EEDaPvRmT3_T4_T5_mT6_P12ihipStream_tbENKUlT_T0_E_clISt17integral_constantIbLb0EESX_IbLb1EEEEDaST_SU_EUlST_E0_NS1_11comp_targetILNS1_3genE10ELNS1_11target_archE1200ELNS1_3gpuE4ELNS1_3repE0EEENS1_30default_config_static_selectorELNS0_4arch9wavefront6targetE1EEEvT1_ ; -- Begin function _ZN7rocprim17ROCPRIM_400000_NS6detail17trampoline_kernelINS0_14default_configENS1_20scan_config_selectorIN3c104HalfEEEZZNS1_9scan_implILNS1_25lookback_scan_determinismE0ELb0ELb0ES3_PKS6_PS6_S6_ZZZN2at6native31launch_logcumsumexp_cuda_kernelERKNSD_10TensorBaseESH_lENKUlvE_clEvENKUlvE3_clEvEUlS6_S6_E_S6_EEDaPvRmT3_T4_T5_mT6_P12ihipStream_tbENKUlT_T0_E_clISt17integral_constantIbLb0EESX_IbLb1EEEEDaST_SU_EUlST_E0_NS1_11comp_targetILNS1_3genE10ELNS1_11target_archE1200ELNS1_3gpuE4ELNS1_3repE0EEENS1_30default_config_static_selectorELNS0_4arch9wavefront6targetE1EEEvT1_
	.p2align	8
	.type	_ZN7rocprim17ROCPRIM_400000_NS6detail17trampoline_kernelINS0_14default_configENS1_20scan_config_selectorIN3c104HalfEEEZZNS1_9scan_implILNS1_25lookback_scan_determinismE0ELb0ELb0ES3_PKS6_PS6_S6_ZZZN2at6native31launch_logcumsumexp_cuda_kernelERKNSD_10TensorBaseESH_lENKUlvE_clEvENKUlvE3_clEvEUlS6_S6_E_S6_EEDaPvRmT3_T4_T5_mT6_P12ihipStream_tbENKUlT_T0_E_clISt17integral_constantIbLb0EESX_IbLb1EEEEDaST_SU_EUlST_E0_NS1_11comp_targetILNS1_3genE10ELNS1_11target_archE1200ELNS1_3gpuE4ELNS1_3repE0EEENS1_30default_config_static_selectorELNS0_4arch9wavefront6targetE1EEEvT1_,@function
_ZN7rocprim17ROCPRIM_400000_NS6detail17trampoline_kernelINS0_14default_configENS1_20scan_config_selectorIN3c104HalfEEEZZNS1_9scan_implILNS1_25lookback_scan_determinismE0ELb0ELb0ES3_PKS6_PS6_S6_ZZZN2at6native31launch_logcumsumexp_cuda_kernelERKNSD_10TensorBaseESH_lENKUlvE_clEvENKUlvE3_clEvEUlS6_S6_E_S6_EEDaPvRmT3_T4_T5_mT6_P12ihipStream_tbENKUlT_T0_E_clISt17integral_constantIbLb0EESX_IbLb1EEEEDaST_SU_EUlST_E0_NS1_11comp_targetILNS1_3genE10ELNS1_11target_archE1200ELNS1_3gpuE4ELNS1_3repE0EEENS1_30default_config_static_selectorELNS0_4arch9wavefront6targetE1EEEvT1_: ; @_ZN7rocprim17ROCPRIM_400000_NS6detail17trampoline_kernelINS0_14default_configENS1_20scan_config_selectorIN3c104HalfEEEZZNS1_9scan_implILNS1_25lookback_scan_determinismE0ELb0ELb0ES3_PKS6_PS6_S6_ZZZN2at6native31launch_logcumsumexp_cuda_kernelERKNSD_10TensorBaseESH_lENKUlvE_clEvENKUlvE3_clEvEUlS6_S6_E_S6_EEDaPvRmT3_T4_T5_mT6_P12ihipStream_tbENKUlT_T0_E_clISt17integral_constantIbLb0EESX_IbLb1EEEEDaST_SU_EUlST_E0_NS1_11comp_targetILNS1_3genE10ELNS1_11target_archE1200ELNS1_3gpuE4ELNS1_3repE0EEENS1_30default_config_static_selectorELNS0_4arch9wavefront6targetE1EEEvT1_
; %bb.0:
	.section	.rodata,"a",@progbits
	.p2align	6, 0x0
	.amdhsa_kernel _ZN7rocprim17ROCPRIM_400000_NS6detail17trampoline_kernelINS0_14default_configENS1_20scan_config_selectorIN3c104HalfEEEZZNS1_9scan_implILNS1_25lookback_scan_determinismE0ELb0ELb0ES3_PKS6_PS6_S6_ZZZN2at6native31launch_logcumsumexp_cuda_kernelERKNSD_10TensorBaseESH_lENKUlvE_clEvENKUlvE3_clEvEUlS6_S6_E_S6_EEDaPvRmT3_T4_T5_mT6_P12ihipStream_tbENKUlT_T0_E_clISt17integral_constantIbLb0EESX_IbLb1EEEEDaST_SU_EUlST_E0_NS1_11comp_targetILNS1_3genE10ELNS1_11target_archE1200ELNS1_3gpuE4ELNS1_3repE0EEENS1_30default_config_static_selectorELNS0_4arch9wavefront6targetE1EEEvT1_
		.amdhsa_group_segment_fixed_size 0
		.amdhsa_private_segment_fixed_size 0
		.amdhsa_kernarg_size 32
		.amdhsa_user_sgpr_count 6
		.amdhsa_user_sgpr_private_segment_buffer 1
		.amdhsa_user_sgpr_dispatch_ptr 0
		.amdhsa_user_sgpr_queue_ptr 0
		.amdhsa_user_sgpr_kernarg_segment_ptr 1
		.amdhsa_user_sgpr_dispatch_id 0
		.amdhsa_user_sgpr_flat_scratch_init 0
		.amdhsa_user_sgpr_private_segment_size 0
		.amdhsa_uses_dynamic_stack 0
		.amdhsa_system_sgpr_private_segment_wavefront_offset 0
		.amdhsa_system_sgpr_workgroup_id_x 1
		.amdhsa_system_sgpr_workgroup_id_y 0
		.amdhsa_system_sgpr_workgroup_id_z 0
		.amdhsa_system_sgpr_workgroup_info 0
		.amdhsa_system_vgpr_workitem_id 0
		.amdhsa_next_free_vgpr 1
		.amdhsa_next_free_sgpr 0
		.amdhsa_reserve_vcc 0
		.amdhsa_reserve_flat_scratch 0
		.amdhsa_float_round_mode_32 0
		.amdhsa_float_round_mode_16_64 0
		.amdhsa_float_denorm_mode_32 3
		.amdhsa_float_denorm_mode_16_64 3
		.amdhsa_dx10_clamp 1
		.amdhsa_ieee_mode 1
		.amdhsa_fp16_overflow 0
		.amdhsa_exception_fp_ieee_invalid_op 0
		.amdhsa_exception_fp_denorm_src 0
		.amdhsa_exception_fp_ieee_div_zero 0
		.amdhsa_exception_fp_ieee_overflow 0
		.amdhsa_exception_fp_ieee_underflow 0
		.amdhsa_exception_fp_ieee_inexact 0
		.amdhsa_exception_int_div_zero 0
	.end_amdhsa_kernel
	.section	.text._ZN7rocprim17ROCPRIM_400000_NS6detail17trampoline_kernelINS0_14default_configENS1_20scan_config_selectorIN3c104HalfEEEZZNS1_9scan_implILNS1_25lookback_scan_determinismE0ELb0ELb0ES3_PKS6_PS6_S6_ZZZN2at6native31launch_logcumsumexp_cuda_kernelERKNSD_10TensorBaseESH_lENKUlvE_clEvENKUlvE3_clEvEUlS6_S6_E_S6_EEDaPvRmT3_T4_T5_mT6_P12ihipStream_tbENKUlT_T0_E_clISt17integral_constantIbLb0EESX_IbLb1EEEEDaST_SU_EUlST_E0_NS1_11comp_targetILNS1_3genE10ELNS1_11target_archE1200ELNS1_3gpuE4ELNS1_3repE0EEENS1_30default_config_static_selectorELNS0_4arch9wavefront6targetE1EEEvT1_,"axG",@progbits,_ZN7rocprim17ROCPRIM_400000_NS6detail17trampoline_kernelINS0_14default_configENS1_20scan_config_selectorIN3c104HalfEEEZZNS1_9scan_implILNS1_25lookback_scan_determinismE0ELb0ELb0ES3_PKS6_PS6_S6_ZZZN2at6native31launch_logcumsumexp_cuda_kernelERKNSD_10TensorBaseESH_lENKUlvE_clEvENKUlvE3_clEvEUlS6_S6_E_S6_EEDaPvRmT3_T4_T5_mT6_P12ihipStream_tbENKUlT_T0_E_clISt17integral_constantIbLb0EESX_IbLb1EEEEDaST_SU_EUlST_E0_NS1_11comp_targetILNS1_3genE10ELNS1_11target_archE1200ELNS1_3gpuE4ELNS1_3repE0EEENS1_30default_config_static_selectorELNS0_4arch9wavefront6targetE1EEEvT1_,comdat
.Lfunc_end431:
	.size	_ZN7rocprim17ROCPRIM_400000_NS6detail17trampoline_kernelINS0_14default_configENS1_20scan_config_selectorIN3c104HalfEEEZZNS1_9scan_implILNS1_25lookback_scan_determinismE0ELb0ELb0ES3_PKS6_PS6_S6_ZZZN2at6native31launch_logcumsumexp_cuda_kernelERKNSD_10TensorBaseESH_lENKUlvE_clEvENKUlvE3_clEvEUlS6_S6_E_S6_EEDaPvRmT3_T4_T5_mT6_P12ihipStream_tbENKUlT_T0_E_clISt17integral_constantIbLb0EESX_IbLb1EEEEDaST_SU_EUlST_E0_NS1_11comp_targetILNS1_3genE10ELNS1_11target_archE1200ELNS1_3gpuE4ELNS1_3repE0EEENS1_30default_config_static_selectorELNS0_4arch9wavefront6targetE1EEEvT1_, .Lfunc_end431-_ZN7rocprim17ROCPRIM_400000_NS6detail17trampoline_kernelINS0_14default_configENS1_20scan_config_selectorIN3c104HalfEEEZZNS1_9scan_implILNS1_25lookback_scan_determinismE0ELb0ELb0ES3_PKS6_PS6_S6_ZZZN2at6native31launch_logcumsumexp_cuda_kernelERKNSD_10TensorBaseESH_lENKUlvE_clEvENKUlvE3_clEvEUlS6_S6_E_S6_EEDaPvRmT3_T4_T5_mT6_P12ihipStream_tbENKUlT_T0_E_clISt17integral_constantIbLb0EESX_IbLb1EEEEDaST_SU_EUlST_E0_NS1_11comp_targetILNS1_3genE10ELNS1_11target_archE1200ELNS1_3gpuE4ELNS1_3repE0EEENS1_30default_config_static_selectorELNS0_4arch9wavefront6targetE1EEEvT1_
                                        ; -- End function
	.set _ZN7rocprim17ROCPRIM_400000_NS6detail17trampoline_kernelINS0_14default_configENS1_20scan_config_selectorIN3c104HalfEEEZZNS1_9scan_implILNS1_25lookback_scan_determinismE0ELb0ELb0ES3_PKS6_PS6_S6_ZZZN2at6native31launch_logcumsumexp_cuda_kernelERKNSD_10TensorBaseESH_lENKUlvE_clEvENKUlvE3_clEvEUlS6_S6_E_S6_EEDaPvRmT3_T4_T5_mT6_P12ihipStream_tbENKUlT_T0_E_clISt17integral_constantIbLb0EESX_IbLb1EEEEDaST_SU_EUlST_E0_NS1_11comp_targetILNS1_3genE10ELNS1_11target_archE1200ELNS1_3gpuE4ELNS1_3repE0EEENS1_30default_config_static_selectorELNS0_4arch9wavefront6targetE1EEEvT1_.num_vgpr, 0
	.set _ZN7rocprim17ROCPRIM_400000_NS6detail17trampoline_kernelINS0_14default_configENS1_20scan_config_selectorIN3c104HalfEEEZZNS1_9scan_implILNS1_25lookback_scan_determinismE0ELb0ELb0ES3_PKS6_PS6_S6_ZZZN2at6native31launch_logcumsumexp_cuda_kernelERKNSD_10TensorBaseESH_lENKUlvE_clEvENKUlvE3_clEvEUlS6_S6_E_S6_EEDaPvRmT3_T4_T5_mT6_P12ihipStream_tbENKUlT_T0_E_clISt17integral_constantIbLb0EESX_IbLb1EEEEDaST_SU_EUlST_E0_NS1_11comp_targetILNS1_3genE10ELNS1_11target_archE1200ELNS1_3gpuE4ELNS1_3repE0EEENS1_30default_config_static_selectorELNS0_4arch9wavefront6targetE1EEEvT1_.num_agpr, 0
	.set _ZN7rocprim17ROCPRIM_400000_NS6detail17trampoline_kernelINS0_14default_configENS1_20scan_config_selectorIN3c104HalfEEEZZNS1_9scan_implILNS1_25lookback_scan_determinismE0ELb0ELb0ES3_PKS6_PS6_S6_ZZZN2at6native31launch_logcumsumexp_cuda_kernelERKNSD_10TensorBaseESH_lENKUlvE_clEvENKUlvE3_clEvEUlS6_S6_E_S6_EEDaPvRmT3_T4_T5_mT6_P12ihipStream_tbENKUlT_T0_E_clISt17integral_constantIbLb0EESX_IbLb1EEEEDaST_SU_EUlST_E0_NS1_11comp_targetILNS1_3genE10ELNS1_11target_archE1200ELNS1_3gpuE4ELNS1_3repE0EEENS1_30default_config_static_selectorELNS0_4arch9wavefront6targetE1EEEvT1_.numbered_sgpr, 0
	.set _ZN7rocprim17ROCPRIM_400000_NS6detail17trampoline_kernelINS0_14default_configENS1_20scan_config_selectorIN3c104HalfEEEZZNS1_9scan_implILNS1_25lookback_scan_determinismE0ELb0ELb0ES3_PKS6_PS6_S6_ZZZN2at6native31launch_logcumsumexp_cuda_kernelERKNSD_10TensorBaseESH_lENKUlvE_clEvENKUlvE3_clEvEUlS6_S6_E_S6_EEDaPvRmT3_T4_T5_mT6_P12ihipStream_tbENKUlT_T0_E_clISt17integral_constantIbLb0EESX_IbLb1EEEEDaST_SU_EUlST_E0_NS1_11comp_targetILNS1_3genE10ELNS1_11target_archE1200ELNS1_3gpuE4ELNS1_3repE0EEENS1_30default_config_static_selectorELNS0_4arch9wavefront6targetE1EEEvT1_.num_named_barrier, 0
	.set _ZN7rocprim17ROCPRIM_400000_NS6detail17trampoline_kernelINS0_14default_configENS1_20scan_config_selectorIN3c104HalfEEEZZNS1_9scan_implILNS1_25lookback_scan_determinismE0ELb0ELb0ES3_PKS6_PS6_S6_ZZZN2at6native31launch_logcumsumexp_cuda_kernelERKNSD_10TensorBaseESH_lENKUlvE_clEvENKUlvE3_clEvEUlS6_S6_E_S6_EEDaPvRmT3_T4_T5_mT6_P12ihipStream_tbENKUlT_T0_E_clISt17integral_constantIbLb0EESX_IbLb1EEEEDaST_SU_EUlST_E0_NS1_11comp_targetILNS1_3genE10ELNS1_11target_archE1200ELNS1_3gpuE4ELNS1_3repE0EEENS1_30default_config_static_selectorELNS0_4arch9wavefront6targetE1EEEvT1_.private_seg_size, 0
	.set _ZN7rocprim17ROCPRIM_400000_NS6detail17trampoline_kernelINS0_14default_configENS1_20scan_config_selectorIN3c104HalfEEEZZNS1_9scan_implILNS1_25lookback_scan_determinismE0ELb0ELb0ES3_PKS6_PS6_S6_ZZZN2at6native31launch_logcumsumexp_cuda_kernelERKNSD_10TensorBaseESH_lENKUlvE_clEvENKUlvE3_clEvEUlS6_S6_E_S6_EEDaPvRmT3_T4_T5_mT6_P12ihipStream_tbENKUlT_T0_E_clISt17integral_constantIbLb0EESX_IbLb1EEEEDaST_SU_EUlST_E0_NS1_11comp_targetILNS1_3genE10ELNS1_11target_archE1200ELNS1_3gpuE4ELNS1_3repE0EEENS1_30default_config_static_selectorELNS0_4arch9wavefront6targetE1EEEvT1_.uses_vcc, 0
	.set _ZN7rocprim17ROCPRIM_400000_NS6detail17trampoline_kernelINS0_14default_configENS1_20scan_config_selectorIN3c104HalfEEEZZNS1_9scan_implILNS1_25lookback_scan_determinismE0ELb0ELb0ES3_PKS6_PS6_S6_ZZZN2at6native31launch_logcumsumexp_cuda_kernelERKNSD_10TensorBaseESH_lENKUlvE_clEvENKUlvE3_clEvEUlS6_S6_E_S6_EEDaPvRmT3_T4_T5_mT6_P12ihipStream_tbENKUlT_T0_E_clISt17integral_constantIbLb0EESX_IbLb1EEEEDaST_SU_EUlST_E0_NS1_11comp_targetILNS1_3genE10ELNS1_11target_archE1200ELNS1_3gpuE4ELNS1_3repE0EEENS1_30default_config_static_selectorELNS0_4arch9wavefront6targetE1EEEvT1_.uses_flat_scratch, 0
	.set _ZN7rocprim17ROCPRIM_400000_NS6detail17trampoline_kernelINS0_14default_configENS1_20scan_config_selectorIN3c104HalfEEEZZNS1_9scan_implILNS1_25lookback_scan_determinismE0ELb0ELb0ES3_PKS6_PS6_S6_ZZZN2at6native31launch_logcumsumexp_cuda_kernelERKNSD_10TensorBaseESH_lENKUlvE_clEvENKUlvE3_clEvEUlS6_S6_E_S6_EEDaPvRmT3_T4_T5_mT6_P12ihipStream_tbENKUlT_T0_E_clISt17integral_constantIbLb0EESX_IbLb1EEEEDaST_SU_EUlST_E0_NS1_11comp_targetILNS1_3genE10ELNS1_11target_archE1200ELNS1_3gpuE4ELNS1_3repE0EEENS1_30default_config_static_selectorELNS0_4arch9wavefront6targetE1EEEvT1_.has_dyn_sized_stack, 0
	.set _ZN7rocprim17ROCPRIM_400000_NS6detail17trampoline_kernelINS0_14default_configENS1_20scan_config_selectorIN3c104HalfEEEZZNS1_9scan_implILNS1_25lookback_scan_determinismE0ELb0ELb0ES3_PKS6_PS6_S6_ZZZN2at6native31launch_logcumsumexp_cuda_kernelERKNSD_10TensorBaseESH_lENKUlvE_clEvENKUlvE3_clEvEUlS6_S6_E_S6_EEDaPvRmT3_T4_T5_mT6_P12ihipStream_tbENKUlT_T0_E_clISt17integral_constantIbLb0EESX_IbLb1EEEEDaST_SU_EUlST_E0_NS1_11comp_targetILNS1_3genE10ELNS1_11target_archE1200ELNS1_3gpuE4ELNS1_3repE0EEENS1_30default_config_static_selectorELNS0_4arch9wavefront6targetE1EEEvT1_.has_recursion, 0
	.set _ZN7rocprim17ROCPRIM_400000_NS6detail17trampoline_kernelINS0_14default_configENS1_20scan_config_selectorIN3c104HalfEEEZZNS1_9scan_implILNS1_25lookback_scan_determinismE0ELb0ELb0ES3_PKS6_PS6_S6_ZZZN2at6native31launch_logcumsumexp_cuda_kernelERKNSD_10TensorBaseESH_lENKUlvE_clEvENKUlvE3_clEvEUlS6_S6_E_S6_EEDaPvRmT3_T4_T5_mT6_P12ihipStream_tbENKUlT_T0_E_clISt17integral_constantIbLb0EESX_IbLb1EEEEDaST_SU_EUlST_E0_NS1_11comp_targetILNS1_3genE10ELNS1_11target_archE1200ELNS1_3gpuE4ELNS1_3repE0EEENS1_30default_config_static_selectorELNS0_4arch9wavefront6targetE1EEEvT1_.has_indirect_call, 0
	.section	.AMDGPU.csdata,"",@progbits
; Kernel info:
; codeLenInByte = 0
; TotalNumSgprs: 4
; NumVgprs: 0
; ScratchSize: 0
; MemoryBound: 0
; FloatMode: 240
; IeeeMode: 1
; LDSByteSize: 0 bytes/workgroup (compile time only)
; SGPRBlocks: 0
; VGPRBlocks: 0
; NumSGPRsForWavesPerEU: 4
; NumVGPRsForWavesPerEU: 1
; Occupancy: 10
; WaveLimiterHint : 0
; COMPUTE_PGM_RSRC2:SCRATCH_EN: 0
; COMPUTE_PGM_RSRC2:USER_SGPR: 6
; COMPUTE_PGM_RSRC2:TRAP_HANDLER: 0
; COMPUTE_PGM_RSRC2:TGID_X_EN: 1
; COMPUTE_PGM_RSRC2:TGID_Y_EN: 0
; COMPUTE_PGM_RSRC2:TGID_Z_EN: 0
; COMPUTE_PGM_RSRC2:TIDIG_COMP_CNT: 0
	.section	.text._ZN7rocprim17ROCPRIM_400000_NS6detail17trampoline_kernelINS0_14default_configENS1_20scan_config_selectorIN3c104HalfEEEZZNS1_9scan_implILNS1_25lookback_scan_determinismE0ELb0ELb0ES3_PKS6_PS6_S6_ZZZN2at6native31launch_logcumsumexp_cuda_kernelERKNSD_10TensorBaseESH_lENKUlvE_clEvENKUlvE3_clEvEUlS6_S6_E_S6_EEDaPvRmT3_T4_T5_mT6_P12ihipStream_tbENKUlT_T0_E_clISt17integral_constantIbLb0EESX_IbLb1EEEEDaST_SU_EUlST_E0_NS1_11comp_targetILNS1_3genE9ELNS1_11target_archE1100ELNS1_3gpuE3ELNS1_3repE0EEENS1_30default_config_static_selectorELNS0_4arch9wavefront6targetE1EEEvT1_,"axG",@progbits,_ZN7rocprim17ROCPRIM_400000_NS6detail17trampoline_kernelINS0_14default_configENS1_20scan_config_selectorIN3c104HalfEEEZZNS1_9scan_implILNS1_25lookback_scan_determinismE0ELb0ELb0ES3_PKS6_PS6_S6_ZZZN2at6native31launch_logcumsumexp_cuda_kernelERKNSD_10TensorBaseESH_lENKUlvE_clEvENKUlvE3_clEvEUlS6_S6_E_S6_EEDaPvRmT3_T4_T5_mT6_P12ihipStream_tbENKUlT_T0_E_clISt17integral_constantIbLb0EESX_IbLb1EEEEDaST_SU_EUlST_E0_NS1_11comp_targetILNS1_3genE9ELNS1_11target_archE1100ELNS1_3gpuE3ELNS1_3repE0EEENS1_30default_config_static_selectorELNS0_4arch9wavefront6targetE1EEEvT1_,comdat
	.globl	_ZN7rocprim17ROCPRIM_400000_NS6detail17trampoline_kernelINS0_14default_configENS1_20scan_config_selectorIN3c104HalfEEEZZNS1_9scan_implILNS1_25lookback_scan_determinismE0ELb0ELb0ES3_PKS6_PS6_S6_ZZZN2at6native31launch_logcumsumexp_cuda_kernelERKNSD_10TensorBaseESH_lENKUlvE_clEvENKUlvE3_clEvEUlS6_S6_E_S6_EEDaPvRmT3_T4_T5_mT6_P12ihipStream_tbENKUlT_T0_E_clISt17integral_constantIbLb0EESX_IbLb1EEEEDaST_SU_EUlST_E0_NS1_11comp_targetILNS1_3genE9ELNS1_11target_archE1100ELNS1_3gpuE3ELNS1_3repE0EEENS1_30default_config_static_selectorELNS0_4arch9wavefront6targetE1EEEvT1_ ; -- Begin function _ZN7rocprim17ROCPRIM_400000_NS6detail17trampoline_kernelINS0_14default_configENS1_20scan_config_selectorIN3c104HalfEEEZZNS1_9scan_implILNS1_25lookback_scan_determinismE0ELb0ELb0ES3_PKS6_PS6_S6_ZZZN2at6native31launch_logcumsumexp_cuda_kernelERKNSD_10TensorBaseESH_lENKUlvE_clEvENKUlvE3_clEvEUlS6_S6_E_S6_EEDaPvRmT3_T4_T5_mT6_P12ihipStream_tbENKUlT_T0_E_clISt17integral_constantIbLb0EESX_IbLb1EEEEDaST_SU_EUlST_E0_NS1_11comp_targetILNS1_3genE9ELNS1_11target_archE1100ELNS1_3gpuE3ELNS1_3repE0EEENS1_30default_config_static_selectorELNS0_4arch9wavefront6targetE1EEEvT1_
	.p2align	8
	.type	_ZN7rocprim17ROCPRIM_400000_NS6detail17trampoline_kernelINS0_14default_configENS1_20scan_config_selectorIN3c104HalfEEEZZNS1_9scan_implILNS1_25lookback_scan_determinismE0ELb0ELb0ES3_PKS6_PS6_S6_ZZZN2at6native31launch_logcumsumexp_cuda_kernelERKNSD_10TensorBaseESH_lENKUlvE_clEvENKUlvE3_clEvEUlS6_S6_E_S6_EEDaPvRmT3_T4_T5_mT6_P12ihipStream_tbENKUlT_T0_E_clISt17integral_constantIbLb0EESX_IbLb1EEEEDaST_SU_EUlST_E0_NS1_11comp_targetILNS1_3genE9ELNS1_11target_archE1100ELNS1_3gpuE3ELNS1_3repE0EEENS1_30default_config_static_selectorELNS0_4arch9wavefront6targetE1EEEvT1_,@function
_ZN7rocprim17ROCPRIM_400000_NS6detail17trampoline_kernelINS0_14default_configENS1_20scan_config_selectorIN3c104HalfEEEZZNS1_9scan_implILNS1_25lookback_scan_determinismE0ELb0ELb0ES3_PKS6_PS6_S6_ZZZN2at6native31launch_logcumsumexp_cuda_kernelERKNSD_10TensorBaseESH_lENKUlvE_clEvENKUlvE3_clEvEUlS6_S6_E_S6_EEDaPvRmT3_T4_T5_mT6_P12ihipStream_tbENKUlT_T0_E_clISt17integral_constantIbLb0EESX_IbLb1EEEEDaST_SU_EUlST_E0_NS1_11comp_targetILNS1_3genE9ELNS1_11target_archE1100ELNS1_3gpuE3ELNS1_3repE0EEENS1_30default_config_static_selectorELNS0_4arch9wavefront6targetE1EEEvT1_: ; @_ZN7rocprim17ROCPRIM_400000_NS6detail17trampoline_kernelINS0_14default_configENS1_20scan_config_selectorIN3c104HalfEEEZZNS1_9scan_implILNS1_25lookback_scan_determinismE0ELb0ELb0ES3_PKS6_PS6_S6_ZZZN2at6native31launch_logcumsumexp_cuda_kernelERKNSD_10TensorBaseESH_lENKUlvE_clEvENKUlvE3_clEvEUlS6_S6_E_S6_EEDaPvRmT3_T4_T5_mT6_P12ihipStream_tbENKUlT_T0_E_clISt17integral_constantIbLb0EESX_IbLb1EEEEDaST_SU_EUlST_E0_NS1_11comp_targetILNS1_3genE9ELNS1_11target_archE1100ELNS1_3gpuE3ELNS1_3repE0EEENS1_30default_config_static_selectorELNS0_4arch9wavefront6targetE1EEEvT1_
; %bb.0:
	.section	.rodata,"a",@progbits
	.p2align	6, 0x0
	.amdhsa_kernel _ZN7rocprim17ROCPRIM_400000_NS6detail17trampoline_kernelINS0_14default_configENS1_20scan_config_selectorIN3c104HalfEEEZZNS1_9scan_implILNS1_25lookback_scan_determinismE0ELb0ELb0ES3_PKS6_PS6_S6_ZZZN2at6native31launch_logcumsumexp_cuda_kernelERKNSD_10TensorBaseESH_lENKUlvE_clEvENKUlvE3_clEvEUlS6_S6_E_S6_EEDaPvRmT3_T4_T5_mT6_P12ihipStream_tbENKUlT_T0_E_clISt17integral_constantIbLb0EESX_IbLb1EEEEDaST_SU_EUlST_E0_NS1_11comp_targetILNS1_3genE9ELNS1_11target_archE1100ELNS1_3gpuE3ELNS1_3repE0EEENS1_30default_config_static_selectorELNS0_4arch9wavefront6targetE1EEEvT1_
		.amdhsa_group_segment_fixed_size 0
		.amdhsa_private_segment_fixed_size 0
		.amdhsa_kernarg_size 32
		.amdhsa_user_sgpr_count 6
		.amdhsa_user_sgpr_private_segment_buffer 1
		.amdhsa_user_sgpr_dispatch_ptr 0
		.amdhsa_user_sgpr_queue_ptr 0
		.amdhsa_user_sgpr_kernarg_segment_ptr 1
		.amdhsa_user_sgpr_dispatch_id 0
		.amdhsa_user_sgpr_flat_scratch_init 0
		.amdhsa_user_sgpr_private_segment_size 0
		.amdhsa_uses_dynamic_stack 0
		.amdhsa_system_sgpr_private_segment_wavefront_offset 0
		.amdhsa_system_sgpr_workgroup_id_x 1
		.amdhsa_system_sgpr_workgroup_id_y 0
		.amdhsa_system_sgpr_workgroup_id_z 0
		.amdhsa_system_sgpr_workgroup_info 0
		.amdhsa_system_vgpr_workitem_id 0
		.amdhsa_next_free_vgpr 1
		.amdhsa_next_free_sgpr 0
		.amdhsa_reserve_vcc 0
		.amdhsa_reserve_flat_scratch 0
		.amdhsa_float_round_mode_32 0
		.amdhsa_float_round_mode_16_64 0
		.amdhsa_float_denorm_mode_32 3
		.amdhsa_float_denorm_mode_16_64 3
		.amdhsa_dx10_clamp 1
		.amdhsa_ieee_mode 1
		.amdhsa_fp16_overflow 0
		.amdhsa_exception_fp_ieee_invalid_op 0
		.amdhsa_exception_fp_denorm_src 0
		.amdhsa_exception_fp_ieee_div_zero 0
		.amdhsa_exception_fp_ieee_overflow 0
		.amdhsa_exception_fp_ieee_underflow 0
		.amdhsa_exception_fp_ieee_inexact 0
		.amdhsa_exception_int_div_zero 0
	.end_amdhsa_kernel
	.section	.text._ZN7rocprim17ROCPRIM_400000_NS6detail17trampoline_kernelINS0_14default_configENS1_20scan_config_selectorIN3c104HalfEEEZZNS1_9scan_implILNS1_25lookback_scan_determinismE0ELb0ELb0ES3_PKS6_PS6_S6_ZZZN2at6native31launch_logcumsumexp_cuda_kernelERKNSD_10TensorBaseESH_lENKUlvE_clEvENKUlvE3_clEvEUlS6_S6_E_S6_EEDaPvRmT3_T4_T5_mT6_P12ihipStream_tbENKUlT_T0_E_clISt17integral_constantIbLb0EESX_IbLb1EEEEDaST_SU_EUlST_E0_NS1_11comp_targetILNS1_3genE9ELNS1_11target_archE1100ELNS1_3gpuE3ELNS1_3repE0EEENS1_30default_config_static_selectorELNS0_4arch9wavefront6targetE1EEEvT1_,"axG",@progbits,_ZN7rocprim17ROCPRIM_400000_NS6detail17trampoline_kernelINS0_14default_configENS1_20scan_config_selectorIN3c104HalfEEEZZNS1_9scan_implILNS1_25lookback_scan_determinismE0ELb0ELb0ES3_PKS6_PS6_S6_ZZZN2at6native31launch_logcumsumexp_cuda_kernelERKNSD_10TensorBaseESH_lENKUlvE_clEvENKUlvE3_clEvEUlS6_S6_E_S6_EEDaPvRmT3_T4_T5_mT6_P12ihipStream_tbENKUlT_T0_E_clISt17integral_constantIbLb0EESX_IbLb1EEEEDaST_SU_EUlST_E0_NS1_11comp_targetILNS1_3genE9ELNS1_11target_archE1100ELNS1_3gpuE3ELNS1_3repE0EEENS1_30default_config_static_selectorELNS0_4arch9wavefront6targetE1EEEvT1_,comdat
.Lfunc_end432:
	.size	_ZN7rocprim17ROCPRIM_400000_NS6detail17trampoline_kernelINS0_14default_configENS1_20scan_config_selectorIN3c104HalfEEEZZNS1_9scan_implILNS1_25lookback_scan_determinismE0ELb0ELb0ES3_PKS6_PS6_S6_ZZZN2at6native31launch_logcumsumexp_cuda_kernelERKNSD_10TensorBaseESH_lENKUlvE_clEvENKUlvE3_clEvEUlS6_S6_E_S6_EEDaPvRmT3_T4_T5_mT6_P12ihipStream_tbENKUlT_T0_E_clISt17integral_constantIbLb0EESX_IbLb1EEEEDaST_SU_EUlST_E0_NS1_11comp_targetILNS1_3genE9ELNS1_11target_archE1100ELNS1_3gpuE3ELNS1_3repE0EEENS1_30default_config_static_selectorELNS0_4arch9wavefront6targetE1EEEvT1_, .Lfunc_end432-_ZN7rocprim17ROCPRIM_400000_NS6detail17trampoline_kernelINS0_14default_configENS1_20scan_config_selectorIN3c104HalfEEEZZNS1_9scan_implILNS1_25lookback_scan_determinismE0ELb0ELb0ES3_PKS6_PS6_S6_ZZZN2at6native31launch_logcumsumexp_cuda_kernelERKNSD_10TensorBaseESH_lENKUlvE_clEvENKUlvE3_clEvEUlS6_S6_E_S6_EEDaPvRmT3_T4_T5_mT6_P12ihipStream_tbENKUlT_T0_E_clISt17integral_constantIbLb0EESX_IbLb1EEEEDaST_SU_EUlST_E0_NS1_11comp_targetILNS1_3genE9ELNS1_11target_archE1100ELNS1_3gpuE3ELNS1_3repE0EEENS1_30default_config_static_selectorELNS0_4arch9wavefront6targetE1EEEvT1_
                                        ; -- End function
	.set _ZN7rocprim17ROCPRIM_400000_NS6detail17trampoline_kernelINS0_14default_configENS1_20scan_config_selectorIN3c104HalfEEEZZNS1_9scan_implILNS1_25lookback_scan_determinismE0ELb0ELb0ES3_PKS6_PS6_S6_ZZZN2at6native31launch_logcumsumexp_cuda_kernelERKNSD_10TensorBaseESH_lENKUlvE_clEvENKUlvE3_clEvEUlS6_S6_E_S6_EEDaPvRmT3_T4_T5_mT6_P12ihipStream_tbENKUlT_T0_E_clISt17integral_constantIbLb0EESX_IbLb1EEEEDaST_SU_EUlST_E0_NS1_11comp_targetILNS1_3genE9ELNS1_11target_archE1100ELNS1_3gpuE3ELNS1_3repE0EEENS1_30default_config_static_selectorELNS0_4arch9wavefront6targetE1EEEvT1_.num_vgpr, 0
	.set _ZN7rocprim17ROCPRIM_400000_NS6detail17trampoline_kernelINS0_14default_configENS1_20scan_config_selectorIN3c104HalfEEEZZNS1_9scan_implILNS1_25lookback_scan_determinismE0ELb0ELb0ES3_PKS6_PS6_S6_ZZZN2at6native31launch_logcumsumexp_cuda_kernelERKNSD_10TensorBaseESH_lENKUlvE_clEvENKUlvE3_clEvEUlS6_S6_E_S6_EEDaPvRmT3_T4_T5_mT6_P12ihipStream_tbENKUlT_T0_E_clISt17integral_constantIbLb0EESX_IbLb1EEEEDaST_SU_EUlST_E0_NS1_11comp_targetILNS1_3genE9ELNS1_11target_archE1100ELNS1_3gpuE3ELNS1_3repE0EEENS1_30default_config_static_selectorELNS0_4arch9wavefront6targetE1EEEvT1_.num_agpr, 0
	.set _ZN7rocprim17ROCPRIM_400000_NS6detail17trampoline_kernelINS0_14default_configENS1_20scan_config_selectorIN3c104HalfEEEZZNS1_9scan_implILNS1_25lookback_scan_determinismE0ELb0ELb0ES3_PKS6_PS6_S6_ZZZN2at6native31launch_logcumsumexp_cuda_kernelERKNSD_10TensorBaseESH_lENKUlvE_clEvENKUlvE3_clEvEUlS6_S6_E_S6_EEDaPvRmT3_T4_T5_mT6_P12ihipStream_tbENKUlT_T0_E_clISt17integral_constantIbLb0EESX_IbLb1EEEEDaST_SU_EUlST_E0_NS1_11comp_targetILNS1_3genE9ELNS1_11target_archE1100ELNS1_3gpuE3ELNS1_3repE0EEENS1_30default_config_static_selectorELNS0_4arch9wavefront6targetE1EEEvT1_.numbered_sgpr, 0
	.set _ZN7rocprim17ROCPRIM_400000_NS6detail17trampoline_kernelINS0_14default_configENS1_20scan_config_selectorIN3c104HalfEEEZZNS1_9scan_implILNS1_25lookback_scan_determinismE0ELb0ELb0ES3_PKS6_PS6_S6_ZZZN2at6native31launch_logcumsumexp_cuda_kernelERKNSD_10TensorBaseESH_lENKUlvE_clEvENKUlvE3_clEvEUlS6_S6_E_S6_EEDaPvRmT3_T4_T5_mT6_P12ihipStream_tbENKUlT_T0_E_clISt17integral_constantIbLb0EESX_IbLb1EEEEDaST_SU_EUlST_E0_NS1_11comp_targetILNS1_3genE9ELNS1_11target_archE1100ELNS1_3gpuE3ELNS1_3repE0EEENS1_30default_config_static_selectorELNS0_4arch9wavefront6targetE1EEEvT1_.num_named_barrier, 0
	.set _ZN7rocprim17ROCPRIM_400000_NS6detail17trampoline_kernelINS0_14default_configENS1_20scan_config_selectorIN3c104HalfEEEZZNS1_9scan_implILNS1_25lookback_scan_determinismE0ELb0ELb0ES3_PKS6_PS6_S6_ZZZN2at6native31launch_logcumsumexp_cuda_kernelERKNSD_10TensorBaseESH_lENKUlvE_clEvENKUlvE3_clEvEUlS6_S6_E_S6_EEDaPvRmT3_T4_T5_mT6_P12ihipStream_tbENKUlT_T0_E_clISt17integral_constantIbLb0EESX_IbLb1EEEEDaST_SU_EUlST_E0_NS1_11comp_targetILNS1_3genE9ELNS1_11target_archE1100ELNS1_3gpuE3ELNS1_3repE0EEENS1_30default_config_static_selectorELNS0_4arch9wavefront6targetE1EEEvT1_.private_seg_size, 0
	.set _ZN7rocprim17ROCPRIM_400000_NS6detail17trampoline_kernelINS0_14default_configENS1_20scan_config_selectorIN3c104HalfEEEZZNS1_9scan_implILNS1_25lookback_scan_determinismE0ELb0ELb0ES3_PKS6_PS6_S6_ZZZN2at6native31launch_logcumsumexp_cuda_kernelERKNSD_10TensorBaseESH_lENKUlvE_clEvENKUlvE3_clEvEUlS6_S6_E_S6_EEDaPvRmT3_T4_T5_mT6_P12ihipStream_tbENKUlT_T0_E_clISt17integral_constantIbLb0EESX_IbLb1EEEEDaST_SU_EUlST_E0_NS1_11comp_targetILNS1_3genE9ELNS1_11target_archE1100ELNS1_3gpuE3ELNS1_3repE0EEENS1_30default_config_static_selectorELNS0_4arch9wavefront6targetE1EEEvT1_.uses_vcc, 0
	.set _ZN7rocprim17ROCPRIM_400000_NS6detail17trampoline_kernelINS0_14default_configENS1_20scan_config_selectorIN3c104HalfEEEZZNS1_9scan_implILNS1_25lookback_scan_determinismE0ELb0ELb0ES3_PKS6_PS6_S6_ZZZN2at6native31launch_logcumsumexp_cuda_kernelERKNSD_10TensorBaseESH_lENKUlvE_clEvENKUlvE3_clEvEUlS6_S6_E_S6_EEDaPvRmT3_T4_T5_mT6_P12ihipStream_tbENKUlT_T0_E_clISt17integral_constantIbLb0EESX_IbLb1EEEEDaST_SU_EUlST_E0_NS1_11comp_targetILNS1_3genE9ELNS1_11target_archE1100ELNS1_3gpuE3ELNS1_3repE0EEENS1_30default_config_static_selectorELNS0_4arch9wavefront6targetE1EEEvT1_.uses_flat_scratch, 0
	.set _ZN7rocprim17ROCPRIM_400000_NS6detail17trampoline_kernelINS0_14default_configENS1_20scan_config_selectorIN3c104HalfEEEZZNS1_9scan_implILNS1_25lookback_scan_determinismE0ELb0ELb0ES3_PKS6_PS6_S6_ZZZN2at6native31launch_logcumsumexp_cuda_kernelERKNSD_10TensorBaseESH_lENKUlvE_clEvENKUlvE3_clEvEUlS6_S6_E_S6_EEDaPvRmT3_T4_T5_mT6_P12ihipStream_tbENKUlT_T0_E_clISt17integral_constantIbLb0EESX_IbLb1EEEEDaST_SU_EUlST_E0_NS1_11comp_targetILNS1_3genE9ELNS1_11target_archE1100ELNS1_3gpuE3ELNS1_3repE0EEENS1_30default_config_static_selectorELNS0_4arch9wavefront6targetE1EEEvT1_.has_dyn_sized_stack, 0
	.set _ZN7rocprim17ROCPRIM_400000_NS6detail17trampoline_kernelINS0_14default_configENS1_20scan_config_selectorIN3c104HalfEEEZZNS1_9scan_implILNS1_25lookback_scan_determinismE0ELb0ELb0ES3_PKS6_PS6_S6_ZZZN2at6native31launch_logcumsumexp_cuda_kernelERKNSD_10TensorBaseESH_lENKUlvE_clEvENKUlvE3_clEvEUlS6_S6_E_S6_EEDaPvRmT3_T4_T5_mT6_P12ihipStream_tbENKUlT_T0_E_clISt17integral_constantIbLb0EESX_IbLb1EEEEDaST_SU_EUlST_E0_NS1_11comp_targetILNS1_3genE9ELNS1_11target_archE1100ELNS1_3gpuE3ELNS1_3repE0EEENS1_30default_config_static_selectorELNS0_4arch9wavefront6targetE1EEEvT1_.has_recursion, 0
	.set _ZN7rocprim17ROCPRIM_400000_NS6detail17trampoline_kernelINS0_14default_configENS1_20scan_config_selectorIN3c104HalfEEEZZNS1_9scan_implILNS1_25lookback_scan_determinismE0ELb0ELb0ES3_PKS6_PS6_S6_ZZZN2at6native31launch_logcumsumexp_cuda_kernelERKNSD_10TensorBaseESH_lENKUlvE_clEvENKUlvE3_clEvEUlS6_S6_E_S6_EEDaPvRmT3_T4_T5_mT6_P12ihipStream_tbENKUlT_T0_E_clISt17integral_constantIbLb0EESX_IbLb1EEEEDaST_SU_EUlST_E0_NS1_11comp_targetILNS1_3genE9ELNS1_11target_archE1100ELNS1_3gpuE3ELNS1_3repE0EEENS1_30default_config_static_selectorELNS0_4arch9wavefront6targetE1EEEvT1_.has_indirect_call, 0
	.section	.AMDGPU.csdata,"",@progbits
; Kernel info:
; codeLenInByte = 0
; TotalNumSgprs: 4
; NumVgprs: 0
; ScratchSize: 0
; MemoryBound: 0
; FloatMode: 240
; IeeeMode: 1
; LDSByteSize: 0 bytes/workgroup (compile time only)
; SGPRBlocks: 0
; VGPRBlocks: 0
; NumSGPRsForWavesPerEU: 4
; NumVGPRsForWavesPerEU: 1
; Occupancy: 10
; WaveLimiterHint : 0
; COMPUTE_PGM_RSRC2:SCRATCH_EN: 0
; COMPUTE_PGM_RSRC2:USER_SGPR: 6
; COMPUTE_PGM_RSRC2:TRAP_HANDLER: 0
; COMPUTE_PGM_RSRC2:TGID_X_EN: 1
; COMPUTE_PGM_RSRC2:TGID_Y_EN: 0
; COMPUTE_PGM_RSRC2:TGID_Z_EN: 0
; COMPUTE_PGM_RSRC2:TIDIG_COMP_CNT: 0
	.section	.text._ZN7rocprim17ROCPRIM_400000_NS6detail17trampoline_kernelINS0_14default_configENS1_20scan_config_selectorIN3c104HalfEEEZZNS1_9scan_implILNS1_25lookback_scan_determinismE0ELb0ELb0ES3_PKS6_PS6_S6_ZZZN2at6native31launch_logcumsumexp_cuda_kernelERKNSD_10TensorBaseESH_lENKUlvE_clEvENKUlvE3_clEvEUlS6_S6_E_S6_EEDaPvRmT3_T4_T5_mT6_P12ihipStream_tbENKUlT_T0_E_clISt17integral_constantIbLb0EESX_IbLb1EEEEDaST_SU_EUlST_E0_NS1_11comp_targetILNS1_3genE8ELNS1_11target_archE1030ELNS1_3gpuE2ELNS1_3repE0EEENS1_30default_config_static_selectorELNS0_4arch9wavefront6targetE1EEEvT1_,"axG",@progbits,_ZN7rocprim17ROCPRIM_400000_NS6detail17trampoline_kernelINS0_14default_configENS1_20scan_config_selectorIN3c104HalfEEEZZNS1_9scan_implILNS1_25lookback_scan_determinismE0ELb0ELb0ES3_PKS6_PS6_S6_ZZZN2at6native31launch_logcumsumexp_cuda_kernelERKNSD_10TensorBaseESH_lENKUlvE_clEvENKUlvE3_clEvEUlS6_S6_E_S6_EEDaPvRmT3_T4_T5_mT6_P12ihipStream_tbENKUlT_T0_E_clISt17integral_constantIbLb0EESX_IbLb1EEEEDaST_SU_EUlST_E0_NS1_11comp_targetILNS1_3genE8ELNS1_11target_archE1030ELNS1_3gpuE2ELNS1_3repE0EEENS1_30default_config_static_selectorELNS0_4arch9wavefront6targetE1EEEvT1_,comdat
	.globl	_ZN7rocprim17ROCPRIM_400000_NS6detail17trampoline_kernelINS0_14default_configENS1_20scan_config_selectorIN3c104HalfEEEZZNS1_9scan_implILNS1_25lookback_scan_determinismE0ELb0ELb0ES3_PKS6_PS6_S6_ZZZN2at6native31launch_logcumsumexp_cuda_kernelERKNSD_10TensorBaseESH_lENKUlvE_clEvENKUlvE3_clEvEUlS6_S6_E_S6_EEDaPvRmT3_T4_T5_mT6_P12ihipStream_tbENKUlT_T0_E_clISt17integral_constantIbLb0EESX_IbLb1EEEEDaST_SU_EUlST_E0_NS1_11comp_targetILNS1_3genE8ELNS1_11target_archE1030ELNS1_3gpuE2ELNS1_3repE0EEENS1_30default_config_static_selectorELNS0_4arch9wavefront6targetE1EEEvT1_ ; -- Begin function _ZN7rocprim17ROCPRIM_400000_NS6detail17trampoline_kernelINS0_14default_configENS1_20scan_config_selectorIN3c104HalfEEEZZNS1_9scan_implILNS1_25lookback_scan_determinismE0ELb0ELb0ES3_PKS6_PS6_S6_ZZZN2at6native31launch_logcumsumexp_cuda_kernelERKNSD_10TensorBaseESH_lENKUlvE_clEvENKUlvE3_clEvEUlS6_S6_E_S6_EEDaPvRmT3_T4_T5_mT6_P12ihipStream_tbENKUlT_T0_E_clISt17integral_constantIbLb0EESX_IbLb1EEEEDaST_SU_EUlST_E0_NS1_11comp_targetILNS1_3genE8ELNS1_11target_archE1030ELNS1_3gpuE2ELNS1_3repE0EEENS1_30default_config_static_selectorELNS0_4arch9wavefront6targetE1EEEvT1_
	.p2align	8
	.type	_ZN7rocprim17ROCPRIM_400000_NS6detail17trampoline_kernelINS0_14default_configENS1_20scan_config_selectorIN3c104HalfEEEZZNS1_9scan_implILNS1_25lookback_scan_determinismE0ELb0ELb0ES3_PKS6_PS6_S6_ZZZN2at6native31launch_logcumsumexp_cuda_kernelERKNSD_10TensorBaseESH_lENKUlvE_clEvENKUlvE3_clEvEUlS6_S6_E_S6_EEDaPvRmT3_T4_T5_mT6_P12ihipStream_tbENKUlT_T0_E_clISt17integral_constantIbLb0EESX_IbLb1EEEEDaST_SU_EUlST_E0_NS1_11comp_targetILNS1_3genE8ELNS1_11target_archE1030ELNS1_3gpuE2ELNS1_3repE0EEENS1_30default_config_static_selectorELNS0_4arch9wavefront6targetE1EEEvT1_,@function
_ZN7rocprim17ROCPRIM_400000_NS6detail17trampoline_kernelINS0_14default_configENS1_20scan_config_selectorIN3c104HalfEEEZZNS1_9scan_implILNS1_25lookback_scan_determinismE0ELb0ELb0ES3_PKS6_PS6_S6_ZZZN2at6native31launch_logcumsumexp_cuda_kernelERKNSD_10TensorBaseESH_lENKUlvE_clEvENKUlvE3_clEvEUlS6_S6_E_S6_EEDaPvRmT3_T4_T5_mT6_P12ihipStream_tbENKUlT_T0_E_clISt17integral_constantIbLb0EESX_IbLb1EEEEDaST_SU_EUlST_E0_NS1_11comp_targetILNS1_3genE8ELNS1_11target_archE1030ELNS1_3gpuE2ELNS1_3repE0EEENS1_30default_config_static_selectorELNS0_4arch9wavefront6targetE1EEEvT1_: ; @_ZN7rocprim17ROCPRIM_400000_NS6detail17trampoline_kernelINS0_14default_configENS1_20scan_config_selectorIN3c104HalfEEEZZNS1_9scan_implILNS1_25lookback_scan_determinismE0ELb0ELb0ES3_PKS6_PS6_S6_ZZZN2at6native31launch_logcumsumexp_cuda_kernelERKNSD_10TensorBaseESH_lENKUlvE_clEvENKUlvE3_clEvEUlS6_S6_E_S6_EEDaPvRmT3_T4_T5_mT6_P12ihipStream_tbENKUlT_T0_E_clISt17integral_constantIbLb0EESX_IbLb1EEEEDaST_SU_EUlST_E0_NS1_11comp_targetILNS1_3genE8ELNS1_11target_archE1030ELNS1_3gpuE2ELNS1_3repE0EEENS1_30default_config_static_selectorELNS0_4arch9wavefront6targetE1EEEvT1_
; %bb.0:
	.section	.rodata,"a",@progbits
	.p2align	6, 0x0
	.amdhsa_kernel _ZN7rocprim17ROCPRIM_400000_NS6detail17trampoline_kernelINS0_14default_configENS1_20scan_config_selectorIN3c104HalfEEEZZNS1_9scan_implILNS1_25lookback_scan_determinismE0ELb0ELb0ES3_PKS6_PS6_S6_ZZZN2at6native31launch_logcumsumexp_cuda_kernelERKNSD_10TensorBaseESH_lENKUlvE_clEvENKUlvE3_clEvEUlS6_S6_E_S6_EEDaPvRmT3_T4_T5_mT6_P12ihipStream_tbENKUlT_T0_E_clISt17integral_constantIbLb0EESX_IbLb1EEEEDaST_SU_EUlST_E0_NS1_11comp_targetILNS1_3genE8ELNS1_11target_archE1030ELNS1_3gpuE2ELNS1_3repE0EEENS1_30default_config_static_selectorELNS0_4arch9wavefront6targetE1EEEvT1_
		.amdhsa_group_segment_fixed_size 0
		.amdhsa_private_segment_fixed_size 0
		.amdhsa_kernarg_size 32
		.amdhsa_user_sgpr_count 6
		.amdhsa_user_sgpr_private_segment_buffer 1
		.amdhsa_user_sgpr_dispatch_ptr 0
		.amdhsa_user_sgpr_queue_ptr 0
		.amdhsa_user_sgpr_kernarg_segment_ptr 1
		.amdhsa_user_sgpr_dispatch_id 0
		.amdhsa_user_sgpr_flat_scratch_init 0
		.amdhsa_user_sgpr_private_segment_size 0
		.amdhsa_uses_dynamic_stack 0
		.amdhsa_system_sgpr_private_segment_wavefront_offset 0
		.amdhsa_system_sgpr_workgroup_id_x 1
		.amdhsa_system_sgpr_workgroup_id_y 0
		.amdhsa_system_sgpr_workgroup_id_z 0
		.amdhsa_system_sgpr_workgroup_info 0
		.amdhsa_system_vgpr_workitem_id 0
		.amdhsa_next_free_vgpr 1
		.amdhsa_next_free_sgpr 0
		.amdhsa_reserve_vcc 0
		.amdhsa_reserve_flat_scratch 0
		.amdhsa_float_round_mode_32 0
		.amdhsa_float_round_mode_16_64 0
		.amdhsa_float_denorm_mode_32 3
		.amdhsa_float_denorm_mode_16_64 3
		.amdhsa_dx10_clamp 1
		.amdhsa_ieee_mode 1
		.amdhsa_fp16_overflow 0
		.amdhsa_exception_fp_ieee_invalid_op 0
		.amdhsa_exception_fp_denorm_src 0
		.amdhsa_exception_fp_ieee_div_zero 0
		.amdhsa_exception_fp_ieee_overflow 0
		.amdhsa_exception_fp_ieee_underflow 0
		.amdhsa_exception_fp_ieee_inexact 0
		.amdhsa_exception_int_div_zero 0
	.end_amdhsa_kernel
	.section	.text._ZN7rocprim17ROCPRIM_400000_NS6detail17trampoline_kernelINS0_14default_configENS1_20scan_config_selectorIN3c104HalfEEEZZNS1_9scan_implILNS1_25lookback_scan_determinismE0ELb0ELb0ES3_PKS6_PS6_S6_ZZZN2at6native31launch_logcumsumexp_cuda_kernelERKNSD_10TensorBaseESH_lENKUlvE_clEvENKUlvE3_clEvEUlS6_S6_E_S6_EEDaPvRmT3_T4_T5_mT6_P12ihipStream_tbENKUlT_T0_E_clISt17integral_constantIbLb0EESX_IbLb1EEEEDaST_SU_EUlST_E0_NS1_11comp_targetILNS1_3genE8ELNS1_11target_archE1030ELNS1_3gpuE2ELNS1_3repE0EEENS1_30default_config_static_selectorELNS0_4arch9wavefront6targetE1EEEvT1_,"axG",@progbits,_ZN7rocprim17ROCPRIM_400000_NS6detail17trampoline_kernelINS0_14default_configENS1_20scan_config_selectorIN3c104HalfEEEZZNS1_9scan_implILNS1_25lookback_scan_determinismE0ELb0ELb0ES3_PKS6_PS6_S6_ZZZN2at6native31launch_logcumsumexp_cuda_kernelERKNSD_10TensorBaseESH_lENKUlvE_clEvENKUlvE3_clEvEUlS6_S6_E_S6_EEDaPvRmT3_T4_T5_mT6_P12ihipStream_tbENKUlT_T0_E_clISt17integral_constantIbLb0EESX_IbLb1EEEEDaST_SU_EUlST_E0_NS1_11comp_targetILNS1_3genE8ELNS1_11target_archE1030ELNS1_3gpuE2ELNS1_3repE0EEENS1_30default_config_static_selectorELNS0_4arch9wavefront6targetE1EEEvT1_,comdat
.Lfunc_end433:
	.size	_ZN7rocprim17ROCPRIM_400000_NS6detail17trampoline_kernelINS0_14default_configENS1_20scan_config_selectorIN3c104HalfEEEZZNS1_9scan_implILNS1_25lookback_scan_determinismE0ELb0ELb0ES3_PKS6_PS6_S6_ZZZN2at6native31launch_logcumsumexp_cuda_kernelERKNSD_10TensorBaseESH_lENKUlvE_clEvENKUlvE3_clEvEUlS6_S6_E_S6_EEDaPvRmT3_T4_T5_mT6_P12ihipStream_tbENKUlT_T0_E_clISt17integral_constantIbLb0EESX_IbLb1EEEEDaST_SU_EUlST_E0_NS1_11comp_targetILNS1_3genE8ELNS1_11target_archE1030ELNS1_3gpuE2ELNS1_3repE0EEENS1_30default_config_static_selectorELNS0_4arch9wavefront6targetE1EEEvT1_, .Lfunc_end433-_ZN7rocprim17ROCPRIM_400000_NS6detail17trampoline_kernelINS0_14default_configENS1_20scan_config_selectorIN3c104HalfEEEZZNS1_9scan_implILNS1_25lookback_scan_determinismE0ELb0ELb0ES3_PKS6_PS6_S6_ZZZN2at6native31launch_logcumsumexp_cuda_kernelERKNSD_10TensorBaseESH_lENKUlvE_clEvENKUlvE3_clEvEUlS6_S6_E_S6_EEDaPvRmT3_T4_T5_mT6_P12ihipStream_tbENKUlT_T0_E_clISt17integral_constantIbLb0EESX_IbLb1EEEEDaST_SU_EUlST_E0_NS1_11comp_targetILNS1_3genE8ELNS1_11target_archE1030ELNS1_3gpuE2ELNS1_3repE0EEENS1_30default_config_static_selectorELNS0_4arch9wavefront6targetE1EEEvT1_
                                        ; -- End function
	.set _ZN7rocprim17ROCPRIM_400000_NS6detail17trampoline_kernelINS0_14default_configENS1_20scan_config_selectorIN3c104HalfEEEZZNS1_9scan_implILNS1_25lookback_scan_determinismE0ELb0ELb0ES3_PKS6_PS6_S6_ZZZN2at6native31launch_logcumsumexp_cuda_kernelERKNSD_10TensorBaseESH_lENKUlvE_clEvENKUlvE3_clEvEUlS6_S6_E_S6_EEDaPvRmT3_T4_T5_mT6_P12ihipStream_tbENKUlT_T0_E_clISt17integral_constantIbLb0EESX_IbLb1EEEEDaST_SU_EUlST_E0_NS1_11comp_targetILNS1_3genE8ELNS1_11target_archE1030ELNS1_3gpuE2ELNS1_3repE0EEENS1_30default_config_static_selectorELNS0_4arch9wavefront6targetE1EEEvT1_.num_vgpr, 0
	.set _ZN7rocprim17ROCPRIM_400000_NS6detail17trampoline_kernelINS0_14default_configENS1_20scan_config_selectorIN3c104HalfEEEZZNS1_9scan_implILNS1_25lookback_scan_determinismE0ELb0ELb0ES3_PKS6_PS6_S6_ZZZN2at6native31launch_logcumsumexp_cuda_kernelERKNSD_10TensorBaseESH_lENKUlvE_clEvENKUlvE3_clEvEUlS6_S6_E_S6_EEDaPvRmT3_T4_T5_mT6_P12ihipStream_tbENKUlT_T0_E_clISt17integral_constantIbLb0EESX_IbLb1EEEEDaST_SU_EUlST_E0_NS1_11comp_targetILNS1_3genE8ELNS1_11target_archE1030ELNS1_3gpuE2ELNS1_3repE0EEENS1_30default_config_static_selectorELNS0_4arch9wavefront6targetE1EEEvT1_.num_agpr, 0
	.set _ZN7rocprim17ROCPRIM_400000_NS6detail17trampoline_kernelINS0_14default_configENS1_20scan_config_selectorIN3c104HalfEEEZZNS1_9scan_implILNS1_25lookback_scan_determinismE0ELb0ELb0ES3_PKS6_PS6_S6_ZZZN2at6native31launch_logcumsumexp_cuda_kernelERKNSD_10TensorBaseESH_lENKUlvE_clEvENKUlvE3_clEvEUlS6_S6_E_S6_EEDaPvRmT3_T4_T5_mT6_P12ihipStream_tbENKUlT_T0_E_clISt17integral_constantIbLb0EESX_IbLb1EEEEDaST_SU_EUlST_E0_NS1_11comp_targetILNS1_3genE8ELNS1_11target_archE1030ELNS1_3gpuE2ELNS1_3repE0EEENS1_30default_config_static_selectorELNS0_4arch9wavefront6targetE1EEEvT1_.numbered_sgpr, 0
	.set _ZN7rocprim17ROCPRIM_400000_NS6detail17trampoline_kernelINS0_14default_configENS1_20scan_config_selectorIN3c104HalfEEEZZNS1_9scan_implILNS1_25lookback_scan_determinismE0ELb0ELb0ES3_PKS6_PS6_S6_ZZZN2at6native31launch_logcumsumexp_cuda_kernelERKNSD_10TensorBaseESH_lENKUlvE_clEvENKUlvE3_clEvEUlS6_S6_E_S6_EEDaPvRmT3_T4_T5_mT6_P12ihipStream_tbENKUlT_T0_E_clISt17integral_constantIbLb0EESX_IbLb1EEEEDaST_SU_EUlST_E0_NS1_11comp_targetILNS1_3genE8ELNS1_11target_archE1030ELNS1_3gpuE2ELNS1_3repE0EEENS1_30default_config_static_selectorELNS0_4arch9wavefront6targetE1EEEvT1_.num_named_barrier, 0
	.set _ZN7rocprim17ROCPRIM_400000_NS6detail17trampoline_kernelINS0_14default_configENS1_20scan_config_selectorIN3c104HalfEEEZZNS1_9scan_implILNS1_25lookback_scan_determinismE0ELb0ELb0ES3_PKS6_PS6_S6_ZZZN2at6native31launch_logcumsumexp_cuda_kernelERKNSD_10TensorBaseESH_lENKUlvE_clEvENKUlvE3_clEvEUlS6_S6_E_S6_EEDaPvRmT3_T4_T5_mT6_P12ihipStream_tbENKUlT_T0_E_clISt17integral_constantIbLb0EESX_IbLb1EEEEDaST_SU_EUlST_E0_NS1_11comp_targetILNS1_3genE8ELNS1_11target_archE1030ELNS1_3gpuE2ELNS1_3repE0EEENS1_30default_config_static_selectorELNS0_4arch9wavefront6targetE1EEEvT1_.private_seg_size, 0
	.set _ZN7rocprim17ROCPRIM_400000_NS6detail17trampoline_kernelINS0_14default_configENS1_20scan_config_selectorIN3c104HalfEEEZZNS1_9scan_implILNS1_25lookback_scan_determinismE0ELb0ELb0ES3_PKS6_PS6_S6_ZZZN2at6native31launch_logcumsumexp_cuda_kernelERKNSD_10TensorBaseESH_lENKUlvE_clEvENKUlvE3_clEvEUlS6_S6_E_S6_EEDaPvRmT3_T4_T5_mT6_P12ihipStream_tbENKUlT_T0_E_clISt17integral_constantIbLb0EESX_IbLb1EEEEDaST_SU_EUlST_E0_NS1_11comp_targetILNS1_3genE8ELNS1_11target_archE1030ELNS1_3gpuE2ELNS1_3repE0EEENS1_30default_config_static_selectorELNS0_4arch9wavefront6targetE1EEEvT1_.uses_vcc, 0
	.set _ZN7rocprim17ROCPRIM_400000_NS6detail17trampoline_kernelINS0_14default_configENS1_20scan_config_selectorIN3c104HalfEEEZZNS1_9scan_implILNS1_25lookback_scan_determinismE0ELb0ELb0ES3_PKS6_PS6_S6_ZZZN2at6native31launch_logcumsumexp_cuda_kernelERKNSD_10TensorBaseESH_lENKUlvE_clEvENKUlvE3_clEvEUlS6_S6_E_S6_EEDaPvRmT3_T4_T5_mT6_P12ihipStream_tbENKUlT_T0_E_clISt17integral_constantIbLb0EESX_IbLb1EEEEDaST_SU_EUlST_E0_NS1_11comp_targetILNS1_3genE8ELNS1_11target_archE1030ELNS1_3gpuE2ELNS1_3repE0EEENS1_30default_config_static_selectorELNS0_4arch9wavefront6targetE1EEEvT1_.uses_flat_scratch, 0
	.set _ZN7rocprim17ROCPRIM_400000_NS6detail17trampoline_kernelINS0_14default_configENS1_20scan_config_selectorIN3c104HalfEEEZZNS1_9scan_implILNS1_25lookback_scan_determinismE0ELb0ELb0ES3_PKS6_PS6_S6_ZZZN2at6native31launch_logcumsumexp_cuda_kernelERKNSD_10TensorBaseESH_lENKUlvE_clEvENKUlvE3_clEvEUlS6_S6_E_S6_EEDaPvRmT3_T4_T5_mT6_P12ihipStream_tbENKUlT_T0_E_clISt17integral_constantIbLb0EESX_IbLb1EEEEDaST_SU_EUlST_E0_NS1_11comp_targetILNS1_3genE8ELNS1_11target_archE1030ELNS1_3gpuE2ELNS1_3repE0EEENS1_30default_config_static_selectorELNS0_4arch9wavefront6targetE1EEEvT1_.has_dyn_sized_stack, 0
	.set _ZN7rocprim17ROCPRIM_400000_NS6detail17trampoline_kernelINS0_14default_configENS1_20scan_config_selectorIN3c104HalfEEEZZNS1_9scan_implILNS1_25lookback_scan_determinismE0ELb0ELb0ES3_PKS6_PS6_S6_ZZZN2at6native31launch_logcumsumexp_cuda_kernelERKNSD_10TensorBaseESH_lENKUlvE_clEvENKUlvE3_clEvEUlS6_S6_E_S6_EEDaPvRmT3_T4_T5_mT6_P12ihipStream_tbENKUlT_T0_E_clISt17integral_constantIbLb0EESX_IbLb1EEEEDaST_SU_EUlST_E0_NS1_11comp_targetILNS1_3genE8ELNS1_11target_archE1030ELNS1_3gpuE2ELNS1_3repE0EEENS1_30default_config_static_selectorELNS0_4arch9wavefront6targetE1EEEvT1_.has_recursion, 0
	.set _ZN7rocprim17ROCPRIM_400000_NS6detail17trampoline_kernelINS0_14default_configENS1_20scan_config_selectorIN3c104HalfEEEZZNS1_9scan_implILNS1_25lookback_scan_determinismE0ELb0ELb0ES3_PKS6_PS6_S6_ZZZN2at6native31launch_logcumsumexp_cuda_kernelERKNSD_10TensorBaseESH_lENKUlvE_clEvENKUlvE3_clEvEUlS6_S6_E_S6_EEDaPvRmT3_T4_T5_mT6_P12ihipStream_tbENKUlT_T0_E_clISt17integral_constantIbLb0EESX_IbLb1EEEEDaST_SU_EUlST_E0_NS1_11comp_targetILNS1_3genE8ELNS1_11target_archE1030ELNS1_3gpuE2ELNS1_3repE0EEENS1_30default_config_static_selectorELNS0_4arch9wavefront6targetE1EEEvT1_.has_indirect_call, 0
	.section	.AMDGPU.csdata,"",@progbits
; Kernel info:
; codeLenInByte = 0
; TotalNumSgprs: 4
; NumVgprs: 0
; ScratchSize: 0
; MemoryBound: 0
; FloatMode: 240
; IeeeMode: 1
; LDSByteSize: 0 bytes/workgroup (compile time only)
; SGPRBlocks: 0
; VGPRBlocks: 0
; NumSGPRsForWavesPerEU: 4
; NumVGPRsForWavesPerEU: 1
; Occupancy: 10
; WaveLimiterHint : 0
; COMPUTE_PGM_RSRC2:SCRATCH_EN: 0
; COMPUTE_PGM_RSRC2:USER_SGPR: 6
; COMPUTE_PGM_RSRC2:TRAP_HANDLER: 0
; COMPUTE_PGM_RSRC2:TGID_X_EN: 1
; COMPUTE_PGM_RSRC2:TGID_Y_EN: 0
; COMPUTE_PGM_RSRC2:TGID_Z_EN: 0
; COMPUTE_PGM_RSRC2:TIDIG_COMP_CNT: 0
	.section	.text._ZN2at6native32tensor_kernel_scan_innermost_dimIN3c104HalfEZZZNS0_31launch_logcumsumexp_cuda_kernelERKNS_10TensorBaseES6_lENKUlvE_clEvENKUlvE3_clEvEUlS3_S3_E_EEvPT_PKSA_jjjSA_T0_,"axG",@progbits,_ZN2at6native32tensor_kernel_scan_innermost_dimIN3c104HalfEZZZNS0_31launch_logcumsumexp_cuda_kernelERKNS_10TensorBaseES6_lENKUlvE_clEvENKUlvE3_clEvEUlS3_S3_E_EEvPT_PKSA_jjjSA_T0_,comdat
	.globl	_ZN2at6native32tensor_kernel_scan_innermost_dimIN3c104HalfEZZZNS0_31launch_logcumsumexp_cuda_kernelERKNS_10TensorBaseES6_lENKUlvE_clEvENKUlvE3_clEvEUlS3_S3_E_EEvPT_PKSA_jjjSA_T0_ ; -- Begin function _ZN2at6native32tensor_kernel_scan_innermost_dimIN3c104HalfEZZZNS0_31launch_logcumsumexp_cuda_kernelERKNS_10TensorBaseES6_lENKUlvE_clEvENKUlvE3_clEvEUlS3_S3_E_EEvPT_PKSA_jjjSA_T0_
	.p2align	8
	.type	_ZN2at6native32tensor_kernel_scan_innermost_dimIN3c104HalfEZZZNS0_31launch_logcumsumexp_cuda_kernelERKNS_10TensorBaseES6_lENKUlvE_clEvENKUlvE3_clEvEUlS3_S3_E_EEvPT_PKSA_jjjSA_T0_,@function
_ZN2at6native32tensor_kernel_scan_innermost_dimIN3c104HalfEZZZNS0_31launch_logcumsumexp_cuda_kernelERKNS_10TensorBaseES6_lENKUlvE_clEvENKUlvE3_clEvEUlS3_S3_E_EEvPT_PKSA_jjjSA_T0_: ; @_ZN2at6native32tensor_kernel_scan_innermost_dimIN3c104HalfEZZZNS0_31launch_logcumsumexp_cuda_kernelERKNS_10TensorBaseES6_lENKUlvE_clEvENKUlvE3_clEvEUlS3_S3_E_EEvPT_PKSA_jjjSA_T0_
; %bb.0:
	s_load_dwordx8 s[16:23], s[4:5], 0x0
	v_mov_b32_e32 v2, v1
	s_waitcnt lgkmcnt(0)
	s_lshl_b32 s7, 2, s22
	v_mul_lo_u32 v1, s7, v2
	s_mul_hi_u32 s0, s20, s21
	s_cmp_lg_u32 s0, 0
	s_mov_b64 s[0:1], -1
	v_lshl_add_u32 v10, v1, 1, 0
	s_cbranch_scc1 .LBB434_30
; %bb.1:
	s_load_dword s2, s[4:5], 0x2c
	s_add_u32 s0, s4, 32
	s_addc_u32 s1, s5, 0
	s_waitcnt lgkmcnt(0)
	s_lshr_b32 s2, s2, 16
	s_mul_i32 s26, s6, s2
	s_cmp_ge_u32 s26, s20
	s_cbranch_scc1 .LBB434_29
; %bb.2:
	s_load_dword s28, s[0:1], 0x0
	s_lshl_b32 s27, 1, s22
	s_cmp_lg_u32 s21, 0
	s_cselect_b64 s[8:9], -1, 0
	v_lshl_add_u32 v1, v0, 1, v10
	s_lshl_b32 s3, s7, 1
	v_cndmask_b32_e64 v3, 0, 1, s[8:9]
	v_lshl_add_u32 v7, s27, 1, v1
	v_cmp_eq_u32_e64 s[0:1], 0, v0
	v_add3_u32 v8, v10, s3, -2
	s_waitcnt lgkmcnt(0)
	s_mul_i32 s28, s28, s2
	s_add_i32 s29, s22, 1
	v_cmp_ne_u32_e64 s[2:3], 1, v3
	v_mov_b32_e32 v4, 0
	s_movk_i32 s30, 0x1f8
	s_mov_b32 s31, 0x3fb8aa3b
	s_mov_b32 s33, 0xc2ce8ed0
	;; [unrolled: 1-line block ×5, first 2 shown]
	v_mov_b32_e32 v9, 0x3f2aaada
	s_mov_b32 s37, 0x3f317218
	s_mov_b32 s38, 0x33800000
	v_mov_b32_e32 v11, 0x7f800000
	s_branch .LBB434_4
.LBB434_3:                              ;   in Loop: Header=BB434_4 Depth=1
	s_add_i32 s26, s26, s28
	s_cmp_ge_u32 s26, s20
	s_cbranch_scc1 .LBB434_29
.LBB434_4:                              ; =>This Loop Header: Depth=1
                                        ;     Child Loop BB434_7 Depth 2
                                        ;       Child Loop BB434_19 Depth 3
	s_and_b64 vcc, exec, s[2:3]
	s_cbranch_vccnz .LBB434_3
; %bb.5:                                ;   in Loop: Header=BB434_4 Depth=1
	v_add_u32_e32 v16, s26, v2
	v_mul_lo_u32 v3, v16, s21
	v_mov_b32_e32 v13, s19
	v_cmp_le_u32_e64 s[8:9], s20, v16
	s_mov_b32 s39, 0
	v_lshlrev_b64 v[5:6], 1, v[3:4]
	v_mov_b32_e32 v3, s17
	v_add_co_u32_e32 v12, vcc, s18, v5
	v_addc_co_u32_e32 v13, vcc, v13, v6, vcc
	v_add_co_u32_e32 v14, vcc, s16, v5
	v_addc_co_u32_e32 v15, vcc, v3, v6, vcc
	v_cmp_gt_u32_e32 vcc, s20, v16
	v_mov_b32_e32 v16, s23
	s_branch .LBB434_7
.LBB434_6:                              ;   in Loop: Header=BB434_7 Depth=2
	s_or_b64 exec, exec, s[12:13]
	ds_read_u16 v16, v8
	s_add_i32 s39, s39, s7
	s_cmp_ge_u32 s39, s21
	s_waitcnt vmcnt(0) lgkmcnt(0)
	s_barrier
	s_cbranch_scc1 .LBB434_3
.LBB434_7:                              ;   Parent Loop BB434_4 Depth=1
                                        ; =>  This Loop Header: Depth=2
                                        ;       Child Loop BB434_19 Depth 3
	v_add_u32_e32 v3, s39, v0
	v_add_u32_e32 v5, s27, v3
	s_and_saveexec_b64 s[12:13], vcc
	s_cbranch_execz .LBB434_16
; %bb.8:                                ;   in Loop: Header=BB434_7 Depth=2
	v_cmp_gt_u32_e64 s[10:11], s21, v3
	v_mov_b32_e32 v6, s23
	s_and_saveexec_b64 s[14:15], s[10:11]
	s_cbranch_execz .LBB434_10
; %bb.9:                                ;   in Loop: Header=BB434_7 Depth=2
	v_lshlrev_b64 v[17:18], 1, v[3:4]
	v_add_co_u32_e64 v17, s[10:11], v12, v17
	v_addc_co_u32_e64 v18, s[10:11], v13, v18, s[10:11]
	global_load_ushort v6, v[17:18], off
.LBB434_10:                             ;   in Loop: Header=BB434_7 Depth=2
	s_or_b64 exec, exec, s[14:15]
	s_waitcnt vmcnt(0)
	ds_write_b16 v1, v6
	v_cmp_gt_u32_e64 s[10:11], s21, v5
	v_mov_b32_e32 v6, s23
	s_and_saveexec_b64 s[14:15], s[10:11]
	s_cbranch_execz .LBB434_12
; %bb.11:                               ;   in Loop: Header=BB434_7 Depth=2
	v_mov_b32_e32 v6, v4
	v_lshlrev_b64 v[17:18], 1, v[5:6]
	v_add_co_u32_e64 v17, s[10:11], v12, v17
	v_addc_co_u32_e64 v18, s[10:11], v13, v18, s[10:11]
	global_load_ushort v6, v[17:18], off
.LBB434_12:                             ;   in Loop: Header=BB434_7 Depth=2
	s_or_b64 exec, exec, s[14:15]
	s_waitcnt vmcnt(0)
	ds_write_b16 v7, v6
	s_and_b64 exec, exec, s[0:1]
	s_cbranch_execz .LBB434_16
; %bb.13:                               ;   in Loop: Header=BB434_7 Depth=2
	ds_read_u16 v17, v10
	v_cvt_f32_f16_e32 v6, v16
	s_waitcnt lgkmcnt(0)
	v_cvt_f32_f16_e32 v18, v17
	v_cmp_u_f16_e64 s[10:11], v17, v17
	v_min_f32_e32 v19, v18, v6
	v_max_f32_e32 v20, v18, v6
	v_cndmask_b32_e64 v19, v19, v18, s[10:11]
	v_cndmask_b32_e64 v18, v20, v18, s[10:11]
	v_cmp_u_f16_e64 s[10:11], v16, v16
	v_cndmask_b32_e64 v16, v19, v6, s[10:11]
	v_cndmask_b32_e64 v6, v18, v6, s[10:11]
	v_cmp_neq_f32_e64 s[10:11], v16, v6
	v_cmp_class_f32_e64 s[14:15], v16, s30
	s_or_b64 s[10:11], s[10:11], s[14:15]
	s_and_saveexec_b64 s[14:15], s[10:11]
	s_cbranch_execz .LBB434_15
; %bb.14:                               ;   in Loop: Header=BB434_7 Depth=2
	v_sub_f32_e32 v16, v16, v6
	v_mul_f32_e32 v17, 0x3fb8aa3b, v16
	v_fma_f32 v18, v16, s31, -v17
	v_rndne_f32_e32 v19, v17
	v_fmac_f32_e32 v18, 0x32a5705f, v16
	v_sub_f32_e32 v17, v17, v19
	v_add_f32_e32 v17, v17, v18
	v_cvt_i32_f32_e32 v18, v19
	v_exp_f32_e32 v17, v17
	v_cmp_ngt_f32_e64 s[10:11], s33, v16
	v_ldexp_f32 v17, v17, v18
	v_cndmask_b32_e64 v17, 0, v17, s[10:11]
	v_cmp_nlt_f32_e64 s[10:11], s34, v16
	v_cndmask_b32_e64 v18, v11, v17, s[10:11]
	v_add_f32_e32 v19, 1.0, v18
	v_cvt_f64_f32_e32 v[16:17], v19
	v_add_f32_e32 v20, -1.0, v19
	v_sub_f32_e32 v21, v20, v19
	v_sub_f32_e32 v20, v18, v20
	v_frexp_exp_i32_f64_e32 v16, v[16:17]
	v_frexp_mant_f32_e32 v17, v19
	v_cmp_gt_f32_e64 s[10:11], s36, v17
	v_add_f32_e32 v21, 1.0, v21
	v_add_f32_e32 v20, v20, v21
	v_subbrev_co_u32_e64 v16, s[10:11], 0, v16, s[10:11]
	v_sub_u32_e32 v17, 0, v16
	v_ldexp_f32 v19, v19, v17
	v_ldexp_f32 v17, v20, v17
	v_add_f32_e32 v20, -1.0, v19
	v_add_f32_e32 v23, 1.0, v19
	v_add_f32_e32 v21, 1.0, v20
	v_add_f32_e32 v24, -1.0, v23
	v_sub_f32_e32 v21, v19, v21
	v_sub_f32_e32 v19, v19, v24
	v_add_f32_e32 v21, v17, v21
	v_add_f32_e32 v17, v17, v19
	;; [unrolled: 1-line block ×3, first 2 shown]
	v_rcp_f32_e32 v24, v19
	v_add_f32_e32 v22, v20, v21
	v_sub_f32_e32 v20, v20, v22
	v_add_f32_e32 v20, v21, v20
	v_sub_f32_e32 v21, v23, v19
	v_add_f32_e32 v17, v17, v21
	v_mul_f32_e32 v21, v22, v24
	v_mul_f32_e32 v23, v19, v21
	v_fma_f32 v25, v21, v19, -v23
	v_fmac_f32_e32 v25, v21, v17
	v_add_f32_e32 v26, v23, v25
	v_sub_f32_e32 v27, v22, v26
	v_sub_f32_e32 v22, v22, v27
	;; [unrolled: 1-line block ×4, first 2 shown]
	v_add_f32_e32 v20, v20, v22
	v_sub_f32_e32 v22, v23, v25
	v_add_f32_e32 v20, v22, v20
	v_add_f32_e32 v22, v27, v20
	v_mul_f32_e32 v23, v24, v22
	v_mul_f32_e32 v25, v19, v23
	v_fma_f32 v19, v23, v19, -v25
	v_fmac_f32_e32 v19, v23, v17
	v_sub_f32_e32 v17, v27, v22
	v_add_f32_e32 v17, v20, v17
	v_add_f32_e32 v20, v25, v19
	v_sub_f32_e32 v26, v22, v20
	v_sub_f32_e32 v22, v22, v26
	;; [unrolled: 1-line block ×4, first 2 shown]
	v_add_f32_e32 v17, v17, v20
	v_sub_f32_e32 v19, v25, v19
	v_cvt_f32_i32_e32 v16, v16
	v_add_f32_e32 v17, v19, v17
	v_add_f32_e32 v19, v21, v23
	v_add_f32_e32 v17, v26, v17
	v_sub_f32_e32 v20, v19, v21
	v_mul_f32_e32 v17, v24, v17
	v_sub_f32_e32 v20, v23, v20
	v_add_f32_e32 v17, v20, v17
	v_mul_f32_e32 v23, 0x3f317218, v16
	v_add_f32_e32 v20, v19, v17
	v_fma_f32 v24, v16, s37, -v23
	v_mul_f32_e32 v21, v20, v20
	v_mov_b32_e32 v22, 0x3ecc95a3
	v_fmac_f32_e32 v24, 0xb102e308, v16
	v_sub_f32_e32 v16, v20, v19
	v_fmac_f32_e32 v22, 0x3e9b6dac, v21
	v_sub_f32_e32 v16, v17, v16
	v_add_f32_e32 v17, v23, v24
	v_fma_f32 v22, v21, v22, v9
	v_sub_f32_e32 v19, v17, v23
	v_ldexp_f32 v23, v20, 1
	v_mul_f32_e32 v20, v20, v21
	v_mul_f32_e32 v20, v20, v22
	v_add_f32_e32 v21, v23, v20
	v_sub_f32_e32 v22, v21, v23
	v_ldexp_f32 v16, v16, 1
	v_sub_f32_e32 v20, v20, v22
	v_add_f32_e32 v16, v16, v20
	v_add_f32_e32 v20, v21, v16
	v_sub_f32_e32 v21, v20, v21
	v_sub_f32_e32 v16, v16, v21
	v_add_f32_e32 v21, v17, v20
	v_sub_f32_e32 v22, v21, v17
	v_sub_f32_e32 v23, v21, v22
	;; [unrolled: 1-line block ×5, first 2 shown]
	v_add_f32_e32 v17, v20, v17
	v_add_f32_e32 v20, v19, v16
	v_sub_f32_e32 v22, v20, v19
	v_sub_f32_e32 v23, v20, v22
	;; [unrolled: 1-line block ×4, first 2 shown]
	v_add_f32_e32 v17, v20, v17
	v_add_f32_e32 v16, v16, v19
	;; [unrolled: 1-line block ×3, first 2 shown]
	v_sub_f32_e32 v20, v19, v21
	v_sub_f32_e32 v17, v17, v20
	v_add_f32_e32 v16, v16, v17
	v_add_f32_e32 v16, v19, v16
	v_cmp_neq_f32_e64 s[10:11], s35, v18
	v_cndmask_b32_e64 v16, v11, v16, s[10:11]
	v_cmp_lt_f32_e64 s[10:11], |v18|, s38
	v_cndmask_b32_e64 v16, v16, v18, s[10:11]
	v_add_f32_e32 v6, v6, v16
	v_cvt_f16_f32_e32 v17, v6
.LBB434_15:                             ;   in Loop: Header=BB434_7 Depth=2
	s_or_b64 exec, exec, s[14:15]
	ds_write_b16 v10, v17
.LBB434_16:                             ;   in Loop: Header=BB434_7 Depth=2
	s_or_b64 exec, exec, s[12:13]
	v_mov_b32_e32 v16, 0
	s_mov_b64 s[14:15], 0
	s_waitcnt lgkmcnt(0)
	s_barrier
	s_branch .LBB434_19
.LBB434_17:                             ;   in Loop: Header=BB434_19 Depth=3
	s_or_b64 exec, exec, s[12:13]
	ds_write_b16 v16, v18
.LBB434_18:                             ;   in Loop: Header=BB434_19 Depth=3
	s_or_b64 exec, exec, s[24:25]
	v_cmp_eq_u32_e64 s[10:11], s29, v6
	s_or_b64 s[14:15], s[10:11], s[14:15]
	v_mov_b32_e32 v16, v6
	s_waitcnt lgkmcnt(0)
	s_barrier
	s_andn2_b64 exec, exec, s[14:15]
	s_cbranch_execz .LBB434_24
.LBB434_19:                             ;   Parent Loop BB434_4 Depth=1
                                        ;     Parent Loop BB434_7 Depth=2
                                        ; =>    This Inner Loop Header: Depth=3
	v_add_u32_e32 v6, 1, v16
	s_and_saveexec_b64 s[10:11], s[8:9]
	s_xor_b64 s[10:11], exec, s[10:11]
; %bb.20:                               ;   in Loop: Header=BB434_19 Depth=3
	v_add_u32_e32 v6, 1, v16
                                        ; implicit-def: $vgpr16
; %bb.21:                               ;   in Loop: Header=BB434_19 Depth=3
	s_andn2_saveexec_b64 s[24:25], s[10:11]
	s_cbranch_execz .LBB434_18
; %bb.22:                               ;   in Loop: Header=BB434_19 Depth=3
	v_lshlrev_b32_e64 v17, v16, 1
	v_lshrrev_b32_e32 v18, v16, v0
	v_lshl_or_b32 v17, v18, v6, v17
	v_bfm_b32 v16, v16, 0
	v_and_b32_e32 v16, v16, v0
	v_lshl_add_u32 v17, v17, 1, v10
	v_lshl_add_u32 v16, v16, 1, v17
	v_add_u32_e32 v17, -2, v17
	ds_read_u16 v18, v16
	ds_read_u16 v17, v17
	s_waitcnt lgkmcnt(1)
	v_cvt_f32_f16_e32 v20, v18
	s_waitcnt lgkmcnt(0)
	v_cvt_f32_f16_e32 v21, v17
	v_cmp_u_f16_e64 s[10:11], v18, v18
	v_cmp_u_f16_e64 s[12:13], v17, v17
	v_min_f32_e32 v19, v20, v21
	v_max_f32_e32 v17, v20, v21
	v_cndmask_b32_e64 v19, v19, v20, s[10:11]
	v_cndmask_b32_e64 v17, v17, v20, s[10:11]
	;; [unrolled: 1-line block ×4, first 2 shown]
	v_cmp_neq_f32_e64 s[10:11], v19, v17
	v_cmp_class_f32_e64 s[12:13], v19, s30
	s_or_b64 s[10:11], s[10:11], s[12:13]
	s_and_saveexec_b64 s[12:13], s[10:11]
	s_cbranch_execz .LBB434_17
; %bb.23:                               ;   in Loop: Header=BB434_19 Depth=3
	v_sub_f32_e32 v18, v19, v17
	v_mul_f32_e32 v19, 0x3fb8aa3b, v18
	v_fma_f32 v20, v18, s31, -v19
	v_rndne_f32_e32 v21, v19
	v_fmac_f32_e32 v20, 0x32a5705f, v18
	v_sub_f32_e32 v19, v19, v21
	v_add_f32_e32 v19, v19, v20
	v_cvt_i32_f32_e32 v20, v21
	v_exp_f32_e32 v19, v19
	v_cmp_ngt_f32_e64 s[10:11], s33, v18
	v_ldexp_f32 v19, v19, v20
	v_cndmask_b32_e64 v19, 0, v19, s[10:11]
	v_cmp_nlt_f32_e64 s[10:11], s34, v18
	v_cndmask_b32_e64 v20, v11, v19, s[10:11]
	v_add_f32_e32 v21, 1.0, v20
	v_cvt_f64_f32_e32 v[18:19], v21
	v_add_f32_e32 v22, -1.0, v21
	v_sub_f32_e32 v23, v22, v21
	v_sub_f32_e32 v22, v20, v22
	v_frexp_exp_i32_f64_e32 v18, v[18:19]
	v_frexp_mant_f32_e32 v19, v21
	v_cmp_gt_f32_e64 s[10:11], s36, v19
	v_add_f32_e32 v23, 1.0, v23
	v_add_f32_e32 v22, v22, v23
	v_subbrev_co_u32_e64 v18, s[10:11], 0, v18, s[10:11]
	v_sub_u32_e32 v19, 0, v18
	v_ldexp_f32 v21, v21, v19
	v_ldexp_f32 v19, v22, v19
	v_add_f32_e32 v22, -1.0, v21
	v_add_f32_e32 v25, 1.0, v21
	v_add_f32_e32 v23, 1.0, v22
	v_add_f32_e32 v26, -1.0, v25
	v_sub_f32_e32 v23, v21, v23
	v_sub_f32_e32 v21, v21, v26
	v_add_f32_e32 v23, v19, v23
	v_add_f32_e32 v19, v19, v21
	;; [unrolled: 1-line block ×3, first 2 shown]
	v_rcp_f32_e32 v26, v21
	v_add_f32_e32 v24, v22, v23
	v_sub_f32_e32 v22, v22, v24
	v_add_f32_e32 v22, v23, v22
	v_sub_f32_e32 v23, v25, v21
	v_add_f32_e32 v19, v19, v23
	v_mul_f32_e32 v23, v24, v26
	v_mul_f32_e32 v25, v21, v23
	v_fma_f32 v27, v23, v21, -v25
	v_fmac_f32_e32 v27, v23, v19
	v_add_f32_e32 v28, v25, v27
	v_sub_f32_e32 v29, v24, v28
	v_sub_f32_e32 v24, v24, v29
	;; [unrolled: 1-line block ×4, first 2 shown]
	v_add_f32_e32 v22, v22, v24
	v_sub_f32_e32 v24, v25, v27
	v_add_f32_e32 v22, v24, v22
	v_add_f32_e32 v24, v29, v22
	v_mul_f32_e32 v25, v26, v24
	v_mul_f32_e32 v27, v21, v25
	v_fma_f32 v21, v25, v21, -v27
	v_fmac_f32_e32 v21, v25, v19
	v_sub_f32_e32 v19, v29, v24
	v_add_f32_e32 v19, v22, v19
	v_add_f32_e32 v22, v27, v21
	v_sub_f32_e32 v28, v24, v22
	v_sub_f32_e32 v24, v24, v28
	;; [unrolled: 1-line block ×4, first 2 shown]
	v_add_f32_e32 v19, v19, v22
	v_sub_f32_e32 v21, v27, v21
	v_cvt_f32_i32_e32 v18, v18
	v_add_f32_e32 v19, v21, v19
	v_add_f32_e32 v21, v23, v25
	;; [unrolled: 1-line block ×3, first 2 shown]
	v_sub_f32_e32 v22, v21, v23
	v_mul_f32_e32 v19, v26, v19
	v_sub_f32_e32 v22, v25, v22
	v_add_f32_e32 v19, v22, v19
	v_mul_f32_e32 v25, 0x3f317218, v18
	v_add_f32_e32 v22, v21, v19
	v_fma_f32 v26, v18, s37, -v25
	v_mul_f32_e32 v23, v22, v22
	v_mov_b32_e32 v24, 0x3ecc95a3
	v_fmac_f32_e32 v26, 0xb102e308, v18
	v_sub_f32_e32 v18, v22, v21
	v_fmac_f32_e32 v24, 0x3e9b6dac, v23
	v_sub_f32_e32 v18, v19, v18
	v_add_f32_e32 v19, v25, v26
	v_fma_f32 v24, v23, v24, v9
	v_sub_f32_e32 v21, v19, v25
	v_ldexp_f32 v25, v22, 1
	v_mul_f32_e32 v22, v22, v23
	v_mul_f32_e32 v22, v22, v24
	v_add_f32_e32 v23, v25, v22
	v_sub_f32_e32 v24, v23, v25
	v_ldexp_f32 v18, v18, 1
	v_sub_f32_e32 v22, v22, v24
	v_add_f32_e32 v18, v18, v22
	v_add_f32_e32 v22, v23, v18
	v_sub_f32_e32 v23, v22, v23
	v_sub_f32_e32 v18, v18, v23
	v_add_f32_e32 v23, v19, v22
	v_sub_f32_e32 v24, v23, v19
	v_sub_f32_e32 v25, v23, v24
	;; [unrolled: 1-line block ×5, first 2 shown]
	v_add_f32_e32 v19, v22, v19
	v_add_f32_e32 v22, v21, v18
	v_sub_f32_e32 v24, v22, v21
	v_sub_f32_e32 v25, v22, v24
	;; [unrolled: 1-line block ×4, first 2 shown]
	v_add_f32_e32 v19, v22, v19
	v_add_f32_e32 v18, v18, v21
	;; [unrolled: 1-line block ×3, first 2 shown]
	v_sub_f32_e32 v22, v21, v23
	v_sub_f32_e32 v19, v19, v22
	v_add_f32_e32 v18, v18, v19
	v_add_f32_e32 v18, v21, v18
	v_cmp_neq_f32_e64 s[10:11], s35, v20
	v_cndmask_b32_e64 v18, v11, v18, s[10:11]
	v_cmp_lt_f32_e64 s[10:11], |v20|, s38
	v_cndmask_b32_e64 v18, v18, v20, s[10:11]
	v_add_f32_e32 v17, v17, v18
	v_cvt_f16_f32_e32 v18, v17
	s_branch .LBB434_17
.LBB434_24:                             ;   in Loop: Header=BB434_7 Depth=2
	s_or_b64 exec, exec, s[14:15]
	s_and_saveexec_b64 s[12:13], vcc
	s_cbranch_execz .LBB434_6
; %bb.25:                               ;   in Loop: Header=BB434_7 Depth=2
	v_cmp_gt_u32_e64 s[10:11], s21, v3
	s_and_saveexec_b64 s[14:15], s[10:11]
	s_cbranch_execz .LBB434_27
; %bb.26:                               ;   in Loop: Header=BB434_7 Depth=2
	v_lshlrev_b64 v[16:17], 1, v[3:4]
	ds_read_u16 v3, v1
	v_add_co_u32_e64 v16, s[10:11], v14, v16
	v_addc_co_u32_e64 v17, s[10:11], v15, v17, s[10:11]
	s_waitcnt lgkmcnt(0)
	global_store_short v[16:17], v3, off
.LBB434_27:                             ;   in Loop: Header=BB434_7 Depth=2
	s_or_b64 exec, exec, s[14:15]
	v_cmp_gt_u32_e64 s[10:11], s21, v5
	s_and_b64 exec, exec, s[10:11]
	s_cbranch_execz .LBB434_6
; %bb.28:                               ;   in Loop: Header=BB434_7 Depth=2
	v_mov_b32_e32 v6, v4
	ds_read_u16 v3, v7
	v_lshlrev_b64 v[5:6], 1, v[5:6]
	v_add_co_u32_e64 v5, s[10:11], v14, v5
	v_addc_co_u32_e64 v6, s[10:11], v15, v6, s[10:11]
	s_waitcnt lgkmcnt(0)
	global_store_short v[5:6], v3, off
	s_branch .LBB434_6
.LBB434_29:
	s_mov_b64 s[0:1], 0
.LBB434_30:
	s_andn2_b64 vcc, exec, s[0:1]
	s_cbranch_vccnz .LBB434_61
; %bb.31:
	s_load_dword s2, s[4:5], 0x2c
	s_add_u32 s0, s4, 32
	s_mov_b32 s8, s20
	s_mov_b32 s9, 0
	s_addc_u32 s1, s5, 0
	s_waitcnt lgkmcnt(0)
	s_lshr_b32 s2, s2, 16
	v_mov_b32_e32 v3, s8
	s_mul_hi_u32 s11, s2, s6
	s_mul_i32 s10, s2, s6
	v_mov_b32_e32 v4, s9
	v_cmp_ge_u64_e32 vcc, s[10:11], v[3:4]
	s_cbranch_vccnz .LBB434_61
; %bb.32:
	s_lshl_b32 s12, 1, s22
	s_load_dword s5, s[0:1], 0x0
	s_and_b32 s4, 0xffff, s2
	s_ashr_i32 s13, s12, 31
	s_cmp_lg_u32 s21, 0
	s_mov_b32 s14, s21
	s_cselect_b64 s[2:3], -1, 0
	s_lshl_b64 s[20:21], s[12:13], 1
	v_lshl_add_u32 v11, v0, 1, v10
	s_lshl_b32 s6, s20, 1
	v_cndmask_b32_e64 v3, 0, 1, s[2:3]
	v_mov_b32_e32 v1, 0
	s_mov_b32 s15, s9
	v_lshl_add_u32 v12, s12, 1, v11
	v_cmp_eq_u32_e64 s[0:1], 0, v0
	v_add3_u32 v13, v10, s6, -2
	s_waitcnt lgkmcnt(0)
	s_mul_i32 s33, s5, s4
	s_add_i32 s22, s22, 1
	v_cmp_ne_u32_e64 s[2:3], 1, v3
	s_movk_i32 s34, 0x1f8
	s_mov_b32 s35, 0x3fb8aa3b
	s_mov_b32 s36, 0xc2ce8ed0
	;; [unrolled: 1-line block ×5, first 2 shown]
	v_mov_b32_e32 v14, 0x3f2aaada
	s_mov_b32 s40, 0x3f317218
	s_mov_b32 s41, 0x33800000
	v_mov_b32_e32 v15, 0x7f800000
	s_branch .LBB434_34
.LBB434_33:                             ;   in Loop: Header=BB434_34 Depth=1
	s_add_u32 s10, s10, s33
	v_mov_b32_e32 v3, s8
	s_addc_u32 s11, s11, 0
	v_mov_b32_e32 v4, s9
	v_cmp_ge_u64_e32 vcc, s[10:11], v[3:4]
	s_cbranch_vccnz .LBB434_61
.LBB434_34:                             ; =>This Loop Header: Depth=1
                                        ;     Child Loop BB434_37 Depth 2
                                        ;       Child Loop BB434_49 Depth 3
	s_and_b64 vcc, exec, s[2:3]
	s_cbranch_vccnz .LBB434_33
; %bb.35:                               ;   in Loop: Header=BB434_34 Depth=1
	v_add_co_u32_e32 v3, vcc, s10, v2
	v_mad_u64_u32 v[5:6], s[4:5], v3, s14, 0
	v_mov_b32_e32 v4, s11
	v_addc_co_u32_e32 v4, vcc, 0, v4, vcc
	v_mad_u64_u32 v[6:7], s[4:5], v4, s14, v[6:7]
	v_mov_b32_e32 v7, s19
	v_cmp_gt_u64_e64 s[4:5], s[8:9], v[3:4]
	v_lshlrev_b64 v[5:6], 1, v[5:6]
	v_cmp_le_u64_e64 s[6:7], s[8:9], v[3:4]
	v_add_co_u32_e32 v16, vcc, s18, v5
	v_addc_co_u32_e32 v17, vcc, v7, v6, vcc
	v_mov_b32_e32 v7, s17
	v_add_co_u32_e32 v18, vcc, s16, v5
	v_addc_co_u32_e32 v19, vcc, v7, v6, vcc
	s_mov_b64 s[24:25], 0
	v_mov_b32_e32 v7, s23
	s_branch .LBB434_37
.LBB434_36:                             ;   in Loop: Header=BB434_37 Depth=2
	s_or_b64 exec, exec, s[26:27]
	ds_read_u16 v7, v13
	s_add_u32 s24, s24, s20
	v_mov_b32_e32 v3, s14
	s_addc_u32 s25, s25, s21
	v_mov_b32_e32 v4, s15
	v_cmp_ge_u64_e32 vcc, s[24:25], v[3:4]
	s_waitcnt lgkmcnt(0)
	s_waitcnt vmcnt(0)
	s_barrier
	s_cbranch_vccnz .LBB434_33
.LBB434_37:                             ;   Parent Loop BB434_34 Depth=1
                                        ; =>  This Loop Header: Depth=2
                                        ;       Child Loop BB434_49 Depth 3
	v_mov_b32_e32 v3, s25
	v_add_co_u32_e32 v5, vcc, s24, v0
	v_addc_co_u32_e32 v6, vcc, 0, v3, vcc
	v_mov_b32_e32 v4, s13
	v_add_co_u32_e32 v3, vcc, s12, v5
	v_addc_co_u32_e32 v4, vcc, v6, v4, vcc
	s_and_saveexec_b64 s[26:27], s[4:5]
	s_cbranch_execz .LBB434_46
; %bb.38:                               ;   in Loop: Header=BB434_37 Depth=2
	v_cmp_gt_u64_e32 vcc, s[14:15], v[5:6]
	v_mov_b32_e32 v8, s23
	s_and_saveexec_b64 s[28:29], vcc
	s_cbranch_execz .LBB434_40
; %bb.39:                               ;   in Loop: Header=BB434_37 Depth=2
	v_lshlrev_b64 v[8:9], 1, v[5:6]
	v_add_co_u32_e32 v8, vcc, v16, v8
	v_addc_co_u32_e32 v9, vcc, v17, v9, vcc
	global_load_ushort v8, v[8:9], off
.LBB434_40:                             ;   in Loop: Header=BB434_37 Depth=2
	s_or_b64 exec, exec, s[28:29]
	v_cmp_gt_u64_e32 vcc, s[14:15], v[3:4]
	s_waitcnt vmcnt(0)
	ds_write_b16 v11, v8
	v_mov_b32_e32 v8, s23
	s_and_saveexec_b64 s[28:29], vcc
	s_cbranch_execz .LBB434_42
; %bb.41:                               ;   in Loop: Header=BB434_37 Depth=2
	v_lshlrev_b64 v[8:9], 1, v[3:4]
	v_add_co_u32_e32 v8, vcc, v16, v8
	v_addc_co_u32_e32 v9, vcc, v17, v9, vcc
	global_load_ushort v8, v[8:9], off
.LBB434_42:                             ;   in Loop: Header=BB434_37 Depth=2
	s_or_b64 exec, exec, s[28:29]
	s_waitcnt vmcnt(0)
	ds_write_b16 v12, v8
	s_and_b64 exec, exec, s[0:1]
	s_cbranch_execz .LBB434_46
; %bb.43:                               ;   in Loop: Header=BB434_37 Depth=2
	ds_read_u16 v8, v10
	v_cvt_f32_f16_e32 v20, v7
	s_waitcnt lgkmcnt(0)
	v_cvt_f32_f16_e32 v9, v8
	v_cmp_u_f16_e32 vcc, v8, v8
	v_min_f32_e32 v21, v9, v20
	v_max_f32_e32 v22, v9, v20
	v_cndmask_b32_e32 v21, v21, v9, vcc
	v_cndmask_b32_e32 v22, v22, v9, vcc
	v_cmp_u_f16_e32 vcc, v7, v7
	v_cndmask_b32_e32 v9, v21, v20, vcc
	v_cndmask_b32_e32 v7, v22, v20, vcc
	v_cmp_neq_f32_e32 vcc, v9, v7
	v_cmp_class_f32_e64 s[28:29], v9, s34
	s_or_b64 s[30:31], vcc, s[28:29]
	s_and_saveexec_b64 s[28:29], s[30:31]
	s_cbranch_execz .LBB434_45
; %bb.44:                               ;   in Loop: Header=BB434_37 Depth=2
	v_sub_f32_e32 v8, v9, v7
	v_mul_f32_e32 v9, 0x3fb8aa3b, v8
	v_fma_f32 v20, v8, s35, -v9
	v_rndne_f32_e32 v21, v9
	v_fmac_f32_e32 v20, 0x32a5705f, v8
	v_sub_f32_e32 v9, v9, v21
	v_add_f32_e32 v9, v9, v20
	v_cvt_i32_f32_e32 v20, v21
	v_exp_f32_e32 v9, v9
	v_cmp_ngt_f32_e32 vcc, s36, v8
	v_ldexp_f32 v9, v9, v20
	v_cndmask_b32_e32 v9, 0, v9, vcc
	v_cmp_nlt_f32_e32 vcc, s37, v8
	v_cndmask_b32_e32 v20, v15, v9, vcc
	v_add_f32_e32 v21, 1.0, v20
	v_cvt_f64_f32_e32 v[8:9], v21
	v_add_f32_e32 v22, -1.0, v21
	v_sub_f32_e32 v23, v22, v21
	v_sub_f32_e32 v22, v20, v22
	v_frexp_exp_i32_f64_e32 v8, v[8:9]
	v_frexp_mant_f32_e32 v9, v21
	v_cmp_gt_f32_e32 vcc, s39, v9
	v_add_f32_e32 v23, 1.0, v23
	v_add_f32_e32 v22, v22, v23
	v_subbrev_co_u32_e32 v8, vcc, 0, v8, vcc
	v_sub_u32_e32 v9, 0, v8
	v_ldexp_f32 v21, v21, v9
	v_ldexp_f32 v9, v22, v9
	v_add_f32_e32 v22, -1.0, v21
	v_add_f32_e32 v25, 1.0, v21
	v_add_f32_e32 v23, 1.0, v22
	v_add_f32_e32 v26, -1.0, v25
	v_sub_f32_e32 v23, v21, v23
	v_sub_f32_e32 v21, v21, v26
	v_add_f32_e32 v23, v9, v23
	v_add_f32_e32 v9, v9, v21
	;; [unrolled: 1-line block ×3, first 2 shown]
	v_rcp_f32_e32 v26, v21
	v_add_f32_e32 v24, v22, v23
	v_sub_f32_e32 v22, v22, v24
	v_add_f32_e32 v22, v23, v22
	v_sub_f32_e32 v23, v25, v21
	v_add_f32_e32 v9, v9, v23
	v_mul_f32_e32 v23, v24, v26
	v_mul_f32_e32 v25, v21, v23
	v_fma_f32 v27, v23, v21, -v25
	v_fmac_f32_e32 v27, v23, v9
	v_add_f32_e32 v28, v25, v27
	v_sub_f32_e32 v29, v24, v28
	v_sub_f32_e32 v24, v24, v29
	;; [unrolled: 1-line block ×4, first 2 shown]
	v_add_f32_e32 v22, v22, v24
	v_sub_f32_e32 v24, v25, v27
	v_add_f32_e32 v22, v24, v22
	v_add_f32_e32 v24, v29, v22
	v_mul_f32_e32 v25, v26, v24
	v_mul_f32_e32 v27, v21, v25
	v_fma_f32 v21, v25, v21, -v27
	v_fmac_f32_e32 v21, v25, v9
	v_sub_f32_e32 v9, v29, v24
	v_add_f32_e32 v9, v22, v9
	v_add_f32_e32 v22, v27, v21
	v_sub_f32_e32 v28, v24, v22
	v_sub_f32_e32 v24, v24, v28
	;; [unrolled: 1-line block ×4, first 2 shown]
	v_add_f32_e32 v9, v9, v22
	v_sub_f32_e32 v21, v27, v21
	v_cvt_f32_i32_e32 v8, v8
	v_add_f32_e32 v9, v21, v9
	v_add_f32_e32 v21, v23, v25
	;; [unrolled: 1-line block ×3, first 2 shown]
	v_sub_f32_e32 v22, v21, v23
	v_mul_f32_e32 v9, v26, v9
	v_sub_f32_e32 v22, v25, v22
	v_add_f32_e32 v9, v22, v9
	v_mul_f32_e32 v25, 0x3f317218, v8
	v_add_f32_e32 v22, v21, v9
	v_fma_f32 v26, v8, s40, -v25
	v_mul_f32_e32 v23, v22, v22
	v_mov_b32_e32 v24, 0x3ecc95a3
	v_fmac_f32_e32 v26, 0xb102e308, v8
	v_sub_f32_e32 v8, v22, v21
	v_fmac_f32_e32 v24, 0x3e9b6dac, v23
	v_sub_f32_e32 v8, v9, v8
	v_add_f32_e32 v9, v25, v26
	v_fma_f32 v24, v23, v24, v14
	v_sub_f32_e32 v21, v9, v25
	v_ldexp_f32 v25, v22, 1
	v_mul_f32_e32 v22, v22, v23
	v_mul_f32_e32 v22, v22, v24
	v_add_f32_e32 v23, v25, v22
	v_sub_f32_e32 v24, v23, v25
	v_ldexp_f32 v8, v8, 1
	v_sub_f32_e32 v22, v22, v24
	v_add_f32_e32 v8, v8, v22
	v_add_f32_e32 v22, v23, v8
	v_sub_f32_e32 v23, v22, v23
	v_sub_f32_e32 v8, v8, v23
	v_add_f32_e32 v23, v9, v22
	v_sub_f32_e32 v24, v23, v9
	v_sub_f32_e32 v25, v23, v24
	;; [unrolled: 1-line block ×5, first 2 shown]
	v_add_f32_e32 v9, v22, v9
	v_add_f32_e32 v22, v21, v8
	v_sub_f32_e32 v24, v22, v21
	v_sub_f32_e32 v25, v22, v24
	;; [unrolled: 1-line block ×4, first 2 shown]
	v_add_f32_e32 v9, v22, v9
	v_add_f32_e32 v8, v8, v21
	;; [unrolled: 1-line block ×3, first 2 shown]
	v_sub_f32_e32 v22, v21, v23
	v_sub_f32_e32 v9, v9, v22
	v_add_f32_e32 v8, v8, v9
	v_add_f32_e32 v8, v21, v8
	v_cmp_neq_f32_e32 vcc, s38, v20
	v_cndmask_b32_e32 v8, v15, v8, vcc
	v_cmp_lt_f32_e64 vcc, |v20|, s41
	v_cndmask_b32_e32 v8, v8, v20, vcc
	v_add_f32_e32 v7, v7, v8
	v_cvt_f16_f32_e32 v8, v7
.LBB434_45:                             ;   in Loop: Header=BB434_37 Depth=2
	s_or_b64 exec, exec, s[28:29]
	ds_write_b16 v10, v8
.LBB434_46:                             ;   in Loop: Header=BB434_37 Depth=2
	s_or_b64 exec, exec, s[26:27]
	v_mov_b32_e32 v21, 0
	s_mov_b64 s[26:27], 0
	s_waitcnt lgkmcnt(0)
	s_barrier
	s_branch .LBB434_49
.LBB434_47:                             ;   in Loop: Header=BB434_49 Depth=3
	s_or_b64 exec, exec, s[30:31]
	ds_write_b16 v7, v9
.LBB434_48:                             ;   in Loop: Header=BB434_49 Depth=3
	s_or_b64 exec, exec, s[28:29]
	v_cmp_eq_u32_e32 vcc, s22, v20
	s_or_b64 s[26:27], vcc, s[26:27]
	v_mov_b32_e32 v21, v20
	s_waitcnt lgkmcnt(0)
	s_barrier
	s_andn2_b64 exec, exec, s[26:27]
	s_cbranch_execz .LBB434_56
.LBB434_49:                             ;   Parent Loop BB434_34 Depth=1
                                        ;     Parent Loop BB434_37 Depth=2
                                        ; =>    This Inner Loop Header: Depth=3
	v_add_u32_e32 v20, 1, v21
	s_and_saveexec_b64 s[28:29], s[6:7]
	s_xor_b64 s[28:29], exec, s[28:29]
; %bb.50:                               ;   in Loop: Header=BB434_49 Depth=3
	v_add_u32_e32 v20, 1, v21
                                        ; implicit-def: $vgpr21
; %bb.51:                               ;   in Loop: Header=BB434_49 Depth=3
	s_andn2_saveexec_b64 s[28:29], s[28:29]
	s_cbranch_execz .LBB434_48
; %bb.52:                               ;   in Loop: Header=BB434_49 Depth=3
	v_lshlrev_b32_e64 v7, v21, 1
	v_ashrrev_i32_e32 v8, 31, v7
	v_cmp_ge_u64_e32 vcc, v[0:1], v[7:8]
	v_mov_b32_e32 v9, v1
	v_mov_b32_e32 v8, v0
	s_and_saveexec_b64 s[30:31], vcc
	s_cbranch_execz .LBB434_54
; %bb.53:                               ;   in Loop: Header=BB434_49 Depth=3
	v_cvt_f32_u32_e32 v8, v7
	v_sub_u32_e32 v9, 0, v7
	v_rcp_iflag_f32_e32 v8, v8
	v_mul_f32_e32 v8, 0x4f7ffffe, v8
	v_cvt_u32_f32_e32 v8, v8
	v_mul_lo_u32 v9, v9, v8
	v_mul_hi_u32 v9, v8, v9
	v_add_u32_e32 v8, v8, v9
	v_mul_hi_u32 v8, v0, v8
	v_mul_lo_u32 v8, v8, v7
	v_sub_u32_e32 v8, v0, v8
	v_sub_u32_e32 v9, v8, v7
	v_cmp_ge_u32_e32 vcc, v8, v7
	v_cndmask_b32_e32 v8, v8, v9, vcc
	v_sub_u32_e32 v9, v8, v7
	v_cmp_ge_u32_e32 vcc, v8, v7
	v_cndmask_b32_e32 v8, v8, v9, vcc
.LBB434_54:                             ;   in Loop: Header=BB434_49 Depth=3
	s_or_b64 exec, exec, s[30:31]
	v_lshrrev_b32_e32 v9, v21, v0
	v_lshl_or_b32 v7, v9, v20, v7
	v_lshl_add_u32 v9, v7, 1, v10
	v_lshl_add_u32 v7, v8, 1, v9
	v_add_u32_e32 v8, -2, v9
	ds_read_u16 v9, v7
	ds_read_u16 v8, v8
	s_waitcnt lgkmcnt(1)
	v_cvt_f32_f16_e32 v21, v9
	s_waitcnt lgkmcnt(0)
	v_cvt_f32_f16_e32 v22, v8
	v_cmp_u_f16_e32 vcc, v9, v9
	v_min_f32_e32 v23, v21, v22
	v_max_f32_e32 v24, v21, v22
	v_cndmask_b32_e32 v23, v23, v21, vcc
	v_cndmask_b32_e32 v24, v24, v21, vcc
	v_cmp_u_f16_e32 vcc, v8, v8
	v_cndmask_b32_e32 v21, v23, v22, vcc
	v_cndmask_b32_e32 v8, v24, v22, vcc
	v_cmp_neq_f32_e32 vcc, v21, v8
	v_cmp_class_f32_e64 s[30:31], v21, s34
	s_or_b64 s[42:43], vcc, s[30:31]
	s_and_saveexec_b64 s[30:31], s[42:43]
	s_cbranch_execz .LBB434_47
; %bb.55:                               ;   in Loop: Header=BB434_49 Depth=3
	v_sub_f32_e32 v9, v21, v8
	v_mul_f32_e32 v21, 0x3fb8aa3b, v9
	v_fma_f32 v22, v9, s35, -v21
	v_rndne_f32_e32 v23, v21
	v_fmac_f32_e32 v22, 0x32a5705f, v9
	v_sub_f32_e32 v21, v21, v23
	v_add_f32_e32 v21, v21, v22
	v_cvt_i32_f32_e32 v22, v23
	v_exp_f32_e32 v21, v21
	v_cmp_ngt_f32_e32 vcc, s36, v9
	v_ldexp_f32 v21, v21, v22
	v_cndmask_b32_e32 v21, 0, v21, vcc
	v_cmp_nlt_f32_e32 vcc, s37, v9
	v_cndmask_b32_e32 v9, v15, v21, vcc
	v_add_f32_e32 v23, 1.0, v9
	v_cvt_f64_f32_e32 v[21:22], v23
	v_add_f32_e32 v24, -1.0, v23
	v_sub_f32_e32 v25, v24, v23
	v_sub_f32_e32 v24, v9, v24
	v_frexp_exp_i32_f64_e32 v21, v[21:22]
	v_frexp_mant_f32_e32 v22, v23
	v_cmp_gt_f32_e32 vcc, s39, v22
	v_add_f32_e32 v25, 1.0, v25
	v_add_f32_e32 v24, v24, v25
	v_subbrev_co_u32_e32 v21, vcc, 0, v21, vcc
	v_sub_u32_e32 v22, 0, v21
	v_ldexp_f32 v23, v23, v22
	v_ldexp_f32 v22, v24, v22
	v_add_f32_e32 v24, -1.0, v23
	v_add_f32_e32 v27, 1.0, v23
	v_add_f32_e32 v25, 1.0, v24
	v_add_f32_e32 v28, -1.0, v27
	v_sub_f32_e32 v25, v23, v25
	v_sub_f32_e32 v23, v23, v28
	v_add_f32_e32 v25, v22, v25
	v_add_f32_e32 v22, v22, v23
	v_add_f32_e32 v23, v27, v22
	v_rcp_f32_e32 v28, v23
	v_add_f32_e32 v26, v24, v25
	v_sub_f32_e32 v24, v24, v26
	v_add_f32_e32 v24, v25, v24
	v_sub_f32_e32 v25, v27, v23
	v_add_f32_e32 v22, v22, v25
	v_mul_f32_e32 v25, v26, v28
	v_mul_f32_e32 v27, v23, v25
	v_fma_f32 v29, v25, v23, -v27
	v_fmac_f32_e32 v29, v25, v22
	v_add_f32_e32 v30, v27, v29
	v_sub_f32_e32 v31, v26, v30
	v_sub_f32_e32 v26, v26, v31
	;; [unrolled: 1-line block ×4, first 2 shown]
	v_add_f32_e32 v24, v24, v26
	v_sub_f32_e32 v26, v27, v29
	v_add_f32_e32 v24, v26, v24
	v_add_f32_e32 v26, v31, v24
	v_mul_f32_e32 v27, v28, v26
	v_mul_f32_e32 v29, v23, v27
	v_fma_f32 v23, v27, v23, -v29
	v_fmac_f32_e32 v23, v27, v22
	v_sub_f32_e32 v22, v31, v26
	v_add_f32_e32 v22, v24, v22
	v_add_f32_e32 v24, v29, v23
	v_sub_f32_e32 v30, v26, v24
	v_sub_f32_e32 v26, v26, v30
	;; [unrolled: 1-line block ×4, first 2 shown]
	v_add_f32_e32 v22, v22, v24
	v_sub_f32_e32 v23, v29, v23
	v_cvt_f32_i32_e32 v21, v21
	v_add_f32_e32 v22, v23, v22
	v_add_f32_e32 v23, v25, v27
	;; [unrolled: 1-line block ×3, first 2 shown]
	v_sub_f32_e32 v24, v23, v25
	v_mul_f32_e32 v22, v28, v22
	v_sub_f32_e32 v24, v27, v24
	v_add_f32_e32 v22, v24, v22
	v_mul_f32_e32 v27, 0x3f317218, v21
	v_add_f32_e32 v24, v23, v22
	v_fma_f32 v28, v21, s40, -v27
	v_mul_f32_e32 v25, v24, v24
	v_mov_b32_e32 v26, 0x3ecc95a3
	v_fmac_f32_e32 v28, 0xb102e308, v21
	v_sub_f32_e32 v21, v24, v23
	v_fmac_f32_e32 v26, 0x3e9b6dac, v25
	v_sub_f32_e32 v21, v22, v21
	v_add_f32_e32 v22, v27, v28
	v_fma_f32 v26, v25, v26, v14
	v_sub_f32_e32 v23, v22, v27
	v_ldexp_f32 v27, v24, 1
	v_mul_f32_e32 v24, v24, v25
	v_mul_f32_e32 v24, v24, v26
	v_add_f32_e32 v25, v27, v24
	v_sub_f32_e32 v26, v25, v27
	v_ldexp_f32 v21, v21, 1
	v_sub_f32_e32 v24, v24, v26
	v_add_f32_e32 v21, v21, v24
	v_add_f32_e32 v24, v25, v21
	v_sub_f32_e32 v25, v24, v25
	v_sub_f32_e32 v21, v21, v25
	v_add_f32_e32 v25, v22, v24
	v_sub_f32_e32 v26, v25, v22
	v_sub_f32_e32 v27, v25, v26
	;; [unrolled: 1-line block ×5, first 2 shown]
	v_add_f32_e32 v22, v24, v22
	v_add_f32_e32 v24, v23, v21
	v_sub_f32_e32 v26, v24, v23
	v_sub_f32_e32 v27, v24, v26
	;; [unrolled: 1-line block ×4, first 2 shown]
	v_add_f32_e32 v22, v24, v22
	v_add_f32_e32 v21, v21, v23
	;; [unrolled: 1-line block ×3, first 2 shown]
	v_sub_f32_e32 v24, v23, v25
	v_sub_f32_e32 v22, v22, v24
	v_add_f32_e32 v21, v21, v22
	v_add_f32_e32 v21, v23, v21
	v_cmp_neq_f32_e32 vcc, s38, v9
	v_cndmask_b32_e32 v21, v15, v21, vcc
	v_cmp_lt_f32_e64 vcc, |v9|, s41
	v_cndmask_b32_e32 v9, v21, v9, vcc
	v_add_f32_e32 v8, v8, v9
	v_cvt_f16_f32_e32 v9, v8
	s_branch .LBB434_47
.LBB434_56:                             ;   in Loop: Header=BB434_37 Depth=2
	s_or_b64 exec, exec, s[26:27]
	s_and_saveexec_b64 s[26:27], s[4:5]
	s_cbranch_execz .LBB434_36
; %bb.57:                               ;   in Loop: Header=BB434_37 Depth=2
	v_cmp_gt_u64_e32 vcc, s[14:15], v[5:6]
	s_and_saveexec_b64 s[28:29], vcc
	s_cbranch_execz .LBB434_59
; %bb.58:                               ;   in Loop: Header=BB434_37 Depth=2
	ds_read_u16 v7, v11
	v_lshlrev_b64 v[5:6], 1, v[5:6]
	v_add_co_u32_e32 v5, vcc, v18, v5
	v_addc_co_u32_e32 v6, vcc, v19, v6, vcc
	s_waitcnt lgkmcnt(0)
	global_store_short v[5:6], v7, off
.LBB434_59:                             ;   in Loop: Header=BB434_37 Depth=2
	s_or_b64 exec, exec, s[28:29]
	v_cmp_gt_u64_e32 vcc, s[14:15], v[3:4]
	s_and_b64 exec, exec, vcc
	s_cbranch_execz .LBB434_36
; %bb.60:                               ;   in Loop: Header=BB434_37 Depth=2
	ds_read_u16 v5, v12
	v_lshlrev_b64 v[3:4], 1, v[3:4]
	v_add_co_u32_e32 v3, vcc, v18, v3
	v_addc_co_u32_e32 v4, vcc, v19, v4, vcc
	s_waitcnt lgkmcnt(0)
	global_store_short v[3:4], v5, off
	s_branch .LBB434_36
.LBB434_61:
	s_endpgm
	.section	.rodata,"a",@progbits
	.p2align	6, 0x0
	.amdhsa_kernel _ZN2at6native32tensor_kernel_scan_innermost_dimIN3c104HalfEZZZNS0_31launch_logcumsumexp_cuda_kernelERKNS_10TensorBaseES6_lENKUlvE_clEvENKUlvE3_clEvEUlS3_S3_E_EEvPT_PKSA_jjjSA_T0_
		.amdhsa_group_segment_fixed_size 0
		.amdhsa_private_segment_fixed_size 0
		.amdhsa_kernarg_size 288
		.amdhsa_user_sgpr_count 6
		.amdhsa_user_sgpr_private_segment_buffer 1
		.amdhsa_user_sgpr_dispatch_ptr 0
		.amdhsa_user_sgpr_queue_ptr 0
		.amdhsa_user_sgpr_kernarg_segment_ptr 1
		.amdhsa_user_sgpr_dispatch_id 0
		.amdhsa_user_sgpr_flat_scratch_init 0
		.amdhsa_user_sgpr_private_segment_size 0
		.amdhsa_uses_dynamic_stack 0
		.amdhsa_system_sgpr_private_segment_wavefront_offset 0
		.amdhsa_system_sgpr_workgroup_id_x 1
		.amdhsa_system_sgpr_workgroup_id_y 0
		.amdhsa_system_sgpr_workgroup_id_z 0
		.amdhsa_system_sgpr_workgroup_info 0
		.amdhsa_system_vgpr_workitem_id 1
		.amdhsa_next_free_vgpr 32
		.amdhsa_next_free_sgpr 44
		.amdhsa_reserve_vcc 1
		.amdhsa_reserve_flat_scratch 0
		.amdhsa_float_round_mode_32 0
		.amdhsa_float_round_mode_16_64 0
		.amdhsa_float_denorm_mode_32 3
		.amdhsa_float_denorm_mode_16_64 3
		.amdhsa_dx10_clamp 1
		.amdhsa_ieee_mode 1
		.amdhsa_fp16_overflow 0
		.amdhsa_exception_fp_ieee_invalid_op 0
		.amdhsa_exception_fp_denorm_src 0
		.amdhsa_exception_fp_ieee_div_zero 0
		.amdhsa_exception_fp_ieee_overflow 0
		.amdhsa_exception_fp_ieee_underflow 0
		.amdhsa_exception_fp_ieee_inexact 0
		.amdhsa_exception_int_div_zero 0
	.end_amdhsa_kernel
	.section	.text._ZN2at6native32tensor_kernel_scan_innermost_dimIN3c104HalfEZZZNS0_31launch_logcumsumexp_cuda_kernelERKNS_10TensorBaseES6_lENKUlvE_clEvENKUlvE3_clEvEUlS3_S3_E_EEvPT_PKSA_jjjSA_T0_,"axG",@progbits,_ZN2at6native32tensor_kernel_scan_innermost_dimIN3c104HalfEZZZNS0_31launch_logcumsumexp_cuda_kernelERKNS_10TensorBaseES6_lENKUlvE_clEvENKUlvE3_clEvEUlS3_S3_E_EEvPT_PKSA_jjjSA_T0_,comdat
.Lfunc_end434:
	.size	_ZN2at6native32tensor_kernel_scan_innermost_dimIN3c104HalfEZZZNS0_31launch_logcumsumexp_cuda_kernelERKNS_10TensorBaseES6_lENKUlvE_clEvENKUlvE3_clEvEUlS3_S3_E_EEvPT_PKSA_jjjSA_T0_, .Lfunc_end434-_ZN2at6native32tensor_kernel_scan_innermost_dimIN3c104HalfEZZZNS0_31launch_logcumsumexp_cuda_kernelERKNS_10TensorBaseES6_lENKUlvE_clEvENKUlvE3_clEvEUlS3_S3_E_EEvPT_PKSA_jjjSA_T0_
                                        ; -- End function
	.set _ZN2at6native32tensor_kernel_scan_innermost_dimIN3c104HalfEZZZNS0_31launch_logcumsumexp_cuda_kernelERKNS_10TensorBaseES6_lENKUlvE_clEvENKUlvE3_clEvEUlS3_S3_E_EEvPT_PKSA_jjjSA_T0_.num_vgpr, 32
	.set _ZN2at6native32tensor_kernel_scan_innermost_dimIN3c104HalfEZZZNS0_31launch_logcumsumexp_cuda_kernelERKNS_10TensorBaseES6_lENKUlvE_clEvENKUlvE3_clEvEUlS3_S3_E_EEvPT_PKSA_jjjSA_T0_.num_agpr, 0
	.set _ZN2at6native32tensor_kernel_scan_innermost_dimIN3c104HalfEZZZNS0_31launch_logcumsumexp_cuda_kernelERKNS_10TensorBaseES6_lENKUlvE_clEvENKUlvE3_clEvEUlS3_S3_E_EEvPT_PKSA_jjjSA_T0_.numbered_sgpr, 44
	.set _ZN2at6native32tensor_kernel_scan_innermost_dimIN3c104HalfEZZZNS0_31launch_logcumsumexp_cuda_kernelERKNS_10TensorBaseES6_lENKUlvE_clEvENKUlvE3_clEvEUlS3_S3_E_EEvPT_PKSA_jjjSA_T0_.num_named_barrier, 0
	.set _ZN2at6native32tensor_kernel_scan_innermost_dimIN3c104HalfEZZZNS0_31launch_logcumsumexp_cuda_kernelERKNS_10TensorBaseES6_lENKUlvE_clEvENKUlvE3_clEvEUlS3_S3_E_EEvPT_PKSA_jjjSA_T0_.private_seg_size, 0
	.set _ZN2at6native32tensor_kernel_scan_innermost_dimIN3c104HalfEZZZNS0_31launch_logcumsumexp_cuda_kernelERKNS_10TensorBaseES6_lENKUlvE_clEvENKUlvE3_clEvEUlS3_S3_E_EEvPT_PKSA_jjjSA_T0_.uses_vcc, 1
	.set _ZN2at6native32tensor_kernel_scan_innermost_dimIN3c104HalfEZZZNS0_31launch_logcumsumexp_cuda_kernelERKNS_10TensorBaseES6_lENKUlvE_clEvENKUlvE3_clEvEUlS3_S3_E_EEvPT_PKSA_jjjSA_T0_.uses_flat_scratch, 0
	.set _ZN2at6native32tensor_kernel_scan_innermost_dimIN3c104HalfEZZZNS0_31launch_logcumsumexp_cuda_kernelERKNS_10TensorBaseES6_lENKUlvE_clEvENKUlvE3_clEvEUlS3_S3_E_EEvPT_PKSA_jjjSA_T0_.has_dyn_sized_stack, 0
	.set _ZN2at6native32tensor_kernel_scan_innermost_dimIN3c104HalfEZZZNS0_31launch_logcumsumexp_cuda_kernelERKNS_10TensorBaseES6_lENKUlvE_clEvENKUlvE3_clEvEUlS3_S3_E_EEvPT_PKSA_jjjSA_T0_.has_recursion, 0
	.set _ZN2at6native32tensor_kernel_scan_innermost_dimIN3c104HalfEZZZNS0_31launch_logcumsumexp_cuda_kernelERKNS_10TensorBaseES6_lENKUlvE_clEvENKUlvE3_clEvEUlS3_S3_E_EEvPT_PKSA_jjjSA_T0_.has_indirect_call, 0
	.section	.AMDGPU.csdata,"",@progbits
; Kernel info:
; codeLenInByte = 4540
; TotalNumSgprs: 48
; NumVgprs: 32
; ScratchSize: 0
; MemoryBound: 0
; FloatMode: 240
; IeeeMode: 1
; LDSByteSize: 0 bytes/workgroup (compile time only)
; SGPRBlocks: 5
; VGPRBlocks: 7
; NumSGPRsForWavesPerEU: 48
; NumVGPRsForWavesPerEU: 32
; Occupancy: 8
; WaveLimiterHint : 0
; COMPUTE_PGM_RSRC2:SCRATCH_EN: 0
; COMPUTE_PGM_RSRC2:USER_SGPR: 6
; COMPUTE_PGM_RSRC2:TRAP_HANDLER: 0
; COMPUTE_PGM_RSRC2:TGID_X_EN: 1
; COMPUTE_PGM_RSRC2:TGID_Y_EN: 0
; COMPUTE_PGM_RSRC2:TGID_Z_EN: 0
; COMPUTE_PGM_RSRC2:TIDIG_COMP_CNT: 1
	.section	.text._ZN2at6native28tensor_kernel_scan_outer_dimIN3c104HalfEjZZZNS0_31launch_logcumsumexp_cuda_kernelERKNS_10TensorBaseES6_lENKUlvE_clEvENKUlvE3_clEvEUlS3_S3_E_EEvPT_PKSA_jjjSA_T1_,"axG",@progbits,_ZN2at6native28tensor_kernel_scan_outer_dimIN3c104HalfEjZZZNS0_31launch_logcumsumexp_cuda_kernelERKNS_10TensorBaseES6_lENKUlvE_clEvENKUlvE3_clEvEUlS3_S3_E_EEvPT_PKSA_jjjSA_T1_,comdat
	.globl	_ZN2at6native28tensor_kernel_scan_outer_dimIN3c104HalfEjZZZNS0_31launch_logcumsumexp_cuda_kernelERKNS_10TensorBaseES6_lENKUlvE_clEvENKUlvE3_clEvEUlS3_S3_E_EEvPT_PKSA_jjjSA_T1_ ; -- Begin function _ZN2at6native28tensor_kernel_scan_outer_dimIN3c104HalfEjZZZNS0_31launch_logcumsumexp_cuda_kernelERKNS_10TensorBaseES6_lENKUlvE_clEvENKUlvE3_clEvEUlS3_S3_E_EEvPT_PKSA_jjjSA_T1_
	.p2align	8
	.type	_ZN2at6native28tensor_kernel_scan_outer_dimIN3c104HalfEjZZZNS0_31launch_logcumsumexp_cuda_kernelERKNS_10TensorBaseES6_lENKUlvE_clEvENKUlvE3_clEvEUlS3_S3_E_EEvPT_PKSA_jjjSA_T1_,@function
_ZN2at6native28tensor_kernel_scan_outer_dimIN3c104HalfEjZZZNS0_31launch_logcumsumexp_cuda_kernelERKNS_10TensorBaseES6_lENKUlvE_clEvENKUlvE3_clEvEUlS3_S3_E_EEvPT_PKSA_jjjSA_T1_: ; @_ZN2at6native28tensor_kernel_scan_outer_dimIN3c104HalfEjZZZNS0_31launch_logcumsumexp_cuda_kernelERKNS_10TensorBaseES6_lENKUlvE_clEvENKUlvE3_clEvEUlS3_S3_E_EEvPT_PKSA_jjjSA_T1_
; %bb.0:
	s_load_dwordx4 s[8:11], s[4:5], 0x10
	s_waitcnt lgkmcnt(0)
	s_cmp_ge_u32 s6, s8
	s_cbranch_scc1 .LBB435_11
; %bb.1:
	s_load_dword s0, s[4:5], 0x2c
	s_load_dwordx4 s[12:15], s[4:5], 0x0
	s_load_dword s28, s[4:5], 0x20
	s_add_u32 s4, s4, 32
	s_addc_u32 s5, s5, 0
	s_waitcnt lgkmcnt(0)
	s_and_b32 s29, s0, 0xffff
	s_mul_i32 s7, s7, s29
	s_cmp_lg_u32 s10, 0
	v_add_u32_e32 v2, s7, v0
	s_cselect_b64 s[2:3], -1, 0
	s_mul_i32 s7, s6, s10
	s_mov_b32 s17, 0
	s_mov_b32 s16, s9
	s_mul_i32 s20, s7, s9
	s_mul_i32 s7, s28, s10
	v_cndmask_b32_e64 v0, 0, 1, s[2:3]
	v_cmp_gt_u32_e64 s[0:1], s9, v2
	s_mul_i32 s7, s7, s9
	s_lshl_b64 s[18:19], s[16:17], 1
	v_cmp_ne_u32_e64 s[2:3], 1, v0
	v_mov_b32_e32 v1, 0
	s_movk_i32 s30, 0x1f8
	s_mov_b32 s31, 0x3fb8aa3b
	s_mov_b32 s33, 0xc2ce8ed0
	;; [unrolled: 1-line block ×5, first 2 shown]
	v_mov_b32_e32 v3, 0x3f2aaada
	s_mov_b32 s37, 0x3f317218
	s_mov_b32 s38, 0x33800000
	v_mov_b32_e32 v4, 0x7f800000
	s_mov_b32 s16, s20
	s_branch .LBB435_3
.LBB435_2:                              ;   in Loop: Header=BB435_3 Depth=1
	s_or_b64 exec, exec, s[20:21]
	s_add_i32 s6, s28, s6
	s_add_i32 s16, s16, s7
	s_cmp_ge_u32 s6, s8
	s_cbranch_scc1 .LBB435_11
.LBB435_3:                              ; =>This Loop Header: Depth=1
                                        ;     Child Loop BB435_6 Depth 2
                                        ;       Child Loop BB435_9 Depth 3
	s_and_saveexec_b64 s[20:21], s[0:1]
	s_cbranch_execz .LBB435_2
; %bb.4:                                ;   in Loop: Header=BB435_3 Depth=1
	s_load_dword s39, s[4:5], 0x4
	s_lshl_b64 s[22:23], s[16:17], 1
	s_mov_b64 s[24:25], 0
	v_mov_b32_e32 v0, v2
	s_waitcnt lgkmcnt(0)
	s_mul_i32 s39, s39, s29
	s_branch .LBB435_6
.LBB435_5:                              ;   in Loop: Header=BB435_6 Depth=2
	v_add_u32_e32 v0, s39, v0
	v_cmp_le_u32_e32 vcc, s9, v0
	s_or_b64 s[24:25], vcc, s[24:25]
	s_andn2_b64 exec, exec, s[24:25]
	s_cbranch_execz .LBB435_2
.LBB435_6:                              ;   Parent Loop BB435_3 Depth=1
                                        ; =>  This Loop Header: Depth=2
                                        ;       Child Loop BB435_9 Depth 3
	s_and_b64 vcc, exec, s[2:3]
	s_cbranch_vccnz .LBB435_5
; %bb.7:                                ;   in Loop: Header=BB435_6 Depth=2
	v_lshlrev_b64 v[5:6], 1, v[0:1]
	v_mov_b32_e32 v7, s23
	v_add_co_u32_e32 v5, vcc, s22, v5
	v_addc_co_u32_e32 v6, vcc, v7, v6, vcc
	v_mov_b32_e32 v8, s11
	s_mov_b32 s40, s10
	s_branch .LBB435_9
.LBB435_8:                              ;   in Loop: Header=BB435_9 Depth=3
	s_or_b64 exec, exec, s[26:27]
	v_mov_b32_e32 v7, s13
	v_add_co_u32_e32 v9, vcc, s12, v5
	v_addc_co_u32_e32 v10, vcc, v7, v6, vcc
	s_add_i32 s40, s40, -1
	v_mov_b32_e32 v7, s19
	v_add_co_u32_e32 v5, vcc, s18, v5
	s_cmp_eq_u32 s40, 0
	v_addc_co_u32_e32 v6, vcc, v6, v7, vcc
	global_store_short v[9:10], v8, off
	s_cbranch_scc1 .LBB435_5
.LBB435_9:                              ;   Parent Loop BB435_3 Depth=1
                                        ;     Parent Loop BB435_6 Depth=2
                                        ; =>    This Inner Loop Header: Depth=3
	v_mov_b32_e32 v7, s15
	v_add_co_u32_e32 v9, vcc, s14, v5
	v_addc_co_u32_e32 v10, vcc, v7, v6, vcc
	global_load_ushort v7, v[9:10], off
	v_cvt_f32_f16_e32 v9, v8
	v_cmp_u_f16_e32 vcc, v8, v8
	s_waitcnt vmcnt(0)
	v_cvt_f32_f16_e32 v10, v7
	v_min_f32_e32 v11, v9, v10
	v_max_f32_e32 v12, v9, v10
	v_cndmask_b32_e32 v11, v11, v9, vcc
	v_cndmask_b32_e32 v12, v12, v9, vcc
	v_cmp_u_f16_e32 vcc, v7, v7
	v_cndmask_b32_e32 v9, v11, v10, vcc
	v_cndmask_b32_e32 v7, v12, v10, vcc
	v_cmp_neq_f32_e32 vcc, v9, v7
	v_cmp_class_f32_e64 s[26:27], v9, s30
	s_or_b64 s[42:43], vcc, s[26:27]
	s_and_saveexec_b64 s[26:27], s[42:43]
	s_cbranch_execz .LBB435_8
; %bb.10:                               ;   in Loop: Header=BB435_9 Depth=3
	v_sub_f32_e32 v8, v9, v7
	v_mul_f32_e32 v9, 0x3fb8aa3b, v8
	v_fma_f32 v10, v8, s31, -v9
	v_rndne_f32_e32 v11, v9
	v_fmac_f32_e32 v10, 0x32a5705f, v8
	v_sub_f32_e32 v9, v9, v11
	v_add_f32_e32 v9, v9, v10
	v_cvt_i32_f32_e32 v10, v11
	v_exp_f32_e32 v9, v9
	v_cmp_ngt_f32_e32 vcc, s33, v8
	v_ldexp_f32 v9, v9, v10
	v_cndmask_b32_e32 v9, 0, v9, vcc
	v_cmp_nlt_f32_e32 vcc, s34, v8
	v_cndmask_b32_e32 v10, v4, v9, vcc
	v_add_f32_e32 v11, 1.0, v10
	v_cvt_f64_f32_e32 v[8:9], v11
	v_add_f32_e32 v12, -1.0, v11
	v_sub_f32_e32 v13, v12, v11
	v_sub_f32_e32 v12, v10, v12
	v_frexp_exp_i32_f64_e32 v8, v[8:9]
	v_frexp_mant_f32_e32 v9, v11
	v_cmp_gt_f32_e32 vcc, s36, v9
	v_add_f32_e32 v13, 1.0, v13
	v_add_f32_e32 v12, v12, v13
	v_subbrev_co_u32_e32 v8, vcc, 0, v8, vcc
	v_sub_u32_e32 v9, 0, v8
	v_ldexp_f32 v11, v11, v9
	v_ldexp_f32 v9, v12, v9
	v_add_f32_e32 v12, -1.0, v11
	v_add_f32_e32 v15, 1.0, v11
	v_add_f32_e32 v13, 1.0, v12
	v_add_f32_e32 v16, -1.0, v15
	v_sub_f32_e32 v13, v11, v13
	v_sub_f32_e32 v11, v11, v16
	v_add_f32_e32 v13, v9, v13
	v_add_f32_e32 v9, v9, v11
	;; [unrolled: 1-line block ×3, first 2 shown]
	v_rcp_f32_e32 v16, v11
	v_add_f32_e32 v14, v12, v13
	v_sub_f32_e32 v12, v12, v14
	v_add_f32_e32 v12, v13, v12
	v_sub_f32_e32 v13, v15, v11
	v_add_f32_e32 v9, v9, v13
	v_mul_f32_e32 v13, v14, v16
	v_mul_f32_e32 v15, v11, v13
	v_fma_f32 v17, v13, v11, -v15
	v_fmac_f32_e32 v17, v13, v9
	v_add_f32_e32 v18, v15, v17
	v_sub_f32_e32 v19, v14, v18
	v_sub_f32_e32 v14, v14, v19
	;; [unrolled: 1-line block ×4, first 2 shown]
	v_add_f32_e32 v12, v12, v14
	v_sub_f32_e32 v14, v15, v17
	v_add_f32_e32 v12, v14, v12
	v_add_f32_e32 v14, v19, v12
	v_mul_f32_e32 v15, v16, v14
	v_mul_f32_e32 v17, v11, v15
	v_fma_f32 v11, v15, v11, -v17
	v_fmac_f32_e32 v11, v15, v9
	v_sub_f32_e32 v9, v19, v14
	v_add_f32_e32 v9, v12, v9
	v_add_f32_e32 v12, v17, v11
	v_sub_f32_e32 v18, v14, v12
	v_sub_f32_e32 v14, v14, v18
	;; [unrolled: 1-line block ×4, first 2 shown]
	v_add_f32_e32 v9, v9, v12
	v_sub_f32_e32 v11, v17, v11
	v_cvt_f32_i32_e32 v8, v8
	v_add_f32_e32 v9, v11, v9
	v_add_f32_e32 v11, v13, v15
	;; [unrolled: 1-line block ×3, first 2 shown]
	v_sub_f32_e32 v12, v11, v13
	v_mul_f32_e32 v9, v16, v9
	v_sub_f32_e32 v12, v15, v12
	v_add_f32_e32 v9, v12, v9
	v_mul_f32_e32 v15, 0x3f317218, v8
	v_add_f32_e32 v12, v11, v9
	v_fma_f32 v16, v8, s37, -v15
	v_mul_f32_e32 v13, v12, v12
	v_mov_b32_e32 v14, 0x3ecc95a3
	v_fmac_f32_e32 v16, 0xb102e308, v8
	v_sub_f32_e32 v8, v12, v11
	v_fmac_f32_e32 v14, 0x3e9b6dac, v13
	v_sub_f32_e32 v8, v9, v8
	v_add_f32_e32 v9, v15, v16
	v_fma_f32 v14, v13, v14, v3
	v_sub_f32_e32 v11, v9, v15
	v_ldexp_f32 v15, v12, 1
	v_mul_f32_e32 v12, v12, v13
	v_mul_f32_e32 v12, v12, v14
	v_add_f32_e32 v13, v15, v12
	v_sub_f32_e32 v14, v13, v15
	v_ldexp_f32 v8, v8, 1
	v_sub_f32_e32 v12, v12, v14
	v_add_f32_e32 v8, v8, v12
	v_add_f32_e32 v12, v13, v8
	v_sub_f32_e32 v13, v12, v13
	v_sub_f32_e32 v8, v8, v13
	v_add_f32_e32 v13, v9, v12
	v_sub_f32_e32 v14, v13, v9
	v_sub_f32_e32 v15, v13, v14
	;; [unrolled: 1-line block ×5, first 2 shown]
	v_add_f32_e32 v9, v12, v9
	v_add_f32_e32 v12, v11, v8
	v_sub_f32_e32 v14, v12, v11
	v_sub_f32_e32 v15, v12, v14
	;; [unrolled: 1-line block ×4, first 2 shown]
	v_add_f32_e32 v9, v12, v9
	v_add_f32_e32 v8, v8, v11
	v_add_f32_e32 v11, v13, v9
	v_sub_f32_e32 v12, v11, v13
	v_sub_f32_e32 v9, v9, v12
	v_add_f32_e32 v8, v8, v9
	v_add_f32_e32 v8, v11, v8
	v_cmp_neq_f32_e32 vcc, s35, v10
	v_cndmask_b32_e32 v8, v4, v8, vcc
	v_cmp_lt_f32_e64 vcc, |v10|, s38
	v_cndmask_b32_e32 v8, v8, v10, vcc
	v_add_f32_e32 v7, v7, v8
	v_cvt_f16_f32_e32 v8, v7
	s_branch .LBB435_8
.LBB435_11:
	s_endpgm
	.section	.rodata,"a",@progbits
	.p2align	6, 0x0
	.amdhsa_kernel _ZN2at6native28tensor_kernel_scan_outer_dimIN3c104HalfEjZZZNS0_31launch_logcumsumexp_cuda_kernelERKNS_10TensorBaseES6_lENKUlvE_clEvENKUlvE3_clEvEUlS3_S3_E_EEvPT_PKSA_jjjSA_T1_
		.amdhsa_group_segment_fixed_size 0
		.amdhsa_private_segment_fixed_size 0
		.amdhsa_kernarg_size 288
		.amdhsa_user_sgpr_count 6
		.amdhsa_user_sgpr_private_segment_buffer 1
		.amdhsa_user_sgpr_dispatch_ptr 0
		.amdhsa_user_sgpr_queue_ptr 0
		.amdhsa_user_sgpr_kernarg_segment_ptr 1
		.amdhsa_user_sgpr_dispatch_id 0
		.amdhsa_user_sgpr_flat_scratch_init 0
		.amdhsa_user_sgpr_private_segment_size 0
		.amdhsa_uses_dynamic_stack 0
		.amdhsa_system_sgpr_private_segment_wavefront_offset 0
		.amdhsa_system_sgpr_workgroup_id_x 1
		.amdhsa_system_sgpr_workgroup_id_y 1
		.amdhsa_system_sgpr_workgroup_id_z 0
		.amdhsa_system_sgpr_workgroup_info 0
		.amdhsa_system_vgpr_workitem_id 0
		.amdhsa_next_free_vgpr 20
		.amdhsa_next_free_sgpr 44
		.amdhsa_reserve_vcc 1
		.amdhsa_reserve_flat_scratch 0
		.amdhsa_float_round_mode_32 0
		.amdhsa_float_round_mode_16_64 0
		.amdhsa_float_denorm_mode_32 3
		.amdhsa_float_denorm_mode_16_64 3
		.amdhsa_dx10_clamp 1
		.amdhsa_ieee_mode 1
		.amdhsa_fp16_overflow 0
		.amdhsa_exception_fp_ieee_invalid_op 0
		.amdhsa_exception_fp_denorm_src 0
		.amdhsa_exception_fp_ieee_div_zero 0
		.amdhsa_exception_fp_ieee_overflow 0
		.amdhsa_exception_fp_ieee_underflow 0
		.amdhsa_exception_fp_ieee_inexact 0
		.amdhsa_exception_int_div_zero 0
	.end_amdhsa_kernel
	.section	.text._ZN2at6native28tensor_kernel_scan_outer_dimIN3c104HalfEjZZZNS0_31launch_logcumsumexp_cuda_kernelERKNS_10TensorBaseES6_lENKUlvE_clEvENKUlvE3_clEvEUlS3_S3_E_EEvPT_PKSA_jjjSA_T1_,"axG",@progbits,_ZN2at6native28tensor_kernel_scan_outer_dimIN3c104HalfEjZZZNS0_31launch_logcumsumexp_cuda_kernelERKNS_10TensorBaseES6_lENKUlvE_clEvENKUlvE3_clEvEUlS3_S3_E_EEvPT_PKSA_jjjSA_T1_,comdat
.Lfunc_end435:
	.size	_ZN2at6native28tensor_kernel_scan_outer_dimIN3c104HalfEjZZZNS0_31launch_logcumsumexp_cuda_kernelERKNS_10TensorBaseES6_lENKUlvE_clEvENKUlvE3_clEvEUlS3_S3_E_EEvPT_PKSA_jjjSA_T1_, .Lfunc_end435-_ZN2at6native28tensor_kernel_scan_outer_dimIN3c104HalfEjZZZNS0_31launch_logcumsumexp_cuda_kernelERKNS_10TensorBaseES6_lENKUlvE_clEvENKUlvE3_clEvEUlS3_S3_E_EEvPT_PKSA_jjjSA_T1_
                                        ; -- End function
	.set _ZN2at6native28tensor_kernel_scan_outer_dimIN3c104HalfEjZZZNS0_31launch_logcumsumexp_cuda_kernelERKNS_10TensorBaseES6_lENKUlvE_clEvENKUlvE3_clEvEUlS3_S3_E_EEvPT_PKSA_jjjSA_T1_.num_vgpr, 20
	.set _ZN2at6native28tensor_kernel_scan_outer_dimIN3c104HalfEjZZZNS0_31launch_logcumsumexp_cuda_kernelERKNS_10TensorBaseES6_lENKUlvE_clEvENKUlvE3_clEvEUlS3_S3_E_EEvPT_PKSA_jjjSA_T1_.num_agpr, 0
	.set _ZN2at6native28tensor_kernel_scan_outer_dimIN3c104HalfEjZZZNS0_31launch_logcumsumexp_cuda_kernelERKNS_10TensorBaseES6_lENKUlvE_clEvENKUlvE3_clEvEUlS3_S3_E_EEvPT_PKSA_jjjSA_T1_.numbered_sgpr, 44
	.set _ZN2at6native28tensor_kernel_scan_outer_dimIN3c104HalfEjZZZNS0_31launch_logcumsumexp_cuda_kernelERKNS_10TensorBaseES6_lENKUlvE_clEvENKUlvE3_clEvEUlS3_S3_E_EEvPT_PKSA_jjjSA_T1_.num_named_barrier, 0
	.set _ZN2at6native28tensor_kernel_scan_outer_dimIN3c104HalfEjZZZNS0_31launch_logcumsumexp_cuda_kernelERKNS_10TensorBaseES6_lENKUlvE_clEvENKUlvE3_clEvEUlS3_S3_E_EEvPT_PKSA_jjjSA_T1_.private_seg_size, 0
	.set _ZN2at6native28tensor_kernel_scan_outer_dimIN3c104HalfEjZZZNS0_31launch_logcumsumexp_cuda_kernelERKNS_10TensorBaseES6_lENKUlvE_clEvENKUlvE3_clEvEUlS3_S3_E_EEvPT_PKSA_jjjSA_T1_.uses_vcc, 1
	.set _ZN2at6native28tensor_kernel_scan_outer_dimIN3c104HalfEjZZZNS0_31launch_logcumsumexp_cuda_kernelERKNS_10TensorBaseES6_lENKUlvE_clEvENKUlvE3_clEvEUlS3_S3_E_EEvPT_PKSA_jjjSA_T1_.uses_flat_scratch, 0
	.set _ZN2at6native28tensor_kernel_scan_outer_dimIN3c104HalfEjZZZNS0_31launch_logcumsumexp_cuda_kernelERKNS_10TensorBaseES6_lENKUlvE_clEvENKUlvE3_clEvEUlS3_S3_E_EEvPT_PKSA_jjjSA_T1_.has_dyn_sized_stack, 0
	.set _ZN2at6native28tensor_kernel_scan_outer_dimIN3c104HalfEjZZZNS0_31launch_logcumsumexp_cuda_kernelERKNS_10TensorBaseES6_lENKUlvE_clEvENKUlvE3_clEvEUlS3_S3_E_EEvPT_PKSA_jjjSA_T1_.has_recursion, 0
	.set _ZN2at6native28tensor_kernel_scan_outer_dimIN3c104HalfEjZZZNS0_31launch_logcumsumexp_cuda_kernelERKNS_10TensorBaseES6_lENKUlvE_clEvENKUlvE3_clEvEUlS3_S3_E_EEvPT_PKSA_jjjSA_T1_.has_indirect_call, 0
	.section	.AMDGPU.csdata,"",@progbits
; Kernel info:
; codeLenInByte = 1052
; TotalNumSgprs: 48
; NumVgprs: 20
; ScratchSize: 0
; MemoryBound: 0
; FloatMode: 240
; IeeeMode: 1
; LDSByteSize: 0 bytes/workgroup (compile time only)
; SGPRBlocks: 5
; VGPRBlocks: 4
; NumSGPRsForWavesPerEU: 48
; NumVGPRsForWavesPerEU: 20
; Occupancy: 10
; WaveLimiterHint : 0
; COMPUTE_PGM_RSRC2:SCRATCH_EN: 0
; COMPUTE_PGM_RSRC2:USER_SGPR: 6
; COMPUTE_PGM_RSRC2:TRAP_HANDLER: 0
; COMPUTE_PGM_RSRC2:TGID_X_EN: 1
; COMPUTE_PGM_RSRC2:TGID_Y_EN: 1
; COMPUTE_PGM_RSRC2:TGID_Z_EN: 0
; COMPUTE_PGM_RSRC2:TIDIG_COMP_CNT: 0
	.section	.text._ZN2at6native28tensor_kernel_scan_outer_dimIN3c104HalfEmZZZNS0_31launch_logcumsumexp_cuda_kernelERKNS_10TensorBaseES6_lENKUlvE_clEvENKUlvE3_clEvEUlS3_S3_E_EEvPT_PKSA_jjjSA_T1_,"axG",@progbits,_ZN2at6native28tensor_kernel_scan_outer_dimIN3c104HalfEmZZZNS0_31launch_logcumsumexp_cuda_kernelERKNS_10TensorBaseES6_lENKUlvE_clEvENKUlvE3_clEvEUlS3_S3_E_EEvPT_PKSA_jjjSA_T1_,comdat
	.globl	_ZN2at6native28tensor_kernel_scan_outer_dimIN3c104HalfEmZZZNS0_31launch_logcumsumexp_cuda_kernelERKNS_10TensorBaseES6_lENKUlvE_clEvENKUlvE3_clEvEUlS3_S3_E_EEvPT_PKSA_jjjSA_T1_ ; -- Begin function _ZN2at6native28tensor_kernel_scan_outer_dimIN3c104HalfEmZZZNS0_31launch_logcumsumexp_cuda_kernelERKNS_10TensorBaseES6_lENKUlvE_clEvENKUlvE3_clEvEUlS3_S3_E_EEvPT_PKSA_jjjSA_T1_
	.p2align	8
	.type	_ZN2at6native28tensor_kernel_scan_outer_dimIN3c104HalfEmZZZNS0_31launch_logcumsumexp_cuda_kernelERKNS_10TensorBaseES6_lENKUlvE_clEvENKUlvE3_clEvEUlS3_S3_E_EEvPT_PKSA_jjjSA_T1_,@function
_ZN2at6native28tensor_kernel_scan_outer_dimIN3c104HalfEmZZZNS0_31launch_logcumsumexp_cuda_kernelERKNS_10TensorBaseES6_lENKUlvE_clEvENKUlvE3_clEvEUlS3_S3_E_EEvPT_PKSA_jjjSA_T1_: ; @_ZN2at6native28tensor_kernel_scan_outer_dimIN3c104HalfEmZZZNS0_31launch_logcumsumexp_cuda_kernelERKNS_10TensorBaseES6_lENKUlvE_clEvENKUlvE3_clEvEUlS3_S3_E_EEvPT_PKSA_jjjSA_T1_
; %bb.0:
	s_load_dwordx4 s[8:11], s[4:5], 0x10
	s_waitcnt lgkmcnt(0)
	s_cmp_ge_u32 s6, s8
	s_cbranch_scc1 .LBB436_11
; %bb.1:
	s_load_dword s0, s[4:5], 0x2c
	s_load_dwordx4 s[12:15], s[4:5], 0x0
	s_load_dword s26, s[4:5], 0x20
	s_add_u32 s4, s4, 32
	s_addc_u32 s5, s5, 0
	s_waitcnt lgkmcnt(0)
	s_and_b32 s27, s0, 0xffff
	s_cmp_lg_u32 s10, 0
	s_mul_i32 s7, s7, s27
	s_cselect_b64 s[20:21], -1, 0
	v_add_u32_e32 v2, s7, v0
	s_mov_b32 s3, 0
	s_mov_b32 s2, s9
	s_mul_hi_u32 s17, s10, s9
	s_mul_i32 s16, s10, s9
	v_cndmask_b32_e64 v0, 0, 1, s[20:21]
	v_cmp_gt_u32_e64 s[0:1], s9, v2
	s_lshl_b64 s[16:17], s[16:17], 1
	s_lshl_b64 s[18:19], s[2:3], 1
	v_cmp_ne_u32_e64 s[2:3], 1, v0
	v_mov_b32_e32 v1, 0
	s_movk_i32 s7, 0x1f8
	s_mov_b32 s28, 0x3fb8aa3b
	s_mov_b32 s29, 0xc2ce8ed0
	s_mov_b32 s30, 0x42b17218
	s_mov_b32 s31, 0x7f800000
	s_mov_b32 s33, 0x3f2aaaab
	v_mov_b32_e32 v3, 0x3f2aaada
	s_mov_b32 s34, 0x3f317218
	s_mov_b32 s35, 0x33800000
	v_mov_b32_e32 v4, 0x7f800000
	s_branch .LBB436_3
.LBB436_2:                              ;   in Loop: Header=BB436_3 Depth=1
	s_or_b64 exec, exec, s[20:21]
	s_add_i32 s6, s6, s26
	s_cmp_ge_u32 s6, s8
	s_cbranch_scc1 .LBB436_11
.LBB436_3:                              ; =>This Loop Header: Depth=1
                                        ;     Child Loop BB436_6 Depth 2
                                        ;       Child Loop BB436_9 Depth 3
	s_and_saveexec_b64 s[20:21], s[0:1]
	s_cbranch_execz .LBB436_2
; %bb.4:                                ;   in Loop: Header=BB436_3 Depth=1
	s_load_dword s38, s[4:5], 0x4
	s_mul_i32 s22, s17, s6
	s_mul_hi_u32 s23, s16, s6
	s_mul_i32 s36, s16, s6
	s_add_i32 s37, s23, s22
	s_waitcnt lgkmcnt(0)
	s_mul_i32 s38, s38, s27
	s_mov_b64 s[22:23], 0
	v_mov_b32_e32 v0, v2
	s_branch .LBB436_6
.LBB436_5:                              ;   in Loop: Header=BB436_6 Depth=2
	v_add_u32_e32 v0, s38, v0
	v_cmp_le_u32_e32 vcc, s9, v0
	s_or_b64 s[22:23], vcc, s[22:23]
	s_andn2_b64 exec, exec, s[22:23]
	s_cbranch_execz .LBB436_2
.LBB436_6:                              ;   Parent Loop BB436_3 Depth=1
                                        ; =>  This Loop Header: Depth=2
                                        ;       Child Loop BB436_9 Depth 3
	s_and_b64 vcc, exec, s[2:3]
	s_cbranch_vccnz .LBB436_5
; %bb.7:                                ;   in Loop: Header=BB436_6 Depth=2
	v_lshlrev_b64 v[5:6], 1, v[0:1]
	v_mov_b32_e32 v7, s37
	v_add_co_u32_e32 v5, vcc, s36, v5
	v_addc_co_u32_e32 v6, vcc, v7, v6, vcc
	v_mov_b32_e32 v8, s11
	s_mov_b32 s39, s10
	s_branch .LBB436_9
.LBB436_8:                              ;   in Loop: Header=BB436_9 Depth=3
	s_or_b64 exec, exec, s[24:25]
	v_mov_b32_e32 v7, s13
	v_add_co_u32_e32 v9, vcc, s12, v5
	v_addc_co_u32_e32 v10, vcc, v7, v6, vcc
	s_add_i32 s39, s39, -1
	v_mov_b32_e32 v7, s19
	v_add_co_u32_e32 v5, vcc, s18, v5
	s_cmp_eq_u32 s39, 0
	v_addc_co_u32_e32 v6, vcc, v6, v7, vcc
	global_store_short v[9:10], v8, off
	s_cbranch_scc1 .LBB436_5
.LBB436_9:                              ;   Parent Loop BB436_3 Depth=1
                                        ;     Parent Loop BB436_6 Depth=2
                                        ; =>    This Inner Loop Header: Depth=3
	v_mov_b32_e32 v7, s15
	v_add_co_u32_e32 v9, vcc, s14, v5
	v_addc_co_u32_e32 v10, vcc, v7, v6, vcc
	global_load_ushort v7, v[9:10], off
	v_cvt_f32_f16_e32 v9, v8
	v_cmp_u_f16_e32 vcc, v8, v8
	s_waitcnt vmcnt(0)
	v_cvt_f32_f16_e32 v10, v7
	v_min_f32_e32 v11, v9, v10
	v_max_f32_e32 v12, v9, v10
	v_cndmask_b32_e32 v11, v11, v9, vcc
	v_cndmask_b32_e32 v12, v12, v9, vcc
	v_cmp_u_f16_e32 vcc, v7, v7
	v_cndmask_b32_e32 v9, v11, v10, vcc
	v_cndmask_b32_e32 v7, v12, v10, vcc
	v_cmp_neq_f32_e32 vcc, v9, v7
	v_cmp_class_f32_e64 s[24:25], v9, s7
	s_or_b64 s[40:41], vcc, s[24:25]
	s_and_saveexec_b64 s[24:25], s[40:41]
	s_cbranch_execz .LBB436_8
; %bb.10:                               ;   in Loop: Header=BB436_9 Depth=3
	v_sub_f32_e32 v8, v9, v7
	v_mul_f32_e32 v9, 0x3fb8aa3b, v8
	v_fma_f32 v10, v8, s28, -v9
	v_rndne_f32_e32 v11, v9
	v_fmac_f32_e32 v10, 0x32a5705f, v8
	v_sub_f32_e32 v9, v9, v11
	v_add_f32_e32 v9, v9, v10
	v_cvt_i32_f32_e32 v10, v11
	v_exp_f32_e32 v9, v9
	v_cmp_ngt_f32_e32 vcc, s29, v8
	v_ldexp_f32 v9, v9, v10
	v_cndmask_b32_e32 v9, 0, v9, vcc
	v_cmp_nlt_f32_e32 vcc, s30, v8
	v_cndmask_b32_e32 v10, v4, v9, vcc
	v_add_f32_e32 v11, 1.0, v10
	v_cvt_f64_f32_e32 v[8:9], v11
	v_add_f32_e32 v12, -1.0, v11
	v_sub_f32_e32 v13, v12, v11
	v_sub_f32_e32 v12, v10, v12
	v_frexp_exp_i32_f64_e32 v8, v[8:9]
	v_frexp_mant_f32_e32 v9, v11
	v_cmp_gt_f32_e32 vcc, s33, v9
	v_add_f32_e32 v13, 1.0, v13
	v_add_f32_e32 v12, v12, v13
	v_subbrev_co_u32_e32 v8, vcc, 0, v8, vcc
	v_sub_u32_e32 v9, 0, v8
	v_ldexp_f32 v11, v11, v9
	v_ldexp_f32 v9, v12, v9
	v_add_f32_e32 v12, -1.0, v11
	v_add_f32_e32 v15, 1.0, v11
	v_add_f32_e32 v13, 1.0, v12
	v_add_f32_e32 v16, -1.0, v15
	v_sub_f32_e32 v13, v11, v13
	v_sub_f32_e32 v11, v11, v16
	v_add_f32_e32 v13, v9, v13
	v_add_f32_e32 v9, v9, v11
	;; [unrolled: 1-line block ×3, first 2 shown]
	v_rcp_f32_e32 v16, v11
	v_add_f32_e32 v14, v12, v13
	v_sub_f32_e32 v12, v12, v14
	v_add_f32_e32 v12, v13, v12
	v_sub_f32_e32 v13, v15, v11
	v_add_f32_e32 v9, v9, v13
	v_mul_f32_e32 v13, v14, v16
	v_mul_f32_e32 v15, v11, v13
	v_fma_f32 v17, v13, v11, -v15
	v_fmac_f32_e32 v17, v13, v9
	v_add_f32_e32 v18, v15, v17
	v_sub_f32_e32 v19, v14, v18
	v_sub_f32_e32 v14, v14, v19
	;; [unrolled: 1-line block ×4, first 2 shown]
	v_add_f32_e32 v12, v12, v14
	v_sub_f32_e32 v14, v15, v17
	v_add_f32_e32 v12, v14, v12
	v_add_f32_e32 v14, v19, v12
	v_mul_f32_e32 v15, v16, v14
	v_mul_f32_e32 v17, v11, v15
	v_fma_f32 v11, v15, v11, -v17
	v_fmac_f32_e32 v11, v15, v9
	v_sub_f32_e32 v9, v19, v14
	v_add_f32_e32 v9, v12, v9
	v_add_f32_e32 v12, v17, v11
	v_sub_f32_e32 v18, v14, v12
	v_sub_f32_e32 v14, v14, v18
	;; [unrolled: 1-line block ×4, first 2 shown]
	v_add_f32_e32 v9, v9, v12
	v_sub_f32_e32 v11, v17, v11
	v_cvt_f32_i32_e32 v8, v8
	v_add_f32_e32 v9, v11, v9
	v_add_f32_e32 v11, v13, v15
	;; [unrolled: 1-line block ×3, first 2 shown]
	v_sub_f32_e32 v12, v11, v13
	v_mul_f32_e32 v9, v16, v9
	v_sub_f32_e32 v12, v15, v12
	v_add_f32_e32 v9, v12, v9
	v_mul_f32_e32 v15, 0x3f317218, v8
	v_add_f32_e32 v12, v11, v9
	v_fma_f32 v16, v8, s34, -v15
	v_mul_f32_e32 v13, v12, v12
	v_mov_b32_e32 v14, 0x3ecc95a3
	v_fmac_f32_e32 v16, 0xb102e308, v8
	v_sub_f32_e32 v8, v12, v11
	v_fmac_f32_e32 v14, 0x3e9b6dac, v13
	v_sub_f32_e32 v8, v9, v8
	v_add_f32_e32 v9, v15, v16
	v_fma_f32 v14, v13, v14, v3
	v_sub_f32_e32 v11, v9, v15
	v_ldexp_f32 v15, v12, 1
	v_mul_f32_e32 v12, v12, v13
	v_mul_f32_e32 v12, v12, v14
	v_add_f32_e32 v13, v15, v12
	v_sub_f32_e32 v14, v13, v15
	v_ldexp_f32 v8, v8, 1
	v_sub_f32_e32 v12, v12, v14
	v_add_f32_e32 v8, v8, v12
	v_add_f32_e32 v12, v13, v8
	v_sub_f32_e32 v13, v12, v13
	v_sub_f32_e32 v8, v8, v13
	v_add_f32_e32 v13, v9, v12
	v_sub_f32_e32 v14, v13, v9
	v_sub_f32_e32 v15, v13, v14
	;; [unrolled: 1-line block ×5, first 2 shown]
	v_add_f32_e32 v9, v12, v9
	v_add_f32_e32 v12, v11, v8
	v_sub_f32_e32 v14, v12, v11
	v_sub_f32_e32 v15, v12, v14
	;; [unrolled: 1-line block ×4, first 2 shown]
	v_add_f32_e32 v9, v12, v9
	v_add_f32_e32 v8, v8, v11
	;; [unrolled: 1-line block ×3, first 2 shown]
	v_sub_f32_e32 v12, v11, v13
	v_sub_f32_e32 v9, v9, v12
	v_add_f32_e32 v8, v8, v9
	v_add_f32_e32 v8, v11, v8
	v_cmp_neq_f32_e32 vcc, s31, v10
	v_cndmask_b32_e32 v8, v4, v8, vcc
	v_cmp_lt_f32_e64 vcc, |v10|, s35
	v_cndmask_b32_e32 v8, v8, v10, vcc
	v_add_f32_e32 v7, v7, v8
	v_cvt_f16_f32_e32 v8, v7
	s_branch .LBB436_8
.LBB436_11:
	s_endpgm
	.section	.rodata,"a",@progbits
	.p2align	6, 0x0
	.amdhsa_kernel _ZN2at6native28tensor_kernel_scan_outer_dimIN3c104HalfEmZZZNS0_31launch_logcumsumexp_cuda_kernelERKNS_10TensorBaseES6_lENKUlvE_clEvENKUlvE3_clEvEUlS3_S3_E_EEvPT_PKSA_jjjSA_T1_
		.amdhsa_group_segment_fixed_size 0
		.amdhsa_private_segment_fixed_size 0
		.amdhsa_kernarg_size 288
		.amdhsa_user_sgpr_count 6
		.amdhsa_user_sgpr_private_segment_buffer 1
		.amdhsa_user_sgpr_dispatch_ptr 0
		.amdhsa_user_sgpr_queue_ptr 0
		.amdhsa_user_sgpr_kernarg_segment_ptr 1
		.amdhsa_user_sgpr_dispatch_id 0
		.amdhsa_user_sgpr_flat_scratch_init 0
		.amdhsa_user_sgpr_private_segment_size 0
		.amdhsa_uses_dynamic_stack 0
		.amdhsa_system_sgpr_private_segment_wavefront_offset 0
		.amdhsa_system_sgpr_workgroup_id_x 1
		.amdhsa_system_sgpr_workgroup_id_y 1
		.amdhsa_system_sgpr_workgroup_id_z 0
		.amdhsa_system_sgpr_workgroup_info 0
		.amdhsa_system_vgpr_workitem_id 0
		.amdhsa_next_free_vgpr 20
		.amdhsa_next_free_sgpr 42
		.amdhsa_reserve_vcc 1
		.amdhsa_reserve_flat_scratch 0
		.amdhsa_float_round_mode_32 0
		.amdhsa_float_round_mode_16_64 0
		.amdhsa_float_denorm_mode_32 3
		.amdhsa_float_denorm_mode_16_64 3
		.amdhsa_dx10_clamp 1
		.amdhsa_ieee_mode 1
		.amdhsa_fp16_overflow 0
		.amdhsa_exception_fp_ieee_invalid_op 0
		.amdhsa_exception_fp_denorm_src 0
		.amdhsa_exception_fp_ieee_div_zero 0
		.amdhsa_exception_fp_ieee_overflow 0
		.amdhsa_exception_fp_ieee_underflow 0
		.amdhsa_exception_fp_ieee_inexact 0
		.amdhsa_exception_int_div_zero 0
	.end_amdhsa_kernel
	.section	.text._ZN2at6native28tensor_kernel_scan_outer_dimIN3c104HalfEmZZZNS0_31launch_logcumsumexp_cuda_kernelERKNS_10TensorBaseES6_lENKUlvE_clEvENKUlvE3_clEvEUlS3_S3_E_EEvPT_PKSA_jjjSA_T1_,"axG",@progbits,_ZN2at6native28tensor_kernel_scan_outer_dimIN3c104HalfEmZZZNS0_31launch_logcumsumexp_cuda_kernelERKNS_10TensorBaseES6_lENKUlvE_clEvENKUlvE3_clEvEUlS3_S3_E_EEvPT_PKSA_jjjSA_T1_,comdat
.Lfunc_end436:
	.size	_ZN2at6native28tensor_kernel_scan_outer_dimIN3c104HalfEmZZZNS0_31launch_logcumsumexp_cuda_kernelERKNS_10TensorBaseES6_lENKUlvE_clEvENKUlvE3_clEvEUlS3_S3_E_EEvPT_PKSA_jjjSA_T1_, .Lfunc_end436-_ZN2at6native28tensor_kernel_scan_outer_dimIN3c104HalfEmZZZNS0_31launch_logcumsumexp_cuda_kernelERKNS_10TensorBaseES6_lENKUlvE_clEvENKUlvE3_clEvEUlS3_S3_E_EEvPT_PKSA_jjjSA_T1_
                                        ; -- End function
	.set _ZN2at6native28tensor_kernel_scan_outer_dimIN3c104HalfEmZZZNS0_31launch_logcumsumexp_cuda_kernelERKNS_10TensorBaseES6_lENKUlvE_clEvENKUlvE3_clEvEUlS3_S3_E_EEvPT_PKSA_jjjSA_T1_.num_vgpr, 20
	.set _ZN2at6native28tensor_kernel_scan_outer_dimIN3c104HalfEmZZZNS0_31launch_logcumsumexp_cuda_kernelERKNS_10TensorBaseES6_lENKUlvE_clEvENKUlvE3_clEvEUlS3_S3_E_EEvPT_PKSA_jjjSA_T1_.num_agpr, 0
	.set _ZN2at6native28tensor_kernel_scan_outer_dimIN3c104HalfEmZZZNS0_31launch_logcumsumexp_cuda_kernelERKNS_10TensorBaseES6_lENKUlvE_clEvENKUlvE3_clEvEUlS3_S3_E_EEvPT_PKSA_jjjSA_T1_.numbered_sgpr, 42
	.set _ZN2at6native28tensor_kernel_scan_outer_dimIN3c104HalfEmZZZNS0_31launch_logcumsumexp_cuda_kernelERKNS_10TensorBaseES6_lENKUlvE_clEvENKUlvE3_clEvEUlS3_S3_E_EEvPT_PKSA_jjjSA_T1_.num_named_barrier, 0
	.set _ZN2at6native28tensor_kernel_scan_outer_dimIN3c104HalfEmZZZNS0_31launch_logcumsumexp_cuda_kernelERKNS_10TensorBaseES6_lENKUlvE_clEvENKUlvE3_clEvEUlS3_S3_E_EEvPT_PKSA_jjjSA_T1_.private_seg_size, 0
	.set _ZN2at6native28tensor_kernel_scan_outer_dimIN3c104HalfEmZZZNS0_31launch_logcumsumexp_cuda_kernelERKNS_10TensorBaseES6_lENKUlvE_clEvENKUlvE3_clEvEUlS3_S3_E_EEvPT_PKSA_jjjSA_T1_.uses_vcc, 1
	.set _ZN2at6native28tensor_kernel_scan_outer_dimIN3c104HalfEmZZZNS0_31launch_logcumsumexp_cuda_kernelERKNS_10TensorBaseES6_lENKUlvE_clEvENKUlvE3_clEvEUlS3_S3_E_EEvPT_PKSA_jjjSA_T1_.uses_flat_scratch, 0
	.set _ZN2at6native28tensor_kernel_scan_outer_dimIN3c104HalfEmZZZNS0_31launch_logcumsumexp_cuda_kernelERKNS_10TensorBaseES6_lENKUlvE_clEvENKUlvE3_clEvEUlS3_S3_E_EEvPT_PKSA_jjjSA_T1_.has_dyn_sized_stack, 0
	.set _ZN2at6native28tensor_kernel_scan_outer_dimIN3c104HalfEmZZZNS0_31launch_logcumsumexp_cuda_kernelERKNS_10TensorBaseES6_lENKUlvE_clEvENKUlvE3_clEvEUlS3_S3_E_EEvPT_PKSA_jjjSA_T1_.has_recursion, 0
	.set _ZN2at6native28tensor_kernel_scan_outer_dimIN3c104HalfEmZZZNS0_31launch_logcumsumexp_cuda_kernelERKNS_10TensorBaseES6_lENKUlvE_clEvENKUlvE3_clEvEUlS3_S3_E_EEvPT_PKSA_jjjSA_T1_.has_indirect_call, 0
	.section	.AMDGPU.csdata,"",@progbits
; Kernel info:
; codeLenInByte = 1052
; TotalNumSgprs: 46
; NumVgprs: 20
; ScratchSize: 0
; MemoryBound: 0
; FloatMode: 240
; IeeeMode: 1
; LDSByteSize: 0 bytes/workgroup (compile time only)
; SGPRBlocks: 5
; VGPRBlocks: 4
; NumSGPRsForWavesPerEU: 46
; NumVGPRsForWavesPerEU: 20
; Occupancy: 10
; WaveLimiterHint : 0
; COMPUTE_PGM_RSRC2:SCRATCH_EN: 0
; COMPUTE_PGM_RSRC2:USER_SGPR: 6
; COMPUTE_PGM_RSRC2:TRAP_HANDLER: 0
; COMPUTE_PGM_RSRC2:TGID_X_EN: 1
; COMPUTE_PGM_RSRC2:TGID_Y_EN: 1
; COMPUTE_PGM_RSRC2:TGID_Z_EN: 0
; COMPUTE_PGM_RSRC2:TIDIG_COMP_CNT: 0
	.section	.text._ZN7rocprim17ROCPRIM_400000_NS6detail31init_lookback_scan_state_kernelINS1_19lookback_scan_stateIN3c108BFloat16ELb0ELb1EEENS1_16block_id_wrapperIjLb0EEEEEvT_jT0_jPNS9_10value_typeE,"axG",@progbits,_ZN7rocprim17ROCPRIM_400000_NS6detail31init_lookback_scan_state_kernelINS1_19lookback_scan_stateIN3c108BFloat16ELb0ELb1EEENS1_16block_id_wrapperIjLb0EEEEEvT_jT0_jPNS9_10value_typeE,comdat
	.protected	_ZN7rocprim17ROCPRIM_400000_NS6detail31init_lookback_scan_state_kernelINS1_19lookback_scan_stateIN3c108BFloat16ELb0ELb1EEENS1_16block_id_wrapperIjLb0EEEEEvT_jT0_jPNS9_10value_typeE ; -- Begin function _ZN7rocprim17ROCPRIM_400000_NS6detail31init_lookback_scan_state_kernelINS1_19lookback_scan_stateIN3c108BFloat16ELb0ELb1EEENS1_16block_id_wrapperIjLb0EEEEEvT_jT0_jPNS9_10value_typeE
	.globl	_ZN7rocprim17ROCPRIM_400000_NS6detail31init_lookback_scan_state_kernelINS1_19lookback_scan_stateIN3c108BFloat16ELb0ELb1EEENS1_16block_id_wrapperIjLb0EEEEEvT_jT0_jPNS9_10value_typeE
	.p2align	8
	.type	_ZN7rocprim17ROCPRIM_400000_NS6detail31init_lookback_scan_state_kernelINS1_19lookback_scan_stateIN3c108BFloat16ELb0ELb1EEENS1_16block_id_wrapperIjLb0EEEEEvT_jT0_jPNS9_10value_typeE,@function
_ZN7rocprim17ROCPRIM_400000_NS6detail31init_lookback_scan_state_kernelINS1_19lookback_scan_stateIN3c108BFloat16ELb0ELb1EEENS1_16block_id_wrapperIjLb0EEEEEvT_jT0_jPNS9_10value_typeE: ; @_ZN7rocprim17ROCPRIM_400000_NS6detail31init_lookback_scan_state_kernelINS1_19lookback_scan_stateIN3c108BFloat16ELb0ELb1EEENS1_16block_id_wrapperIjLb0EEEEEvT_jT0_jPNS9_10value_typeE
; %bb.0:
	s_load_dword s7, s[4:5], 0x2c
	s_load_dwordx2 s[2:3], s[4:5], 0x18
	s_load_dwordx2 s[0:1], s[4:5], 0x0
	s_load_dword s8, s[4:5], 0x8
	s_waitcnt lgkmcnt(0)
	s_and_b32 s7, s7, 0xffff
	s_mul_i32 s6, s6, s7
	s_cmp_eq_u64 s[2:3], 0
	v_add_u32_e32 v0, s6, v0
	s_cbranch_scc1 .LBB437_6
; %bb.1:
	s_load_dword s6, s[4:5], 0x10
	s_mov_b32 s7, 0
	s_waitcnt lgkmcnt(0)
	s_cmp_lt_u32 s6, s8
	s_cselect_b32 s4, s6, 0
	v_cmp_eq_u32_e32 vcc, s4, v0
	s_and_saveexec_b64 s[4:5], vcc
	s_cbranch_execz .LBB437_5
; %bb.2:
	s_add_i32 s6, s6, 64
	s_lshl_b64 s[6:7], s[6:7], 2
	s_add_u32 s6, s0, s6
	s_addc_u32 s7, s1, s7
	v_mov_b32_e32 v2, 0
	global_load_dword v1, v2, s[6:7] glc
	s_waitcnt vmcnt(0)
	v_and_b32_e32 v3, 0xff0000, v1
	v_cmp_ne_u32_e32 vcc, 0, v3
	s_cbranch_vccnz .LBB437_4
.LBB437_3:                              ; =>This Inner Loop Header: Depth=1
	global_load_dword v1, v2, s[6:7] glc
	s_waitcnt vmcnt(0)
	v_and_b32_e32 v3, 0xff0000, v1
	v_cmp_eq_u32_e32 vcc, 0, v3
	s_cbranch_vccnz .LBB437_3
.LBB437_4:
	v_mov_b32_e32 v2, 0
	global_store_short v2, v1, s[2:3]
.LBB437_5:
	s_or_b64 exec, exec, s[4:5]
.LBB437_6:
	v_cmp_gt_u32_e32 vcc, s8, v0
	s_and_saveexec_b64 s[2:3], vcc
	s_cbranch_execnz .LBB437_9
; %bb.7:
	s_or_b64 exec, exec, s[2:3]
	v_cmp_gt_u32_e32 vcc, 64, v0
	s_and_saveexec_b64 s[2:3], vcc
	s_cbranch_execnz .LBB437_10
.LBB437_8:
	s_endpgm
.LBB437_9:
	v_add_u32_e32 v1, 64, v0
	v_mov_b32_e32 v2, 0
	v_lshlrev_b64 v[3:4], 2, v[1:2]
	v_mov_b32_e32 v1, s1
	v_add_co_u32_e32 v3, vcc, s0, v3
	v_addc_co_u32_e32 v4, vcc, v1, v4, vcc
	global_store_dword v[3:4], v2, off
	s_or_b64 exec, exec, s[2:3]
	v_cmp_gt_u32_e32 vcc, 64, v0
	s_and_saveexec_b64 s[2:3], vcc
	s_cbranch_execz .LBB437_8
.LBB437_10:
	v_mov_b32_e32 v1, 0
	v_lshlrev_b64 v[0:1], 2, v[0:1]
	v_mov_b32_e32 v2, s1
	v_add_co_u32_e32 v0, vcc, s0, v0
	v_addc_co_u32_e32 v1, vcc, v2, v1, vcc
	v_mov_b32_e32 v2, 0xff0000
	global_store_dword v[0:1], v2, off
	s_endpgm
	.section	.rodata,"a",@progbits
	.p2align	6, 0x0
	.amdhsa_kernel _ZN7rocprim17ROCPRIM_400000_NS6detail31init_lookback_scan_state_kernelINS1_19lookback_scan_stateIN3c108BFloat16ELb0ELb1EEENS1_16block_id_wrapperIjLb0EEEEEvT_jT0_jPNS9_10value_typeE
		.amdhsa_group_segment_fixed_size 0
		.amdhsa_private_segment_fixed_size 0
		.amdhsa_kernarg_size 288
		.amdhsa_user_sgpr_count 6
		.amdhsa_user_sgpr_private_segment_buffer 1
		.amdhsa_user_sgpr_dispatch_ptr 0
		.amdhsa_user_sgpr_queue_ptr 0
		.amdhsa_user_sgpr_kernarg_segment_ptr 1
		.amdhsa_user_sgpr_dispatch_id 0
		.amdhsa_user_sgpr_flat_scratch_init 0
		.amdhsa_user_sgpr_private_segment_size 0
		.amdhsa_uses_dynamic_stack 0
		.amdhsa_system_sgpr_private_segment_wavefront_offset 0
		.amdhsa_system_sgpr_workgroup_id_x 1
		.amdhsa_system_sgpr_workgroup_id_y 0
		.amdhsa_system_sgpr_workgroup_id_z 0
		.amdhsa_system_sgpr_workgroup_info 0
		.amdhsa_system_vgpr_workitem_id 0
		.amdhsa_next_free_vgpr 5
		.amdhsa_next_free_sgpr 9
		.amdhsa_reserve_vcc 1
		.amdhsa_reserve_flat_scratch 0
		.amdhsa_float_round_mode_32 0
		.amdhsa_float_round_mode_16_64 0
		.amdhsa_float_denorm_mode_32 3
		.amdhsa_float_denorm_mode_16_64 3
		.amdhsa_dx10_clamp 1
		.amdhsa_ieee_mode 1
		.amdhsa_fp16_overflow 0
		.amdhsa_exception_fp_ieee_invalid_op 0
		.amdhsa_exception_fp_denorm_src 0
		.amdhsa_exception_fp_ieee_div_zero 0
		.amdhsa_exception_fp_ieee_overflow 0
		.amdhsa_exception_fp_ieee_underflow 0
		.amdhsa_exception_fp_ieee_inexact 0
		.amdhsa_exception_int_div_zero 0
	.end_amdhsa_kernel
	.section	.text._ZN7rocprim17ROCPRIM_400000_NS6detail31init_lookback_scan_state_kernelINS1_19lookback_scan_stateIN3c108BFloat16ELb0ELb1EEENS1_16block_id_wrapperIjLb0EEEEEvT_jT0_jPNS9_10value_typeE,"axG",@progbits,_ZN7rocprim17ROCPRIM_400000_NS6detail31init_lookback_scan_state_kernelINS1_19lookback_scan_stateIN3c108BFloat16ELb0ELb1EEENS1_16block_id_wrapperIjLb0EEEEEvT_jT0_jPNS9_10value_typeE,comdat
.Lfunc_end437:
	.size	_ZN7rocprim17ROCPRIM_400000_NS6detail31init_lookback_scan_state_kernelINS1_19lookback_scan_stateIN3c108BFloat16ELb0ELb1EEENS1_16block_id_wrapperIjLb0EEEEEvT_jT0_jPNS9_10value_typeE, .Lfunc_end437-_ZN7rocprim17ROCPRIM_400000_NS6detail31init_lookback_scan_state_kernelINS1_19lookback_scan_stateIN3c108BFloat16ELb0ELb1EEENS1_16block_id_wrapperIjLb0EEEEEvT_jT0_jPNS9_10value_typeE
                                        ; -- End function
	.set _ZN7rocprim17ROCPRIM_400000_NS6detail31init_lookback_scan_state_kernelINS1_19lookback_scan_stateIN3c108BFloat16ELb0ELb1EEENS1_16block_id_wrapperIjLb0EEEEEvT_jT0_jPNS9_10value_typeE.num_vgpr, 5
	.set _ZN7rocprim17ROCPRIM_400000_NS6detail31init_lookback_scan_state_kernelINS1_19lookback_scan_stateIN3c108BFloat16ELb0ELb1EEENS1_16block_id_wrapperIjLb0EEEEEvT_jT0_jPNS9_10value_typeE.num_agpr, 0
	.set _ZN7rocprim17ROCPRIM_400000_NS6detail31init_lookback_scan_state_kernelINS1_19lookback_scan_stateIN3c108BFloat16ELb0ELb1EEENS1_16block_id_wrapperIjLb0EEEEEvT_jT0_jPNS9_10value_typeE.numbered_sgpr, 9
	.set _ZN7rocprim17ROCPRIM_400000_NS6detail31init_lookback_scan_state_kernelINS1_19lookback_scan_stateIN3c108BFloat16ELb0ELb1EEENS1_16block_id_wrapperIjLb0EEEEEvT_jT0_jPNS9_10value_typeE.num_named_barrier, 0
	.set _ZN7rocprim17ROCPRIM_400000_NS6detail31init_lookback_scan_state_kernelINS1_19lookback_scan_stateIN3c108BFloat16ELb0ELb1EEENS1_16block_id_wrapperIjLb0EEEEEvT_jT0_jPNS9_10value_typeE.private_seg_size, 0
	.set _ZN7rocprim17ROCPRIM_400000_NS6detail31init_lookback_scan_state_kernelINS1_19lookback_scan_stateIN3c108BFloat16ELb0ELb1EEENS1_16block_id_wrapperIjLb0EEEEEvT_jT0_jPNS9_10value_typeE.uses_vcc, 1
	.set _ZN7rocprim17ROCPRIM_400000_NS6detail31init_lookback_scan_state_kernelINS1_19lookback_scan_stateIN3c108BFloat16ELb0ELb1EEENS1_16block_id_wrapperIjLb0EEEEEvT_jT0_jPNS9_10value_typeE.uses_flat_scratch, 0
	.set _ZN7rocprim17ROCPRIM_400000_NS6detail31init_lookback_scan_state_kernelINS1_19lookback_scan_stateIN3c108BFloat16ELb0ELb1EEENS1_16block_id_wrapperIjLb0EEEEEvT_jT0_jPNS9_10value_typeE.has_dyn_sized_stack, 0
	.set _ZN7rocprim17ROCPRIM_400000_NS6detail31init_lookback_scan_state_kernelINS1_19lookback_scan_stateIN3c108BFloat16ELb0ELb1EEENS1_16block_id_wrapperIjLb0EEEEEvT_jT0_jPNS9_10value_typeE.has_recursion, 0
	.set _ZN7rocprim17ROCPRIM_400000_NS6detail31init_lookback_scan_state_kernelINS1_19lookback_scan_stateIN3c108BFloat16ELb0ELb1EEENS1_16block_id_wrapperIjLb0EEEEEvT_jT0_jPNS9_10value_typeE.has_indirect_call, 0
	.section	.AMDGPU.csdata,"",@progbits
; Kernel info:
; codeLenInByte = 316
; TotalNumSgprs: 13
; NumVgprs: 5
; ScratchSize: 0
; MemoryBound: 0
; FloatMode: 240
; IeeeMode: 1
; LDSByteSize: 0 bytes/workgroup (compile time only)
; SGPRBlocks: 1
; VGPRBlocks: 1
; NumSGPRsForWavesPerEU: 13
; NumVGPRsForWavesPerEU: 5
; Occupancy: 10
; WaveLimiterHint : 0
; COMPUTE_PGM_RSRC2:SCRATCH_EN: 0
; COMPUTE_PGM_RSRC2:USER_SGPR: 6
; COMPUTE_PGM_RSRC2:TRAP_HANDLER: 0
; COMPUTE_PGM_RSRC2:TGID_X_EN: 1
; COMPUTE_PGM_RSRC2:TGID_Y_EN: 0
; COMPUTE_PGM_RSRC2:TGID_Z_EN: 0
; COMPUTE_PGM_RSRC2:TIDIG_COMP_CNT: 0
	.section	.text._ZN7rocprim17ROCPRIM_400000_NS6detail17trampoline_kernelINS0_14default_configENS1_20scan_config_selectorIN3c108BFloat16EEEZZNS1_9scan_implILNS1_25lookback_scan_determinismE0ELb0ELb0ES3_PKS6_PS6_S6_ZZZN2at6native31launch_logcumsumexp_cuda_kernelERKNSD_10TensorBaseESH_lENKUlvE_clEvENKUlvE4_clEvEUlS6_S6_E_S6_EEDaPvRmT3_T4_T5_mT6_P12ihipStream_tbENKUlT_T0_E_clISt17integral_constantIbLb0EESY_EEDaST_SU_EUlST_E_NS1_11comp_targetILNS1_3genE0ELNS1_11target_archE4294967295ELNS1_3gpuE0ELNS1_3repE0EEENS1_30default_config_static_selectorELNS0_4arch9wavefront6targetE1EEEvT1_,"axG",@progbits,_ZN7rocprim17ROCPRIM_400000_NS6detail17trampoline_kernelINS0_14default_configENS1_20scan_config_selectorIN3c108BFloat16EEEZZNS1_9scan_implILNS1_25lookback_scan_determinismE0ELb0ELb0ES3_PKS6_PS6_S6_ZZZN2at6native31launch_logcumsumexp_cuda_kernelERKNSD_10TensorBaseESH_lENKUlvE_clEvENKUlvE4_clEvEUlS6_S6_E_S6_EEDaPvRmT3_T4_T5_mT6_P12ihipStream_tbENKUlT_T0_E_clISt17integral_constantIbLb0EESY_EEDaST_SU_EUlST_E_NS1_11comp_targetILNS1_3genE0ELNS1_11target_archE4294967295ELNS1_3gpuE0ELNS1_3repE0EEENS1_30default_config_static_selectorELNS0_4arch9wavefront6targetE1EEEvT1_,comdat
	.globl	_ZN7rocprim17ROCPRIM_400000_NS6detail17trampoline_kernelINS0_14default_configENS1_20scan_config_selectorIN3c108BFloat16EEEZZNS1_9scan_implILNS1_25lookback_scan_determinismE0ELb0ELb0ES3_PKS6_PS6_S6_ZZZN2at6native31launch_logcumsumexp_cuda_kernelERKNSD_10TensorBaseESH_lENKUlvE_clEvENKUlvE4_clEvEUlS6_S6_E_S6_EEDaPvRmT3_T4_T5_mT6_P12ihipStream_tbENKUlT_T0_E_clISt17integral_constantIbLb0EESY_EEDaST_SU_EUlST_E_NS1_11comp_targetILNS1_3genE0ELNS1_11target_archE4294967295ELNS1_3gpuE0ELNS1_3repE0EEENS1_30default_config_static_selectorELNS0_4arch9wavefront6targetE1EEEvT1_ ; -- Begin function _ZN7rocprim17ROCPRIM_400000_NS6detail17trampoline_kernelINS0_14default_configENS1_20scan_config_selectorIN3c108BFloat16EEEZZNS1_9scan_implILNS1_25lookback_scan_determinismE0ELb0ELb0ES3_PKS6_PS6_S6_ZZZN2at6native31launch_logcumsumexp_cuda_kernelERKNSD_10TensorBaseESH_lENKUlvE_clEvENKUlvE4_clEvEUlS6_S6_E_S6_EEDaPvRmT3_T4_T5_mT6_P12ihipStream_tbENKUlT_T0_E_clISt17integral_constantIbLb0EESY_EEDaST_SU_EUlST_E_NS1_11comp_targetILNS1_3genE0ELNS1_11target_archE4294967295ELNS1_3gpuE0ELNS1_3repE0EEENS1_30default_config_static_selectorELNS0_4arch9wavefront6targetE1EEEvT1_
	.p2align	8
	.type	_ZN7rocprim17ROCPRIM_400000_NS6detail17trampoline_kernelINS0_14default_configENS1_20scan_config_selectorIN3c108BFloat16EEEZZNS1_9scan_implILNS1_25lookback_scan_determinismE0ELb0ELb0ES3_PKS6_PS6_S6_ZZZN2at6native31launch_logcumsumexp_cuda_kernelERKNSD_10TensorBaseESH_lENKUlvE_clEvENKUlvE4_clEvEUlS6_S6_E_S6_EEDaPvRmT3_T4_T5_mT6_P12ihipStream_tbENKUlT_T0_E_clISt17integral_constantIbLb0EESY_EEDaST_SU_EUlST_E_NS1_11comp_targetILNS1_3genE0ELNS1_11target_archE4294967295ELNS1_3gpuE0ELNS1_3repE0EEENS1_30default_config_static_selectorELNS0_4arch9wavefront6targetE1EEEvT1_,@function
_ZN7rocprim17ROCPRIM_400000_NS6detail17trampoline_kernelINS0_14default_configENS1_20scan_config_selectorIN3c108BFloat16EEEZZNS1_9scan_implILNS1_25lookback_scan_determinismE0ELb0ELb0ES3_PKS6_PS6_S6_ZZZN2at6native31launch_logcumsumexp_cuda_kernelERKNSD_10TensorBaseESH_lENKUlvE_clEvENKUlvE4_clEvEUlS6_S6_E_S6_EEDaPvRmT3_T4_T5_mT6_P12ihipStream_tbENKUlT_T0_E_clISt17integral_constantIbLb0EESY_EEDaST_SU_EUlST_E_NS1_11comp_targetILNS1_3genE0ELNS1_11target_archE4294967295ELNS1_3gpuE0ELNS1_3repE0EEENS1_30default_config_static_selectorELNS0_4arch9wavefront6targetE1EEEvT1_: ; @_ZN7rocprim17ROCPRIM_400000_NS6detail17trampoline_kernelINS0_14default_configENS1_20scan_config_selectorIN3c108BFloat16EEEZZNS1_9scan_implILNS1_25lookback_scan_determinismE0ELb0ELb0ES3_PKS6_PS6_S6_ZZZN2at6native31launch_logcumsumexp_cuda_kernelERKNSD_10TensorBaseESH_lENKUlvE_clEvENKUlvE4_clEvEUlS6_S6_E_S6_EEDaPvRmT3_T4_T5_mT6_P12ihipStream_tbENKUlT_T0_E_clISt17integral_constantIbLb0EESY_EEDaST_SU_EUlST_E_NS1_11comp_targetILNS1_3genE0ELNS1_11target_archE4294967295ELNS1_3gpuE0ELNS1_3repE0EEENS1_30default_config_static_selectorELNS0_4arch9wavefront6targetE1EEEvT1_
; %bb.0:
	.section	.rodata,"a",@progbits
	.p2align	6, 0x0
	.amdhsa_kernel _ZN7rocprim17ROCPRIM_400000_NS6detail17trampoline_kernelINS0_14default_configENS1_20scan_config_selectorIN3c108BFloat16EEEZZNS1_9scan_implILNS1_25lookback_scan_determinismE0ELb0ELb0ES3_PKS6_PS6_S6_ZZZN2at6native31launch_logcumsumexp_cuda_kernelERKNSD_10TensorBaseESH_lENKUlvE_clEvENKUlvE4_clEvEUlS6_S6_E_S6_EEDaPvRmT3_T4_T5_mT6_P12ihipStream_tbENKUlT_T0_E_clISt17integral_constantIbLb0EESY_EEDaST_SU_EUlST_E_NS1_11comp_targetILNS1_3genE0ELNS1_11target_archE4294967295ELNS1_3gpuE0ELNS1_3repE0EEENS1_30default_config_static_selectorELNS0_4arch9wavefront6targetE1EEEvT1_
		.amdhsa_group_segment_fixed_size 0
		.amdhsa_private_segment_fixed_size 0
		.amdhsa_kernarg_size 96
		.amdhsa_user_sgpr_count 6
		.amdhsa_user_sgpr_private_segment_buffer 1
		.amdhsa_user_sgpr_dispatch_ptr 0
		.amdhsa_user_sgpr_queue_ptr 0
		.amdhsa_user_sgpr_kernarg_segment_ptr 1
		.amdhsa_user_sgpr_dispatch_id 0
		.amdhsa_user_sgpr_flat_scratch_init 0
		.amdhsa_user_sgpr_private_segment_size 0
		.amdhsa_uses_dynamic_stack 0
		.amdhsa_system_sgpr_private_segment_wavefront_offset 0
		.amdhsa_system_sgpr_workgroup_id_x 1
		.amdhsa_system_sgpr_workgroup_id_y 0
		.amdhsa_system_sgpr_workgroup_id_z 0
		.amdhsa_system_sgpr_workgroup_info 0
		.amdhsa_system_vgpr_workitem_id 0
		.amdhsa_next_free_vgpr 1
		.amdhsa_next_free_sgpr 0
		.amdhsa_reserve_vcc 0
		.amdhsa_reserve_flat_scratch 0
		.amdhsa_float_round_mode_32 0
		.amdhsa_float_round_mode_16_64 0
		.amdhsa_float_denorm_mode_32 3
		.amdhsa_float_denorm_mode_16_64 3
		.amdhsa_dx10_clamp 1
		.amdhsa_ieee_mode 1
		.amdhsa_fp16_overflow 0
		.amdhsa_exception_fp_ieee_invalid_op 0
		.amdhsa_exception_fp_denorm_src 0
		.amdhsa_exception_fp_ieee_div_zero 0
		.amdhsa_exception_fp_ieee_overflow 0
		.amdhsa_exception_fp_ieee_underflow 0
		.amdhsa_exception_fp_ieee_inexact 0
		.amdhsa_exception_int_div_zero 0
	.end_amdhsa_kernel
	.section	.text._ZN7rocprim17ROCPRIM_400000_NS6detail17trampoline_kernelINS0_14default_configENS1_20scan_config_selectorIN3c108BFloat16EEEZZNS1_9scan_implILNS1_25lookback_scan_determinismE0ELb0ELb0ES3_PKS6_PS6_S6_ZZZN2at6native31launch_logcumsumexp_cuda_kernelERKNSD_10TensorBaseESH_lENKUlvE_clEvENKUlvE4_clEvEUlS6_S6_E_S6_EEDaPvRmT3_T4_T5_mT6_P12ihipStream_tbENKUlT_T0_E_clISt17integral_constantIbLb0EESY_EEDaST_SU_EUlST_E_NS1_11comp_targetILNS1_3genE0ELNS1_11target_archE4294967295ELNS1_3gpuE0ELNS1_3repE0EEENS1_30default_config_static_selectorELNS0_4arch9wavefront6targetE1EEEvT1_,"axG",@progbits,_ZN7rocprim17ROCPRIM_400000_NS6detail17trampoline_kernelINS0_14default_configENS1_20scan_config_selectorIN3c108BFloat16EEEZZNS1_9scan_implILNS1_25lookback_scan_determinismE0ELb0ELb0ES3_PKS6_PS6_S6_ZZZN2at6native31launch_logcumsumexp_cuda_kernelERKNSD_10TensorBaseESH_lENKUlvE_clEvENKUlvE4_clEvEUlS6_S6_E_S6_EEDaPvRmT3_T4_T5_mT6_P12ihipStream_tbENKUlT_T0_E_clISt17integral_constantIbLb0EESY_EEDaST_SU_EUlST_E_NS1_11comp_targetILNS1_3genE0ELNS1_11target_archE4294967295ELNS1_3gpuE0ELNS1_3repE0EEENS1_30default_config_static_selectorELNS0_4arch9wavefront6targetE1EEEvT1_,comdat
.Lfunc_end438:
	.size	_ZN7rocprim17ROCPRIM_400000_NS6detail17trampoline_kernelINS0_14default_configENS1_20scan_config_selectorIN3c108BFloat16EEEZZNS1_9scan_implILNS1_25lookback_scan_determinismE0ELb0ELb0ES3_PKS6_PS6_S6_ZZZN2at6native31launch_logcumsumexp_cuda_kernelERKNSD_10TensorBaseESH_lENKUlvE_clEvENKUlvE4_clEvEUlS6_S6_E_S6_EEDaPvRmT3_T4_T5_mT6_P12ihipStream_tbENKUlT_T0_E_clISt17integral_constantIbLb0EESY_EEDaST_SU_EUlST_E_NS1_11comp_targetILNS1_3genE0ELNS1_11target_archE4294967295ELNS1_3gpuE0ELNS1_3repE0EEENS1_30default_config_static_selectorELNS0_4arch9wavefront6targetE1EEEvT1_, .Lfunc_end438-_ZN7rocprim17ROCPRIM_400000_NS6detail17trampoline_kernelINS0_14default_configENS1_20scan_config_selectorIN3c108BFloat16EEEZZNS1_9scan_implILNS1_25lookback_scan_determinismE0ELb0ELb0ES3_PKS6_PS6_S6_ZZZN2at6native31launch_logcumsumexp_cuda_kernelERKNSD_10TensorBaseESH_lENKUlvE_clEvENKUlvE4_clEvEUlS6_S6_E_S6_EEDaPvRmT3_T4_T5_mT6_P12ihipStream_tbENKUlT_T0_E_clISt17integral_constantIbLb0EESY_EEDaST_SU_EUlST_E_NS1_11comp_targetILNS1_3genE0ELNS1_11target_archE4294967295ELNS1_3gpuE0ELNS1_3repE0EEENS1_30default_config_static_selectorELNS0_4arch9wavefront6targetE1EEEvT1_
                                        ; -- End function
	.set _ZN7rocprim17ROCPRIM_400000_NS6detail17trampoline_kernelINS0_14default_configENS1_20scan_config_selectorIN3c108BFloat16EEEZZNS1_9scan_implILNS1_25lookback_scan_determinismE0ELb0ELb0ES3_PKS6_PS6_S6_ZZZN2at6native31launch_logcumsumexp_cuda_kernelERKNSD_10TensorBaseESH_lENKUlvE_clEvENKUlvE4_clEvEUlS6_S6_E_S6_EEDaPvRmT3_T4_T5_mT6_P12ihipStream_tbENKUlT_T0_E_clISt17integral_constantIbLb0EESY_EEDaST_SU_EUlST_E_NS1_11comp_targetILNS1_3genE0ELNS1_11target_archE4294967295ELNS1_3gpuE0ELNS1_3repE0EEENS1_30default_config_static_selectorELNS0_4arch9wavefront6targetE1EEEvT1_.num_vgpr, 0
	.set _ZN7rocprim17ROCPRIM_400000_NS6detail17trampoline_kernelINS0_14default_configENS1_20scan_config_selectorIN3c108BFloat16EEEZZNS1_9scan_implILNS1_25lookback_scan_determinismE0ELb0ELb0ES3_PKS6_PS6_S6_ZZZN2at6native31launch_logcumsumexp_cuda_kernelERKNSD_10TensorBaseESH_lENKUlvE_clEvENKUlvE4_clEvEUlS6_S6_E_S6_EEDaPvRmT3_T4_T5_mT6_P12ihipStream_tbENKUlT_T0_E_clISt17integral_constantIbLb0EESY_EEDaST_SU_EUlST_E_NS1_11comp_targetILNS1_3genE0ELNS1_11target_archE4294967295ELNS1_3gpuE0ELNS1_3repE0EEENS1_30default_config_static_selectorELNS0_4arch9wavefront6targetE1EEEvT1_.num_agpr, 0
	.set _ZN7rocprim17ROCPRIM_400000_NS6detail17trampoline_kernelINS0_14default_configENS1_20scan_config_selectorIN3c108BFloat16EEEZZNS1_9scan_implILNS1_25lookback_scan_determinismE0ELb0ELb0ES3_PKS6_PS6_S6_ZZZN2at6native31launch_logcumsumexp_cuda_kernelERKNSD_10TensorBaseESH_lENKUlvE_clEvENKUlvE4_clEvEUlS6_S6_E_S6_EEDaPvRmT3_T4_T5_mT6_P12ihipStream_tbENKUlT_T0_E_clISt17integral_constantIbLb0EESY_EEDaST_SU_EUlST_E_NS1_11comp_targetILNS1_3genE0ELNS1_11target_archE4294967295ELNS1_3gpuE0ELNS1_3repE0EEENS1_30default_config_static_selectorELNS0_4arch9wavefront6targetE1EEEvT1_.numbered_sgpr, 0
	.set _ZN7rocprim17ROCPRIM_400000_NS6detail17trampoline_kernelINS0_14default_configENS1_20scan_config_selectorIN3c108BFloat16EEEZZNS1_9scan_implILNS1_25lookback_scan_determinismE0ELb0ELb0ES3_PKS6_PS6_S6_ZZZN2at6native31launch_logcumsumexp_cuda_kernelERKNSD_10TensorBaseESH_lENKUlvE_clEvENKUlvE4_clEvEUlS6_S6_E_S6_EEDaPvRmT3_T4_T5_mT6_P12ihipStream_tbENKUlT_T0_E_clISt17integral_constantIbLb0EESY_EEDaST_SU_EUlST_E_NS1_11comp_targetILNS1_3genE0ELNS1_11target_archE4294967295ELNS1_3gpuE0ELNS1_3repE0EEENS1_30default_config_static_selectorELNS0_4arch9wavefront6targetE1EEEvT1_.num_named_barrier, 0
	.set _ZN7rocprim17ROCPRIM_400000_NS6detail17trampoline_kernelINS0_14default_configENS1_20scan_config_selectorIN3c108BFloat16EEEZZNS1_9scan_implILNS1_25lookback_scan_determinismE0ELb0ELb0ES3_PKS6_PS6_S6_ZZZN2at6native31launch_logcumsumexp_cuda_kernelERKNSD_10TensorBaseESH_lENKUlvE_clEvENKUlvE4_clEvEUlS6_S6_E_S6_EEDaPvRmT3_T4_T5_mT6_P12ihipStream_tbENKUlT_T0_E_clISt17integral_constantIbLb0EESY_EEDaST_SU_EUlST_E_NS1_11comp_targetILNS1_3genE0ELNS1_11target_archE4294967295ELNS1_3gpuE0ELNS1_3repE0EEENS1_30default_config_static_selectorELNS0_4arch9wavefront6targetE1EEEvT1_.private_seg_size, 0
	.set _ZN7rocprim17ROCPRIM_400000_NS6detail17trampoline_kernelINS0_14default_configENS1_20scan_config_selectorIN3c108BFloat16EEEZZNS1_9scan_implILNS1_25lookback_scan_determinismE0ELb0ELb0ES3_PKS6_PS6_S6_ZZZN2at6native31launch_logcumsumexp_cuda_kernelERKNSD_10TensorBaseESH_lENKUlvE_clEvENKUlvE4_clEvEUlS6_S6_E_S6_EEDaPvRmT3_T4_T5_mT6_P12ihipStream_tbENKUlT_T0_E_clISt17integral_constantIbLb0EESY_EEDaST_SU_EUlST_E_NS1_11comp_targetILNS1_3genE0ELNS1_11target_archE4294967295ELNS1_3gpuE0ELNS1_3repE0EEENS1_30default_config_static_selectorELNS0_4arch9wavefront6targetE1EEEvT1_.uses_vcc, 0
	.set _ZN7rocprim17ROCPRIM_400000_NS6detail17trampoline_kernelINS0_14default_configENS1_20scan_config_selectorIN3c108BFloat16EEEZZNS1_9scan_implILNS1_25lookback_scan_determinismE0ELb0ELb0ES3_PKS6_PS6_S6_ZZZN2at6native31launch_logcumsumexp_cuda_kernelERKNSD_10TensorBaseESH_lENKUlvE_clEvENKUlvE4_clEvEUlS6_S6_E_S6_EEDaPvRmT3_T4_T5_mT6_P12ihipStream_tbENKUlT_T0_E_clISt17integral_constantIbLb0EESY_EEDaST_SU_EUlST_E_NS1_11comp_targetILNS1_3genE0ELNS1_11target_archE4294967295ELNS1_3gpuE0ELNS1_3repE0EEENS1_30default_config_static_selectorELNS0_4arch9wavefront6targetE1EEEvT1_.uses_flat_scratch, 0
	.set _ZN7rocprim17ROCPRIM_400000_NS6detail17trampoline_kernelINS0_14default_configENS1_20scan_config_selectorIN3c108BFloat16EEEZZNS1_9scan_implILNS1_25lookback_scan_determinismE0ELb0ELb0ES3_PKS6_PS6_S6_ZZZN2at6native31launch_logcumsumexp_cuda_kernelERKNSD_10TensorBaseESH_lENKUlvE_clEvENKUlvE4_clEvEUlS6_S6_E_S6_EEDaPvRmT3_T4_T5_mT6_P12ihipStream_tbENKUlT_T0_E_clISt17integral_constantIbLb0EESY_EEDaST_SU_EUlST_E_NS1_11comp_targetILNS1_3genE0ELNS1_11target_archE4294967295ELNS1_3gpuE0ELNS1_3repE0EEENS1_30default_config_static_selectorELNS0_4arch9wavefront6targetE1EEEvT1_.has_dyn_sized_stack, 0
	.set _ZN7rocprim17ROCPRIM_400000_NS6detail17trampoline_kernelINS0_14default_configENS1_20scan_config_selectorIN3c108BFloat16EEEZZNS1_9scan_implILNS1_25lookback_scan_determinismE0ELb0ELb0ES3_PKS6_PS6_S6_ZZZN2at6native31launch_logcumsumexp_cuda_kernelERKNSD_10TensorBaseESH_lENKUlvE_clEvENKUlvE4_clEvEUlS6_S6_E_S6_EEDaPvRmT3_T4_T5_mT6_P12ihipStream_tbENKUlT_T0_E_clISt17integral_constantIbLb0EESY_EEDaST_SU_EUlST_E_NS1_11comp_targetILNS1_3genE0ELNS1_11target_archE4294967295ELNS1_3gpuE0ELNS1_3repE0EEENS1_30default_config_static_selectorELNS0_4arch9wavefront6targetE1EEEvT1_.has_recursion, 0
	.set _ZN7rocprim17ROCPRIM_400000_NS6detail17trampoline_kernelINS0_14default_configENS1_20scan_config_selectorIN3c108BFloat16EEEZZNS1_9scan_implILNS1_25lookback_scan_determinismE0ELb0ELb0ES3_PKS6_PS6_S6_ZZZN2at6native31launch_logcumsumexp_cuda_kernelERKNSD_10TensorBaseESH_lENKUlvE_clEvENKUlvE4_clEvEUlS6_S6_E_S6_EEDaPvRmT3_T4_T5_mT6_P12ihipStream_tbENKUlT_T0_E_clISt17integral_constantIbLb0EESY_EEDaST_SU_EUlST_E_NS1_11comp_targetILNS1_3genE0ELNS1_11target_archE4294967295ELNS1_3gpuE0ELNS1_3repE0EEENS1_30default_config_static_selectorELNS0_4arch9wavefront6targetE1EEEvT1_.has_indirect_call, 0
	.section	.AMDGPU.csdata,"",@progbits
; Kernel info:
; codeLenInByte = 0
; TotalNumSgprs: 4
; NumVgprs: 0
; ScratchSize: 0
; MemoryBound: 0
; FloatMode: 240
; IeeeMode: 1
; LDSByteSize: 0 bytes/workgroup (compile time only)
; SGPRBlocks: 0
; VGPRBlocks: 0
; NumSGPRsForWavesPerEU: 4
; NumVGPRsForWavesPerEU: 1
; Occupancy: 10
; WaveLimiterHint : 0
; COMPUTE_PGM_RSRC2:SCRATCH_EN: 0
; COMPUTE_PGM_RSRC2:USER_SGPR: 6
; COMPUTE_PGM_RSRC2:TRAP_HANDLER: 0
; COMPUTE_PGM_RSRC2:TGID_X_EN: 1
; COMPUTE_PGM_RSRC2:TGID_Y_EN: 0
; COMPUTE_PGM_RSRC2:TGID_Z_EN: 0
; COMPUTE_PGM_RSRC2:TIDIG_COMP_CNT: 0
	.section	.text._ZN7rocprim17ROCPRIM_400000_NS6detail17trampoline_kernelINS0_14default_configENS1_20scan_config_selectorIN3c108BFloat16EEEZZNS1_9scan_implILNS1_25lookback_scan_determinismE0ELb0ELb0ES3_PKS6_PS6_S6_ZZZN2at6native31launch_logcumsumexp_cuda_kernelERKNSD_10TensorBaseESH_lENKUlvE_clEvENKUlvE4_clEvEUlS6_S6_E_S6_EEDaPvRmT3_T4_T5_mT6_P12ihipStream_tbENKUlT_T0_E_clISt17integral_constantIbLb0EESY_EEDaST_SU_EUlST_E_NS1_11comp_targetILNS1_3genE5ELNS1_11target_archE942ELNS1_3gpuE9ELNS1_3repE0EEENS1_30default_config_static_selectorELNS0_4arch9wavefront6targetE1EEEvT1_,"axG",@progbits,_ZN7rocprim17ROCPRIM_400000_NS6detail17trampoline_kernelINS0_14default_configENS1_20scan_config_selectorIN3c108BFloat16EEEZZNS1_9scan_implILNS1_25lookback_scan_determinismE0ELb0ELb0ES3_PKS6_PS6_S6_ZZZN2at6native31launch_logcumsumexp_cuda_kernelERKNSD_10TensorBaseESH_lENKUlvE_clEvENKUlvE4_clEvEUlS6_S6_E_S6_EEDaPvRmT3_T4_T5_mT6_P12ihipStream_tbENKUlT_T0_E_clISt17integral_constantIbLb0EESY_EEDaST_SU_EUlST_E_NS1_11comp_targetILNS1_3genE5ELNS1_11target_archE942ELNS1_3gpuE9ELNS1_3repE0EEENS1_30default_config_static_selectorELNS0_4arch9wavefront6targetE1EEEvT1_,comdat
	.globl	_ZN7rocprim17ROCPRIM_400000_NS6detail17trampoline_kernelINS0_14default_configENS1_20scan_config_selectorIN3c108BFloat16EEEZZNS1_9scan_implILNS1_25lookback_scan_determinismE0ELb0ELb0ES3_PKS6_PS6_S6_ZZZN2at6native31launch_logcumsumexp_cuda_kernelERKNSD_10TensorBaseESH_lENKUlvE_clEvENKUlvE4_clEvEUlS6_S6_E_S6_EEDaPvRmT3_T4_T5_mT6_P12ihipStream_tbENKUlT_T0_E_clISt17integral_constantIbLb0EESY_EEDaST_SU_EUlST_E_NS1_11comp_targetILNS1_3genE5ELNS1_11target_archE942ELNS1_3gpuE9ELNS1_3repE0EEENS1_30default_config_static_selectorELNS0_4arch9wavefront6targetE1EEEvT1_ ; -- Begin function _ZN7rocprim17ROCPRIM_400000_NS6detail17trampoline_kernelINS0_14default_configENS1_20scan_config_selectorIN3c108BFloat16EEEZZNS1_9scan_implILNS1_25lookback_scan_determinismE0ELb0ELb0ES3_PKS6_PS6_S6_ZZZN2at6native31launch_logcumsumexp_cuda_kernelERKNSD_10TensorBaseESH_lENKUlvE_clEvENKUlvE4_clEvEUlS6_S6_E_S6_EEDaPvRmT3_T4_T5_mT6_P12ihipStream_tbENKUlT_T0_E_clISt17integral_constantIbLb0EESY_EEDaST_SU_EUlST_E_NS1_11comp_targetILNS1_3genE5ELNS1_11target_archE942ELNS1_3gpuE9ELNS1_3repE0EEENS1_30default_config_static_selectorELNS0_4arch9wavefront6targetE1EEEvT1_
	.p2align	8
	.type	_ZN7rocprim17ROCPRIM_400000_NS6detail17trampoline_kernelINS0_14default_configENS1_20scan_config_selectorIN3c108BFloat16EEEZZNS1_9scan_implILNS1_25lookback_scan_determinismE0ELb0ELb0ES3_PKS6_PS6_S6_ZZZN2at6native31launch_logcumsumexp_cuda_kernelERKNSD_10TensorBaseESH_lENKUlvE_clEvENKUlvE4_clEvEUlS6_S6_E_S6_EEDaPvRmT3_T4_T5_mT6_P12ihipStream_tbENKUlT_T0_E_clISt17integral_constantIbLb0EESY_EEDaST_SU_EUlST_E_NS1_11comp_targetILNS1_3genE5ELNS1_11target_archE942ELNS1_3gpuE9ELNS1_3repE0EEENS1_30default_config_static_selectorELNS0_4arch9wavefront6targetE1EEEvT1_,@function
_ZN7rocprim17ROCPRIM_400000_NS6detail17trampoline_kernelINS0_14default_configENS1_20scan_config_selectorIN3c108BFloat16EEEZZNS1_9scan_implILNS1_25lookback_scan_determinismE0ELb0ELb0ES3_PKS6_PS6_S6_ZZZN2at6native31launch_logcumsumexp_cuda_kernelERKNSD_10TensorBaseESH_lENKUlvE_clEvENKUlvE4_clEvEUlS6_S6_E_S6_EEDaPvRmT3_T4_T5_mT6_P12ihipStream_tbENKUlT_T0_E_clISt17integral_constantIbLb0EESY_EEDaST_SU_EUlST_E_NS1_11comp_targetILNS1_3genE5ELNS1_11target_archE942ELNS1_3gpuE9ELNS1_3repE0EEENS1_30default_config_static_selectorELNS0_4arch9wavefront6targetE1EEEvT1_: ; @_ZN7rocprim17ROCPRIM_400000_NS6detail17trampoline_kernelINS0_14default_configENS1_20scan_config_selectorIN3c108BFloat16EEEZZNS1_9scan_implILNS1_25lookback_scan_determinismE0ELb0ELb0ES3_PKS6_PS6_S6_ZZZN2at6native31launch_logcumsumexp_cuda_kernelERKNSD_10TensorBaseESH_lENKUlvE_clEvENKUlvE4_clEvEUlS6_S6_E_S6_EEDaPvRmT3_T4_T5_mT6_P12ihipStream_tbENKUlT_T0_E_clISt17integral_constantIbLb0EESY_EEDaST_SU_EUlST_E_NS1_11comp_targetILNS1_3genE5ELNS1_11target_archE942ELNS1_3gpuE9ELNS1_3repE0EEENS1_30default_config_static_selectorELNS0_4arch9wavefront6targetE1EEEvT1_
; %bb.0:
	.section	.rodata,"a",@progbits
	.p2align	6, 0x0
	.amdhsa_kernel _ZN7rocprim17ROCPRIM_400000_NS6detail17trampoline_kernelINS0_14default_configENS1_20scan_config_selectorIN3c108BFloat16EEEZZNS1_9scan_implILNS1_25lookback_scan_determinismE0ELb0ELb0ES3_PKS6_PS6_S6_ZZZN2at6native31launch_logcumsumexp_cuda_kernelERKNSD_10TensorBaseESH_lENKUlvE_clEvENKUlvE4_clEvEUlS6_S6_E_S6_EEDaPvRmT3_T4_T5_mT6_P12ihipStream_tbENKUlT_T0_E_clISt17integral_constantIbLb0EESY_EEDaST_SU_EUlST_E_NS1_11comp_targetILNS1_3genE5ELNS1_11target_archE942ELNS1_3gpuE9ELNS1_3repE0EEENS1_30default_config_static_selectorELNS0_4arch9wavefront6targetE1EEEvT1_
		.amdhsa_group_segment_fixed_size 0
		.amdhsa_private_segment_fixed_size 0
		.amdhsa_kernarg_size 96
		.amdhsa_user_sgpr_count 6
		.amdhsa_user_sgpr_private_segment_buffer 1
		.amdhsa_user_sgpr_dispatch_ptr 0
		.amdhsa_user_sgpr_queue_ptr 0
		.amdhsa_user_sgpr_kernarg_segment_ptr 1
		.amdhsa_user_sgpr_dispatch_id 0
		.amdhsa_user_sgpr_flat_scratch_init 0
		.amdhsa_user_sgpr_private_segment_size 0
		.amdhsa_uses_dynamic_stack 0
		.amdhsa_system_sgpr_private_segment_wavefront_offset 0
		.amdhsa_system_sgpr_workgroup_id_x 1
		.amdhsa_system_sgpr_workgroup_id_y 0
		.amdhsa_system_sgpr_workgroup_id_z 0
		.amdhsa_system_sgpr_workgroup_info 0
		.amdhsa_system_vgpr_workitem_id 0
		.amdhsa_next_free_vgpr 1
		.amdhsa_next_free_sgpr 0
		.amdhsa_reserve_vcc 0
		.amdhsa_reserve_flat_scratch 0
		.amdhsa_float_round_mode_32 0
		.amdhsa_float_round_mode_16_64 0
		.amdhsa_float_denorm_mode_32 3
		.amdhsa_float_denorm_mode_16_64 3
		.amdhsa_dx10_clamp 1
		.amdhsa_ieee_mode 1
		.amdhsa_fp16_overflow 0
		.amdhsa_exception_fp_ieee_invalid_op 0
		.amdhsa_exception_fp_denorm_src 0
		.amdhsa_exception_fp_ieee_div_zero 0
		.amdhsa_exception_fp_ieee_overflow 0
		.amdhsa_exception_fp_ieee_underflow 0
		.amdhsa_exception_fp_ieee_inexact 0
		.amdhsa_exception_int_div_zero 0
	.end_amdhsa_kernel
	.section	.text._ZN7rocprim17ROCPRIM_400000_NS6detail17trampoline_kernelINS0_14default_configENS1_20scan_config_selectorIN3c108BFloat16EEEZZNS1_9scan_implILNS1_25lookback_scan_determinismE0ELb0ELb0ES3_PKS6_PS6_S6_ZZZN2at6native31launch_logcumsumexp_cuda_kernelERKNSD_10TensorBaseESH_lENKUlvE_clEvENKUlvE4_clEvEUlS6_S6_E_S6_EEDaPvRmT3_T4_T5_mT6_P12ihipStream_tbENKUlT_T0_E_clISt17integral_constantIbLb0EESY_EEDaST_SU_EUlST_E_NS1_11comp_targetILNS1_3genE5ELNS1_11target_archE942ELNS1_3gpuE9ELNS1_3repE0EEENS1_30default_config_static_selectorELNS0_4arch9wavefront6targetE1EEEvT1_,"axG",@progbits,_ZN7rocprim17ROCPRIM_400000_NS6detail17trampoline_kernelINS0_14default_configENS1_20scan_config_selectorIN3c108BFloat16EEEZZNS1_9scan_implILNS1_25lookback_scan_determinismE0ELb0ELb0ES3_PKS6_PS6_S6_ZZZN2at6native31launch_logcumsumexp_cuda_kernelERKNSD_10TensorBaseESH_lENKUlvE_clEvENKUlvE4_clEvEUlS6_S6_E_S6_EEDaPvRmT3_T4_T5_mT6_P12ihipStream_tbENKUlT_T0_E_clISt17integral_constantIbLb0EESY_EEDaST_SU_EUlST_E_NS1_11comp_targetILNS1_3genE5ELNS1_11target_archE942ELNS1_3gpuE9ELNS1_3repE0EEENS1_30default_config_static_selectorELNS0_4arch9wavefront6targetE1EEEvT1_,comdat
.Lfunc_end439:
	.size	_ZN7rocprim17ROCPRIM_400000_NS6detail17trampoline_kernelINS0_14default_configENS1_20scan_config_selectorIN3c108BFloat16EEEZZNS1_9scan_implILNS1_25lookback_scan_determinismE0ELb0ELb0ES3_PKS6_PS6_S6_ZZZN2at6native31launch_logcumsumexp_cuda_kernelERKNSD_10TensorBaseESH_lENKUlvE_clEvENKUlvE4_clEvEUlS6_S6_E_S6_EEDaPvRmT3_T4_T5_mT6_P12ihipStream_tbENKUlT_T0_E_clISt17integral_constantIbLb0EESY_EEDaST_SU_EUlST_E_NS1_11comp_targetILNS1_3genE5ELNS1_11target_archE942ELNS1_3gpuE9ELNS1_3repE0EEENS1_30default_config_static_selectorELNS0_4arch9wavefront6targetE1EEEvT1_, .Lfunc_end439-_ZN7rocprim17ROCPRIM_400000_NS6detail17trampoline_kernelINS0_14default_configENS1_20scan_config_selectorIN3c108BFloat16EEEZZNS1_9scan_implILNS1_25lookback_scan_determinismE0ELb0ELb0ES3_PKS6_PS6_S6_ZZZN2at6native31launch_logcumsumexp_cuda_kernelERKNSD_10TensorBaseESH_lENKUlvE_clEvENKUlvE4_clEvEUlS6_S6_E_S6_EEDaPvRmT3_T4_T5_mT6_P12ihipStream_tbENKUlT_T0_E_clISt17integral_constantIbLb0EESY_EEDaST_SU_EUlST_E_NS1_11comp_targetILNS1_3genE5ELNS1_11target_archE942ELNS1_3gpuE9ELNS1_3repE0EEENS1_30default_config_static_selectorELNS0_4arch9wavefront6targetE1EEEvT1_
                                        ; -- End function
	.set _ZN7rocprim17ROCPRIM_400000_NS6detail17trampoline_kernelINS0_14default_configENS1_20scan_config_selectorIN3c108BFloat16EEEZZNS1_9scan_implILNS1_25lookback_scan_determinismE0ELb0ELb0ES3_PKS6_PS6_S6_ZZZN2at6native31launch_logcumsumexp_cuda_kernelERKNSD_10TensorBaseESH_lENKUlvE_clEvENKUlvE4_clEvEUlS6_S6_E_S6_EEDaPvRmT3_T4_T5_mT6_P12ihipStream_tbENKUlT_T0_E_clISt17integral_constantIbLb0EESY_EEDaST_SU_EUlST_E_NS1_11comp_targetILNS1_3genE5ELNS1_11target_archE942ELNS1_3gpuE9ELNS1_3repE0EEENS1_30default_config_static_selectorELNS0_4arch9wavefront6targetE1EEEvT1_.num_vgpr, 0
	.set _ZN7rocprim17ROCPRIM_400000_NS6detail17trampoline_kernelINS0_14default_configENS1_20scan_config_selectorIN3c108BFloat16EEEZZNS1_9scan_implILNS1_25lookback_scan_determinismE0ELb0ELb0ES3_PKS6_PS6_S6_ZZZN2at6native31launch_logcumsumexp_cuda_kernelERKNSD_10TensorBaseESH_lENKUlvE_clEvENKUlvE4_clEvEUlS6_S6_E_S6_EEDaPvRmT3_T4_T5_mT6_P12ihipStream_tbENKUlT_T0_E_clISt17integral_constantIbLb0EESY_EEDaST_SU_EUlST_E_NS1_11comp_targetILNS1_3genE5ELNS1_11target_archE942ELNS1_3gpuE9ELNS1_3repE0EEENS1_30default_config_static_selectorELNS0_4arch9wavefront6targetE1EEEvT1_.num_agpr, 0
	.set _ZN7rocprim17ROCPRIM_400000_NS6detail17trampoline_kernelINS0_14default_configENS1_20scan_config_selectorIN3c108BFloat16EEEZZNS1_9scan_implILNS1_25lookback_scan_determinismE0ELb0ELb0ES3_PKS6_PS6_S6_ZZZN2at6native31launch_logcumsumexp_cuda_kernelERKNSD_10TensorBaseESH_lENKUlvE_clEvENKUlvE4_clEvEUlS6_S6_E_S6_EEDaPvRmT3_T4_T5_mT6_P12ihipStream_tbENKUlT_T0_E_clISt17integral_constantIbLb0EESY_EEDaST_SU_EUlST_E_NS1_11comp_targetILNS1_3genE5ELNS1_11target_archE942ELNS1_3gpuE9ELNS1_3repE0EEENS1_30default_config_static_selectorELNS0_4arch9wavefront6targetE1EEEvT1_.numbered_sgpr, 0
	.set _ZN7rocprim17ROCPRIM_400000_NS6detail17trampoline_kernelINS0_14default_configENS1_20scan_config_selectorIN3c108BFloat16EEEZZNS1_9scan_implILNS1_25lookback_scan_determinismE0ELb0ELb0ES3_PKS6_PS6_S6_ZZZN2at6native31launch_logcumsumexp_cuda_kernelERKNSD_10TensorBaseESH_lENKUlvE_clEvENKUlvE4_clEvEUlS6_S6_E_S6_EEDaPvRmT3_T4_T5_mT6_P12ihipStream_tbENKUlT_T0_E_clISt17integral_constantIbLb0EESY_EEDaST_SU_EUlST_E_NS1_11comp_targetILNS1_3genE5ELNS1_11target_archE942ELNS1_3gpuE9ELNS1_3repE0EEENS1_30default_config_static_selectorELNS0_4arch9wavefront6targetE1EEEvT1_.num_named_barrier, 0
	.set _ZN7rocprim17ROCPRIM_400000_NS6detail17trampoline_kernelINS0_14default_configENS1_20scan_config_selectorIN3c108BFloat16EEEZZNS1_9scan_implILNS1_25lookback_scan_determinismE0ELb0ELb0ES3_PKS6_PS6_S6_ZZZN2at6native31launch_logcumsumexp_cuda_kernelERKNSD_10TensorBaseESH_lENKUlvE_clEvENKUlvE4_clEvEUlS6_S6_E_S6_EEDaPvRmT3_T4_T5_mT6_P12ihipStream_tbENKUlT_T0_E_clISt17integral_constantIbLb0EESY_EEDaST_SU_EUlST_E_NS1_11comp_targetILNS1_3genE5ELNS1_11target_archE942ELNS1_3gpuE9ELNS1_3repE0EEENS1_30default_config_static_selectorELNS0_4arch9wavefront6targetE1EEEvT1_.private_seg_size, 0
	.set _ZN7rocprim17ROCPRIM_400000_NS6detail17trampoline_kernelINS0_14default_configENS1_20scan_config_selectorIN3c108BFloat16EEEZZNS1_9scan_implILNS1_25lookback_scan_determinismE0ELb0ELb0ES3_PKS6_PS6_S6_ZZZN2at6native31launch_logcumsumexp_cuda_kernelERKNSD_10TensorBaseESH_lENKUlvE_clEvENKUlvE4_clEvEUlS6_S6_E_S6_EEDaPvRmT3_T4_T5_mT6_P12ihipStream_tbENKUlT_T0_E_clISt17integral_constantIbLb0EESY_EEDaST_SU_EUlST_E_NS1_11comp_targetILNS1_3genE5ELNS1_11target_archE942ELNS1_3gpuE9ELNS1_3repE0EEENS1_30default_config_static_selectorELNS0_4arch9wavefront6targetE1EEEvT1_.uses_vcc, 0
	.set _ZN7rocprim17ROCPRIM_400000_NS6detail17trampoline_kernelINS0_14default_configENS1_20scan_config_selectorIN3c108BFloat16EEEZZNS1_9scan_implILNS1_25lookback_scan_determinismE0ELb0ELb0ES3_PKS6_PS6_S6_ZZZN2at6native31launch_logcumsumexp_cuda_kernelERKNSD_10TensorBaseESH_lENKUlvE_clEvENKUlvE4_clEvEUlS6_S6_E_S6_EEDaPvRmT3_T4_T5_mT6_P12ihipStream_tbENKUlT_T0_E_clISt17integral_constantIbLb0EESY_EEDaST_SU_EUlST_E_NS1_11comp_targetILNS1_3genE5ELNS1_11target_archE942ELNS1_3gpuE9ELNS1_3repE0EEENS1_30default_config_static_selectorELNS0_4arch9wavefront6targetE1EEEvT1_.uses_flat_scratch, 0
	.set _ZN7rocprim17ROCPRIM_400000_NS6detail17trampoline_kernelINS0_14default_configENS1_20scan_config_selectorIN3c108BFloat16EEEZZNS1_9scan_implILNS1_25lookback_scan_determinismE0ELb0ELb0ES3_PKS6_PS6_S6_ZZZN2at6native31launch_logcumsumexp_cuda_kernelERKNSD_10TensorBaseESH_lENKUlvE_clEvENKUlvE4_clEvEUlS6_S6_E_S6_EEDaPvRmT3_T4_T5_mT6_P12ihipStream_tbENKUlT_T0_E_clISt17integral_constantIbLb0EESY_EEDaST_SU_EUlST_E_NS1_11comp_targetILNS1_3genE5ELNS1_11target_archE942ELNS1_3gpuE9ELNS1_3repE0EEENS1_30default_config_static_selectorELNS0_4arch9wavefront6targetE1EEEvT1_.has_dyn_sized_stack, 0
	.set _ZN7rocprim17ROCPRIM_400000_NS6detail17trampoline_kernelINS0_14default_configENS1_20scan_config_selectorIN3c108BFloat16EEEZZNS1_9scan_implILNS1_25lookback_scan_determinismE0ELb0ELb0ES3_PKS6_PS6_S6_ZZZN2at6native31launch_logcumsumexp_cuda_kernelERKNSD_10TensorBaseESH_lENKUlvE_clEvENKUlvE4_clEvEUlS6_S6_E_S6_EEDaPvRmT3_T4_T5_mT6_P12ihipStream_tbENKUlT_T0_E_clISt17integral_constantIbLb0EESY_EEDaST_SU_EUlST_E_NS1_11comp_targetILNS1_3genE5ELNS1_11target_archE942ELNS1_3gpuE9ELNS1_3repE0EEENS1_30default_config_static_selectorELNS0_4arch9wavefront6targetE1EEEvT1_.has_recursion, 0
	.set _ZN7rocprim17ROCPRIM_400000_NS6detail17trampoline_kernelINS0_14default_configENS1_20scan_config_selectorIN3c108BFloat16EEEZZNS1_9scan_implILNS1_25lookback_scan_determinismE0ELb0ELb0ES3_PKS6_PS6_S6_ZZZN2at6native31launch_logcumsumexp_cuda_kernelERKNSD_10TensorBaseESH_lENKUlvE_clEvENKUlvE4_clEvEUlS6_S6_E_S6_EEDaPvRmT3_T4_T5_mT6_P12ihipStream_tbENKUlT_T0_E_clISt17integral_constantIbLb0EESY_EEDaST_SU_EUlST_E_NS1_11comp_targetILNS1_3genE5ELNS1_11target_archE942ELNS1_3gpuE9ELNS1_3repE0EEENS1_30default_config_static_selectorELNS0_4arch9wavefront6targetE1EEEvT1_.has_indirect_call, 0
	.section	.AMDGPU.csdata,"",@progbits
; Kernel info:
; codeLenInByte = 0
; TotalNumSgprs: 4
; NumVgprs: 0
; ScratchSize: 0
; MemoryBound: 0
; FloatMode: 240
; IeeeMode: 1
; LDSByteSize: 0 bytes/workgroup (compile time only)
; SGPRBlocks: 0
; VGPRBlocks: 0
; NumSGPRsForWavesPerEU: 4
; NumVGPRsForWavesPerEU: 1
; Occupancy: 10
; WaveLimiterHint : 0
; COMPUTE_PGM_RSRC2:SCRATCH_EN: 0
; COMPUTE_PGM_RSRC2:USER_SGPR: 6
; COMPUTE_PGM_RSRC2:TRAP_HANDLER: 0
; COMPUTE_PGM_RSRC2:TGID_X_EN: 1
; COMPUTE_PGM_RSRC2:TGID_Y_EN: 0
; COMPUTE_PGM_RSRC2:TGID_Z_EN: 0
; COMPUTE_PGM_RSRC2:TIDIG_COMP_CNT: 0
	.section	.text._ZN7rocprim17ROCPRIM_400000_NS6detail17trampoline_kernelINS0_14default_configENS1_20scan_config_selectorIN3c108BFloat16EEEZZNS1_9scan_implILNS1_25lookback_scan_determinismE0ELb0ELb0ES3_PKS6_PS6_S6_ZZZN2at6native31launch_logcumsumexp_cuda_kernelERKNSD_10TensorBaseESH_lENKUlvE_clEvENKUlvE4_clEvEUlS6_S6_E_S6_EEDaPvRmT3_T4_T5_mT6_P12ihipStream_tbENKUlT_T0_E_clISt17integral_constantIbLb0EESY_EEDaST_SU_EUlST_E_NS1_11comp_targetILNS1_3genE4ELNS1_11target_archE910ELNS1_3gpuE8ELNS1_3repE0EEENS1_30default_config_static_selectorELNS0_4arch9wavefront6targetE1EEEvT1_,"axG",@progbits,_ZN7rocprim17ROCPRIM_400000_NS6detail17trampoline_kernelINS0_14default_configENS1_20scan_config_selectorIN3c108BFloat16EEEZZNS1_9scan_implILNS1_25lookback_scan_determinismE0ELb0ELb0ES3_PKS6_PS6_S6_ZZZN2at6native31launch_logcumsumexp_cuda_kernelERKNSD_10TensorBaseESH_lENKUlvE_clEvENKUlvE4_clEvEUlS6_S6_E_S6_EEDaPvRmT3_T4_T5_mT6_P12ihipStream_tbENKUlT_T0_E_clISt17integral_constantIbLb0EESY_EEDaST_SU_EUlST_E_NS1_11comp_targetILNS1_3genE4ELNS1_11target_archE910ELNS1_3gpuE8ELNS1_3repE0EEENS1_30default_config_static_selectorELNS0_4arch9wavefront6targetE1EEEvT1_,comdat
	.globl	_ZN7rocprim17ROCPRIM_400000_NS6detail17trampoline_kernelINS0_14default_configENS1_20scan_config_selectorIN3c108BFloat16EEEZZNS1_9scan_implILNS1_25lookback_scan_determinismE0ELb0ELb0ES3_PKS6_PS6_S6_ZZZN2at6native31launch_logcumsumexp_cuda_kernelERKNSD_10TensorBaseESH_lENKUlvE_clEvENKUlvE4_clEvEUlS6_S6_E_S6_EEDaPvRmT3_T4_T5_mT6_P12ihipStream_tbENKUlT_T0_E_clISt17integral_constantIbLb0EESY_EEDaST_SU_EUlST_E_NS1_11comp_targetILNS1_3genE4ELNS1_11target_archE910ELNS1_3gpuE8ELNS1_3repE0EEENS1_30default_config_static_selectorELNS0_4arch9wavefront6targetE1EEEvT1_ ; -- Begin function _ZN7rocprim17ROCPRIM_400000_NS6detail17trampoline_kernelINS0_14default_configENS1_20scan_config_selectorIN3c108BFloat16EEEZZNS1_9scan_implILNS1_25lookback_scan_determinismE0ELb0ELb0ES3_PKS6_PS6_S6_ZZZN2at6native31launch_logcumsumexp_cuda_kernelERKNSD_10TensorBaseESH_lENKUlvE_clEvENKUlvE4_clEvEUlS6_S6_E_S6_EEDaPvRmT3_T4_T5_mT6_P12ihipStream_tbENKUlT_T0_E_clISt17integral_constantIbLb0EESY_EEDaST_SU_EUlST_E_NS1_11comp_targetILNS1_3genE4ELNS1_11target_archE910ELNS1_3gpuE8ELNS1_3repE0EEENS1_30default_config_static_selectorELNS0_4arch9wavefront6targetE1EEEvT1_
	.p2align	8
	.type	_ZN7rocprim17ROCPRIM_400000_NS6detail17trampoline_kernelINS0_14default_configENS1_20scan_config_selectorIN3c108BFloat16EEEZZNS1_9scan_implILNS1_25lookback_scan_determinismE0ELb0ELb0ES3_PKS6_PS6_S6_ZZZN2at6native31launch_logcumsumexp_cuda_kernelERKNSD_10TensorBaseESH_lENKUlvE_clEvENKUlvE4_clEvEUlS6_S6_E_S6_EEDaPvRmT3_T4_T5_mT6_P12ihipStream_tbENKUlT_T0_E_clISt17integral_constantIbLb0EESY_EEDaST_SU_EUlST_E_NS1_11comp_targetILNS1_3genE4ELNS1_11target_archE910ELNS1_3gpuE8ELNS1_3repE0EEENS1_30default_config_static_selectorELNS0_4arch9wavefront6targetE1EEEvT1_,@function
_ZN7rocprim17ROCPRIM_400000_NS6detail17trampoline_kernelINS0_14default_configENS1_20scan_config_selectorIN3c108BFloat16EEEZZNS1_9scan_implILNS1_25lookback_scan_determinismE0ELb0ELb0ES3_PKS6_PS6_S6_ZZZN2at6native31launch_logcumsumexp_cuda_kernelERKNSD_10TensorBaseESH_lENKUlvE_clEvENKUlvE4_clEvEUlS6_S6_E_S6_EEDaPvRmT3_T4_T5_mT6_P12ihipStream_tbENKUlT_T0_E_clISt17integral_constantIbLb0EESY_EEDaST_SU_EUlST_E_NS1_11comp_targetILNS1_3genE4ELNS1_11target_archE910ELNS1_3gpuE8ELNS1_3repE0EEENS1_30default_config_static_selectorELNS0_4arch9wavefront6targetE1EEEvT1_: ; @_ZN7rocprim17ROCPRIM_400000_NS6detail17trampoline_kernelINS0_14default_configENS1_20scan_config_selectorIN3c108BFloat16EEEZZNS1_9scan_implILNS1_25lookback_scan_determinismE0ELb0ELb0ES3_PKS6_PS6_S6_ZZZN2at6native31launch_logcumsumexp_cuda_kernelERKNSD_10TensorBaseESH_lENKUlvE_clEvENKUlvE4_clEvEUlS6_S6_E_S6_EEDaPvRmT3_T4_T5_mT6_P12ihipStream_tbENKUlT_T0_E_clISt17integral_constantIbLb0EESY_EEDaST_SU_EUlST_E_NS1_11comp_targetILNS1_3genE4ELNS1_11target_archE910ELNS1_3gpuE8ELNS1_3repE0EEENS1_30default_config_static_selectorELNS0_4arch9wavefront6targetE1EEEvT1_
; %bb.0:
	.section	.rodata,"a",@progbits
	.p2align	6, 0x0
	.amdhsa_kernel _ZN7rocprim17ROCPRIM_400000_NS6detail17trampoline_kernelINS0_14default_configENS1_20scan_config_selectorIN3c108BFloat16EEEZZNS1_9scan_implILNS1_25lookback_scan_determinismE0ELb0ELb0ES3_PKS6_PS6_S6_ZZZN2at6native31launch_logcumsumexp_cuda_kernelERKNSD_10TensorBaseESH_lENKUlvE_clEvENKUlvE4_clEvEUlS6_S6_E_S6_EEDaPvRmT3_T4_T5_mT6_P12ihipStream_tbENKUlT_T0_E_clISt17integral_constantIbLb0EESY_EEDaST_SU_EUlST_E_NS1_11comp_targetILNS1_3genE4ELNS1_11target_archE910ELNS1_3gpuE8ELNS1_3repE0EEENS1_30default_config_static_selectorELNS0_4arch9wavefront6targetE1EEEvT1_
		.amdhsa_group_segment_fixed_size 0
		.amdhsa_private_segment_fixed_size 0
		.amdhsa_kernarg_size 96
		.amdhsa_user_sgpr_count 6
		.amdhsa_user_sgpr_private_segment_buffer 1
		.amdhsa_user_sgpr_dispatch_ptr 0
		.amdhsa_user_sgpr_queue_ptr 0
		.amdhsa_user_sgpr_kernarg_segment_ptr 1
		.amdhsa_user_sgpr_dispatch_id 0
		.amdhsa_user_sgpr_flat_scratch_init 0
		.amdhsa_user_sgpr_private_segment_size 0
		.amdhsa_uses_dynamic_stack 0
		.amdhsa_system_sgpr_private_segment_wavefront_offset 0
		.amdhsa_system_sgpr_workgroup_id_x 1
		.amdhsa_system_sgpr_workgroup_id_y 0
		.amdhsa_system_sgpr_workgroup_id_z 0
		.amdhsa_system_sgpr_workgroup_info 0
		.amdhsa_system_vgpr_workitem_id 0
		.amdhsa_next_free_vgpr 1
		.amdhsa_next_free_sgpr 0
		.amdhsa_reserve_vcc 0
		.amdhsa_reserve_flat_scratch 0
		.amdhsa_float_round_mode_32 0
		.amdhsa_float_round_mode_16_64 0
		.amdhsa_float_denorm_mode_32 3
		.amdhsa_float_denorm_mode_16_64 3
		.amdhsa_dx10_clamp 1
		.amdhsa_ieee_mode 1
		.amdhsa_fp16_overflow 0
		.amdhsa_exception_fp_ieee_invalid_op 0
		.amdhsa_exception_fp_denorm_src 0
		.amdhsa_exception_fp_ieee_div_zero 0
		.amdhsa_exception_fp_ieee_overflow 0
		.amdhsa_exception_fp_ieee_underflow 0
		.amdhsa_exception_fp_ieee_inexact 0
		.amdhsa_exception_int_div_zero 0
	.end_amdhsa_kernel
	.section	.text._ZN7rocprim17ROCPRIM_400000_NS6detail17trampoline_kernelINS0_14default_configENS1_20scan_config_selectorIN3c108BFloat16EEEZZNS1_9scan_implILNS1_25lookback_scan_determinismE0ELb0ELb0ES3_PKS6_PS6_S6_ZZZN2at6native31launch_logcumsumexp_cuda_kernelERKNSD_10TensorBaseESH_lENKUlvE_clEvENKUlvE4_clEvEUlS6_S6_E_S6_EEDaPvRmT3_T4_T5_mT6_P12ihipStream_tbENKUlT_T0_E_clISt17integral_constantIbLb0EESY_EEDaST_SU_EUlST_E_NS1_11comp_targetILNS1_3genE4ELNS1_11target_archE910ELNS1_3gpuE8ELNS1_3repE0EEENS1_30default_config_static_selectorELNS0_4arch9wavefront6targetE1EEEvT1_,"axG",@progbits,_ZN7rocprim17ROCPRIM_400000_NS6detail17trampoline_kernelINS0_14default_configENS1_20scan_config_selectorIN3c108BFloat16EEEZZNS1_9scan_implILNS1_25lookback_scan_determinismE0ELb0ELb0ES3_PKS6_PS6_S6_ZZZN2at6native31launch_logcumsumexp_cuda_kernelERKNSD_10TensorBaseESH_lENKUlvE_clEvENKUlvE4_clEvEUlS6_S6_E_S6_EEDaPvRmT3_T4_T5_mT6_P12ihipStream_tbENKUlT_T0_E_clISt17integral_constantIbLb0EESY_EEDaST_SU_EUlST_E_NS1_11comp_targetILNS1_3genE4ELNS1_11target_archE910ELNS1_3gpuE8ELNS1_3repE0EEENS1_30default_config_static_selectorELNS0_4arch9wavefront6targetE1EEEvT1_,comdat
.Lfunc_end440:
	.size	_ZN7rocprim17ROCPRIM_400000_NS6detail17trampoline_kernelINS0_14default_configENS1_20scan_config_selectorIN3c108BFloat16EEEZZNS1_9scan_implILNS1_25lookback_scan_determinismE0ELb0ELb0ES3_PKS6_PS6_S6_ZZZN2at6native31launch_logcumsumexp_cuda_kernelERKNSD_10TensorBaseESH_lENKUlvE_clEvENKUlvE4_clEvEUlS6_S6_E_S6_EEDaPvRmT3_T4_T5_mT6_P12ihipStream_tbENKUlT_T0_E_clISt17integral_constantIbLb0EESY_EEDaST_SU_EUlST_E_NS1_11comp_targetILNS1_3genE4ELNS1_11target_archE910ELNS1_3gpuE8ELNS1_3repE0EEENS1_30default_config_static_selectorELNS0_4arch9wavefront6targetE1EEEvT1_, .Lfunc_end440-_ZN7rocprim17ROCPRIM_400000_NS6detail17trampoline_kernelINS0_14default_configENS1_20scan_config_selectorIN3c108BFloat16EEEZZNS1_9scan_implILNS1_25lookback_scan_determinismE0ELb0ELb0ES3_PKS6_PS6_S6_ZZZN2at6native31launch_logcumsumexp_cuda_kernelERKNSD_10TensorBaseESH_lENKUlvE_clEvENKUlvE4_clEvEUlS6_S6_E_S6_EEDaPvRmT3_T4_T5_mT6_P12ihipStream_tbENKUlT_T0_E_clISt17integral_constantIbLb0EESY_EEDaST_SU_EUlST_E_NS1_11comp_targetILNS1_3genE4ELNS1_11target_archE910ELNS1_3gpuE8ELNS1_3repE0EEENS1_30default_config_static_selectorELNS0_4arch9wavefront6targetE1EEEvT1_
                                        ; -- End function
	.set _ZN7rocprim17ROCPRIM_400000_NS6detail17trampoline_kernelINS0_14default_configENS1_20scan_config_selectorIN3c108BFloat16EEEZZNS1_9scan_implILNS1_25lookback_scan_determinismE0ELb0ELb0ES3_PKS6_PS6_S6_ZZZN2at6native31launch_logcumsumexp_cuda_kernelERKNSD_10TensorBaseESH_lENKUlvE_clEvENKUlvE4_clEvEUlS6_S6_E_S6_EEDaPvRmT3_T4_T5_mT6_P12ihipStream_tbENKUlT_T0_E_clISt17integral_constantIbLb0EESY_EEDaST_SU_EUlST_E_NS1_11comp_targetILNS1_3genE4ELNS1_11target_archE910ELNS1_3gpuE8ELNS1_3repE0EEENS1_30default_config_static_selectorELNS0_4arch9wavefront6targetE1EEEvT1_.num_vgpr, 0
	.set _ZN7rocprim17ROCPRIM_400000_NS6detail17trampoline_kernelINS0_14default_configENS1_20scan_config_selectorIN3c108BFloat16EEEZZNS1_9scan_implILNS1_25lookback_scan_determinismE0ELb0ELb0ES3_PKS6_PS6_S6_ZZZN2at6native31launch_logcumsumexp_cuda_kernelERKNSD_10TensorBaseESH_lENKUlvE_clEvENKUlvE4_clEvEUlS6_S6_E_S6_EEDaPvRmT3_T4_T5_mT6_P12ihipStream_tbENKUlT_T0_E_clISt17integral_constantIbLb0EESY_EEDaST_SU_EUlST_E_NS1_11comp_targetILNS1_3genE4ELNS1_11target_archE910ELNS1_3gpuE8ELNS1_3repE0EEENS1_30default_config_static_selectorELNS0_4arch9wavefront6targetE1EEEvT1_.num_agpr, 0
	.set _ZN7rocprim17ROCPRIM_400000_NS6detail17trampoline_kernelINS0_14default_configENS1_20scan_config_selectorIN3c108BFloat16EEEZZNS1_9scan_implILNS1_25lookback_scan_determinismE0ELb0ELb0ES3_PKS6_PS6_S6_ZZZN2at6native31launch_logcumsumexp_cuda_kernelERKNSD_10TensorBaseESH_lENKUlvE_clEvENKUlvE4_clEvEUlS6_S6_E_S6_EEDaPvRmT3_T4_T5_mT6_P12ihipStream_tbENKUlT_T0_E_clISt17integral_constantIbLb0EESY_EEDaST_SU_EUlST_E_NS1_11comp_targetILNS1_3genE4ELNS1_11target_archE910ELNS1_3gpuE8ELNS1_3repE0EEENS1_30default_config_static_selectorELNS0_4arch9wavefront6targetE1EEEvT1_.numbered_sgpr, 0
	.set _ZN7rocprim17ROCPRIM_400000_NS6detail17trampoline_kernelINS0_14default_configENS1_20scan_config_selectorIN3c108BFloat16EEEZZNS1_9scan_implILNS1_25lookback_scan_determinismE0ELb0ELb0ES3_PKS6_PS6_S6_ZZZN2at6native31launch_logcumsumexp_cuda_kernelERKNSD_10TensorBaseESH_lENKUlvE_clEvENKUlvE4_clEvEUlS6_S6_E_S6_EEDaPvRmT3_T4_T5_mT6_P12ihipStream_tbENKUlT_T0_E_clISt17integral_constantIbLb0EESY_EEDaST_SU_EUlST_E_NS1_11comp_targetILNS1_3genE4ELNS1_11target_archE910ELNS1_3gpuE8ELNS1_3repE0EEENS1_30default_config_static_selectorELNS0_4arch9wavefront6targetE1EEEvT1_.num_named_barrier, 0
	.set _ZN7rocprim17ROCPRIM_400000_NS6detail17trampoline_kernelINS0_14default_configENS1_20scan_config_selectorIN3c108BFloat16EEEZZNS1_9scan_implILNS1_25lookback_scan_determinismE0ELb0ELb0ES3_PKS6_PS6_S6_ZZZN2at6native31launch_logcumsumexp_cuda_kernelERKNSD_10TensorBaseESH_lENKUlvE_clEvENKUlvE4_clEvEUlS6_S6_E_S6_EEDaPvRmT3_T4_T5_mT6_P12ihipStream_tbENKUlT_T0_E_clISt17integral_constantIbLb0EESY_EEDaST_SU_EUlST_E_NS1_11comp_targetILNS1_3genE4ELNS1_11target_archE910ELNS1_3gpuE8ELNS1_3repE0EEENS1_30default_config_static_selectorELNS0_4arch9wavefront6targetE1EEEvT1_.private_seg_size, 0
	.set _ZN7rocprim17ROCPRIM_400000_NS6detail17trampoline_kernelINS0_14default_configENS1_20scan_config_selectorIN3c108BFloat16EEEZZNS1_9scan_implILNS1_25lookback_scan_determinismE0ELb0ELb0ES3_PKS6_PS6_S6_ZZZN2at6native31launch_logcumsumexp_cuda_kernelERKNSD_10TensorBaseESH_lENKUlvE_clEvENKUlvE4_clEvEUlS6_S6_E_S6_EEDaPvRmT3_T4_T5_mT6_P12ihipStream_tbENKUlT_T0_E_clISt17integral_constantIbLb0EESY_EEDaST_SU_EUlST_E_NS1_11comp_targetILNS1_3genE4ELNS1_11target_archE910ELNS1_3gpuE8ELNS1_3repE0EEENS1_30default_config_static_selectorELNS0_4arch9wavefront6targetE1EEEvT1_.uses_vcc, 0
	.set _ZN7rocprim17ROCPRIM_400000_NS6detail17trampoline_kernelINS0_14default_configENS1_20scan_config_selectorIN3c108BFloat16EEEZZNS1_9scan_implILNS1_25lookback_scan_determinismE0ELb0ELb0ES3_PKS6_PS6_S6_ZZZN2at6native31launch_logcumsumexp_cuda_kernelERKNSD_10TensorBaseESH_lENKUlvE_clEvENKUlvE4_clEvEUlS6_S6_E_S6_EEDaPvRmT3_T4_T5_mT6_P12ihipStream_tbENKUlT_T0_E_clISt17integral_constantIbLb0EESY_EEDaST_SU_EUlST_E_NS1_11comp_targetILNS1_3genE4ELNS1_11target_archE910ELNS1_3gpuE8ELNS1_3repE0EEENS1_30default_config_static_selectorELNS0_4arch9wavefront6targetE1EEEvT1_.uses_flat_scratch, 0
	.set _ZN7rocprim17ROCPRIM_400000_NS6detail17trampoline_kernelINS0_14default_configENS1_20scan_config_selectorIN3c108BFloat16EEEZZNS1_9scan_implILNS1_25lookback_scan_determinismE0ELb0ELb0ES3_PKS6_PS6_S6_ZZZN2at6native31launch_logcumsumexp_cuda_kernelERKNSD_10TensorBaseESH_lENKUlvE_clEvENKUlvE4_clEvEUlS6_S6_E_S6_EEDaPvRmT3_T4_T5_mT6_P12ihipStream_tbENKUlT_T0_E_clISt17integral_constantIbLb0EESY_EEDaST_SU_EUlST_E_NS1_11comp_targetILNS1_3genE4ELNS1_11target_archE910ELNS1_3gpuE8ELNS1_3repE0EEENS1_30default_config_static_selectorELNS0_4arch9wavefront6targetE1EEEvT1_.has_dyn_sized_stack, 0
	.set _ZN7rocprim17ROCPRIM_400000_NS6detail17trampoline_kernelINS0_14default_configENS1_20scan_config_selectorIN3c108BFloat16EEEZZNS1_9scan_implILNS1_25lookback_scan_determinismE0ELb0ELb0ES3_PKS6_PS6_S6_ZZZN2at6native31launch_logcumsumexp_cuda_kernelERKNSD_10TensorBaseESH_lENKUlvE_clEvENKUlvE4_clEvEUlS6_S6_E_S6_EEDaPvRmT3_T4_T5_mT6_P12ihipStream_tbENKUlT_T0_E_clISt17integral_constantIbLb0EESY_EEDaST_SU_EUlST_E_NS1_11comp_targetILNS1_3genE4ELNS1_11target_archE910ELNS1_3gpuE8ELNS1_3repE0EEENS1_30default_config_static_selectorELNS0_4arch9wavefront6targetE1EEEvT1_.has_recursion, 0
	.set _ZN7rocprim17ROCPRIM_400000_NS6detail17trampoline_kernelINS0_14default_configENS1_20scan_config_selectorIN3c108BFloat16EEEZZNS1_9scan_implILNS1_25lookback_scan_determinismE0ELb0ELb0ES3_PKS6_PS6_S6_ZZZN2at6native31launch_logcumsumexp_cuda_kernelERKNSD_10TensorBaseESH_lENKUlvE_clEvENKUlvE4_clEvEUlS6_S6_E_S6_EEDaPvRmT3_T4_T5_mT6_P12ihipStream_tbENKUlT_T0_E_clISt17integral_constantIbLb0EESY_EEDaST_SU_EUlST_E_NS1_11comp_targetILNS1_3genE4ELNS1_11target_archE910ELNS1_3gpuE8ELNS1_3repE0EEENS1_30default_config_static_selectorELNS0_4arch9wavefront6targetE1EEEvT1_.has_indirect_call, 0
	.section	.AMDGPU.csdata,"",@progbits
; Kernel info:
; codeLenInByte = 0
; TotalNumSgprs: 4
; NumVgprs: 0
; ScratchSize: 0
; MemoryBound: 0
; FloatMode: 240
; IeeeMode: 1
; LDSByteSize: 0 bytes/workgroup (compile time only)
; SGPRBlocks: 0
; VGPRBlocks: 0
; NumSGPRsForWavesPerEU: 4
; NumVGPRsForWavesPerEU: 1
; Occupancy: 10
; WaveLimiterHint : 0
; COMPUTE_PGM_RSRC2:SCRATCH_EN: 0
; COMPUTE_PGM_RSRC2:USER_SGPR: 6
; COMPUTE_PGM_RSRC2:TRAP_HANDLER: 0
; COMPUTE_PGM_RSRC2:TGID_X_EN: 1
; COMPUTE_PGM_RSRC2:TGID_Y_EN: 0
; COMPUTE_PGM_RSRC2:TGID_Z_EN: 0
; COMPUTE_PGM_RSRC2:TIDIG_COMP_CNT: 0
	.section	.text._ZN7rocprim17ROCPRIM_400000_NS6detail17trampoline_kernelINS0_14default_configENS1_20scan_config_selectorIN3c108BFloat16EEEZZNS1_9scan_implILNS1_25lookback_scan_determinismE0ELb0ELb0ES3_PKS6_PS6_S6_ZZZN2at6native31launch_logcumsumexp_cuda_kernelERKNSD_10TensorBaseESH_lENKUlvE_clEvENKUlvE4_clEvEUlS6_S6_E_S6_EEDaPvRmT3_T4_T5_mT6_P12ihipStream_tbENKUlT_T0_E_clISt17integral_constantIbLb0EESY_EEDaST_SU_EUlST_E_NS1_11comp_targetILNS1_3genE3ELNS1_11target_archE908ELNS1_3gpuE7ELNS1_3repE0EEENS1_30default_config_static_selectorELNS0_4arch9wavefront6targetE1EEEvT1_,"axG",@progbits,_ZN7rocprim17ROCPRIM_400000_NS6detail17trampoline_kernelINS0_14default_configENS1_20scan_config_selectorIN3c108BFloat16EEEZZNS1_9scan_implILNS1_25lookback_scan_determinismE0ELb0ELb0ES3_PKS6_PS6_S6_ZZZN2at6native31launch_logcumsumexp_cuda_kernelERKNSD_10TensorBaseESH_lENKUlvE_clEvENKUlvE4_clEvEUlS6_S6_E_S6_EEDaPvRmT3_T4_T5_mT6_P12ihipStream_tbENKUlT_T0_E_clISt17integral_constantIbLb0EESY_EEDaST_SU_EUlST_E_NS1_11comp_targetILNS1_3genE3ELNS1_11target_archE908ELNS1_3gpuE7ELNS1_3repE0EEENS1_30default_config_static_selectorELNS0_4arch9wavefront6targetE1EEEvT1_,comdat
	.globl	_ZN7rocprim17ROCPRIM_400000_NS6detail17trampoline_kernelINS0_14default_configENS1_20scan_config_selectorIN3c108BFloat16EEEZZNS1_9scan_implILNS1_25lookback_scan_determinismE0ELb0ELb0ES3_PKS6_PS6_S6_ZZZN2at6native31launch_logcumsumexp_cuda_kernelERKNSD_10TensorBaseESH_lENKUlvE_clEvENKUlvE4_clEvEUlS6_S6_E_S6_EEDaPvRmT3_T4_T5_mT6_P12ihipStream_tbENKUlT_T0_E_clISt17integral_constantIbLb0EESY_EEDaST_SU_EUlST_E_NS1_11comp_targetILNS1_3genE3ELNS1_11target_archE908ELNS1_3gpuE7ELNS1_3repE0EEENS1_30default_config_static_selectorELNS0_4arch9wavefront6targetE1EEEvT1_ ; -- Begin function _ZN7rocprim17ROCPRIM_400000_NS6detail17trampoline_kernelINS0_14default_configENS1_20scan_config_selectorIN3c108BFloat16EEEZZNS1_9scan_implILNS1_25lookback_scan_determinismE0ELb0ELb0ES3_PKS6_PS6_S6_ZZZN2at6native31launch_logcumsumexp_cuda_kernelERKNSD_10TensorBaseESH_lENKUlvE_clEvENKUlvE4_clEvEUlS6_S6_E_S6_EEDaPvRmT3_T4_T5_mT6_P12ihipStream_tbENKUlT_T0_E_clISt17integral_constantIbLb0EESY_EEDaST_SU_EUlST_E_NS1_11comp_targetILNS1_3genE3ELNS1_11target_archE908ELNS1_3gpuE7ELNS1_3repE0EEENS1_30default_config_static_selectorELNS0_4arch9wavefront6targetE1EEEvT1_
	.p2align	8
	.type	_ZN7rocprim17ROCPRIM_400000_NS6detail17trampoline_kernelINS0_14default_configENS1_20scan_config_selectorIN3c108BFloat16EEEZZNS1_9scan_implILNS1_25lookback_scan_determinismE0ELb0ELb0ES3_PKS6_PS6_S6_ZZZN2at6native31launch_logcumsumexp_cuda_kernelERKNSD_10TensorBaseESH_lENKUlvE_clEvENKUlvE4_clEvEUlS6_S6_E_S6_EEDaPvRmT3_T4_T5_mT6_P12ihipStream_tbENKUlT_T0_E_clISt17integral_constantIbLb0EESY_EEDaST_SU_EUlST_E_NS1_11comp_targetILNS1_3genE3ELNS1_11target_archE908ELNS1_3gpuE7ELNS1_3repE0EEENS1_30default_config_static_selectorELNS0_4arch9wavefront6targetE1EEEvT1_,@function
_ZN7rocprim17ROCPRIM_400000_NS6detail17trampoline_kernelINS0_14default_configENS1_20scan_config_selectorIN3c108BFloat16EEEZZNS1_9scan_implILNS1_25lookback_scan_determinismE0ELb0ELb0ES3_PKS6_PS6_S6_ZZZN2at6native31launch_logcumsumexp_cuda_kernelERKNSD_10TensorBaseESH_lENKUlvE_clEvENKUlvE4_clEvEUlS6_S6_E_S6_EEDaPvRmT3_T4_T5_mT6_P12ihipStream_tbENKUlT_T0_E_clISt17integral_constantIbLb0EESY_EEDaST_SU_EUlST_E_NS1_11comp_targetILNS1_3genE3ELNS1_11target_archE908ELNS1_3gpuE7ELNS1_3repE0EEENS1_30default_config_static_selectorELNS0_4arch9wavefront6targetE1EEEvT1_: ; @_ZN7rocprim17ROCPRIM_400000_NS6detail17trampoline_kernelINS0_14default_configENS1_20scan_config_selectorIN3c108BFloat16EEEZZNS1_9scan_implILNS1_25lookback_scan_determinismE0ELb0ELb0ES3_PKS6_PS6_S6_ZZZN2at6native31launch_logcumsumexp_cuda_kernelERKNSD_10TensorBaseESH_lENKUlvE_clEvENKUlvE4_clEvEUlS6_S6_E_S6_EEDaPvRmT3_T4_T5_mT6_P12ihipStream_tbENKUlT_T0_E_clISt17integral_constantIbLb0EESY_EEDaST_SU_EUlST_E_NS1_11comp_targetILNS1_3genE3ELNS1_11target_archE908ELNS1_3gpuE7ELNS1_3repE0EEENS1_30default_config_static_selectorELNS0_4arch9wavefront6targetE1EEEvT1_
; %bb.0:
	.section	.rodata,"a",@progbits
	.p2align	6, 0x0
	.amdhsa_kernel _ZN7rocprim17ROCPRIM_400000_NS6detail17trampoline_kernelINS0_14default_configENS1_20scan_config_selectorIN3c108BFloat16EEEZZNS1_9scan_implILNS1_25lookback_scan_determinismE0ELb0ELb0ES3_PKS6_PS6_S6_ZZZN2at6native31launch_logcumsumexp_cuda_kernelERKNSD_10TensorBaseESH_lENKUlvE_clEvENKUlvE4_clEvEUlS6_S6_E_S6_EEDaPvRmT3_T4_T5_mT6_P12ihipStream_tbENKUlT_T0_E_clISt17integral_constantIbLb0EESY_EEDaST_SU_EUlST_E_NS1_11comp_targetILNS1_3genE3ELNS1_11target_archE908ELNS1_3gpuE7ELNS1_3repE0EEENS1_30default_config_static_selectorELNS0_4arch9wavefront6targetE1EEEvT1_
		.amdhsa_group_segment_fixed_size 0
		.amdhsa_private_segment_fixed_size 0
		.amdhsa_kernarg_size 96
		.amdhsa_user_sgpr_count 6
		.amdhsa_user_sgpr_private_segment_buffer 1
		.amdhsa_user_sgpr_dispatch_ptr 0
		.amdhsa_user_sgpr_queue_ptr 0
		.amdhsa_user_sgpr_kernarg_segment_ptr 1
		.amdhsa_user_sgpr_dispatch_id 0
		.amdhsa_user_sgpr_flat_scratch_init 0
		.amdhsa_user_sgpr_private_segment_size 0
		.amdhsa_uses_dynamic_stack 0
		.amdhsa_system_sgpr_private_segment_wavefront_offset 0
		.amdhsa_system_sgpr_workgroup_id_x 1
		.amdhsa_system_sgpr_workgroup_id_y 0
		.amdhsa_system_sgpr_workgroup_id_z 0
		.amdhsa_system_sgpr_workgroup_info 0
		.amdhsa_system_vgpr_workitem_id 0
		.amdhsa_next_free_vgpr 1
		.amdhsa_next_free_sgpr 0
		.amdhsa_reserve_vcc 0
		.amdhsa_reserve_flat_scratch 0
		.amdhsa_float_round_mode_32 0
		.amdhsa_float_round_mode_16_64 0
		.amdhsa_float_denorm_mode_32 3
		.amdhsa_float_denorm_mode_16_64 3
		.amdhsa_dx10_clamp 1
		.amdhsa_ieee_mode 1
		.amdhsa_fp16_overflow 0
		.amdhsa_exception_fp_ieee_invalid_op 0
		.amdhsa_exception_fp_denorm_src 0
		.amdhsa_exception_fp_ieee_div_zero 0
		.amdhsa_exception_fp_ieee_overflow 0
		.amdhsa_exception_fp_ieee_underflow 0
		.amdhsa_exception_fp_ieee_inexact 0
		.amdhsa_exception_int_div_zero 0
	.end_amdhsa_kernel
	.section	.text._ZN7rocprim17ROCPRIM_400000_NS6detail17trampoline_kernelINS0_14default_configENS1_20scan_config_selectorIN3c108BFloat16EEEZZNS1_9scan_implILNS1_25lookback_scan_determinismE0ELb0ELb0ES3_PKS6_PS6_S6_ZZZN2at6native31launch_logcumsumexp_cuda_kernelERKNSD_10TensorBaseESH_lENKUlvE_clEvENKUlvE4_clEvEUlS6_S6_E_S6_EEDaPvRmT3_T4_T5_mT6_P12ihipStream_tbENKUlT_T0_E_clISt17integral_constantIbLb0EESY_EEDaST_SU_EUlST_E_NS1_11comp_targetILNS1_3genE3ELNS1_11target_archE908ELNS1_3gpuE7ELNS1_3repE0EEENS1_30default_config_static_selectorELNS0_4arch9wavefront6targetE1EEEvT1_,"axG",@progbits,_ZN7rocprim17ROCPRIM_400000_NS6detail17trampoline_kernelINS0_14default_configENS1_20scan_config_selectorIN3c108BFloat16EEEZZNS1_9scan_implILNS1_25lookback_scan_determinismE0ELb0ELb0ES3_PKS6_PS6_S6_ZZZN2at6native31launch_logcumsumexp_cuda_kernelERKNSD_10TensorBaseESH_lENKUlvE_clEvENKUlvE4_clEvEUlS6_S6_E_S6_EEDaPvRmT3_T4_T5_mT6_P12ihipStream_tbENKUlT_T0_E_clISt17integral_constantIbLb0EESY_EEDaST_SU_EUlST_E_NS1_11comp_targetILNS1_3genE3ELNS1_11target_archE908ELNS1_3gpuE7ELNS1_3repE0EEENS1_30default_config_static_selectorELNS0_4arch9wavefront6targetE1EEEvT1_,comdat
.Lfunc_end441:
	.size	_ZN7rocprim17ROCPRIM_400000_NS6detail17trampoline_kernelINS0_14default_configENS1_20scan_config_selectorIN3c108BFloat16EEEZZNS1_9scan_implILNS1_25lookback_scan_determinismE0ELb0ELb0ES3_PKS6_PS6_S6_ZZZN2at6native31launch_logcumsumexp_cuda_kernelERKNSD_10TensorBaseESH_lENKUlvE_clEvENKUlvE4_clEvEUlS6_S6_E_S6_EEDaPvRmT3_T4_T5_mT6_P12ihipStream_tbENKUlT_T0_E_clISt17integral_constantIbLb0EESY_EEDaST_SU_EUlST_E_NS1_11comp_targetILNS1_3genE3ELNS1_11target_archE908ELNS1_3gpuE7ELNS1_3repE0EEENS1_30default_config_static_selectorELNS0_4arch9wavefront6targetE1EEEvT1_, .Lfunc_end441-_ZN7rocprim17ROCPRIM_400000_NS6detail17trampoline_kernelINS0_14default_configENS1_20scan_config_selectorIN3c108BFloat16EEEZZNS1_9scan_implILNS1_25lookback_scan_determinismE0ELb0ELb0ES3_PKS6_PS6_S6_ZZZN2at6native31launch_logcumsumexp_cuda_kernelERKNSD_10TensorBaseESH_lENKUlvE_clEvENKUlvE4_clEvEUlS6_S6_E_S6_EEDaPvRmT3_T4_T5_mT6_P12ihipStream_tbENKUlT_T0_E_clISt17integral_constantIbLb0EESY_EEDaST_SU_EUlST_E_NS1_11comp_targetILNS1_3genE3ELNS1_11target_archE908ELNS1_3gpuE7ELNS1_3repE0EEENS1_30default_config_static_selectorELNS0_4arch9wavefront6targetE1EEEvT1_
                                        ; -- End function
	.set _ZN7rocprim17ROCPRIM_400000_NS6detail17trampoline_kernelINS0_14default_configENS1_20scan_config_selectorIN3c108BFloat16EEEZZNS1_9scan_implILNS1_25lookback_scan_determinismE0ELb0ELb0ES3_PKS6_PS6_S6_ZZZN2at6native31launch_logcumsumexp_cuda_kernelERKNSD_10TensorBaseESH_lENKUlvE_clEvENKUlvE4_clEvEUlS6_S6_E_S6_EEDaPvRmT3_T4_T5_mT6_P12ihipStream_tbENKUlT_T0_E_clISt17integral_constantIbLb0EESY_EEDaST_SU_EUlST_E_NS1_11comp_targetILNS1_3genE3ELNS1_11target_archE908ELNS1_3gpuE7ELNS1_3repE0EEENS1_30default_config_static_selectorELNS0_4arch9wavefront6targetE1EEEvT1_.num_vgpr, 0
	.set _ZN7rocprim17ROCPRIM_400000_NS6detail17trampoline_kernelINS0_14default_configENS1_20scan_config_selectorIN3c108BFloat16EEEZZNS1_9scan_implILNS1_25lookback_scan_determinismE0ELb0ELb0ES3_PKS6_PS6_S6_ZZZN2at6native31launch_logcumsumexp_cuda_kernelERKNSD_10TensorBaseESH_lENKUlvE_clEvENKUlvE4_clEvEUlS6_S6_E_S6_EEDaPvRmT3_T4_T5_mT6_P12ihipStream_tbENKUlT_T0_E_clISt17integral_constantIbLb0EESY_EEDaST_SU_EUlST_E_NS1_11comp_targetILNS1_3genE3ELNS1_11target_archE908ELNS1_3gpuE7ELNS1_3repE0EEENS1_30default_config_static_selectorELNS0_4arch9wavefront6targetE1EEEvT1_.num_agpr, 0
	.set _ZN7rocprim17ROCPRIM_400000_NS6detail17trampoline_kernelINS0_14default_configENS1_20scan_config_selectorIN3c108BFloat16EEEZZNS1_9scan_implILNS1_25lookback_scan_determinismE0ELb0ELb0ES3_PKS6_PS6_S6_ZZZN2at6native31launch_logcumsumexp_cuda_kernelERKNSD_10TensorBaseESH_lENKUlvE_clEvENKUlvE4_clEvEUlS6_S6_E_S6_EEDaPvRmT3_T4_T5_mT6_P12ihipStream_tbENKUlT_T0_E_clISt17integral_constantIbLb0EESY_EEDaST_SU_EUlST_E_NS1_11comp_targetILNS1_3genE3ELNS1_11target_archE908ELNS1_3gpuE7ELNS1_3repE0EEENS1_30default_config_static_selectorELNS0_4arch9wavefront6targetE1EEEvT1_.numbered_sgpr, 0
	.set _ZN7rocprim17ROCPRIM_400000_NS6detail17trampoline_kernelINS0_14default_configENS1_20scan_config_selectorIN3c108BFloat16EEEZZNS1_9scan_implILNS1_25lookback_scan_determinismE0ELb0ELb0ES3_PKS6_PS6_S6_ZZZN2at6native31launch_logcumsumexp_cuda_kernelERKNSD_10TensorBaseESH_lENKUlvE_clEvENKUlvE4_clEvEUlS6_S6_E_S6_EEDaPvRmT3_T4_T5_mT6_P12ihipStream_tbENKUlT_T0_E_clISt17integral_constantIbLb0EESY_EEDaST_SU_EUlST_E_NS1_11comp_targetILNS1_3genE3ELNS1_11target_archE908ELNS1_3gpuE7ELNS1_3repE0EEENS1_30default_config_static_selectorELNS0_4arch9wavefront6targetE1EEEvT1_.num_named_barrier, 0
	.set _ZN7rocprim17ROCPRIM_400000_NS6detail17trampoline_kernelINS0_14default_configENS1_20scan_config_selectorIN3c108BFloat16EEEZZNS1_9scan_implILNS1_25lookback_scan_determinismE0ELb0ELb0ES3_PKS6_PS6_S6_ZZZN2at6native31launch_logcumsumexp_cuda_kernelERKNSD_10TensorBaseESH_lENKUlvE_clEvENKUlvE4_clEvEUlS6_S6_E_S6_EEDaPvRmT3_T4_T5_mT6_P12ihipStream_tbENKUlT_T0_E_clISt17integral_constantIbLb0EESY_EEDaST_SU_EUlST_E_NS1_11comp_targetILNS1_3genE3ELNS1_11target_archE908ELNS1_3gpuE7ELNS1_3repE0EEENS1_30default_config_static_selectorELNS0_4arch9wavefront6targetE1EEEvT1_.private_seg_size, 0
	.set _ZN7rocprim17ROCPRIM_400000_NS6detail17trampoline_kernelINS0_14default_configENS1_20scan_config_selectorIN3c108BFloat16EEEZZNS1_9scan_implILNS1_25lookback_scan_determinismE0ELb0ELb0ES3_PKS6_PS6_S6_ZZZN2at6native31launch_logcumsumexp_cuda_kernelERKNSD_10TensorBaseESH_lENKUlvE_clEvENKUlvE4_clEvEUlS6_S6_E_S6_EEDaPvRmT3_T4_T5_mT6_P12ihipStream_tbENKUlT_T0_E_clISt17integral_constantIbLb0EESY_EEDaST_SU_EUlST_E_NS1_11comp_targetILNS1_3genE3ELNS1_11target_archE908ELNS1_3gpuE7ELNS1_3repE0EEENS1_30default_config_static_selectorELNS0_4arch9wavefront6targetE1EEEvT1_.uses_vcc, 0
	.set _ZN7rocprim17ROCPRIM_400000_NS6detail17trampoline_kernelINS0_14default_configENS1_20scan_config_selectorIN3c108BFloat16EEEZZNS1_9scan_implILNS1_25lookback_scan_determinismE0ELb0ELb0ES3_PKS6_PS6_S6_ZZZN2at6native31launch_logcumsumexp_cuda_kernelERKNSD_10TensorBaseESH_lENKUlvE_clEvENKUlvE4_clEvEUlS6_S6_E_S6_EEDaPvRmT3_T4_T5_mT6_P12ihipStream_tbENKUlT_T0_E_clISt17integral_constantIbLb0EESY_EEDaST_SU_EUlST_E_NS1_11comp_targetILNS1_3genE3ELNS1_11target_archE908ELNS1_3gpuE7ELNS1_3repE0EEENS1_30default_config_static_selectorELNS0_4arch9wavefront6targetE1EEEvT1_.uses_flat_scratch, 0
	.set _ZN7rocprim17ROCPRIM_400000_NS6detail17trampoline_kernelINS0_14default_configENS1_20scan_config_selectorIN3c108BFloat16EEEZZNS1_9scan_implILNS1_25lookback_scan_determinismE0ELb0ELb0ES3_PKS6_PS6_S6_ZZZN2at6native31launch_logcumsumexp_cuda_kernelERKNSD_10TensorBaseESH_lENKUlvE_clEvENKUlvE4_clEvEUlS6_S6_E_S6_EEDaPvRmT3_T4_T5_mT6_P12ihipStream_tbENKUlT_T0_E_clISt17integral_constantIbLb0EESY_EEDaST_SU_EUlST_E_NS1_11comp_targetILNS1_3genE3ELNS1_11target_archE908ELNS1_3gpuE7ELNS1_3repE0EEENS1_30default_config_static_selectorELNS0_4arch9wavefront6targetE1EEEvT1_.has_dyn_sized_stack, 0
	.set _ZN7rocprim17ROCPRIM_400000_NS6detail17trampoline_kernelINS0_14default_configENS1_20scan_config_selectorIN3c108BFloat16EEEZZNS1_9scan_implILNS1_25lookback_scan_determinismE0ELb0ELb0ES3_PKS6_PS6_S6_ZZZN2at6native31launch_logcumsumexp_cuda_kernelERKNSD_10TensorBaseESH_lENKUlvE_clEvENKUlvE4_clEvEUlS6_S6_E_S6_EEDaPvRmT3_T4_T5_mT6_P12ihipStream_tbENKUlT_T0_E_clISt17integral_constantIbLb0EESY_EEDaST_SU_EUlST_E_NS1_11comp_targetILNS1_3genE3ELNS1_11target_archE908ELNS1_3gpuE7ELNS1_3repE0EEENS1_30default_config_static_selectorELNS0_4arch9wavefront6targetE1EEEvT1_.has_recursion, 0
	.set _ZN7rocprim17ROCPRIM_400000_NS6detail17trampoline_kernelINS0_14default_configENS1_20scan_config_selectorIN3c108BFloat16EEEZZNS1_9scan_implILNS1_25lookback_scan_determinismE0ELb0ELb0ES3_PKS6_PS6_S6_ZZZN2at6native31launch_logcumsumexp_cuda_kernelERKNSD_10TensorBaseESH_lENKUlvE_clEvENKUlvE4_clEvEUlS6_S6_E_S6_EEDaPvRmT3_T4_T5_mT6_P12ihipStream_tbENKUlT_T0_E_clISt17integral_constantIbLb0EESY_EEDaST_SU_EUlST_E_NS1_11comp_targetILNS1_3genE3ELNS1_11target_archE908ELNS1_3gpuE7ELNS1_3repE0EEENS1_30default_config_static_selectorELNS0_4arch9wavefront6targetE1EEEvT1_.has_indirect_call, 0
	.section	.AMDGPU.csdata,"",@progbits
; Kernel info:
; codeLenInByte = 0
; TotalNumSgprs: 4
; NumVgprs: 0
; ScratchSize: 0
; MemoryBound: 0
; FloatMode: 240
; IeeeMode: 1
; LDSByteSize: 0 bytes/workgroup (compile time only)
; SGPRBlocks: 0
; VGPRBlocks: 0
; NumSGPRsForWavesPerEU: 4
; NumVGPRsForWavesPerEU: 1
; Occupancy: 10
; WaveLimiterHint : 0
; COMPUTE_PGM_RSRC2:SCRATCH_EN: 0
; COMPUTE_PGM_RSRC2:USER_SGPR: 6
; COMPUTE_PGM_RSRC2:TRAP_HANDLER: 0
; COMPUTE_PGM_RSRC2:TGID_X_EN: 1
; COMPUTE_PGM_RSRC2:TGID_Y_EN: 0
; COMPUTE_PGM_RSRC2:TGID_Z_EN: 0
; COMPUTE_PGM_RSRC2:TIDIG_COMP_CNT: 0
	.section	.text._ZN7rocprim17ROCPRIM_400000_NS6detail17trampoline_kernelINS0_14default_configENS1_20scan_config_selectorIN3c108BFloat16EEEZZNS1_9scan_implILNS1_25lookback_scan_determinismE0ELb0ELb0ES3_PKS6_PS6_S6_ZZZN2at6native31launch_logcumsumexp_cuda_kernelERKNSD_10TensorBaseESH_lENKUlvE_clEvENKUlvE4_clEvEUlS6_S6_E_S6_EEDaPvRmT3_T4_T5_mT6_P12ihipStream_tbENKUlT_T0_E_clISt17integral_constantIbLb0EESY_EEDaST_SU_EUlST_E_NS1_11comp_targetILNS1_3genE2ELNS1_11target_archE906ELNS1_3gpuE6ELNS1_3repE0EEENS1_30default_config_static_selectorELNS0_4arch9wavefront6targetE1EEEvT1_,"axG",@progbits,_ZN7rocprim17ROCPRIM_400000_NS6detail17trampoline_kernelINS0_14default_configENS1_20scan_config_selectorIN3c108BFloat16EEEZZNS1_9scan_implILNS1_25lookback_scan_determinismE0ELb0ELb0ES3_PKS6_PS6_S6_ZZZN2at6native31launch_logcumsumexp_cuda_kernelERKNSD_10TensorBaseESH_lENKUlvE_clEvENKUlvE4_clEvEUlS6_S6_E_S6_EEDaPvRmT3_T4_T5_mT6_P12ihipStream_tbENKUlT_T0_E_clISt17integral_constantIbLb0EESY_EEDaST_SU_EUlST_E_NS1_11comp_targetILNS1_3genE2ELNS1_11target_archE906ELNS1_3gpuE6ELNS1_3repE0EEENS1_30default_config_static_selectorELNS0_4arch9wavefront6targetE1EEEvT1_,comdat
	.globl	_ZN7rocprim17ROCPRIM_400000_NS6detail17trampoline_kernelINS0_14default_configENS1_20scan_config_selectorIN3c108BFloat16EEEZZNS1_9scan_implILNS1_25lookback_scan_determinismE0ELb0ELb0ES3_PKS6_PS6_S6_ZZZN2at6native31launch_logcumsumexp_cuda_kernelERKNSD_10TensorBaseESH_lENKUlvE_clEvENKUlvE4_clEvEUlS6_S6_E_S6_EEDaPvRmT3_T4_T5_mT6_P12ihipStream_tbENKUlT_T0_E_clISt17integral_constantIbLb0EESY_EEDaST_SU_EUlST_E_NS1_11comp_targetILNS1_3genE2ELNS1_11target_archE906ELNS1_3gpuE6ELNS1_3repE0EEENS1_30default_config_static_selectorELNS0_4arch9wavefront6targetE1EEEvT1_ ; -- Begin function _ZN7rocprim17ROCPRIM_400000_NS6detail17trampoline_kernelINS0_14default_configENS1_20scan_config_selectorIN3c108BFloat16EEEZZNS1_9scan_implILNS1_25lookback_scan_determinismE0ELb0ELb0ES3_PKS6_PS6_S6_ZZZN2at6native31launch_logcumsumexp_cuda_kernelERKNSD_10TensorBaseESH_lENKUlvE_clEvENKUlvE4_clEvEUlS6_S6_E_S6_EEDaPvRmT3_T4_T5_mT6_P12ihipStream_tbENKUlT_T0_E_clISt17integral_constantIbLb0EESY_EEDaST_SU_EUlST_E_NS1_11comp_targetILNS1_3genE2ELNS1_11target_archE906ELNS1_3gpuE6ELNS1_3repE0EEENS1_30default_config_static_selectorELNS0_4arch9wavefront6targetE1EEEvT1_
	.p2align	8
	.type	_ZN7rocprim17ROCPRIM_400000_NS6detail17trampoline_kernelINS0_14default_configENS1_20scan_config_selectorIN3c108BFloat16EEEZZNS1_9scan_implILNS1_25lookback_scan_determinismE0ELb0ELb0ES3_PKS6_PS6_S6_ZZZN2at6native31launch_logcumsumexp_cuda_kernelERKNSD_10TensorBaseESH_lENKUlvE_clEvENKUlvE4_clEvEUlS6_S6_E_S6_EEDaPvRmT3_T4_T5_mT6_P12ihipStream_tbENKUlT_T0_E_clISt17integral_constantIbLb0EESY_EEDaST_SU_EUlST_E_NS1_11comp_targetILNS1_3genE2ELNS1_11target_archE906ELNS1_3gpuE6ELNS1_3repE0EEENS1_30default_config_static_selectorELNS0_4arch9wavefront6targetE1EEEvT1_,@function
_ZN7rocprim17ROCPRIM_400000_NS6detail17trampoline_kernelINS0_14default_configENS1_20scan_config_selectorIN3c108BFloat16EEEZZNS1_9scan_implILNS1_25lookback_scan_determinismE0ELb0ELb0ES3_PKS6_PS6_S6_ZZZN2at6native31launch_logcumsumexp_cuda_kernelERKNSD_10TensorBaseESH_lENKUlvE_clEvENKUlvE4_clEvEUlS6_S6_E_S6_EEDaPvRmT3_T4_T5_mT6_P12ihipStream_tbENKUlT_T0_E_clISt17integral_constantIbLb0EESY_EEDaST_SU_EUlST_E_NS1_11comp_targetILNS1_3genE2ELNS1_11target_archE906ELNS1_3gpuE6ELNS1_3repE0EEENS1_30default_config_static_selectorELNS0_4arch9wavefront6targetE1EEEvT1_: ; @_ZN7rocprim17ROCPRIM_400000_NS6detail17trampoline_kernelINS0_14default_configENS1_20scan_config_selectorIN3c108BFloat16EEEZZNS1_9scan_implILNS1_25lookback_scan_determinismE0ELb0ELb0ES3_PKS6_PS6_S6_ZZZN2at6native31launch_logcumsumexp_cuda_kernelERKNSD_10TensorBaseESH_lENKUlvE_clEvENKUlvE4_clEvEUlS6_S6_E_S6_EEDaPvRmT3_T4_T5_mT6_P12ihipStream_tbENKUlT_T0_E_clISt17integral_constantIbLb0EESY_EEDaST_SU_EUlST_E_NS1_11comp_targetILNS1_3genE2ELNS1_11target_archE906ELNS1_3gpuE6ELNS1_3repE0EEENS1_30default_config_static_selectorELNS0_4arch9wavefront6targetE1EEEvT1_
; %bb.0:
	s_load_dwordx8 s[60:67], s[4:5], 0x0
	s_load_dword s1, s[4:5], 0x30
	s_mul_i32 s0, s6, 0x1800
	v_lshlrev_b32_e32 v19, 1, v0
	s_waitcnt lgkmcnt(0)
	s_lshl_b64 s[68:69], s[62:63], 1
	s_add_u32 s2, s60, s68
	s_addc_u32 s3, s61, s69
	s_add_i32 s7, s1, -1
	s_mul_i32 s8, s7, 0x1800
	s_sub_u32 s33, s66, s8
	s_subb_u32 s76, s67, 0
	s_mov_b32 s1, 0
	s_cmp_lg_u32 s6, s7
	s_cselect_b64 s[66:67], -1, 0
	s_lshl_b64 s[70:71], s[0:1], 1
	s_add_u32 s2, s2, s70
	s_addc_u32 s3, s3, s71
	s_mov_b64 s[0:1], -1
	s_and_b64 vcc, exec, s[66:67]
	s_cbranch_vccz .LBB442_2
; %bb.1:
	v_mov_b32_e32 v1, s3
	v_add_co_u32_e32 v3, vcc, s2, v19
	v_addc_co_u32_e32 v4, vcc, 0, v1, vcc
	v_add_co_u32_e32 v1, vcc, 0x1000, v3
	v_addc_co_u32_e32 v2, vcc, 0, v4, vcc
	global_load_ushort v5, v19, s[2:3]
	global_load_ushort v6, v19, s[2:3] offset:512
	global_load_ushort v7, v19, s[2:3] offset:1024
	;; [unrolled: 1-line block ×7, first 2 shown]
	global_load_ushort v13, v[1:2], off
	global_load_ushort v14, v[1:2], off offset:512
	global_load_ushort v15, v[1:2], off offset:1024
	;; [unrolled: 1-line block ×7, first 2 shown]
	v_add_co_u32_e32 v1, vcc, 0x2000, v3
	v_addc_co_u32_e32 v2, vcc, 0, v4, vcc
	global_load_ushort v3, v[1:2], off
	global_load_ushort v4, v[1:2], off offset:512
	global_load_ushort v22, v[1:2], off offset:1024
	global_load_ushort v23, v[1:2], off offset:1536
	global_load_ushort v24, v[1:2], off offset:2048
	global_load_ushort v25, v[1:2], off offset:2560
	global_load_ushort v26, v[1:2], off offset:3072
	global_load_ushort v27, v[1:2], off offset:3584
	s_mov_b64 s[0:1], 0
	s_waitcnt vmcnt(23)
	ds_write_b16 v19, v5
	s_waitcnt vmcnt(22)
	ds_write_b16 v19, v6 offset:512
	s_waitcnt vmcnt(21)
	ds_write_b16 v19, v7 offset:1024
	s_waitcnt vmcnt(20)
	ds_write_b16 v19, v8 offset:1536
	s_waitcnt vmcnt(19)
	ds_write_b16 v19, v9 offset:2048
	s_waitcnt vmcnt(18)
	ds_write_b16 v19, v10 offset:2560
	s_waitcnt vmcnt(17)
	ds_write_b16 v19, v11 offset:3072
	s_waitcnt vmcnt(16)
	ds_write_b16 v19, v12 offset:3584
	s_waitcnt vmcnt(15)
	ds_write_b16 v19, v13 offset:4096
	s_waitcnt vmcnt(14)
	ds_write_b16 v19, v14 offset:4608
	s_waitcnt vmcnt(13)
	ds_write_b16 v19, v15 offset:5120
	s_waitcnt vmcnt(12)
	ds_write_b16 v19, v16 offset:5632
	s_waitcnt vmcnt(11)
	ds_write_b16 v19, v17 offset:6144
	s_waitcnt vmcnt(10)
	ds_write_b16 v19, v18 offset:6656
	s_waitcnt vmcnt(9)
	ds_write_b16 v19, v20 offset:7168
	s_waitcnt vmcnt(8)
	ds_write_b16 v19, v21 offset:7680
	s_waitcnt vmcnt(7)
	ds_write_b16 v19, v3 offset:8192
	s_waitcnt vmcnt(6)
	ds_write_b16 v19, v4 offset:8704
	s_waitcnt vmcnt(5)
	ds_write_b16 v19, v22 offset:9216
	s_waitcnt vmcnt(4)
	ds_write_b16 v19, v23 offset:9728
	s_waitcnt vmcnt(3)
	ds_write_b16 v19, v24 offset:10240
	s_waitcnt vmcnt(2)
	ds_write_b16 v19, v25 offset:10752
	s_waitcnt vmcnt(1)
	ds_write_b16 v19, v26 offset:11264
	s_waitcnt vmcnt(0)
	ds_write_b16 v19, v27 offset:11776
	s_waitcnt lgkmcnt(0)
	s_barrier
.LBB442_2:
	s_load_dwordx2 s[72:73], s[4:5], 0x28
	s_andn2_b64 vcc, exec, s[0:1]
	v_cmp_gt_u32_e64 s[0:1], s33, v0
	s_cbranch_vccnz .LBB442_52
; %bb.3:
	v_mov_b32_e32 v1, 0
	global_load_ushort v1, v1, s[2:3]
	s_waitcnt vmcnt(0)
	v_mov_b32_e32 v2, v1
	s_and_saveexec_b64 s[8:9], s[0:1]
	s_cbranch_execz .LBB442_5
; %bb.4:
	global_load_ushort v2, v19, s[2:3]
.LBB442_5:
	s_or_b64 exec, exec, s[8:9]
	v_or_b32_e32 v3, 0x100, v0
	v_cmp_gt_u32_e32 vcc, s33, v3
	v_mov_b32_e32 v3, v1
	s_and_saveexec_b64 s[0:1], vcc
	s_cbranch_execz .LBB442_7
; %bb.6:
	global_load_ushort v3, v19, s[2:3] offset:512
.LBB442_7:
	s_or_b64 exec, exec, s[0:1]
	v_or_b32_e32 v4, 0x200, v0
	v_cmp_gt_u32_e32 vcc, s33, v4
	v_mov_b32_e32 v4, v1
	s_and_saveexec_b64 s[0:1], vcc
	s_cbranch_execz .LBB442_9
; %bb.8:
	global_load_ushort v4, v19, s[2:3] offset:1024
.LBB442_9:
	;; [unrolled: 9-line block ×7, first 2 shown]
	s_or_b64 exec, exec, s[0:1]
	v_or_b32_e32 v11, 0x800, v0
	v_cmp_gt_u32_e32 vcc, s33, v11
	v_mov_b32_e32 v10, v1
	s_and_saveexec_b64 s[0:1], vcc
	s_cbranch_execz .LBB442_21
; %bb.20:
	v_lshlrev_b32_e32 v10, 1, v11
	global_load_ushort v10, v10, s[2:3]
.LBB442_21:
	s_or_b64 exec, exec, s[0:1]
	v_or_b32_e32 v12, 0x900, v0
	v_cmp_gt_u32_e32 vcc, s33, v12
	v_mov_b32_e32 v11, v1
	s_and_saveexec_b64 s[0:1], vcc
	s_cbranch_execz .LBB442_23
; %bb.22:
	v_lshlrev_b32_e32 v11, 1, v12
	global_load_ushort v11, v11, s[2:3]
.LBB442_23:
	;; [unrolled: 10-line block ×15, first 2 shown]
	s_or_b64 exec, exec, s[0:1]
	v_or_b32_e32 v26, 0x1700, v0
	v_cmp_gt_u32_e32 vcc, s33, v26
	s_and_saveexec_b64 s[0:1], vcc
	s_cbranch_execz .LBB442_51
; %bb.50:
	v_lshlrev_b32_e32 v1, 1, v26
	global_load_ushort v1, v1, s[2:3]
.LBB442_51:
	s_or_b64 exec, exec, s[0:1]
	s_waitcnt vmcnt(0)
	ds_write_b16 v19, v2
	ds_write_b16 v19, v3 offset:512
	ds_write_b16 v19, v4 offset:1024
	;; [unrolled: 1-line block ×23, first 2 shown]
	s_waitcnt lgkmcnt(0)
	s_barrier
.LBB442_52:
	v_mul_u32_u24_e32 v20, 48, v0
	s_waitcnt lgkmcnt(0)
	ds_read_b128 v[9:12], v20
	ds_read_b128 v[5:8], v20 offset:16
	ds_read_b128 v[1:4], v20 offset:32
	s_cmp_lg_u32 s6, 0
	s_waitcnt lgkmcnt(0)
	s_barrier
	s_cbranch_scc0 .LBB442_206
; %bb.53:
	v_mov_b32_e32 v13, 16
	v_lshlrev_b32_e32 v67, 16, v9
	v_lshlrev_b32_sdwa v21, v13, v9 dst_sel:DWORD dst_unused:UNUSED_PAD src0_sel:DWORD src1_sel:WORD_1
	v_max_f32_e32 v22, v21, v21
	v_max_f32_e32 v68, v67, v67
	v_min_f32_e32 v14, v68, v22
	v_cmp_u_f32_e64 s[50:51], v67, v67
	v_cndmask_b32_e64 v14, v14, v67, s[50:51]
	v_cmp_u_f32_e64 s[0:1], v21, v21
	v_cndmask_b32_e64 v16, v14, v21, s[0:1]
	v_max_f32_e32 v14, v68, v22
	v_cndmask_b32_e64 v14, v14, v67, s[50:51]
	v_cndmask_b32_e64 v14, v14, v21, s[0:1]
	s_movk_i32 s7, 0x1f8
	v_cmp_neq_f32_e32 vcc, v16, v14
	v_cmp_class_f32_e64 s[2:3], v16, s7
	s_or_b64 s[8:9], vcc, s[2:3]
	v_mov_b32_e32 v15, v67
	s_and_saveexec_b64 s[2:3], s[8:9]
	s_cbranch_execz .LBB442_55
; %bb.54:
	v_sub_f32_e32 v15, v16, v14
	s_mov_b32 s8, 0x3fb8aa3b
	v_mul_f32_e32 v16, 0x3fb8aa3b, v15
	v_fma_f32 v17, v15, s8, -v16
	v_rndne_f32_e32 v18, v16
	v_fmac_f32_e32 v17, 0x32a5705f, v15
	v_sub_f32_e32 v16, v16, v18
	v_add_f32_e32 v16, v16, v17
	v_exp_f32_e32 v16, v16
	v_cvt_i32_f32_e32 v17, v18
	s_mov_b32 s8, 0xc2ce8ed0
	v_cmp_ngt_f32_e32 vcc, s8, v15
	s_mov_b32 s8, 0x42b17218
	v_ldexp_f32 v16, v16, v17
	v_cndmask_b32_e32 v16, 0, v16, vcc
	v_mov_b32_e32 v17, 0x7f800000
	v_cmp_nlt_f32_e32 vcc, s8, v15
	v_cndmask_b32_e32 v18, v17, v16, vcc
	v_add_f32_e32 v23, 1.0, v18
	v_cvt_f64_f32_e32 v[15:16], v23
	v_add_f32_e32 v24, -1.0, v23
	v_sub_f32_e32 v25, v24, v23
	v_sub_f32_e32 v24, v18, v24
	v_frexp_exp_i32_f64_e32 v15, v[15:16]
	v_add_f32_e32 v16, 1.0, v25
	v_add_f32_e32 v16, v24, v16
	v_frexp_mant_f32_e32 v24, v23
	s_mov_b32 s9, 0x3f2aaaab
	v_cmp_gt_f32_e32 vcc, s9, v24
	s_mov_b32 s9, 0x3f317218
	s_mov_b32 s8, 0x7f800000
	v_subbrev_co_u32_e32 v15, vcc, 0, v15, vcc
	v_sub_u32_e32 v24, 0, v15
	v_ldexp_f32 v23, v23, v24
	v_ldexp_f32 v16, v16, v24
	v_add_f32_e32 v24, -1.0, v23
	v_add_f32_e32 v27, 1.0, v23
	v_add_f32_e32 v25, 1.0, v24
	v_add_f32_e32 v28, -1.0, v27
	v_sub_f32_e32 v25, v23, v25
	v_sub_f32_e32 v23, v23, v28
	v_add_f32_e32 v25, v16, v25
	v_add_f32_e32 v16, v16, v23
	;; [unrolled: 1-line block ×3, first 2 shown]
	v_rcp_f32_e32 v28, v23
	v_add_f32_e32 v26, v24, v25
	v_sub_f32_e32 v24, v24, v26
	v_add_f32_e32 v24, v25, v24
	v_sub_f32_e32 v25, v27, v23
	v_add_f32_e32 v16, v16, v25
	v_mul_f32_e32 v25, v26, v28
	v_mul_f32_e32 v27, v23, v25
	v_fma_f32 v29, v25, v23, -v27
	v_fmac_f32_e32 v29, v25, v16
	v_add_f32_e32 v30, v27, v29
	v_sub_f32_e32 v31, v26, v30
	v_sub_f32_e32 v26, v26, v31
	;; [unrolled: 1-line block ×4, first 2 shown]
	v_add_f32_e32 v24, v24, v26
	v_sub_f32_e32 v26, v27, v29
	v_add_f32_e32 v24, v26, v24
	v_add_f32_e32 v26, v31, v24
	v_mul_f32_e32 v27, v28, v26
	v_mul_f32_e32 v29, v23, v27
	v_fma_f32 v23, v27, v23, -v29
	v_fmac_f32_e32 v23, v27, v16
	v_sub_f32_e32 v16, v31, v26
	v_add_f32_e32 v16, v24, v16
	v_add_f32_e32 v24, v29, v23
	v_sub_f32_e32 v30, v26, v24
	v_sub_f32_e32 v26, v26, v30
	;; [unrolled: 1-line block ×4, first 2 shown]
	v_add_f32_e32 v16, v16, v24
	v_sub_f32_e32 v23, v29, v23
	v_add_f32_e32 v16, v23, v16
	v_add_f32_e32 v23, v25, v27
	;; [unrolled: 1-line block ×3, first 2 shown]
	v_sub_f32_e32 v24, v23, v25
	v_mul_f32_e32 v16, v28, v16
	v_sub_f32_e32 v24, v27, v24
	v_add_f32_e32 v16, v24, v16
	v_cvt_f32_i32_e32 v15, v15
	v_add_f32_e32 v24, v23, v16
	v_mul_f32_e32 v25, v24, v24
	v_mov_b32_e32 v26, 0x3ecc95a3
	v_fmac_f32_e32 v26, 0x3e9b6dac, v25
	v_mov_b32_e32 v27, 0x3f2aaada
	v_fmac_f32_e32 v27, v25, v26
	v_mul_f32_e32 v26, 0x3f317218, v15
	v_fma_f32 v28, v15, s9, -v26
	v_fmac_f32_e32 v28, 0xb102e308, v15
	v_sub_f32_e32 v15, v24, v23
	v_sub_f32_e32 v15, v16, v15
	v_add_f32_e32 v16, v26, v28
	v_sub_f32_e32 v23, v16, v26
	v_ldexp_f32 v26, v24, 1
	v_mul_f32_e32 v24, v24, v25
	v_mul_f32_e32 v24, v24, v27
	v_add_f32_e32 v25, v26, v24
	v_sub_f32_e32 v26, v25, v26
	v_ldexp_f32 v15, v15, 1
	v_sub_f32_e32 v24, v24, v26
	v_add_f32_e32 v15, v15, v24
	v_add_f32_e32 v24, v25, v15
	v_sub_f32_e32 v25, v24, v25
	v_sub_f32_e32 v15, v15, v25
	v_add_f32_e32 v25, v16, v24
	v_sub_f32_e32 v26, v25, v16
	v_sub_f32_e32 v27, v25, v26
	;; [unrolled: 1-line block ×5, first 2 shown]
	v_add_f32_e32 v16, v24, v16
	v_add_f32_e32 v24, v23, v15
	v_sub_f32_e32 v26, v24, v23
	v_sub_f32_e32 v27, v24, v26
	;; [unrolled: 1-line block ×4, first 2 shown]
	v_add_f32_e32 v16, v24, v16
	v_add_f32_e32 v15, v15, v23
	;; [unrolled: 1-line block ×3, first 2 shown]
	v_sub_f32_e32 v24, v23, v25
	v_sub_f32_e32 v16, v16, v24
	v_add_f32_e32 v15, v15, v16
	v_add_f32_e32 v15, v23, v15
	v_cmp_neq_f32_e32 vcc, s8, v18
	s_mov_b32 s8, 0x33800000
	v_cndmask_b32_e32 v15, v17, v15, vcc
	v_cmp_lt_f32_e64 vcc, |v18|, s8
	v_cndmask_b32_e32 v15, v15, v18, vcc
	v_add_f32_e32 v15, v14, v15
.LBB442_55:
	s_or_b64 exec, exec, s[2:3]
	v_bfe_u32 v14, v15, 16, 1
	s_movk_i32 s10, 0x7fff
	v_add3_u32 v14, v15, v14, s10
	v_and_b32_e32 v16, 0xffff0000, v14
	v_mov_b32_e32 v14, 0x7fc00000
	v_cmp_o_f32_e32 vcc, v15, v15
	v_cndmask_b32_e32 v15, v14, v16, vcc
	v_lshlrev_b32_sdwa v23, v13, v10 dst_sel:DWORD dst_unused:UNUSED_PAD src0_sel:DWORD src1_sel:WORD_0
	v_max_f32_e32 v13, v15, v15
	v_max_f32_e32 v25, v23, v23
	v_min_f32_e32 v16, v13, v25
	v_cmp_u_f32_e32 vcc, v15, v15
	v_max_f32_e32 v13, v13, v25
	v_cndmask_b32_e32 v16, v16, v15, vcc
	v_cmp_u_f32_e64 s[2:3], v23, v23
	v_cndmask_b32_e32 v13, v13, v15, vcc
	v_cndmask_b32_e64 v16, v16, v23, s[2:3]
	v_cndmask_b32_e64 v13, v13, v23, s[2:3]
	v_cmp_neq_f32_e32 vcc, v16, v13
	v_cmp_class_f32_e64 s[8:9], v16, s7
	s_or_b64 s[12:13], vcc, s[8:9]
	s_and_saveexec_b64 s[8:9], s[12:13]
	s_cbranch_execz .LBB442_57
; %bb.56:
	v_sub_f32_e32 v15, v16, v13
	s_mov_b32 s7, 0x3fb8aa3b
	v_mul_f32_e32 v16, 0x3fb8aa3b, v15
	v_fma_f32 v17, v15, s7, -v16
	v_rndne_f32_e32 v18, v16
	v_fmac_f32_e32 v17, 0x32a5705f, v15
	v_sub_f32_e32 v16, v16, v18
	v_add_f32_e32 v16, v16, v17
	v_exp_f32_e32 v16, v16
	v_cvt_i32_f32_e32 v17, v18
	s_mov_b32 s7, 0xc2ce8ed0
	v_cmp_ngt_f32_e32 vcc, s7, v15
	s_mov_b32 s7, 0x42b17218
	v_ldexp_f32 v16, v16, v17
	v_cndmask_b32_e32 v16, 0, v16, vcc
	v_mov_b32_e32 v17, 0x7f800000
	v_cmp_nlt_f32_e32 vcc, s7, v15
	v_cndmask_b32_e32 v18, v17, v16, vcc
	v_add_f32_e32 v24, 1.0, v18
	v_cvt_f64_f32_e32 v[15:16], v24
	v_add_f32_e32 v26, -1.0, v24
	v_sub_f32_e32 v27, v26, v24
	v_sub_f32_e32 v26, v18, v26
	v_frexp_exp_i32_f64_e32 v15, v[15:16]
	v_add_f32_e32 v16, 1.0, v27
	v_add_f32_e32 v16, v26, v16
	v_frexp_mant_f32_e32 v26, v24
	s_mov_b32 s11, 0x3f2aaaab
	v_cmp_gt_f32_e32 vcc, s11, v26
	s_mov_b32 s11, 0x3f317218
	s_mov_b32 s7, 0x7f800000
	v_subbrev_co_u32_e32 v15, vcc, 0, v15, vcc
	v_sub_u32_e32 v26, 0, v15
	v_ldexp_f32 v24, v24, v26
	v_ldexp_f32 v16, v16, v26
	v_add_f32_e32 v26, -1.0, v24
	v_add_f32_e32 v29, 1.0, v24
	v_add_f32_e32 v27, 1.0, v26
	v_add_f32_e32 v30, -1.0, v29
	v_sub_f32_e32 v27, v24, v27
	v_sub_f32_e32 v24, v24, v30
	v_add_f32_e32 v27, v16, v27
	v_add_f32_e32 v16, v16, v24
	;; [unrolled: 1-line block ×3, first 2 shown]
	v_rcp_f32_e32 v30, v24
	v_add_f32_e32 v28, v26, v27
	v_sub_f32_e32 v26, v26, v28
	v_add_f32_e32 v26, v27, v26
	v_sub_f32_e32 v27, v29, v24
	v_add_f32_e32 v16, v16, v27
	v_mul_f32_e32 v27, v28, v30
	v_mul_f32_e32 v29, v24, v27
	v_fma_f32 v31, v27, v24, -v29
	v_fmac_f32_e32 v31, v27, v16
	v_add_f32_e32 v32, v29, v31
	v_sub_f32_e32 v33, v28, v32
	v_sub_f32_e32 v28, v28, v33
	;; [unrolled: 1-line block ×4, first 2 shown]
	v_add_f32_e32 v26, v26, v28
	v_sub_f32_e32 v28, v29, v31
	v_add_f32_e32 v26, v28, v26
	v_add_f32_e32 v28, v33, v26
	v_mul_f32_e32 v29, v30, v28
	v_mul_f32_e32 v31, v24, v29
	v_fma_f32 v24, v29, v24, -v31
	v_fmac_f32_e32 v24, v29, v16
	v_sub_f32_e32 v16, v33, v28
	v_add_f32_e32 v16, v26, v16
	v_add_f32_e32 v26, v31, v24
	v_sub_f32_e32 v32, v28, v26
	v_sub_f32_e32 v28, v28, v32
	;; [unrolled: 1-line block ×4, first 2 shown]
	v_add_f32_e32 v16, v16, v26
	v_sub_f32_e32 v24, v31, v24
	v_add_f32_e32 v16, v24, v16
	v_add_f32_e32 v24, v27, v29
	v_add_f32_e32 v16, v32, v16
	v_sub_f32_e32 v26, v24, v27
	v_mul_f32_e32 v16, v30, v16
	v_sub_f32_e32 v26, v29, v26
	v_add_f32_e32 v16, v26, v16
	v_cvt_f32_i32_e32 v15, v15
	v_add_f32_e32 v26, v24, v16
	v_mul_f32_e32 v27, v26, v26
	v_mov_b32_e32 v28, 0x3ecc95a3
	v_fmac_f32_e32 v28, 0x3e9b6dac, v27
	v_mov_b32_e32 v29, 0x3f2aaada
	v_fmac_f32_e32 v29, v27, v28
	v_mul_f32_e32 v28, 0x3f317218, v15
	v_fma_f32 v30, v15, s11, -v28
	v_fmac_f32_e32 v30, 0xb102e308, v15
	v_sub_f32_e32 v15, v26, v24
	v_sub_f32_e32 v15, v16, v15
	v_add_f32_e32 v16, v28, v30
	v_sub_f32_e32 v24, v16, v28
	v_ldexp_f32 v28, v26, 1
	v_mul_f32_e32 v26, v26, v27
	v_mul_f32_e32 v26, v26, v29
	v_add_f32_e32 v27, v28, v26
	v_sub_f32_e32 v28, v27, v28
	v_ldexp_f32 v15, v15, 1
	v_sub_f32_e32 v26, v26, v28
	v_add_f32_e32 v15, v15, v26
	v_add_f32_e32 v26, v27, v15
	v_sub_f32_e32 v27, v26, v27
	v_sub_f32_e32 v15, v15, v27
	v_add_f32_e32 v27, v16, v26
	v_sub_f32_e32 v28, v27, v16
	v_sub_f32_e32 v29, v27, v28
	;; [unrolled: 1-line block ×5, first 2 shown]
	v_add_f32_e32 v16, v26, v16
	v_add_f32_e32 v26, v24, v15
	v_sub_f32_e32 v28, v26, v24
	v_sub_f32_e32 v29, v26, v28
	;; [unrolled: 1-line block ×4, first 2 shown]
	v_add_f32_e32 v16, v26, v16
	v_add_f32_e32 v15, v15, v24
	;; [unrolled: 1-line block ×3, first 2 shown]
	v_sub_f32_e32 v26, v24, v27
	v_sub_f32_e32 v16, v16, v26
	v_add_f32_e32 v15, v15, v16
	v_add_f32_e32 v15, v24, v15
	v_cmp_neq_f32_e32 vcc, s7, v18
	s_mov_b32 s7, 0x33800000
	v_cndmask_b32_e32 v15, v17, v15, vcc
	v_cmp_lt_f32_e64 vcc, |v18|, s7
	v_cndmask_b32_e32 v15, v15, v18, vcc
	v_add_f32_e32 v15, v13, v15
.LBB442_57:
	s_or_b64 exec, exec, s[8:9]
	v_bfe_u32 v13, v15, 16, 1
	v_add3_u32 v13, v15, v13, s10
	v_and_b32_e32 v13, 0xffff0000, v13
	v_cmp_o_f32_e32 vcc, v15, v15
	v_cndmask_b32_e32 v15, v14, v13, vcc
	v_mov_b32_e32 v13, 16
	v_lshlrev_b32_sdwa v24, v13, v10 dst_sel:DWORD dst_unused:UNUSED_PAD src0_sel:DWORD src1_sel:WORD_1
	v_max_f32_e32 v14, v15, v15
	v_max_f32_e32 v26, v24, v24
	v_min_f32_e32 v16, v14, v26
	v_cmp_u_f32_e32 vcc, v15, v15
	v_max_f32_e32 v14, v14, v26
	v_cndmask_b32_e32 v16, v16, v15, vcc
	v_cmp_u_f32_e64 s[58:59], v24, v24
	v_cndmask_b32_e32 v14, v14, v15, vcc
	v_cndmask_b32_e64 v16, v16, v24, s[58:59]
	v_cndmask_b32_e64 v14, v14, v24, s[58:59]
	s_movk_i32 s7, 0x1f8
	v_cmp_neq_f32_e32 vcc, v16, v14
	v_cmp_class_f32_e64 s[8:9], v16, s7
	s_or_b64 s[10:11], vcc, s[8:9]
	s_and_saveexec_b64 s[8:9], s[10:11]
	s_cbranch_execz .LBB442_59
; %bb.58:
	v_sub_f32_e32 v15, v16, v14
	s_mov_b32 s10, 0x3fb8aa3b
	v_mul_f32_e32 v16, 0x3fb8aa3b, v15
	v_fma_f32 v17, v15, s10, -v16
	v_rndne_f32_e32 v18, v16
	v_fmac_f32_e32 v17, 0x32a5705f, v15
	v_sub_f32_e32 v16, v16, v18
	v_add_f32_e32 v16, v16, v17
	v_exp_f32_e32 v16, v16
	v_cvt_i32_f32_e32 v17, v18
	s_mov_b32 s10, 0xc2ce8ed0
	v_cmp_ngt_f32_e32 vcc, s10, v15
	s_mov_b32 s10, 0x42b17218
	v_ldexp_f32 v16, v16, v17
	v_cndmask_b32_e32 v16, 0, v16, vcc
	v_mov_b32_e32 v17, 0x7f800000
	v_cmp_nlt_f32_e32 vcc, s10, v15
	v_cndmask_b32_e32 v18, v17, v16, vcc
	v_add_f32_e32 v27, 1.0, v18
	v_cvt_f64_f32_e32 v[15:16], v27
	v_add_f32_e32 v28, -1.0, v27
	v_sub_f32_e32 v29, v28, v27
	v_sub_f32_e32 v28, v18, v28
	v_frexp_exp_i32_f64_e32 v15, v[15:16]
	v_add_f32_e32 v16, 1.0, v29
	v_add_f32_e32 v16, v28, v16
	v_frexp_mant_f32_e32 v28, v27
	s_mov_b32 s11, 0x3f2aaaab
	v_cmp_gt_f32_e32 vcc, s11, v28
	s_mov_b32 s11, 0x3f317218
	s_mov_b32 s10, 0x7f800000
	v_subbrev_co_u32_e32 v15, vcc, 0, v15, vcc
	v_sub_u32_e32 v28, 0, v15
	v_ldexp_f32 v27, v27, v28
	v_ldexp_f32 v16, v16, v28
	v_add_f32_e32 v28, -1.0, v27
	v_add_f32_e32 v31, 1.0, v27
	v_add_f32_e32 v29, 1.0, v28
	v_add_f32_e32 v32, -1.0, v31
	v_sub_f32_e32 v29, v27, v29
	v_sub_f32_e32 v27, v27, v32
	v_add_f32_e32 v29, v16, v29
	v_add_f32_e32 v16, v16, v27
	;; [unrolled: 1-line block ×3, first 2 shown]
	v_rcp_f32_e32 v32, v27
	v_add_f32_e32 v30, v28, v29
	v_sub_f32_e32 v28, v28, v30
	v_add_f32_e32 v28, v29, v28
	v_sub_f32_e32 v29, v31, v27
	v_add_f32_e32 v16, v16, v29
	v_mul_f32_e32 v29, v30, v32
	v_mul_f32_e32 v31, v27, v29
	v_fma_f32 v33, v29, v27, -v31
	v_fmac_f32_e32 v33, v29, v16
	v_add_f32_e32 v34, v31, v33
	v_sub_f32_e32 v35, v30, v34
	v_sub_f32_e32 v30, v30, v35
	;; [unrolled: 1-line block ×4, first 2 shown]
	v_add_f32_e32 v28, v28, v30
	v_sub_f32_e32 v30, v31, v33
	v_add_f32_e32 v28, v30, v28
	v_add_f32_e32 v30, v35, v28
	v_mul_f32_e32 v31, v32, v30
	v_mul_f32_e32 v33, v27, v31
	v_fma_f32 v27, v31, v27, -v33
	v_fmac_f32_e32 v27, v31, v16
	v_sub_f32_e32 v16, v35, v30
	v_add_f32_e32 v16, v28, v16
	v_add_f32_e32 v28, v33, v27
	v_sub_f32_e32 v34, v30, v28
	v_sub_f32_e32 v30, v30, v34
	;; [unrolled: 1-line block ×4, first 2 shown]
	v_add_f32_e32 v16, v16, v28
	v_sub_f32_e32 v27, v33, v27
	v_add_f32_e32 v16, v27, v16
	v_add_f32_e32 v27, v29, v31
	;; [unrolled: 1-line block ×3, first 2 shown]
	v_sub_f32_e32 v28, v27, v29
	v_mul_f32_e32 v16, v32, v16
	v_sub_f32_e32 v28, v31, v28
	v_add_f32_e32 v16, v28, v16
	v_cvt_f32_i32_e32 v15, v15
	v_add_f32_e32 v28, v27, v16
	v_mul_f32_e32 v29, v28, v28
	v_mov_b32_e32 v30, 0x3ecc95a3
	v_fmac_f32_e32 v30, 0x3e9b6dac, v29
	v_mov_b32_e32 v31, 0x3f2aaada
	v_fmac_f32_e32 v31, v29, v30
	v_mul_f32_e32 v30, 0x3f317218, v15
	v_fma_f32 v32, v15, s11, -v30
	v_fmac_f32_e32 v32, 0xb102e308, v15
	v_sub_f32_e32 v15, v28, v27
	v_sub_f32_e32 v15, v16, v15
	v_add_f32_e32 v16, v30, v32
	v_sub_f32_e32 v27, v16, v30
	v_ldexp_f32 v30, v28, 1
	v_mul_f32_e32 v28, v28, v29
	v_mul_f32_e32 v28, v28, v31
	v_add_f32_e32 v29, v30, v28
	v_sub_f32_e32 v30, v29, v30
	v_ldexp_f32 v15, v15, 1
	v_sub_f32_e32 v28, v28, v30
	v_add_f32_e32 v15, v15, v28
	v_add_f32_e32 v28, v29, v15
	v_sub_f32_e32 v29, v28, v29
	v_sub_f32_e32 v15, v15, v29
	v_add_f32_e32 v29, v16, v28
	v_sub_f32_e32 v30, v29, v16
	v_sub_f32_e32 v31, v29, v30
	;; [unrolled: 1-line block ×5, first 2 shown]
	v_add_f32_e32 v16, v28, v16
	v_add_f32_e32 v28, v27, v15
	v_sub_f32_e32 v30, v28, v27
	v_sub_f32_e32 v31, v28, v30
	;; [unrolled: 1-line block ×4, first 2 shown]
	v_add_f32_e32 v16, v28, v16
	v_add_f32_e32 v15, v15, v27
	;; [unrolled: 1-line block ×3, first 2 shown]
	v_sub_f32_e32 v28, v27, v29
	v_sub_f32_e32 v16, v16, v28
	v_add_f32_e32 v15, v15, v16
	v_add_f32_e32 v15, v27, v15
	v_cmp_neq_f32_e32 vcc, s10, v18
	s_mov_b32 s10, 0x33800000
	v_cndmask_b32_e32 v15, v17, v15, vcc
	v_cmp_lt_f32_e64 vcc, |v18|, s10
	v_cndmask_b32_e32 v15, v15, v18, vcc
	v_add_f32_e32 v15, v14, v15
.LBB442_59:
	s_or_b64 exec, exec, s[8:9]
	v_bfe_u32 v14, v15, 16, 1
	s_movk_i32 s12, 0x7fff
	v_add3_u32 v14, v15, v14, s12
	v_and_b32_e32 v16, 0xffff0000, v14
	v_mov_b32_e32 v14, 0x7fc00000
	v_cmp_o_f32_e32 vcc, v15, v15
	v_cndmask_b32_e32 v15, v14, v16, vcc
	v_lshlrev_b32_sdwa v27, v13, v11 dst_sel:DWORD dst_unused:UNUSED_PAD src0_sel:DWORD src1_sel:WORD_0
	v_max_f32_e32 v13, v15, v15
	v_max_f32_e32 v29, v27, v27
	v_min_f32_e32 v16, v13, v29
	v_cmp_u_f32_e32 vcc, v15, v15
	v_max_f32_e32 v13, v13, v29
	v_cndmask_b32_e32 v16, v16, v15, vcc
	v_cmp_u_f32_e64 s[8:9], v27, v27
	v_cndmask_b32_e32 v13, v13, v15, vcc
	v_cndmask_b32_e64 v16, v16, v27, s[8:9]
	v_cndmask_b32_e64 v13, v13, v27, s[8:9]
	v_cmp_neq_f32_e32 vcc, v16, v13
	v_cmp_class_f32_e64 s[10:11], v16, s7
	s_or_b64 s[14:15], vcc, s[10:11]
	s_and_saveexec_b64 s[10:11], s[14:15]
	s_cbranch_execz .LBB442_61
; %bb.60:
	v_sub_f32_e32 v15, v16, v13
	s_mov_b32 s7, 0x3fb8aa3b
	v_mul_f32_e32 v16, 0x3fb8aa3b, v15
	v_fma_f32 v17, v15, s7, -v16
	v_rndne_f32_e32 v18, v16
	v_fmac_f32_e32 v17, 0x32a5705f, v15
	v_sub_f32_e32 v16, v16, v18
	v_add_f32_e32 v16, v16, v17
	v_exp_f32_e32 v16, v16
	v_cvt_i32_f32_e32 v17, v18
	s_mov_b32 s7, 0xc2ce8ed0
	v_cmp_ngt_f32_e32 vcc, s7, v15
	s_mov_b32 s7, 0x42b17218
	v_ldexp_f32 v16, v16, v17
	v_cndmask_b32_e32 v16, 0, v16, vcc
	v_mov_b32_e32 v17, 0x7f800000
	v_cmp_nlt_f32_e32 vcc, s7, v15
	v_cndmask_b32_e32 v18, v17, v16, vcc
	v_add_f32_e32 v28, 1.0, v18
	v_cvt_f64_f32_e32 v[15:16], v28
	v_add_f32_e32 v30, -1.0, v28
	v_sub_f32_e32 v31, v30, v28
	v_sub_f32_e32 v30, v18, v30
	v_frexp_exp_i32_f64_e32 v15, v[15:16]
	v_add_f32_e32 v16, 1.0, v31
	v_add_f32_e32 v16, v30, v16
	v_frexp_mant_f32_e32 v30, v28
	s_mov_b32 s13, 0x3f2aaaab
	v_cmp_gt_f32_e32 vcc, s13, v30
	s_mov_b32 s13, 0x3f317218
	s_mov_b32 s7, 0x7f800000
	v_subbrev_co_u32_e32 v15, vcc, 0, v15, vcc
	v_sub_u32_e32 v30, 0, v15
	v_ldexp_f32 v28, v28, v30
	v_ldexp_f32 v16, v16, v30
	v_add_f32_e32 v30, -1.0, v28
	v_add_f32_e32 v33, 1.0, v28
	v_add_f32_e32 v31, 1.0, v30
	v_add_f32_e32 v34, -1.0, v33
	v_sub_f32_e32 v31, v28, v31
	v_sub_f32_e32 v28, v28, v34
	v_add_f32_e32 v31, v16, v31
	v_add_f32_e32 v16, v16, v28
	;; [unrolled: 1-line block ×3, first 2 shown]
	v_rcp_f32_e32 v34, v28
	v_add_f32_e32 v32, v30, v31
	v_sub_f32_e32 v30, v30, v32
	v_add_f32_e32 v30, v31, v30
	v_sub_f32_e32 v31, v33, v28
	v_add_f32_e32 v16, v16, v31
	v_mul_f32_e32 v31, v32, v34
	v_mul_f32_e32 v33, v28, v31
	v_fma_f32 v35, v31, v28, -v33
	v_fmac_f32_e32 v35, v31, v16
	v_add_f32_e32 v36, v33, v35
	v_sub_f32_e32 v37, v32, v36
	v_sub_f32_e32 v32, v32, v37
	;; [unrolled: 1-line block ×4, first 2 shown]
	v_add_f32_e32 v30, v30, v32
	v_sub_f32_e32 v32, v33, v35
	v_add_f32_e32 v30, v32, v30
	v_add_f32_e32 v32, v37, v30
	v_mul_f32_e32 v33, v34, v32
	v_mul_f32_e32 v35, v28, v33
	v_fma_f32 v28, v33, v28, -v35
	v_fmac_f32_e32 v28, v33, v16
	v_sub_f32_e32 v16, v37, v32
	v_add_f32_e32 v16, v30, v16
	v_add_f32_e32 v30, v35, v28
	v_sub_f32_e32 v36, v32, v30
	v_sub_f32_e32 v32, v32, v36
	;; [unrolled: 1-line block ×4, first 2 shown]
	v_add_f32_e32 v16, v16, v30
	v_sub_f32_e32 v28, v35, v28
	v_add_f32_e32 v16, v28, v16
	v_add_f32_e32 v28, v31, v33
	;; [unrolled: 1-line block ×3, first 2 shown]
	v_sub_f32_e32 v30, v28, v31
	v_mul_f32_e32 v16, v34, v16
	v_sub_f32_e32 v30, v33, v30
	v_add_f32_e32 v16, v30, v16
	v_cvt_f32_i32_e32 v15, v15
	v_add_f32_e32 v30, v28, v16
	v_mul_f32_e32 v31, v30, v30
	v_mov_b32_e32 v32, 0x3ecc95a3
	v_fmac_f32_e32 v32, 0x3e9b6dac, v31
	v_mov_b32_e32 v33, 0x3f2aaada
	v_fmac_f32_e32 v33, v31, v32
	v_mul_f32_e32 v32, 0x3f317218, v15
	v_fma_f32 v34, v15, s13, -v32
	v_fmac_f32_e32 v34, 0xb102e308, v15
	v_sub_f32_e32 v15, v30, v28
	v_sub_f32_e32 v15, v16, v15
	v_add_f32_e32 v16, v32, v34
	v_sub_f32_e32 v28, v16, v32
	v_ldexp_f32 v32, v30, 1
	v_mul_f32_e32 v30, v30, v31
	v_mul_f32_e32 v30, v30, v33
	v_add_f32_e32 v31, v32, v30
	v_sub_f32_e32 v32, v31, v32
	v_ldexp_f32 v15, v15, 1
	v_sub_f32_e32 v30, v30, v32
	v_add_f32_e32 v15, v15, v30
	v_add_f32_e32 v30, v31, v15
	v_sub_f32_e32 v31, v30, v31
	v_sub_f32_e32 v15, v15, v31
	v_add_f32_e32 v31, v16, v30
	v_sub_f32_e32 v32, v31, v16
	v_sub_f32_e32 v33, v31, v32
	v_sub_f32_e32 v28, v34, v28
	v_sub_f32_e32 v16, v16, v33
	v_sub_f32_e32 v30, v30, v32
	v_add_f32_e32 v16, v30, v16
	v_add_f32_e32 v30, v28, v15
	v_sub_f32_e32 v32, v30, v28
	v_sub_f32_e32 v33, v30, v32
	;; [unrolled: 1-line block ×4, first 2 shown]
	v_add_f32_e32 v16, v30, v16
	v_add_f32_e32 v15, v15, v28
	;; [unrolled: 1-line block ×3, first 2 shown]
	v_sub_f32_e32 v30, v28, v31
	v_sub_f32_e32 v16, v16, v30
	v_add_f32_e32 v15, v15, v16
	v_add_f32_e32 v15, v28, v15
	v_cmp_neq_f32_e32 vcc, s7, v18
	s_mov_b32 s7, 0x33800000
	v_cndmask_b32_e32 v15, v17, v15, vcc
	v_cmp_lt_f32_e64 vcc, |v18|, s7
	v_cndmask_b32_e32 v15, v15, v18, vcc
	v_add_f32_e32 v15, v13, v15
.LBB442_61:
	s_or_b64 exec, exec, s[10:11]
	v_bfe_u32 v13, v15, 16, 1
	v_add3_u32 v13, v15, v13, s12
	v_and_b32_e32 v13, 0xffff0000, v13
	v_cmp_o_f32_e32 vcc, v15, v15
	v_cndmask_b32_e32 v15, v14, v13, vcc
	v_mov_b32_e32 v13, 16
	v_lshlrev_b32_sdwa v28, v13, v11 dst_sel:DWORD dst_unused:UNUSED_PAD src0_sel:DWORD src1_sel:WORD_1
	v_max_f32_e32 v14, v15, v15
	v_max_f32_e32 v30, v28, v28
	v_min_f32_e32 v16, v14, v30
	v_cmp_u_f32_e32 vcc, v15, v15
	v_max_f32_e32 v14, v14, v30
	v_cndmask_b32_e32 v16, v16, v15, vcc
	v_cmp_u_f32_e64 s[10:11], v28, v28
	v_cndmask_b32_e32 v14, v14, v15, vcc
	v_cndmask_b32_e64 v16, v16, v28, s[10:11]
	v_cndmask_b32_e64 v14, v14, v28, s[10:11]
	s_movk_i32 s7, 0x1f8
	v_cmp_neq_f32_e32 vcc, v16, v14
	v_cmp_class_f32_e64 s[12:13], v16, s7
	s_or_b64 s[14:15], vcc, s[12:13]
	s_and_saveexec_b64 s[12:13], s[14:15]
	s_cbranch_execz .LBB442_63
; %bb.62:
	v_sub_f32_e32 v15, v16, v14
	s_mov_b32 s14, 0x3fb8aa3b
	v_mul_f32_e32 v16, 0x3fb8aa3b, v15
	v_fma_f32 v17, v15, s14, -v16
	v_rndne_f32_e32 v18, v16
	v_fmac_f32_e32 v17, 0x32a5705f, v15
	v_sub_f32_e32 v16, v16, v18
	v_add_f32_e32 v16, v16, v17
	v_exp_f32_e32 v16, v16
	v_cvt_i32_f32_e32 v17, v18
	s_mov_b32 s14, 0xc2ce8ed0
	v_cmp_ngt_f32_e32 vcc, s14, v15
	s_mov_b32 s14, 0x42b17218
	v_ldexp_f32 v16, v16, v17
	v_cndmask_b32_e32 v16, 0, v16, vcc
	v_mov_b32_e32 v17, 0x7f800000
	v_cmp_nlt_f32_e32 vcc, s14, v15
	v_cndmask_b32_e32 v18, v17, v16, vcc
	v_add_f32_e32 v31, 1.0, v18
	v_cvt_f64_f32_e32 v[15:16], v31
	v_add_f32_e32 v32, -1.0, v31
	v_sub_f32_e32 v33, v32, v31
	v_sub_f32_e32 v32, v18, v32
	v_frexp_exp_i32_f64_e32 v15, v[15:16]
	v_add_f32_e32 v16, 1.0, v33
	v_add_f32_e32 v16, v32, v16
	v_frexp_mant_f32_e32 v32, v31
	s_mov_b32 s15, 0x3f2aaaab
	v_cmp_gt_f32_e32 vcc, s15, v32
	s_mov_b32 s15, 0x3f317218
	s_mov_b32 s14, 0x7f800000
	v_subbrev_co_u32_e32 v15, vcc, 0, v15, vcc
	v_sub_u32_e32 v32, 0, v15
	v_ldexp_f32 v31, v31, v32
	v_ldexp_f32 v16, v16, v32
	v_add_f32_e32 v32, -1.0, v31
	v_add_f32_e32 v35, 1.0, v31
	v_add_f32_e32 v33, 1.0, v32
	v_add_f32_e32 v36, -1.0, v35
	v_sub_f32_e32 v33, v31, v33
	v_sub_f32_e32 v31, v31, v36
	v_add_f32_e32 v33, v16, v33
	v_add_f32_e32 v16, v16, v31
	;; [unrolled: 1-line block ×3, first 2 shown]
	v_rcp_f32_e32 v36, v31
	v_add_f32_e32 v34, v32, v33
	v_sub_f32_e32 v32, v32, v34
	v_add_f32_e32 v32, v33, v32
	v_sub_f32_e32 v33, v35, v31
	v_add_f32_e32 v16, v16, v33
	v_mul_f32_e32 v33, v34, v36
	v_mul_f32_e32 v35, v31, v33
	v_fma_f32 v37, v33, v31, -v35
	v_fmac_f32_e32 v37, v33, v16
	v_add_f32_e32 v38, v35, v37
	v_sub_f32_e32 v39, v34, v38
	v_sub_f32_e32 v34, v34, v39
	;; [unrolled: 1-line block ×4, first 2 shown]
	v_add_f32_e32 v32, v32, v34
	v_sub_f32_e32 v34, v35, v37
	v_add_f32_e32 v32, v34, v32
	v_add_f32_e32 v34, v39, v32
	v_mul_f32_e32 v35, v36, v34
	v_mul_f32_e32 v37, v31, v35
	v_fma_f32 v31, v35, v31, -v37
	v_fmac_f32_e32 v31, v35, v16
	v_sub_f32_e32 v16, v39, v34
	v_add_f32_e32 v16, v32, v16
	v_add_f32_e32 v32, v37, v31
	v_sub_f32_e32 v38, v34, v32
	v_sub_f32_e32 v34, v34, v38
	;; [unrolled: 1-line block ×4, first 2 shown]
	v_add_f32_e32 v16, v16, v32
	v_sub_f32_e32 v31, v37, v31
	v_add_f32_e32 v16, v31, v16
	v_add_f32_e32 v31, v33, v35
	;; [unrolled: 1-line block ×3, first 2 shown]
	v_sub_f32_e32 v32, v31, v33
	v_mul_f32_e32 v16, v36, v16
	v_sub_f32_e32 v32, v35, v32
	v_add_f32_e32 v16, v32, v16
	v_cvt_f32_i32_e32 v15, v15
	v_add_f32_e32 v32, v31, v16
	v_mul_f32_e32 v33, v32, v32
	v_mov_b32_e32 v34, 0x3ecc95a3
	v_fmac_f32_e32 v34, 0x3e9b6dac, v33
	v_mov_b32_e32 v35, 0x3f2aaada
	v_fmac_f32_e32 v35, v33, v34
	v_mul_f32_e32 v34, 0x3f317218, v15
	v_fma_f32 v36, v15, s15, -v34
	v_fmac_f32_e32 v36, 0xb102e308, v15
	v_sub_f32_e32 v15, v32, v31
	v_sub_f32_e32 v15, v16, v15
	v_add_f32_e32 v16, v34, v36
	v_sub_f32_e32 v31, v16, v34
	v_ldexp_f32 v34, v32, 1
	v_mul_f32_e32 v32, v32, v33
	v_mul_f32_e32 v32, v32, v35
	v_add_f32_e32 v33, v34, v32
	v_sub_f32_e32 v34, v33, v34
	v_ldexp_f32 v15, v15, 1
	v_sub_f32_e32 v32, v32, v34
	v_add_f32_e32 v15, v15, v32
	v_add_f32_e32 v32, v33, v15
	v_sub_f32_e32 v33, v32, v33
	v_sub_f32_e32 v15, v15, v33
	v_add_f32_e32 v33, v16, v32
	v_sub_f32_e32 v34, v33, v16
	v_sub_f32_e32 v35, v33, v34
	;; [unrolled: 1-line block ×5, first 2 shown]
	v_add_f32_e32 v16, v32, v16
	v_add_f32_e32 v32, v31, v15
	v_sub_f32_e32 v34, v32, v31
	v_sub_f32_e32 v35, v32, v34
	;; [unrolled: 1-line block ×4, first 2 shown]
	v_add_f32_e32 v16, v32, v16
	v_add_f32_e32 v15, v15, v31
	;; [unrolled: 1-line block ×3, first 2 shown]
	v_sub_f32_e32 v32, v31, v33
	v_sub_f32_e32 v16, v16, v32
	v_add_f32_e32 v15, v15, v16
	v_add_f32_e32 v15, v31, v15
	v_cmp_neq_f32_e32 vcc, s14, v18
	s_mov_b32 s14, 0x33800000
	v_cndmask_b32_e32 v15, v17, v15, vcc
	v_cmp_lt_f32_e64 vcc, |v18|, s14
	v_cndmask_b32_e32 v15, v15, v18, vcc
	v_add_f32_e32 v15, v14, v15
.LBB442_63:
	s_or_b64 exec, exec, s[12:13]
	v_bfe_u32 v14, v15, 16, 1
	s_movk_i32 s16, 0x7fff
	v_add3_u32 v14, v15, v14, s16
	v_and_b32_e32 v16, 0xffff0000, v14
	v_mov_b32_e32 v14, 0x7fc00000
	v_cmp_o_f32_e32 vcc, v15, v15
	v_cndmask_b32_e32 v15, v14, v16, vcc
	v_lshlrev_b32_sdwa v31, v13, v12 dst_sel:DWORD dst_unused:UNUSED_PAD src0_sel:DWORD src1_sel:WORD_0
	v_max_f32_e32 v13, v15, v15
	v_max_f32_e32 v33, v31, v31
	v_min_f32_e32 v16, v13, v33
	v_cmp_u_f32_e32 vcc, v15, v15
	v_max_f32_e32 v13, v13, v33
	v_cndmask_b32_e32 v16, v16, v15, vcc
	v_cmp_u_f32_e64 s[12:13], v31, v31
	v_cndmask_b32_e32 v13, v13, v15, vcc
	v_cndmask_b32_e64 v16, v16, v31, s[12:13]
	v_cndmask_b32_e64 v13, v13, v31, s[12:13]
	v_cmp_neq_f32_e32 vcc, v16, v13
	v_cmp_class_f32_e64 s[14:15], v16, s7
	s_or_b64 s[18:19], vcc, s[14:15]
	s_and_saveexec_b64 s[14:15], s[18:19]
	s_cbranch_execz .LBB442_65
; %bb.64:
	v_sub_f32_e32 v15, v16, v13
	s_mov_b32 s7, 0x3fb8aa3b
	v_mul_f32_e32 v16, 0x3fb8aa3b, v15
	v_fma_f32 v17, v15, s7, -v16
	v_rndne_f32_e32 v18, v16
	v_fmac_f32_e32 v17, 0x32a5705f, v15
	v_sub_f32_e32 v16, v16, v18
	v_add_f32_e32 v16, v16, v17
	v_exp_f32_e32 v16, v16
	v_cvt_i32_f32_e32 v17, v18
	s_mov_b32 s7, 0xc2ce8ed0
	v_cmp_ngt_f32_e32 vcc, s7, v15
	s_mov_b32 s7, 0x42b17218
	v_ldexp_f32 v16, v16, v17
	v_cndmask_b32_e32 v16, 0, v16, vcc
	v_mov_b32_e32 v17, 0x7f800000
	v_cmp_nlt_f32_e32 vcc, s7, v15
	v_cndmask_b32_e32 v18, v17, v16, vcc
	v_add_f32_e32 v32, 1.0, v18
	v_cvt_f64_f32_e32 v[15:16], v32
	v_add_f32_e32 v34, -1.0, v32
	v_sub_f32_e32 v35, v34, v32
	v_sub_f32_e32 v34, v18, v34
	v_frexp_exp_i32_f64_e32 v15, v[15:16]
	v_add_f32_e32 v16, 1.0, v35
	v_add_f32_e32 v16, v34, v16
	v_frexp_mant_f32_e32 v34, v32
	s_mov_b32 s17, 0x3f2aaaab
	v_cmp_gt_f32_e32 vcc, s17, v34
	s_mov_b32 s17, 0x3f317218
	s_mov_b32 s7, 0x7f800000
	v_subbrev_co_u32_e32 v15, vcc, 0, v15, vcc
	v_sub_u32_e32 v34, 0, v15
	v_ldexp_f32 v32, v32, v34
	v_ldexp_f32 v16, v16, v34
	v_add_f32_e32 v34, -1.0, v32
	v_add_f32_e32 v37, 1.0, v32
	v_add_f32_e32 v35, 1.0, v34
	v_add_f32_e32 v38, -1.0, v37
	v_sub_f32_e32 v35, v32, v35
	v_sub_f32_e32 v32, v32, v38
	v_add_f32_e32 v35, v16, v35
	v_add_f32_e32 v16, v16, v32
	;; [unrolled: 1-line block ×3, first 2 shown]
	v_rcp_f32_e32 v38, v32
	v_add_f32_e32 v36, v34, v35
	v_sub_f32_e32 v34, v34, v36
	v_add_f32_e32 v34, v35, v34
	v_sub_f32_e32 v35, v37, v32
	v_add_f32_e32 v16, v16, v35
	v_mul_f32_e32 v35, v36, v38
	v_mul_f32_e32 v37, v32, v35
	v_fma_f32 v39, v35, v32, -v37
	v_fmac_f32_e32 v39, v35, v16
	v_add_f32_e32 v40, v37, v39
	v_sub_f32_e32 v41, v36, v40
	v_sub_f32_e32 v36, v36, v41
	;; [unrolled: 1-line block ×4, first 2 shown]
	v_add_f32_e32 v34, v34, v36
	v_sub_f32_e32 v36, v37, v39
	v_add_f32_e32 v34, v36, v34
	v_add_f32_e32 v36, v41, v34
	v_mul_f32_e32 v37, v38, v36
	v_mul_f32_e32 v39, v32, v37
	v_fma_f32 v32, v37, v32, -v39
	v_fmac_f32_e32 v32, v37, v16
	v_sub_f32_e32 v16, v41, v36
	v_add_f32_e32 v16, v34, v16
	v_add_f32_e32 v34, v39, v32
	v_sub_f32_e32 v40, v36, v34
	v_sub_f32_e32 v36, v36, v40
	v_sub_f32_e32 v39, v34, v39
	v_sub_f32_e32 v34, v36, v34
	v_add_f32_e32 v16, v16, v34
	v_sub_f32_e32 v32, v39, v32
	v_add_f32_e32 v16, v32, v16
	v_add_f32_e32 v32, v35, v37
	;; [unrolled: 1-line block ×3, first 2 shown]
	v_sub_f32_e32 v34, v32, v35
	v_mul_f32_e32 v16, v38, v16
	v_sub_f32_e32 v34, v37, v34
	v_add_f32_e32 v16, v34, v16
	v_cvt_f32_i32_e32 v15, v15
	v_add_f32_e32 v34, v32, v16
	v_mul_f32_e32 v35, v34, v34
	v_mov_b32_e32 v36, 0x3ecc95a3
	v_fmac_f32_e32 v36, 0x3e9b6dac, v35
	v_mov_b32_e32 v37, 0x3f2aaada
	v_fmac_f32_e32 v37, v35, v36
	v_mul_f32_e32 v36, 0x3f317218, v15
	v_fma_f32 v38, v15, s17, -v36
	v_fmac_f32_e32 v38, 0xb102e308, v15
	v_sub_f32_e32 v15, v34, v32
	v_sub_f32_e32 v15, v16, v15
	v_add_f32_e32 v16, v36, v38
	v_sub_f32_e32 v32, v16, v36
	v_ldexp_f32 v36, v34, 1
	v_mul_f32_e32 v34, v34, v35
	v_mul_f32_e32 v34, v34, v37
	v_add_f32_e32 v35, v36, v34
	v_sub_f32_e32 v36, v35, v36
	v_ldexp_f32 v15, v15, 1
	v_sub_f32_e32 v34, v34, v36
	v_add_f32_e32 v15, v15, v34
	v_add_f32_e32 v34, v35, v15
	v_sub_f32_e32 v35, v34, v35
	v_sub_f32_e32 v15, v15, v35
	v_add_f32_e32 v35, v16, v34
	v_sub_f32_e32 v36, v35, v16
	v_sub_f32_e32 v37, v35, v36
	;; [unrolled: 1-line block ×5, first 2 shown]
	v_add_f32_e32 v16, v34, v16
	v_add_f32_e32 v34, v32, v15
	v_sub_f32_e32 v36, v34, v32
	v_sub_f32_e32 v37, v34, v36
	;; [unrolled: 1-line block ×4, first 2 shown]
	v_add_f32_e32 v16, v34, v16
	v_add_f32_e32 v15, v15, v32
	;; [unrolled: 1-line block ×3, first 2 shown]
	v_sub_f32_e32 v34, v32, v35
	v_sub_f32_e32 v16, v16, v34
	v_add_f32_e32 v15, v15, v16
	v_add_f32_e32 v15, v32, v15
	v_cmp_neq_f32_e32 vcc, s7, v18
	s_mov_b32 s7, 0x33800000
	v_cndmask_b32_e32 v15, v17, v15, vcc
	v_cmp_lt_f32_e64 vcc, |v18|, s7
	v_cndmask_b32_e32 v15, v15, v18, vcc
	v_add_f32_e32 v15, v13, v15
.LBB442_65:
	s_or_b64 exec, exec, s[14:15]
	v_bfe_u32 v13, v15, 16, 1
	v_add3_u32 v13, v15, v13, s16
	v_and_b32_e32 v13, 0xffff0000, v13
	v_cmp_o_f32_e32 vcc, v15, v15
	v_cndmask_b32_e32 v15, v14, v13, vcc
	v_mov_b32_e32 v13, 16
	v_lshlrev_b32_sdwa v32, v13, v12 dst_sel:DWORD dst_unused:UNUSED_PAD src0_sel:DWORD src1_sel:WORD_1
	v_max_f32_e32 v14, v15, v15
	v_max_f32_e32 v34, v32, v32
	v_min_f32_e32 v16, v14, v34
	v_cmp_u_f32_e32 vcc, v15, v15
	v_max_f32_e32 v14, v14, v34
	v_cndmask_b32_e32 v16, v16, v15, vcc
	v_cmp_u_f32_e64 s[14:15], v32, v32
	v_cndmask_b32_e32 v14, v14, v15, vcc
	v_cndmask_b32_e64 v16, v16, v32, s[14:15]
	v_cndmask_b32_e64 v14, v14, v32, s[14:15]
	s_movk_i32 s7, 0x1f8
	v_cmp_neq_f32_e32 vcc, v16, v14
	v_cmp_class_f32_e64 s[16:17], v16, s7
	s_or_b64 s[18:19], vcc, s[16:17]
	s_and_saveexec_b64 s[16:17], s[18:19]
	s_cbranch_execz .LBB442_67
; %bb.66:
	v_sub_f32_e32 v15, v16, v14
	s_mov_b32 s18, 0x3fb8aa3b
	v_mul_f32_e32 v16, 0x3fb8aa3b, v15
	v_fma_f32 v17, v15, s18, -v16
	v_rndne_f32_e32 v18, v16
	v_fmac_f32_e32 v17, 0x32a5705f, v15
	v_sub_f32_e32 v16, v16, v18
	v_add_f32_e32 v16, v16, v17
	v_exp_f32_e32 v16, v16
	v_cvt_i32_f32_e32 v17, v18
	s_mov_b32 s18, 0xc2ce8ed0
	v_cmp_ngt_f32_e32 vcc, s18, v15
	s_mov_b32 s18, 0x42b17218
	v_ldexp_f32 v16, v16, v17
	v_cndmask_b32_e32 v16, 0, v16, vcc
	v_mov_b32_e32 v17, 0x7f800000
	v_cmp_nlt_f32_e32 vcc, s18, v15
	v_cndmask_b32_e32 v18, v17, v16, vcc
	v_add_f32_e32 v35, 1.0, v18
	v_cvt_f64_f32_e32 v[15:16], v35
	v_add_f32_e32 v36, -1.0, v35
	v_sub_f32_e32 v37, v36, v35
	v_sub_f32_e32 v36, v18, v36
	v_frexp_exp_i32_f64_e32 v15, v[15:16]
	v_add_f32_e32 v16, 1.0, v37
	v_add_f32_e32 v16, v36, v16
	v_frexp_mant_f32_e32 v36, v35
	s_mov_b32 s19, 0x3f2aaaab
	v_cmp_gt_f32_e32 vcc, s19, v36
	s_mov_b32 s19, 0x3f317218
	s_mov_b32 s18, 0x7f800000
	v_subbrev_co_u32_e32 v15, vcc, 0, v15, vcc
	v_sub_u32_e32 v36, 0, v15
	v_ldexp_f32 v35, v35, v36
	v_ldexp_f32 v16, v16, v36
	v_add_f32_e32 v36, -1.0, v35
	v_add_f32_e32 v39, 1.0, v35
	v_add_f32_e32 v37, 1.0, v36
	v_add_f32_e32 v40, -1.0, v39
	v_sub_f32_e32 v37, v35, v37
	v_sub_f32_e32 v35, v35, v40
	v_add_f32_e32 v37, v16, v37
	v_add_f32_e32 v16, v16, v35
	;; [unrolled: 1-line block ×3, first 2 shown]
	v_rcp_f32_e32 v40, v35
	v_add_f32_e32 v38, v36, v37
	v_sub_f32_e32 v36, v36, v38
	v_add_f32_e32 v36, v37, v36
	v_sub_f32_e32 v37, v39, v35
	v_add_f32_e32 v16, v16, v37
	v_mul_f32_e32 v37, v38, v40
	v_mul_f32_e32 v39, v35, v37
	v_fma_f32 v41, v37, v35, -v39
	v_fmac_f32_e32 v41, v37, v16
	v_add_f32_e32 v42, v39, v41
	v_sub_f32_e32 v43, v38, v42
	v_sub_f32_e32 v38, v38, v43
	;; [unrolled: 1-line block ×4, first 2 shown]
	v_add_f32_e32 v36, v36, v38
	v_sub_f32_e32 v38, v39, v41
	v_add_f32_e32 v36, v38, v36
	v_add_f32_e32 v38, v43, v36
	v_mul_f32_e32 v39, v40, v38
	v_mul_f32_e32 v41, v35, v39
	v_fma_f32 v35, v39, v35, -v41
	v_fmac_f32_e32 v35, v39, v16
	v_sub_f32_e32 v16, v43, v38
	v_add_f32_e32 v16, v36, v16
	v_add_f32_e32 v36, v41, v35
	v_sub_f32_e32 v42, v38, v36
	v_sub_f32_e32 v38, v38, v42
	;; [unrolled: 1-line block ×4, first 2 shown]
	v_add_f32_e32 v16, v16, v36
	v_sub_f32_e32 v35, v41, v35
	v_add_f32_e32 v16, v35, v16
	v_add_f32_e32 v35, v37, v39
	;; [unrolled: 1-line block ×3, first 2 shown]
	v_sub_f32_e32 v36, v35, v37
	v_mul_f32_e32 v16, v40, v16
	v_sub_f32_e32 v36, v39, v36
	v_add_f32_e32 v16, v36, v16
	v_cvt_f32_i32_e32 v15, v15
	v_add_f32_e32 v36, v35, v16
	v_mul_f32_e32 v37, v36, v36
	v_mov_b32_e32 v38, 0x3ecc95a3
	v_fmac_f32_e32 v38, 0x3e9b6dac, v37
	v_mov_b32_e32 v39, 0x3f2aaada
	v_fmac_f32_e32 v39, v37, v38
	v_mul_f32_e32 v38, 0x3f317218, v15
	v_fma_f32 v40, v15, s19, -v38
	v_fmac_f32_e32 v40, 0xb102e308, v15
	v_sub_f32_e32 v15, v36, v35
	v_sub_f32_e32 v15, v16, v15
	v_add_f32_e32 v16, v38, v40
	v_sub_f32_e32 v35, v16, v38
	v_ldexp_f32 v38, v36, 1
	v_mul_f32_e32 v36, v36, v37
	v_mul_f32_e32 v36, v36, v39
	v_add_f32_e32 v37, v38, v36
	v_sub_f32_e32 v38, v37, v38
	v_ldexp_f32 v15, v15, 1
	v_sub_f32_e32 v36, v36, v38
	v_add_f32_e32 v15, v15, v36
	v_add_f32_e32 v36, v37, v15
	v_sub_f32_e32 v37, v36, v37
	v_sub_f32_e32 v15, v15, v37
	v_add_f32_e32 v37, v16, v36
	v_sub_f32_e32 v38, v37, v16
	v_sub_f32_e32 v39, v37, v38
	;; [unrolled: 1-line block ×5, first 2 shown]
	v_add_f32_e32 v16, v36, v16
	v_add_f32_e32 v36, v35, v15
	v_sub_f32_e32 v38, v36, v35
	v_sub_f32_e32 v39, v36, v38
	;; [unrolled: 1-line block ×4, first 2 shown]
	v_add_f32_e32 v16, v36, v16
	v_add_f32_e32 v15, v15, v35
	;; [unrolled: 1-line block ×3, first 2 shown]
	v_sub_f32_e32 v36, v35, v37
	v_sub_f32_e32 v16, v16, v36
	v_add_f32_e32 v15, v15, v16
	v_add_f32_e32 v15, v35, v15
	v_cmp_neq_f32_e32 vcc, s18, v18
	s_mov_b32 s18, 0x33800000
	v_cndmask_b32_e32 v15, v17, v15, vcc
	v_cmp_lt_f32_e64 vcc, |v18|, s18
	v_cndmask_b32_e32 v15, v15, v18, vcc
	v_add_f32_e32 v15, v14, v15
.LBB442_67:
	s_or_b64 exec, exec, s[16:17]
	v_bfe_u32 v14, v15, 16, 1
	s_movk_i32 s20, 0x7fff
	v_add3_u32 v14, v15, v14, s20
	v_and_b32_e32 v16, 0xffff0000, v14
	v_mov_b32_e32 v14, 0x7fc00000
	v_cmp_o_f32_e32 vcc, v15, v15
	v_cndmask_b32_e32 v15, v14, v16, vcc
	v_lshlrev_b32_sdwa v35, v13, v5 dst_sel:DWORD dst_unused:UNUSED_PAD src0_sel:DWORD src1_sel:WORD_0
	v_max_f32_e32 v13, v15, v15
	v_max_f32_e32 v37, v35, v35
	v_min_f32_e32 v16, v13, v37
	v_cmp_u_f32_e32 vcc, v15, v15
	v_max_f32_e32 v13, v13, v37
	v_cndmask_b32_e32 v16, v16, v15, vcc
	v_cmp_u_f32_e64 s[16:17], v35, v35
	v_cndmask_b32_e32 v13, v13, v15, vcc
	v_cndmask_b32_e64 v16, v16, v35, s[16:17]
	v_cndmask_b32_e64 v13, v13, v35, s[16:17]
	v_cmp_neq_f32_e32 vcc, v16, v13
	v_cmp_class_f32_e64 s[18:19], v16, s7
	s_or_b64 s[22:23], vcc, s[18:19]
	s_and_saveexec_b64 s[18:19], s[22:23]
	s_cbranch_execz .LBB442_69
; %bb.68:
	v_sub_f32_e32 v15, v16, v13
	s_mov_b32 s7, 0x3fb8aa3b
	v_mul_f32_e32 v16, 0x3fb8aa3b, v15
	v_fma_f32 v17, v15, s7, -v16
	v_rndne_f32_e32 v18, v16
	v_fmac_f32_e32 v17, 0x32a5705f, v15
	v_sub_f32_e32 v16, v16, v18
	v_add_f32_e32 v16, v16, v17
	v_exp_f32_e32 v16, v16
	v_cvt_i32_f32_e32 v17, v18
	s_mov_b32 s7, 0xc2ce8ed0
	v_cmp_ngt_f32_e32 vcc, s7, v15
	s_mov_b32 s7, 0x42b17218
	v_ldexp_f32 v16, v16, v17
	v_cndmask_b32_e32 v16, 0, v16, vcc
	v_mov_b32_e32 v17, 0x7f800000
	v_cmp_nlt_f32_e32 vcc, s7, v15
	v_cndmask_b32_e32 v18, v17, v16, vcc
	v_add_f32_e32 v36, 1.0, v18
	v_cvt_f64_f32_e32 v[15:16], v36
	v_add_f32_e32 v38, -1.0, v36
	v_sub_f32_e32 v39, v38, v36
	v_sub_f32_e32 v38, v18, v38
	v_frexp_exp_i32_f64_e32 v15, v[15:16]
	v_add_f32_e32 v16, 1.0, v39
	v_add_f32_e32 v16, v38, v16
	v_frexp_mant_f32_e32 v38, v36
	s_mov_b32 s21, 0x3f2aaaab
	v_cmp_gt_f32_e32 vcc, s21, v38
	s_mov_b32 s21, 0x3f317218
	s_mov_b32 s7, 0x7f800000
	v_subbrev_co_u32_e32 v15, vcc, 0, v15, vcc
	v_sub_u32_e32 v38, 0, v15
	v_ldexp_f32 v36, v36, v38
	v_ldexp_f32 v16, v16, v38
	v_add_f32_e32 v38, -1.0, v36
	v_add_f32_e32 v41, 1.0, v36
	v_add_f32_e32 v39, 1.0, v38
	v_add_f32_e32 v42, -1.0, v41
	v_sub_f32_e32 v39, v36, v39
	v_sub_f32_e32 v36, v36, v42
	v_add_f32_e32 v39, v16, v39
	v_add_f32_e32 v16, v16, v36
	;; [unrolled: 1-line block ×3, first 2 shown]
	v_rcp_f32_e32 v42, v36
	v_add_f32_e32 v40, v38, v39
	v_sub_f32_e32 v38, v38, v40
	v_add_f32_e32 v38, v39, v38
	v_sub_f32_e32 v39, v41, v36
	v_add_f32_e32 v16, v16, v39
	v_mul_f32_e32 v39, v40, v42
	v_mul_f32_e32 v41, v36, v39
	v_fma_f32 v43, v39, v36, -v41
	v_fmac_f32_e32 v43, v39, v16
	v_add_f32_e32 v44, v41, v43
	v_sub_f32_e32 v45, v40, v44
	v_sub_f32_e32 v40, v40, v45
	v_sub_f32_e32 v41, v44, v41
	v_sub_f32_e32 v40, v40, v44
	v_add_f32_e32 v38, v38, v40
	v_sub_f32_e32 v40, v41, v43
	v_add_f32_e32 v38, v40, v38
	v_add_f32_e32 v40, v45, v38
	v_mul_f32_e32 v41, v42, v40
	v_mul_f32_e32 v43, v36, v41
	v_fma_f32 v36, v41, v36, -v43
	v_fmac_f32_e32 v36, v41, v16
	v_sub_f32_e32 v16, v45, v40
	v_add_f32_e32 v16, v38, v16
	v_add_f32_e32 v38, v43, v36
	v_sub_f32_e32 v44, v40, v38
	v_sub_f32_e32 v40, v40, v44
	;; [unrolled: 1-line block ×4, first 2 shown]
	v_add_f32_e32 v16, v16, v38
	v_sub_f32_e32 v36, v43, v36
	v_add_f32_e32 v16, v36, v16
	v_add_f32_e32 v36, v39, v41
	;; [unrolled: 1-line block ×3, first 2 shown]
	v_sub_f32_e32 v38, v36, v39
	v_mul_f32_e32 v16, v42, v16
	v_sub_f32_e32 v38, v41, v38
	v_add_f32_e32 v16, v38, v16
	v_cvt_f32_i32_e32 v15, v15
	v_add_f32_e32 v38, v36, v16
	v_mul_f32_e32 v39, v38, v38
	v_mov_b32_e32 v40, 0x3ecc95a3
	v_fmac_f32_e32 v40, 0x3e9b6dac, v39
	v_mov_b32_e32 v41, 0x3f2aaada
	v_fmac_f32_e32 v41, v39, v40
	v_mul_f32_e32 v40, 0x3f317218, v15
	v_fma_f32 v42, v15, s21, -v40
	v_fmac_f32_e32 v42, 0xb102e308, v15
	v_sub_f32_e32 v15, v38, v36
	v_sub_f32_e32 v15, v16, v15
	v_add_f32_e32 v16, v40, v42
	v_sub_f32_e32 v36, v16, v40
	v_ldexp_f32 v40, v38, 1
	v_mul_f32_e32 v38, v38, v39
	v_mul_f32_e32 v38, v38, v41
	v_add_f32_e32 v39, v40, v38
	v_sub_f32_e32 v40, v39, v40
	v_ldexp_f32 v15, v15, 1
	v_sub_f32_e32 v38, v38, v40
	v_add_f32_e32 v15, v15, v38
	v_add_f32_e32 v38, v39, v15
	v_sub_f32_e32 v39, v38, v39
	v_sub_f32_e32 v15, v15, v39
	v_add_f32_e32 v39, v16, v38
	v_sub_f32_e32 v40, v39, v16
	v_sub_f32_e32 v41, v39, v40
	;; [unrolled: 1-line block ×5, first 2 shown]
	v_add_f32_e32 v16, v38, v16
	v_add_f32_e32 v38, v36, v15
	v_sub_f32_e32 v40, v38, v36
	v_sub_f32_e32 v41, v38, v40
	v_sub_f32_e32 v36, v36, v41
	v_sub_f32_e32 v15, v15, v40
	v_add_f32_e32 v16, v38, v16
	v_add_f32_e32 v15, v15, v36
	;; [unrolled: 1-line block ×3, first 2 shown]
	v_sub_f32_e32 v38, v36, v39
	v_sub_f32_e32 v16, v16, v38
	v_add_f32_e32 v15, v15, v16
	v_add_f32_e32 v15, v36, v15
	v_cmp_neq_f32_e32 vcc, s7, v18
	s_mov_b32 s7, 0x33800000
	v_cndmask_b32_e32 v15, v17, v15, vcc
	v_cmp_lt_f32_e64 vcc, |v18|, s7
	v_cndmask_b32_e32 v15, v15, v18, vcc
	v_add_f32_e32 v15, v13, v15
.LBB442_69:
	s_or_b64 exec, exec, s[18:19]
	v_bfe_u32 v13, v15, 16, 1
	v_add3_u32 v13, v15, v13, s20
	v_and_b32_e32 v13, 0xffff0000, v13
	v_cmp_o_f32_e32 vcc, v15, v15
	v_cndmask_b32_e32 v15, v14, v13, vcc
	v_mov_b32_e32 v13, 16
	v_lshlrev_b32_sdwa v36, v13, v5 dst_sel:DWORD dst_unused:UNUSED_PAD src0_sel:DWORD src1_sel:WORD_1
	v_max_f32_e32 v14, v15, v15
	v_max_f32_e32 v38, v36, v36
	v_min_f32_e32 v16, v14, v38
	v_cmp_u_f32_e32 vcc, v15, v15
	v_max_f32_e32 v14, v14, v38
	v_cndmask_b32_e32 v16, v16, v15, vcc
	v_cmp_u_f32_e64 s[18:19], v36, v36
	v_cndmask_b32_e32 v14, v14, v15, vcc
	v_cndmask_b32_e64 v16, v16, v36, s[18:19]
	v_cndmask_b32_e64 v14, v14, v36, s[18:19]
	s_movk_i32 s7, 0x1f8
	v_cmp_neq_f32_e32 vcc, v16, v14
	v_cmp_class_f32_e64 s[20:21], v16, s7
	s_or_b64 s[22:23], vcc, s[20:21]
	s_and_saveexec_b64 s[20:21], s[22:23]
	s_cbranch_execz .LBB442_71
; %bb.70:
	v_sub_f32_e32 v15, v16, v14
	s_mov_b32 s22, 0x3fb8aa3b
	v_mul_f32_e32 v16, 0x3fb8aa3b, v15
	v_fma_f32 v17, v15, s22, -v16
	v_rndne_f32_e32 v18, v16
	v_fmac_f32_e32 v17, 0x32a5705f, v15
	v_sub_f32_e32 v16, v16, v18
	v_add_f32_e32 v16, v16, v17
	v_exp_f32_e32 v16, v16
	v_cvt_i32_f32_e32 v17, v18
	s_mov_b32 s22, 0xc2ce8ed0
	v_cmp_ngt_f32_e32 vcc, s22, v15
	s_mov_b32 s22, 0x42b17218
	v_ldexp_f32 v16, v16, v17
	v_cndmask_b32_e32 v16, 0, v16, vcc
	v_mov_b32_e32 v17, 0x7f800000
	v_cmp_nlt_f32_e32 vcc, s22, v15
	v_cndmask_b32_e32 v18, v17, v16, vcc
	v_add_f32_e32 v39, 1.0, v18
	v_cvt_f64_f32_e32 v[15:16], v39
	v_add_f32_e32 v40, -1.0, v39
	v_sub_f32_e32 v41, v40, v39
	v_sub_f32_e32 v40, v18, v40
	v_frexp_exp_i32_f64_e32 v15, v[15:16]
	v_add_f32_e32 v16, 1.0, v41
	v_add_f32_e32 v16, v40, v16
	v_frexp_mant_f32_e32 v40, v39
	s_mov_b32 s23, 0x3f2aaaab
	v_cmp_gt_f32_e32 vcc, s23, v40
	s_mov_b32 s23, 0x3f317218
	s_mov_b32 s22, 0x7f800000
	v_subbrev_co_u32_e32 v15, vcc, 0, v15, vcc
	v_sub_u32_e32 v40, 0, v15
	v_ldexp_f32 v39, v39, v40
	v_ldexp_f32 v16, v16, v40
	v_add_f32_e32 v40, -1.0, v39
	v_add_f32_e32 v43, 1.0, v39
	v_add_f32_e32 v41, 1.0, v40
	v_add_f32_e32 v44, -1.0, v43
	v_sub_f32_e32 v41, v39, v41
	v_sub_f32_e32 v39, v39, v44
	v_add_f32_e32 v41, v16, v41
	v_add_f32_e32 v16, v16, v39
	;; [unrolled: 1-line block ×3, first 2 shown]
	v_rcp_f32_e32 v44, v39
	v_add_f32_e32 v42, v40, v41
	v_sub_f32_e32 v40, v40, v42
	v_add_f32_e32 v40, v41, v40
	v_sub_f32_e32 v41, v43, v39
	v_add_f32_e32 v16, v16, v41
	v_mul_f32_e32 v41, v42, v44
	v_mul_f32_e32 v43, v39, v41
	v_fma_f32 v45, v41, v39, -v43
	v_fmac_f32_e32 v45, v41, v16
	v_add_f32_e32 v46, v43, v45
	v_sub_f32_e32 v47, v42, v46
	v_sub_f32_e32 v42, v42, v47
	;; [unrolled: 1-line block ×4, first 2 shown]
	v_add_f32_e32 v40, v40, v42
	v_sub_f32_e32 v42, v43, v45
	v_add_f32_e32 v40, v42, v40
	v_add_f32_e32 v42, v47, v40
	v_mul_f32_e32 v43, v44, v42
	v_mul_f32_e32 v45, v39, v43
	v_fma_f32 v39, v43, v39, -v45
	v_fmac_f32_e32 v39, v43, v16
	v_sub_f32_e32 v16, v47, v42
	v_add_f32_e32 v16, v40, v16
	v_add_f32_e32 v40, v45, v39
	v_sub_f32_e32 v46, v42, v40
	v_sub_f32_e32 v42, v42, v46
	;; [unrolled: 1-line block ×4, first 2 shown]
	v_add_f32_e32 v16, v16, v40
	v_sub_f32_e32 v39, v45, v39
	v_add_f32_e32 v16, v39, v16
	v_add_f32_e32 v39, v41, v43
	;; [unrolled: 1-line block ×3, first 2 shown]
	v_sub_f32_e32 v40, v39, v41
	v_mul_f32_e32 v16, v44, v16
	v_sub_f32_e32 v40, v43, v40
	v_add_f32_e32 v16, v40, v16
	v_cvt_f32_i32_e32 v15, v15
	v_add_f32_e32 v40, v39, v16
	v_mul_f32_e32 v41, v40, v40
	v_mov_b32_e32 v42, 0x3ecc95a3
	v_fmac_f32_e32 v42, 0x3e9b6dac, v41
	v_mov_b32_e32 v43, 0x3f2aaada
	v_fmac_f32_e32 v43, v41, v42
	v_mul_f32_e32 v42, 0x3f317218, v15
	v_fma_f32 v44, v15, s23, -v42
	v_fmac_f32_e32 v44, 0xb102e308, v15
	v_sub_f32_e32 v15, v40, v39
	v_sub_f32_e32 v15, v16, v15
	v_add_f32_e32 v16, v42, v44
	v_sub_f32_e32 v39, v16, v42
	v_ldexp_f32 v42, v40, 1
	v_mul_f32_e32 v40, v40, v41
	v_mul_f32_e32 v40, v40, v43
	v_add_f32_e32 v41, v42, v40
	v_sub_f32_e32 v42, v41, v42
	v_ldexp_f32 v15, v15, 1
	v_sub_f32_e32 v40, v40, v42
	v_add_f32_e32 v15, v15, v40
	v_add_f32_e32 v40, v41, v15
	v_sub_f32_e32 v41, v40, v41
	v_sub_f32_e32 v15, v15, v41
	v_add_f32_e32 v41, v16, v40
	v_sub_f32_e32 v42, v41, v16
	v_sub_f32_e32 v43, v41, v42
	;; [unrolled: 1-line block ×5, first 2 shown]
	v_add_f32_e32 v16, v40, v16
	v_add_f32_e32 v40, v39, v15
	v_sub_f32_e32 v42, v40, v39
	v_sub_f32_e32 v43, v40, v42
	v_sub_f32_e32 v39, v39, v43
	v_sub_f32_e32 v15, v15, v42
	v_add_f32_e32 v16, v40, v16
	v_add_f32_e32 v15, v15, v39
	;; [unrolled: 1-line block ×3, first 2 shown]
	v_sub_f32_e32 v40, v39, v41
	v_sub_f32_e32 v16, v16, v40
	v_add_f32_e32 v15, v15, v16
	v_add_f32_e32 v15, v39, v15
	v_cmp_neq_f32_e32 vcc, s22, v18
	s_mov_b32 s22, 0x33800000
	v_cndmask_b32_e32 v15, v17, v15, vcc
	v_cmp_lt_f32_e64 vcc, |v18|, s22
	v_cndmask_b32_e32 v15, v15, v18, vcc
	v_add_f32_e32 v15, v14, v15
.LBB442_71:
	s_or_b64 exec, exec, s[20:21]
	v_bfe_u32 v14, v15, 16, 1
	s_movk_i32 s24, 0x7fff
	v_add3_u32 v14, v15, v14, s24
	v_and_b32_e32 v16, 0xffff0000, v14
	v_mov_b32_e32 v14, 0x7fc00000
	v_cmp_o_f32_e32 vcc, v15, v15
	v_cndmask_b32_e32 v15, v14, v16, vcc
	v_lshlrev_b32_sdwa v39, v13, v6 dst_sel:DWORD dst_unused:UNUSED_PAD src0_sel:DWORD src1_sel:WORD_0
	v_max_f32_e32 v13, v15, v15
	v_max_f32_e32 v41, v39, v39
	v_min_f32_e32 v16, v13, v41
	v_cmp_u_f32_e32 vcc, v15, v15
	v_max_f32_e32 v13, v13, v41
	v_cndmask_b32_e32 v16, v16, v15, vcc
	v_cmp_u_f32_e64 s[20:21], v39, v39
	v_cndmask_b32_e32 v13, v13, v15, vcc
	v_cndmask_b32_e64 v16, v16, v39, s[20:21]
	v_cndmask_b32_e64 v13, v13, v39, s[20:21]
	v_cmp_neq_f32_e32 vcc, v16, v13
	v_cmp_class_f32_e64 s[22:23], v16, s7
	s_or_b64 s[26:27], vcc, s[22:23]
	s_and_saveexec_b64 s[22:23], s[26:27]
	s_cbranch_execz .LBB442_73
; %bb.72:
	v_sub_f32_e32 v15, v16, v13
	s_mov_b32 s7, 0x3fb8aa3b
	v_mul_f32_e32 v16, 0x3fb8aa3b, v15
	v_fma_f32 v17, v15, s7, -v16
	v_rndne_f32_e32 v18, v16
	v_fmac_f32_e32 v17, 0x32a5705f, v15
	v_sub_f32_e32 v16, v16, v18
	v_add_f32_e32 v16, v16, v17
	v_exp_f32_e32 v16, v16
	v_cvt_i32_f32_e32 v17, v18
	s_mov_b32 s7, 0xc2ce8ed0
	v_cmp_ngt_f32_e32 vcc, s7, v15
	s_mov_b32 s7, 0x42b17218
	v_ldexp_f32 v16, v16, v17
	v_cndmask_b32_e32 v16, 0, v16, vcc
	v_mov_b32_e32 v17, 0x7f800000
	v_cmp_nlt_f32_e32 vcc, s7, v15
	v_cndmask_b32_e32 v18, v17, v16, vcc
	v_add_f32_e32 v40, 1.0, v18
	v_cvt_f64_f32_e32 v[15:16], v40
	v_add_f32_e32 v42, -1.0, v40
	v_sub_f32_e32 v43, v42, v40
	v_sub_f32_e32 v42, v18, v42
	v_frexp_exp_i32_f64_e32 v15, v[15:16]
	v_add_f32_e32 v16, 1.0, v43
	v_add_f32_e32 v16, v42, v16
	v_frexp_mant_f32_e32 v42, v40
	s_mov_b32 s25, 0x3f2aaaab
	v_cmp_gt_f32_e32 vcc, s25, v42
	s_mov_b32 s25, 0x3f317218
	s_mov_b32 s7, 0x7f800000
	v_subbrev_co_u32_e32 v15, vcc, 0, v15, vcc
	v_sub_u32_e32 v42, 0, v15
	v_ldexp_f32 v40, v40, v42
	v_ldexp_f32 v16, v16, v42
	v_add_f32_e32 v42, -1.0, v40
	v_add_f32_e32 v45, 1.0, v40
	v_add_f32_e32 v43, 1.0, v42
	v_add_f32_e32 v46, -1.0, v45
	v_sub_f32_e32 v43, v40, v43
	v_sub_f32_e32 v40, v40, v46
	v_add_f32_e32 v43, v16, v43
	v_add_f32_e32 v16, v16, v40
	;; [unrolled: 1-line block ×3, first 2 shown]
	v_rcp_f32_e32 v46, v40
	v_add_f32_e32 v44, v42, v43
	v_sub_f32_e32 v42, v42, v44
	v_add_f32_e32 v42, v43, v42
	v_sub_f32_e32 v43, v45, v40
	v_add_f32_e32 v16, v16, v43
	v_mul_f32_e32 v43, v44, v46
	v_mul_f32_e32 v45, v40, v43
	v_fma_f32 v47, v43, v40, -v45
	v_fmac_f32_e32 v47, v43, v16
	v_add_f32_e32 v48, v45, v47
	v_sub_f32_e32 v49, v44, v48
	v_sub_f32_e32 v44, v44, v49
	v_sub_f32_e32 v45, v48, v45
	v_sub_f32_e32 v44, v44, v48
	v_add_f32_e32 v42, v42, v44
	v_sub_f32_e32 v44, v45, v47
	v_add_f32_e32 v42, v44, v42
	v_add_f32_e32 v44, v49, v42
	v_mul_f32_e32 v45, v46, v44
	v_mul_f32_e32 v47, v40, v45
	v_fma_f32 v40, v45, v40, -v47
	v_fmac_f32_e32 v40, v45, v16
	v_sub_f32_e32 v16, v49, v44
	v_add_f32_e32 v16, v42, v16
	v_add_f32_e32 v42, v47, v40
	v_sub_f32_e32 v48, v44, v42
	v_sub_f32_e32 v44, v44, v48
	;; [unrolled: 1-line block ×4, first 2 shown]
	v_add_f32_e32 v16, v16, v42
	v_sub_f32_e32 v40, v47, v40
	v_add_f32_e32 v16, v40, v16
	v_add_f32_e32 v40, v43, v45
	;; [unrolled: 1-line block ×3, first 2 shown]
	v_sub_f32_e32 v42, v40, v43
	v_mul_f32_e32 v16, v46, v16
	v_sub_f32_e32 v42, v45, v42
	v_add_f32_e32 v16, v42, v16
	v_cvt_f32_i32_e32 v15, v15
	v_add_f32_e32 v42, v40, v16
	v_mul_f32_e32 v43, v42, v42
	v_mov_b32_e32 v44, 0x3ecc95a3
	v_fmac_f32_e32 v44, 0x3e9b6dac, v43
	v_mov_b32_e32 v45, 0x3f2aaada
	v_fmac_f32_e32 v45, v43, v44
	v_mul_f32_e32 v44, 0x3f317218, v15
	v_fma_f32 v46, v15, s25, -v44
	v_fmac_f32_e32 v46, 0xb102e308, v15
	v_sub_f32_e32 v15, v42, v40
	v_sub_f32_e32 v15, v16, v15
	v_add_f32_e32 v16, v44, v46
	v_sub_f32_e32 v40, v16, v44
	v_ldexp_f32 v44, v42, 1
	v_mul_f32_e32 v42, v42, v43
	v_mul_f32_e32 v42, v42, v45
	v_add_f32_e32 v43, v44, v42
	v_sub_f32_e32 v44, v43, v44
	v_ldexp_f32 v15, v15, 1
	v_sub_f32_e32 v42, v42, v44
	v_add_f32_e32 v15, v15, v42
	v_add_f32_e32 v42, v43, v15
	v_sub_f32_e32 v43, v42, v43
	v_sub_f32_e32 v15, v15, v43
	v_add_f32_e32 v43, v16, v42
	v_sub_f32_e32 v44, v43, v16
	v_sub_f32_e32 v45, v43, v44
	;; [unrolled: 1-line block ×5, first 2 shown]
	v_add_f32_e32 v16, v42, v16
	v_add_f32_e32 v42, v40, v15
	v_sub_f32_e32 v44, v42, v40
	v_sub_f32_e32 v45, v42, v44
	;; [unrolled: 1-line block ×4, first 2 shown]
	v_add_f32_e32 v16, v42, v16
	v_add_f32_e32 v15, v15, v40
	;; [unrolled: 1-line block ×3, first 2 shown]
	v_sub_f32_e32 v42, v40, v43
	v_sub_f32_e32 v16, v16, v42
	v_add_f32_e32 v15, v15, v16
	v_add_f32_e32 v15, v40, v15
	v_cmp_neq_f32_e32 vcc, s7, v18
	s_mov_b32 s7, 0x33800000
	v_cndmask_b32_e32 v15, v17, v15, vcc
	v_cmp_lt_f32_e64 vcc, |v18|, s7
	v_cndmask_b32_e32 v15, v15, v18, vcc
	v_add_f32_e32 v15, v13, v15
.LBB442_73:
	s_or_b64 exec, exec, s[22:23]
	v_bfe_u32 v13, v15, 16, 1
	v_add3_u32 v13, v15, v13, s24
	v_and_b32_e32 v13, 0xffff0000, v13
	v_cmp_o_f32_e32 vcc, v15, v15
	v_cndmask_b32_e32 v15, v14, v13, vcc
	v_mov_b32_e32 v13, 16
	v_lshlrev_b32_sdwa v40, v13, v6 dst_sel:DWORD dst_unused:UNUSED_PAD src0_sel:DWORD src1_sel:WORD_1
	v_max_f32_e32 v14, v15, v15
	v_max_f32_e32 v42, v40, v40
	v_min_f32_e32 v16, v14, v42
	v_cmp_u_f32_e32 vcc, v15, v15
	v_max_f32_e32 v14, v14, v42
	v_cndmask_b32_e32 v16, v16, v15, vcc
	v_cmp_u_f32_e64 s[22:23], v40, v40
	v_cndmask_b32_e32 v14, v14, v15, vcc
	v_cndmask_b32_e64 v16, v16, v40, s[22:23]
	v_cndmask_b32_e64 v14, v14, v40, s[22:23]
	s_movk_i32 s7, 0x1f8
	v_cmp_neq_f32_e32 vcc, v16, v14
	v_cmp_class_f32_e64 s[24:25], v16, s7
	s_or_b64 s[26:27], vcc, s[24:25]
	s_and_saveexec_b64 s[24:25], s[26:27]
	s_cbranch_execz .LBB442_75
; %bb.74:
	v_sub_f32_e32 v15, v16, v14
	s_mov_b32 s26, 0x3fb8aa3b
	v_mul_f32_e32 v16, 0x3fb8aa3b, v15
	v_fma_f32 v17, v15, s26, -v16
	v_rndne_f32_e32 v18, v16
	v_fmac_f32_e32 v17, 0x32a5705f, v15
	v_sub_f32_e32 v16, v16, v18
	v_add_f32_e32 v16, v16, v17
	v_exp_f32_e32 v16, v16
	v_cvt_i32_f32_e32 v17, v18
	s_mov_b32 s26, 0xc2ce8ed0
	v_cmp_ngt_f32_e32 vcc, s26, v15
	s_mov_b32 s26, 0x42b17218
	v_ldexp_f32 v16, v16, v17
	v_cndmask_b32_e32 v16, 0, v16, vcc
	v_mov_b32_e32 v17, 0x7f800000
	v_cmp_nlt_f32_e32 vcc, s26, v15
	v_cndmask_b32_e32 v18, v17, v16, vcc
	v_add_f32_e32 v43, 1.0, v18
	v_cvt_f64_f32_e32 v[15:16], v43
	v_add_f32_e32 v44, -1.0, v43
	v_sub_f32_e32 v45, v44, v43
	v_sub_f32_e32 v44, v18, v44
	v_frexp_exp_i32_f64_e32 v15, v[15:16]
	v_add_f32_e32 v16, 1.0, v45
	v_add_f32_e32 v16, v44, v16
	v_frexp_mant_f32_e32 v44, v43
	s_mov_b32 s27, 0x3f2aaaab
	v_cmp_gt_f32_e32 vcc, s27, v44
	s_mov_b32 s27, 0x3f317218
	s_mov_b32 s26, 0x7f800000
	v_subbrev_co_u32_e32 v15, vcc, 0, v15, vcc
	v_sub_u32_e32 v44, 0, v15
	v_ldexp_f32 v43, v43, v44
	v_ldexp_f32 v16, v16, v44
	v_add_f32_e32 v44, -1.0, v43
	v_add_f32_e32 v47, 1.0, v43
	v_add_f32_e32 v45, 1.0, v44
	v_add_f32_e32 v48, -1.0, v47
	v_sub_f32_e32 v45, v43, v45
	v_sub_f32_e32 v43, v43, v48
	v_add_f32_e32 v45, v16, v45
	v_add_f32_e32 v16, v16, v43
	;; [unrolled: 1-line block ×3, first 2 shown]
	v_rcp_f32_e32 v48, v43
	v_add_f32_e32 v46, v44, v45
	v_sub_f32_e32 v44, v44, v46
	v_add_f32_e32 v44, v45, v44
	v_sub_f32_e32 v45, v47, v43
	v_add_f32_e32 v16, v16, v45
	v_mul_f32_e32 v45, v46, v48
	v_mul_f32_e32 v47, v43, v45
	v_fma_f32 v49, v45, v43, -v47
	v_fmac_f32_e32 v49, v45, v16
	v_add_f32_e32 v50, v47, v49
	v_sub_f32_e32 v51, v46, v50
	v_sub_f32_e32 v46, v46, v51
	;; [unrolled: 1-line block ×4, first 2 shown]
	v_add_f32_e32 v44, v44, v46
	v_sub_f32_e32 v46, v47, v49
	v_add_f32_e32 v44, v46, v44
	v_add_f32_e32 v46, v51, v44
	v_mul_f32_e32 v47, v48, v46
	v_mul_f32_e32 v49, v43, v47
	v_fma_f32 v43, v47, v43, -v49
	v_fmac_f32_e32 v43, v47, v16
	v_sub_f32_e32 v16, v51, v46
	v_add_f32_e32 v16, v44, v16
	v_add_f32_e32 v44, v49, v43
	v_sub_f32_e32 v50, v46, v44
	v_sub_f32_e32 v46, v46, v50
	;; [unrolled: 1-line block ×4, first 2 shown]
	v_add_f32_e32 v16, v16, v44
	v_sub_f32_e32 v43, v49, v43
	v_add_f32_e32 v16, v43, v16
	v_add_f32_e32 v43, v45, v47
	;; [unrolled: 1-line block ×3, first 2 shown]
	v_sub_f32_e32 v44, v43, v45
	v_mul_f32_e32 v16, v48, v16
	v_sub_f32_e32 v44, v47, v44
	v_add_f32_e32 v16, v44, v16
	v_cvt_f32_i32_e32 v15, v15
	v_add_f32_e32 v44, v43, v16
	v_mul_f32_e32 v45, v44, v44
	v_mov_b32_e32 v46, 0x3ecc95a3
	v_fmac_f32_e32 v46, 0x3e9b6dac, v45
	v_mov_b32_e32 v47, 0x3f2aaada
	v_fmac_f32_e32 v47, v45, v46
	v_mul_f32_e32 v46, 0x3f317218, v15
	v_fma_f32 v48, v15, s27, -v46
	v_fmac_f32_e32 v48, 0xb102e308, v15
	v_sub_f32_e32 v15, v44, v43
	v_sub_f32_e32 v15, v16, v15
	v_add_f32_e32 v16, v46, v48
	v_sub_f32_e32 v43, v16, v46
	v_ldexp_f32 v46, v44, 1
	v_mul_f32_e32 v44, v44, v45
	v_mul_f32_e32 v44, v44, v47
	v_add_f32_e32 v45, v46, v44
	v_sub_f32_e32 v46, v45, v46
	v_ldexp_f32 v15, v15, 1
	v_sub_f32_e32 v44, v44, v46
	v_add_f32_e32 v15, v15, v44
	v_add_f32_e32 v44, v45, v15
	v_sub_f32_e32 v45, v44, v45
	v_sub_f32_e32 v15, v15, v45
	v_add_f32_e32 v45, v16, v44
	v_sub_f32_e32 v46, v45, v16
	v_sub_f32_e32 v47, v45, v46
	;; [unrolled: 1-line block ×5, first 2 shown]
	v_add_f32_e32 v16, v44, v16
	v_add_f32_e32 v44, v43, v15
	v_sub_f32_e32 v46, v44, v43
	v_sub_f32_e32 v47, v44, v46
	;; [unrolled: 1-line block ×4, first 2 shown]
	v_add_f32_e32 v16, v44, v16
	v_add_f32_e32 v15, v15, v43
	;; [unrolled: 1-line block ×3, first 2 shown]
	v_sub_f32_e32 v44, v43, v45
	v_sub_f32_e32 v16, v16, v44
	v_add_f32_e32 v15, v15, v16
	v_add_f32_e32 v15, v43, v15
	v_cmp_neq_f32_e32 vcc, s26, v18
	s_mov_b32 s26, 0x33800000
	v_cndmask_b32_e32 v15, v17, v15, vcc
	v_cmp_lt_f32_e64 vcc, |v18|, s26
	v_cndmask_b32_e32 v15, v15, v18, vcc
	v_add_f32_e32 v15, v14, v15
.LBB442_75:
	s_or_b64 exec, exec, s[24:25]
	v_bfe_u32 v14, v15, 16, 1
	s_movk_i32 s28, 0x7fff
	v_add3_u32 v14, v15, v14, s28
	v_and_b32_e32 v16, 0xffff0000, v14
	v_mov_b32_e32 v14, 0x7fc00000
	v_cmp_o_f32_e32 vcc, v15, v15
	v_cndmask_b32_e32 v15, v14, v16, vcc
	v_lshlrev_b32_sdwa v43, v13, v7 dst_sel:DWORD dst_unused:UNUSED_PAD src0_sel:DWORD src1_sel:WORD_0
	v_max_f32_e32 v13, v15, v15
	v_max_f32_e32 v45, v43, v43
	v_min_f32_e32 v16, v13, v45
	v_cmp_u_f32_e32 vcc, v15, v15
	v_max_f32_e32 v13, v13, v45
	v_cndmask_b32_e32 v16, v16, v15, vcc
	v_cmp_u_f32_e64 s[24:25], v43, v43
	v_cndmask_b32_e32 v13, v13, v15, vcc
	v_cndmask_b32_e64 v16, v16, v43, s[24:25]
	v_cndmask_b32_e64 v13, v13, v43, s[24:25]
	v_cmp_neq_f32_e32 vcc, v16, v13
	v_cmp_class_f32_e64 s[26:27], v16, s7
	s_or_b64 s[30:31], vcc, s[26:27]
	s_and_saveexec_b64 s[26:27], s[30:31]
	s_cbranch_execz .LBB442_77
; %bb.76:
	v_sub_f32_e32 v15, v16, v13
	s_mov_b32 s7, 0x3fb8aa3b
	v_mul_f32_e32 v16, 0x3fb8aa3b, v15
	v_fma_f32 v17, v15, s7, -v16
	v_rndne_f32_e32 v18, v16
	v_fmac_f32_e32 v17, 0x32a5705f, v15
	v_sub_f32_e32 v16, v16, v18
	v_add_f32_e32 v16, v16, v17
	v_exp_f32_e32 v16, v16
	v_cvt_i32_f32_e32 v17, v18
	s_mov_b32 s7, 0xc2ce8ed0
	v_cmp_ngt_f32_e32 vcc, s7, v15
	s_mov_b32 s7, 0x42b17218
	v_ldexp_f32 v16, v16, v17
	v_cndmask_b32_e32 v16, 0, v16, vcc
	v_mov_b32_e32 v17, 0x7f800000
	v_cmp_nlt_f32_e32 vcc, s7, v15
	v_cndmask_b32_e32 v18, v17, v16, vcc
	v_add_f32_e32 v44, 1.0, v18
	v_cvt_f64_f32_e32 v[15:16], v44
	v_add_f32_e32 v46, -1.0, v44
	v_sub_f32_e32 v47, v46, v44
	v_sub_f32_e32 v46, v18, v46
	v_frexp_exp_i32_f64_e32 v15, v[15:16]
	v_add_f32_e32 v16, 1.0, v47
	v_add_f32_e32 v16, v46, v16
	v_frexp_mant_f32_e32 v46, v44
	s_mov_b32 s29, 0x3f2aaaab
	v_cmp_gt_f32_e32 vcc, s29, v46
	s_mov_b32 s29, 0x3f317218
	s_mov_b32 s7, 0x7f800000
	v_subbrev_co_u32_e32 v15, vcc, 0, v15, vcc
	v_sub_u32_e32 v46, 0, v15
	v_ldexp_f32 v44, v44, v46
	v_ldexp_f32 v16, v16, v46
	v_add_f32_e32 v46, -1.0, v44
	v_add_f32_e32 v49, 1.0, v44
	v_add_f32_e32 v47, 1.0, v46
	v_add_f32_e32 v50, -1.0, v49
	v_sub_f32_e32 v47, v44, v47
	v_sub_f32_e32 v44, v44, v50
	v_add_f32_e32 v47, v16, v47
	v_add_f32_e32 v16, v16, v44
	;; [unrolled: 1-line block ×3, first 2 shown]
	v_rcp_f32_e32 v50, v44
	v_add_f32_e32 v48, v46, v47
	v_sub_f32_e32 v46, v46, v48
	v_add_f32_e32 v46, v47, v46
	v_sub_f32_e32 v47, v49, v44
	v_add_f32_e32 v16, v16, v47
	v_mul_f32_e32 v47, v48, v50
	v_mul_f32_e32 v49, v44, v47
	v_fma_f32 v51, v47, v44, -v49
	v_fmac_f32_e32 v51, v47, v16
	v_add_f32_e32 v52, v49, v51
	v_sub_f32_e32 v53, v48, v52
	v_sub_f32_e32 v48, v48, v53
	v_sub_f32_e32 v49, v52, v49
	v_sub_f32_e32 v48, v48, v52
	v_add_f32_e32 v46, v46, v48
	v_sub_f32_e32 v48, v49, v51
	v_add_f32_e32 v46, v48, v46
	v_add_f32_e32 v48, v53, v46
	v_mul_f32_e32 v49, v50, v48
	v_mul_f32_e32 v51, v44, v49
	v_fma_f32 v44, v49, v44, -v51
	v_fmac_f32_e32 v44, v49, v16
	v_sub_f32_e32 v16, v53, v48
	v_add_f32_e32 v16, v46, v16
	v_add_f32_e32 v46, v51, v44
	v_sub_f32_e32 v52, v48, v46
	v_sub_f32_e32 v48, v48, v52
	;; [unrolled: 1-line block ×4, first 2 shown]
	v_add_f32_e32 v16, v16, v46
	v_sub_f32_e32 v44, v51, v44
	v_add_f32_e32 v16, v44, v16
	v_add_f32_e32 v44, v47, v49
	;; [unrolled: 1-line block ×3, first 2 shown]
	v_sub_f32_e32 v46, v44, v47
	v_mul_f32_e32 v16, v50, v16
	v_sub_f32_e32 v46, v49, v46
	v_add_f32_e32 v16, v46, v16
	v_cvt_f32_i32_e32 v15, v15
	v_add_f32_e32 v46, v44, v16
	v_mul_f32_e32 v47, v46, v46
	v_mov_b32_e32 v48, 0x3ecc95a3
	v_fmac_f32_e32 v48, 0x3e9b6dac, v47
	v_mov_b32_e32 v49, 0x3f2aaada
	v_fmac_f32_e32 v49, v47, v48
	v_mul_f32_e32 v48, 0x3f317218, v15
	v_fma_f32 v50, v15, s29, -v48
	v_fmac_f32_e32 v50, 0xb102e308, v15
	v_sub_f32_e32 v15, v46, v44
	v_sub_f32_e32 v15, v16, v15
	v_add_f32_e32 v16, v48, v50
	v_sub_f32_e32 v44, v16, v48
	v_ldexp_f32 v48, v46, 1
	v_mul_f32_e32 v46, v46, v47
	v_mul_f32_e32 v46, v46, v49
	v_add_f32_e32 v47, v48, v46
	v_sub_f32_e32 v48, v47, v48
	v_ldexp_f32 v15, v15, 1
	v_sub_f32_e32 v46, v46, v48
	v_add_f32_e32 v15, v15, v46
	v_add_f32_e32 v46, v47, v15
	v_sub_f32_e32 v47, v46, v47
	v_sub_f32_e32 v15, v15, v47
	v_add_f32_e32 v47, v16, v46
	v_sub_f32_e32 v48, v47, v16
	v_sub_f32_e32 v49, v47, v48
	;; [unrolled: 1-line block ×5, first 2 shown]
	v_add_f32_e32 v16, v46, v16
	v_add_f32_e32 v46, v44, v15
	v_sub_f32_e32 v48, v46, v44
	v_sub_f32_e32 v49, v46, v48
	;; [unrolled: 1-line block ×4, first 2 shown]
	v_add_f32_e32 v16, v46, v16
	v_add_f32_e32 v15, v15, v44
	;; [unrolled: 1-line block ×3, first 2 shown]
	v_sub_f32_e32 v46, v44, v47
	v_sub_f32_e32 v16, v16, v46
	v_add_f32_e32 v15, v15, v16
	v_add_f32_e32 v15, v44, v15
	v_cmp_neq_f32_e32 vcc, s7, v18
	s_mov_b32 s7, 0x33800000
	v_cndmask_b32_e32 v15, v17, v15, vcc
	v_cmp_lt_f32_e64 vcc, |v18|, s7
	v_cndmask_b32_e32 v15, v15, v18, vcc
	v_add_f32_e32 v15, v13, v15
.LBB442_77:
	s_or_b64 exec, exec, s[26:27]
	v_bfe_u32 v13, v15, 16, 1
	v_add3_u32 v13, v15, v13, s28
	v_and_b32_e32 v13, 0xffff0000, v13
	v_cmp_o_f32_e32 vcc, v15, v15
	v_cndmask_b32_e32 v15, v14, v13, vcc
	v_mov_b32_e32 v13, 16
	v_lshlrev_b32_sdwa v44, v13, v7 dst_sel:DWORD dst_unused:UNUSED_PAD src0_sel:DWORD src1_sel:WORD_1
	v_max_f32_e32 v14, v15, v15
	v_max_f32_e32 v46, v44, v44
	v_min_f32_e32 v16, v14, v46
	v_cmp_u_f32_e32 vcc, v15, v15
	v_max_f32_e32 v14, v14, v46
	v_cndmask_b32_e32 v16, v16, v15, vcc
	v_cmp_u_f32_e64 s[26:27], v44, v44
	v_cndmask_b32_e32 v14, v14, v15, vcc
	v_cndmask_b32_e64 v16, v16, v44, s[26:27]
	v_cndmask_b32_e64 v14, v14, v44, s[26:27]
	s_movk_i32 s7, 0x1f8
	v_cmp_neq_f32_e32 vcc, v16, v14
	v_cmp_class_f32_e64 s[28:29], v16, s7
	s_or_b64 s[30:31], vcc, s[28:29]
	s_and_saveexec_b64 s[28:29], s[30:31]
	s_cbranch_execz .LBB442_79
; %bb.78:
	v_sub_f32_e32 v15, v16, v14
	s_mov_b32 s30, 0x3fb8aa3b
	v_mul_f32_e32 v16, 0x3fb8aa3b, v15
	v_fma_f32 v17, v15, s30, -v16
	v_rndne_f32_e32 v18, v16
	v_fmac_f32_e32 v17, 0x32a5705f, v15
	v_sub_f32_e32 v16, v16, v18
	v_add_f32_e32 v16, v16, v17
	v_exp_f32_e32 v16, v16
	v_cvt_i32_f32_e32 v17, v18
	s_mov_b32 s30, 0xc2ce8ed0
	v_cmp_ngt_f32_e32 vcc, s30, v15
	s_mov_b32 s30, 0x42b17218
	v_ldexp_f32 v16, v16, v17
	v_cndmask_b32_e32 v16, 0, v16, vcc
	v_mov_b32_e32 v17, 0x7f800000
	v_cmp_nlt_f32_e32 vcc, s30, v15
	v_cndmask_b32_e32 v18, v17, v16, vcc
	v_add_f32_e32 v47, 1.0, v18
	v_cvt_f64_f32_e32 v[15:16], v47
	v_add_f32_e32 v48, -1.0, v47
	v_sub_f32_e32 v49, v48, v47
	v_sub_f32_e32 v48, v18, v48
	v_frexp_exp_i32_f64_e32 v15, v[15:16]
	v_add_f32_e32 v16, 1.0, v49
	v_add_f32_e32 v16, v48, v16
	v_frexp_mant_f32_e32 v48, v47
	s_mov_b32 s31, 0x3f2aaaab
	v_cmp_gt_f32_e32 vcc, s31, v48
	s_mov_b32 s31, 0x3f317218
	s_mov_b32 s30, 0x7f800000
	v_subbrev_co_u32_e32 v15, vcc, 0, v15, vcc
	v_sub_u32_e32 v48, 0, v15
	v_ldexp_f32 v47, v47, v48
	v_ldexp_f32 v16, v16, v48
	v_add_f32_e32 v48, -1.0, v47
	v_add_f32_e32 v51, 1.0, v47
	v_add_f32_e32 v49, 1.0, v48
	v_add_f32_e32 v52, -1.0, v51
	v_sub_f32_e32 v49, v47, v49
	v_sub_f32_e32 v47, v47, v52
	v_add_f32_e32 v49, v16, v49
	v_add_f32_e32 v16, v16, v47
	;; [unrolled: 1-line block ×3, first 2 shown]
	v_rcp_f32_e32 v52, v47
	v_add_f32_e32 v50, v48, v49
	v_sub_f32_e32 v48, v48, v50
	v_add_f32_e32 v48, v49, v48
	v_sub_f32_e32 v49, v51, v47
	v_add_f32_e32 v16, v16, v49
	v_mul_f32_e32 v49, v50, v52
	v_mul_f32_e32 v51, v47, v49
	v_fma_f32 v53, v49, v47, -v51
	v_fmac_f32_e32 v53, v49, v16
	v_add_f32_e32 v54, v51, v53
	v_sub_f32_e32 v55, v50, v54
	v_sub_f32_e32 v50, v50, v55
	;; [unrolled: 1-line block ×4, first 2 shown]
	v_add_f32_e32 v48, v48, v50
	v_sub_f32_e32 v50, v51, v53
	v_add_f32_e32 v48, v50, v48
	v_add_f32_e32 v50, v55, v48
	v_mul_f32_e32 v51, v52, v50
	v_mul_f32_e32 v53, v47, v51
	v_fma_f32 v47, v51, v47, -v53
	v_fmac_f32_e32 v47, v51, v16
	v_sub_f32_e32 v16, v55, v50
	v_add_f32_e32 v16, v48, v16
	v_add_f32_e32 v48, v53, v47
	v_sub_f32_e32 v54, v50, v48
	v_sub_f32_e32 v50, v50, v54
	;; [unrolled: 1-line block ×4, first 2 shown]
	v_add_f32_e32 v16, v16, v48
	v_sub_f32_e32 v47, v53, v47
	v_add_f32_e32 v16, v47, v16
	v_add_f32_e32 v47, v49, v51
	;; [unrolled: 1-line block ×3, first 2 shown]
	v_sub_f32_e32 v48, v47, v49
	v_mul_f32_e32 v16, v52, v16
	v_sub_f32_e32 v48, v51, v48
	v_add_f32_e32 v16, v48, v16
	v_cvt_f32_i32_e32 v15, v15
	v_add_f32_e32 v48, v47, v16
	v_mul_f32_e32 v49, v48, v48
	v_mov_b32_e32 v50, 0x3ecc95a3
	v_fmac_f32_e32 v50, 0x3e9b6dac, v49
	v_mov_b32_e32 v51, 0x3f2aaada
	v_fmac_f32_e32 v51, v49, v50
	v_mul_f32_e32 v50, 0x3f317218, v15
	v_fma_f32 v52, v15, s31, -v50
	v_fmac_f32_e32 v52, 0xb102e308, v15
	v_sub_f32_e32 v15, v48, v47
	v_sub_f32_e32 v15, v16, v15
	v_add_f32_e32 v16, v50, v52
	v_sub_f32_e32 v47, v16, v50
	v_ldexp_f32 v50, v48, 1
	v_mul_f32_e32 v48, v48, v49
	v_mul_f32_e32 v48, v48, v51
	v_add_f32_e32 v49, v50, v48
	v_sub_f32_e32 v50, v49, v50
	v_ldexp_f32 v15, v15, 1
	v_sub_f32_e32 v48, v48, v50
	v_add_f32_e32 v15, v15, v48
	v_add_f32_e32 v48, v49, v15
	v_sub_f32_e32 v49, v48, v49
	v_sub_f32_e32 v15, v15, v49
	v_add_f32_e32 v49, v16, v48
	v_sub_f32_e32 v50, v49, v16
	v_sub_f32_e32 v51, v49, v50
	v_sub_f32_e32 v47, v52, v47
	v_sub_f32_e32 v16, v16, v51
	v_sub_f32_e32 v48, v48, v50
	v_add_f32_e32 v16, v48, v16
	v_add_f32_e32 v48, v47, v15
	v_sub_f32_e32 v50, v48, v47
	v_sub_f32_e32 v51, v48, v50
	;; [unrolled: 1-line block ×4, first 2 shown]
	v_add_f32_e32 v16, v48, v16
	v_add_f32_e32 v15, v15, v47
	;; [unrolled: 1-line block ×3, first 2 shown]
	v_sub_f32_e32 v48, v47, v49
	v_sub_f32_e32 v16, v16, v48
	v_add_f32_e32 v15, v15, v16
	v_add_f32_e32 v15, v47, v15
	v_cmp_neq_f32_e32 vcc, s30, v18
	s_mov_b32 s30, 0x33800000
	v_cndmask_b32_e32 v15, v17, v15, vcc
	v_cmp_lt_f32_e64 vcc, |v18|, s30
	v_cndmask_b32_e32 v15, v15, v18, vcc
	v_add_f32_e32 v15, v14, v15
.LBB442_79:
	s_or_b64 exec, exec, s[28:29]
	v_bfe_u32 v14, v15, 16, 1
	s_movk_i32 s34, 0x7fff
	v_add3_u32 v14, v15, v14, s34
	v_and_b32_e32 v16, 0xffff0000, v14
	v_mov_b32_e32 v14, 0x7fc00000
	v_cmp_o_f32_e32 vcc, v15, v15
	v_cndmask_b32_e32 v15, v14, v16, vcc
	v_lshlrev_b32_sdwa v47, v13, v8 dst_sel:DWORD dst_unused:UNUSED_PAD src0_sel:DWORD src1_sel:WORD_0
	v_max_f32_e32 v13, v15, v15
	v_max_f32_e32 v49, v47, v47
	v_min_f32_e32 v16, v13, v49
	v_cmp_u_f32_e32 vcc, v15, v15
	v_max_f32_e32 v13, v13, v49
	v_cndmask_b32_e32 v16, v16, v15, vcc
	v_cmp_u_f32_e64 s[28:29], v47, v47
	v_cndmask_b32_e32 v13, v13, v15, vcc
	v_cndmask_b32_e64 v16, v16, v47, s[28:29]
	v_cndmask_b32_e64 v13, v13, v47, s[28:29]
	v_cmp_neq_f32_e32 vcc, v16, v13
	v_cmp_class_f32_e64 s[30:31], v16, s7
	s_or_b64 s[36:37], vcc, s[30:31]
	s_and_saveexec_b64 s[30:31], s[36:37]
	s_cbranch_execz .LBB442_81
; %bb.80:
	v_sub_f32_e32 v15, v16, v13
	s_mov_b32 s7, 0x3fb8aa3b
	v_mul_f32_e32 v16, 0x3fb8aa3b, v15
	v_fma_f32 v17, v15, s7, -v16
	v_rndne_f32_e32 v18, v16
	v_fmac_f32_e32 v17, 0x32a5705f, v15
	v_sub_f32_e32 v16, v16, v18
	v_add_f32_e32 v16, v16, v17
	v_exp_f32_e32 v16, v16
	v_cvt_i32_f32_e32 v17, v18
	s_mov_b32 s7, 0xc2ce8ed0
	v_cmp_ngt_f32_e32 vcc, s7, v15
	s_mov_b32 s7, 0x42b17218
	v_ldexp_f32 v16, v16, v17
	v_cndmask_b32_e32 v16, 0, v16, vcc
	v_mov_b32_e32 v17, 0x7f800000
	v_cmp_nlt_f32_e32 vcc, s7, v15
	v_cndmask_b32_e32 v18, v17, v16, vcc
	v_add_f32_e32 v48, 1.0, v18
	v_cvt_f64_f32_e32 v[15:16], v48
	v_add_f32_e32 v50, -1.0, v48
	v_sub_f32_e32 v51, v50, v48
	v_sub_f32_e32 v50, v18, v50
	v_frexp_exp_i32_f64_e32 v15, v[15:16]
	v_add_f32_e32 v16, 1.0, v51
	v_add_f32_e32 v16, v50, v16
	v_frexp_mant_f32_e32 v50, v48
	s_mov_b32 s35, 0x3f2aaaab
	v_cmp_gt_f32_e32 vcc, s35, v50
	s_mov_b32 s35, 0x3f317218
	s_mov_b32 s7, 0x7f800000
	v_subbrev_co_u32_e32 v15, vcc, 0, v15, vcc
	v_sub_u32_e32 v50, 0, v15
	v_ldexp_f32 v48, v48, v50
	v_ldexp_f32 v16, v16, v50
	v_add_f32_e32 v50, -1.0, v48
	v_add_f32_e32 v53, 1.0, v48
	v_add_f32_e32 v51, 1.0, v50
	v_add_f32_e32 v54, -1.0, v53
	v_sub_f32_e32 v51, v48, v51
	v_sub_f32_e32 v48, v48, v54
	v_add_f32_e32 v51, v16, v51
	v_add_f32_e32 v16, v16, v48
	;; [unrolled: 1-line block ×3, first 2 shown]
	v_rcp_f32_e32 v54, v48
	v_add_f32_e32 v52, v50, v51
	v_sub_f32_e32 v50, v50, v52
	v_add_f32_e32 v50, v51, v50
	v_sub_f32_e32 v51, v53, v48
	v_add_f32_e32 v16, v16, v51
	v_mul_f32_e32 v51, v52, v54
	v_mul_f32_e32 v53, v48, v51
	v_fma_f32 v55, v51, v48, -v53
	v_fmac_f32_e32 v55, v51, v16
	v_add_f32_e32 v56, v53, v55
	v_sub_f32_e32 v57, v52, v56
	v_sub_f32_e32 v52, v52, v57
	;; [unrolled: 1-line block ×4, first 2 shown]
	v_add_f32_e32 v50, v50, v52
	v_sub_f32_e32 v52, v53, v55
	v_add_f32_e32 v50, v52, v50
	v_add_f32_e32 v52, v57, v50
	v_mul_f32_e32 v53, v54, v52
	v_mul_f32_e32 v55, v48, v53
	v_fma_f32 v48, v53, v48, -v55
	v_fmac_f32_e32 v48, v53, v16
	v_sub_f32_e32 v16, v57, v52
	v_add_f32_e32 v16, v50, v16
	v_add_f32_e32 v50, v55, v48
	v_sub_f32_e32 v56, v52, v50
	v_sub_f32_e32 v52, v52, v56
	;; [unrolled: 1-line block ×4, first 2 shown]
	v_add_f32_e32 v16, v16, v50
	v_sub_f32_e32 v48, v55, v48
	v_add_f32_e32 v16, v48, v16
	v_add_f32_e32 v48, v51, v53
	;; [unrolled: 1-line block ×3, first 2 shown]
	v_sub_f32_e32 v50, v48, v51
	v_mul_f32_e32 v16, v54, v16
	v_sub_f32_e32 v50, v53, v50
	v_add_f32_e32 v16, v50, v16
	v_cvt_f32_i32_e32 v15, v15
	v_add_f32_e32 v50, v48, v16
	v_mul_f32_e32 v51, v50, v50
	v_mov_b32_e32 v52, 0x3ecc95a3
	v_fmac_f32_e32 v52, 0x3e9b6dac, v51
	v_mov_b32_e32 v53, 0x3f2aaada
	v_fmac_f32_e32 v53, v51, v52
	v_mul_f32_e32 v52, 0x3f317218, v15
	v_fma_f32 v54, v15, s35, -v52
	v_fmac_f32_e32 v54, 0xb102e308, v15
	v_sub_f32_e32 v15, v50, v48
	v_sub_f32_e32 v15, v16, v15
	v_add_f32_e32 v16, v52, v54
	v_sub_f32_e32 v48, v16, v52
	v_ldexp_f32 v52, v50, 1
	v_mul_f32_e32 v50, v50, v51
	v_mul_f32_e32 v50, v50, v53
	v_add_f32_e32 v51, v52, v50
	v_sub_f32_e32 v52, v51, v52
	v_ldexp_f32 v15, v15, 1
	v_sub_f32_e32 v50, v50, v52
	v_add_f32_e32 v15, v15, v50
	v_add_f32_e32 v50, v51, v15
	v_sub_f32_e32 v51, v50, v51
	v_sub_f32_e32 v15, v15, v51
	v_add_f32_e32 v51, v16, v50
	v_sub_f32_e32 v52, v51, v16
	v_sub_f32_e32 v53, v51, v52
	v_sub_f32_e32 v48, v54, v48
	v_sub_f32_e32 v16, v16, v53
	v_sub_f32_e32 v50, v50, v52
	v_add_f32_e32 v16, v50, v16
	v_add_f32_e32 v50, v48, v15
	v_sub_f32_e32 v52, v50, v48
	v_sub_f32_e32 v53, v50, v52
	;; [unrolled: 1-line block ×4, first 2 shown]
	v_add_f32_e32 v16, v50, v16
	v_add_f32_e32 v15, v15, v48
	;; [unrolled: 1-line block ×3, first 2 shown]
	v_sub_f32_e32 v50, v48, v51
	v_sub_f32_e32 v16, v16, v50
	v_add_f32_e32 v15, v15, v16
	v_add_f32_e32 v15, v48, v15
	v_cmp_neq_f32_e32 vcc, s7, v18
	s_mov_b32 s7, 0x33800000
	v_cndmask_b32_e32 v15, v17, v15, vcc
	v_cmp_lt_f32_e64 vcc, |v18|, s7
	v_cndmask_b32_e32 v15, v15, v18, vcc
	v_add_f32_e32 v15, v13, v15
.LBB442_81:
	s_or_b64 exec, exec, s[30:31]
	v_bfe_u32 v13, v15, 16, 1
	v_add3_u32 v13, v15, v13, s34
	v_and_b32_e32 v13, 0xffff0000, v13
	v_cmp_o_f32_e32 vcc, v15, v15
	v_cndmask_b32_e32 v15, v14, v13, vcc
	v_mov_b32_e32 v13, 16
	v_lshlrev_b32_sdwa v48, v13, v8 dst_sel:DWORD dst_unused:UNUSED_PAD src0_sel:DWORD src1_sel:WORD_1
	v_max_f32_e32 v14, v15, v15
	v_max_f32_e32 v50, v48, v48
	v_min_f32_e32 v16, v14, v50
	v_cmp_u_f32_e32 vcc, v15, v15
	v_max_f32_e32 v14, v14, v50
	v_cndmask_b32_e32 v16, v16, v15, vcc
	v_cmp_u_f32_e64 s[30:31], v48, v48
	v_cndmask_b32_e32 v14, v14, v15, vcc
	v_cndmask_b32_e64 v16, v16, v48, s[30:31]
	v_cndmask_b32_e64 v14, v14, v48, s[30:31]
	s_movk_i32 s7, 0x1f8
	v_cmp_neq_f32_e32 vcc, v16, v14
	v_cmp_class_f32_e64 s[34:35], v16, s7
	s_or_b64 s[36:37], vcc, s[34:35]
	s_and_saveexec_b64 s[34:35], s[36:37]
	s_cbranch_execz .LBB442_83
; %bb.82:
	v_sub_f32_e32 v15, v16, v14
	s_mov_b32 s36, 0x3fb8aa3b
	v_mul_f32_e32 v16, 0x3fb8aa3b, v15
	v_fma_f32 v17, v15, s36, -v16
	v_rndne_f32_e32 v18, v16
	v_fmac_f32_e32 v17, 0x32a5705f, v15
	v_sub_f32_e32 v16, v16, v18
	v_add_f32_e32 v16, v16, v17
	v_exp_f32_e32 v16, v16
	v_cvt_i32_f32_e32 v17, v18
	s_mov_b32 s36, 0xc2ce8ed0
	v_cmp_ngt_f32_e32 vcc, s36, v15
	s_mov_b32 s36, 0x42b17218
	v_ldexp_f32 v16, v16, v17
	v_cndmask_b32_e32 v16, 0, v16, vcc
	v_mov_b32_e32 v17, 0x7f800000
	v_cmp_nlt_f32_e32 vcc, s36, v15
	v_cndmask_b32_e32 v18, v17, v16, vcc
	v_add_f32_e32 v51, 1.0, v18
	v_cvt_f64_f32_e32 v[15:16], v51
	v_add_f32_e32 v52, -1.0, v51
	v_sub_f32_e32 v53, v52, v51
	v_sub_f32_e32 v52, v18, v52
	v_frexp_exp_i32_f64_e32 v15, v[15:16]
	v_add_f32_e32 v16, 1.0, v53
	v_add_f32_e32 v16, v52, v16
	v_frexp_mant_f32_e32 v52, v51
	s_mov_b32 s37, 0x3f2aaaab
	v_cmp_gt_f32_e32 vcc, s37, v52
	s_mov_b32 s37, 0x3f317218
	s_mov_b32 s36, 0x7f800000
	v_subbrev_co_u32_e32 v15, vcc, 0, v15, vcc
	v_sub_u32_e32 v52, 0, v15
	v_ldexp_f32 v51, v51, v52
	v_ldexp_f32 v16, v16, v52
	v_add_f32_e32 v52, -1.0, v51
	v_add_f32_e32 v55, 1.0, v51
	v_add_f32_e32 v53, 1.0, v52
	v_add_f32_e32 v56, -1.0, v55
	v_sub_f32_e32 v53, v51, v53
	v_sub_f32_e32 v51, v51, v56
	v_add_f32_e32 v53, v16, v53
	v_add_f32_e32 v16, v16, v51
	;; [unrolled: 1-line block ×3, first 2 shown]
	v_rcp_f32_e32 v56, v51
	v_add_f32_e32 v54, v52, v53
	v_sub_f32_e32 v52, v52, v54
	v_add_f32_e32 v52, v53, v52
	v_sub_f32_e32 v53, v55, v51
	v_add_f32_e32 v16, v16, v53
	v_mul_f32_e32 v53, v54, v56
	v_mul_f32_e32 v55, v51, v53
	v_fma_f32 v57, v53, v51, -v55
	v_fmac_f32_e32 v57, v53, v16
	v_add_f32_e32 v58, v55, v57
	v_sub_f32_e32 v59, v54, v58
	v_sub_f32_e32 v54, v54, v59
	v_sub_f32_e32 v55, v58, v55
	v_sub_f32_e32 v54, v54, v58
	v_add_f32_e32 v52, v52, v54
	v_sub_f32_e32 v54, v55, v57
	v_add_f32_e32 v52, v54, v52
	v_add_f32_e32 v54, v59, v52
	v_mul_f32_e32 v55, v56, v54
	v_mul_f32_e32 v57, v51, v55
	v_fma_f32 v51, v55, v51, -v57
	v_fmac_f32_e32 v51, v55, v16
	v_sub_f32_e32 v16, v59, v54
	v_add_f32_e32 v16, v52, v16
	v_add_f32_e32 v52, v57, v51
	v_sub_f32_e32 v58, v54, v52
	v_sub_f32_e32 v54, v54, v58
	;; [unrolled: 1-line block ×4, first 2 shown]
	v_add_f32_e32 v16, v16, v52
	v_sub_f32_e32 v51, v57, v51
	v_add_f32_e32 v16, v51, v16
	v_add_f32_e32 v51, v53, v55
	;; [unrolled: 1-line block ×3, first 2 shown]
	v_sub_f32_e32 v52, v51, v53
	v_mul_f32_e32 v16, v56, v16
	v_sub_f32_e32 v52, v55, v52
	v_add_f32_e32 v16, v52, v16
	v_cvt_f32_i32_e32 v15, v15
	v_add_f32_e32 v52, v51, v16
	v_mul_f32_e32 v53, v52, v52
	v_mov_b32_e32 v54, 0x3ecc95a3
	v_fmac_f32_e32 v54, 0x3e9b6dac, v53
	v_mov_b32_e32 v55, 0x3f2aaada
	v_fmac_f32_e32 v55, v53, v54
	v_mul_f32_e32 v54, 0x3f317218, v15
	v_fma_f32 v56, v15, s37, -v54
	v_fmac_f32_e32 v56, 0xb102e308, v15
	v_sub_f32_e32 v15, v52, v51
	v_sub_f32_e32 v15, v16, v15
	v_add_f32_e32 v16, v54, v56
	v_sub_f32_e32 v51, v16, v54
	v_ldexp_f32 v54, v52, 1
	v_mul_f32_e32 v52, v52, v53
	v_mul_f32_e32 v52, v52, v55
	v_add_f32_e32 v53, v54, v52
	v_sub_f32_e32 v54, v53, v54
	v_ldexp_f32 v15, v15, 1
	v_sub_f32_e32 v52, v52, v54
	v_add_f32_e32 v15, v15, v52
	v_add_f32_e32 v52, v53, v15
	v_sub_f32_e32 v53, v52, v53
	v_sub_f32_e32 v15, v15, v53
	v_add_f32_e32 v53, v16, v52
	v_sub_f32_e32 v54, v53, v16
	v_sub_f32_e32 v55, v53, v54
	;; [unrolled: 1-line block ×5, first 2 shown]
	v_add_f32_e32 v16, v52, v16
	v_add_f32_e32 v52, v51, v15
	v_sub_f32_e32 v54, v52, v51
	v_sub_f32_e32 v55, v52, v54
	;; [unrolled: 1-line block ×4, first 2 shown]
	v_add_f32_e32 v16, v52, v16
	v_add_f32_e32 v15, v15, v51
	;; [unrolled: 1-line block ×3, first 2 shown]
	v_sub_f32_e32 v52, v51, v53
	v_sub_f32_e32 v16, v16, v52
	v_add_f32_e32 v15, v15, v16
	v_add_f32_e32 v15, v51, v15
	v_cmp_neq_f32_e32 vcc, s36, v18
	s_mov_b32 s36, 0x33800000
	v_cndmask_b32_e32 v15, v17, v15, vcc
	v_cmp_lt_f32_e64 vcc, |v18|, s36
	v_cndmask_b32_e32 v15, v15, v18, vcc
	v_add_f32_e32 v15, v14, v15
.LBB442_83:
	s_or_b64 exec, exec, s[34:35]
	v_bfe_u32 v14, v15, 16, 1
	s_movk_i32 s38, 0x7fff
	v_add3_u32 v14, v15, v14, s38
	v_and_b32_e32 v16, 0xffff0000, v14
	v_mov_b32_e32 v14, 0x7fc00000
	v_cmp_o_f32_e32 vcc, v15, v15
	v_cndmask_b32_e32 v15, v14, v16, vcc
	v_lshlrev_b32_sdwa v51, v13, v1 dst_sel:DWORD dst_unused:UNUSED_PAD src0_sel:DWORD src1_sel:WORD_0
	v_max_f32_e32 v13, v15, v15
	v_max_f32_e32 v53, v51, v51
	v_min_f32_e32 v16, v13, v53
	v_cmp_u_f32_e32 vcc, v15, v15
	v_max_f32_e32 v13, v13, v53
	v_cndmask_b32_e32 v16, v16, v15, vcc
	v_cmp_u_f32_e64 s[34:35], v51, v51
	v_cndmask_b32_e32 v13, v13, v15, vcc
	v_cndmask_b32_e64 v16, v16, v51, s[34:35]
	v_cndmask_b32_e64 v13, v13, v51, s[34:35]
	v_cmp_neq_f32_e32 vcc, v16, v13
	v_cmp_class_f32_e64 s[36:37], v16, s7
	s_or_b64 s[40:41], vcc, s[36:37]
	s_and_saveexec_b64 s[36:37], s[40:41]
	s_cbranch_execz .LBB442_85
; %bb.84:
	v_sub_f32_e32 v15, v16, v13
	s_mov_b32 s7, 0x3fb8aa3b
	v_mul_f32_e32 v16, 0x3fb8aa3b, v15
	v_fma_f32 v17, v15, s7, -v16
	v_rndne_f32_e32 v18, v16
	v_fmac_f32_e32 v17, 0x32a5705f, v15
	v_sub_f32_e32 v16, v16, v18
	v_add_f32_e32 v16, v16, v17
	v_exp_f32_e32 v16, v16
	v_cvt_i32_f32_e32 v17, v18
	s_mov_b32 s7, 0xc2ce8ed0
	v_cmp_ngt_f32_e32 vcc, s7, v15
	s_mov_b32 s7, 0x42b17218
	v_ldexp_f32 v16, v16, v17
	v_cndmask_b32_e32 v16, 0, v16, vcc
	v_mov_b32_e32 v17, 0x7f800000
	v_cmp_nlt_f32_e32 vcc, s7, v15
	v_cndmask_b32_e32 v18, v17, v16, vcc
	v_add_f32_e32 v52, 1.0, v18
	v_cvt_f64_f32_e32 v[15:16], v52
	v_add_f32_e32 v54, -1.0, v52
	v_sub_f32_e32 v55, v54, v52
	v_sub_f32_e32 v54, v18, v54
	v_frexp_exp_i32_f64_e32 v15, v[15:16]
	v_add_f32_e32 v16, 1.0, v55
	v_add_f32_e32 v16, v54, v16
	v_frexp_mant_f32_e32 v54, v52
	s_mov_b32 s39, 0x3f2aaaab
	v_cmp_gt_f32_e32 vcc, s39, v54
	s_mov_b32 s39, 0x3f317218
	s_mov_b32 s7, 0x7f800000
	v_subbrev_co_u32_e32 v15, vcc, 0, v15, vcc
	v_sub_u32_e32 v54, 0, v15
	v_ldexp_f32 v52, v52, v54
	v_ldexp_f32 v16, v16, v54
	v_add_f32_e32 v54, -1.0, v52
	v_add_f32_e32 v57, 1.0, v52
	v_add_f32_e32 v55, 1.0, v54
	v_add_f32_e32 v58, -1.0, v57
	v_sub_f32_e32 v55, v52, v55
	v_sub_f32_e32 v52, v52, v58
	v_add_f32_e32 v55, v16, v55
	v_add_f32_e32 v16, v16, v52
	v_add_f32_e32 v52, v57, v16
	v_rcp_f32_e32 v58, v52
	v_add_f32_e32 v56, v54, v55
	v_sub_f32_e32 v54, v54, v56
	v_add_f32_e32 v54, v55, v54
	v_sub_f32_e32 v55, v57, v52
	v_add_f32_e32 v16, v16, v55
	v_mul_f32_e32 v55, v56, v58
	v_mul_f32_e32 v57, v52, v55
	v_fma_f32 v59, v55, v52, -v57
	v_fmac_f32_e32 v59, v55, v16
	v_add_f32_e32 v60, v57, v59
	v_sub_f32_e32 v61, v56, v60
	v_sub_f32_e32 v56, v56, v61
	;; [unrolled: 1-line block ×4, first 2 shown]
	v_add_f32_e32 v54, v54, v56
	v_sub_f32_e32 v56, v57, v59
	v_add_f32_e32 v54, v56, v54
	v_add_f32_e32 v56, v61, v54
	v_mul_f32_e32 v57, v58, v56
	v_mul_f32_e32 v59, v52, v57
	v_fma_f32 v52, v57, v52, -v59
	v_fmac_f32_e32 v52, v57, v16
	v_sub_f32_e32 v16, v61, v56
	v_add_f32_e32 v16, v54, v16
	v_add_f32_e32 v54, v59, v52
	v_sub_f32_e32 v60, v56, v54
	v_sub_f32_e32 v56, v56, v60
	;; [unrolled: 1-line block ×4, first 2 shown]
	v_add_f32_e32 v16, v16, v54
	v_sub_f32_e32 v52, v59, v52
	v_add_f32_e32 v16, v52, v16
	v_add_f32_e32 v52, v55, v57
	;; [unrolled: 1-line block ×3, first 2 shown]
	v_sub_f32_e32 v54, v52, v55
	v_mul_f32_e32 v16, v58, v16
	v_sub_f32_e32 v54, v57, v54
	v_add_f32_e32 v16, v54, v16
	v_cvt_f32_i32_e32 v15, v15
	v_add_f32_e32 v54, v52, v16
	v_mul_f32_e32 v55, v54, v54
	v_mov_b32_e32 v56, 0x3ecc95a3
	v_fmac_f32_e32 v56, 0x3e9b6dac, v55
	v_mov_b32_e32 v57, 0x3f2aaada
	v_fmac_f32_e32 v57, v55, v56
	v_mul_f32_e32 v56, 0x3f317218, v15
	v_fma_f32 v58, v15, s39, -v56
	v_fmac_f32_e32 v58, 0xb102e308, v15
	v_sub_f32_e32 v15, v54, v52
	v_sub_f32_e32 v15, v16, v15
	v_add_f32_e32 v16, v56, v58
	v_sub_f32_e32 v52, v16, v56
	v_ldexp_f32 v56, v54, 1
	v_mul_f32_e32 v54, v54, v55
	v_mul_f32_e32 v54, v54, v57
	v_add_f32_e32 v55, v56, v54
	v_sub_f32_e32 v56, v55, v56
	v_ldexp_f32 v15, v15, 1
	v_sub_f32_e32 v54, v54, v56
	v_add_f32_e32 v15, v15, v54
	v_add_f32_e32 v54, v55, v15
	v_sub_f32_e32 v55, v54, v55
	v_sub_f32_e32 v15, v15, v55
	v_add_f32_e32 v55, v16, v54
	v_sub_f32_e32 v56, v55, v16
	v_sub_f32_e32 v57, v55, v56
	;; [unrolled: 1-line block ×5, first 2 shown]
	v_add_f32_e32 v16, v54, v16
	v_add_f32_e32 v54, v52, v15
	v_sub_f32_e32 v56, v54, v52
	v_sub_f32_e32 v57, v54, v56
	;; [unrolled: 1-line block ×4, first 2 shown]
	v_add_f32_e32 v16, v54, v16
	v_add_f32_e32 v15, v15, v52
	;; [unrolled: 1-line block ×3, first 2 shown]
	v_sub_f32_e32 v54, v52, v55
	v_sub_f32_e32 v16, v16, v54
	v_add_f32_e32 v15, v15, v16
	v_add_f32_e32 v15, v52, v15
	v_cmp_neq_f32_e32 vcc, s7, v18
	s_mov_b32 s7, 0x33800000
	v_cndmask_b32_e32 v15, v17, v15, vcc
	v_cmp_lt_f32_e64 vcc, |v18|, s7
	v_cndmask_b32_e32 v15, v15, v18, vcc
	v_add_f32_e32 v15, v13, v15
.LBB442_85:
	s_or_b64 exec, exec, s[36:37]
	v_bfe_u32 v13, v15, 16, 1
	v_add3_u32 v13, v15, v13, s38
	v_and_b32_e32 v13, 0xffff0000, v13
	v_cmp_o_f32_e32 vcc, v15, v15
	v_cndmask_b32_e32 v15, v14, v13, vcc
	v_mov_b32_e32 v13, 16
	v_lshlrev_b32_sdwa v52, v13, v1 dst_sel:DWORD dst_unused:UNUSED_PAD src0_sel:DWORD src1_sel:WORD_1
	v_max_f32_e32 v14, v15, v15
	v_max_f32_e32 v54, v52, v52
	v_min_f32_e32 v16, v14, v54
	v_cmp_u_f32_e32 vcc, v15, v15
	v_max_f32_e32 v14, v14, v54
	v_cndmask_b32_e32 v16, v16, v15, vcc
	v_cmp_u_f32_e64 s[36:37], v52, v52
	v_cndmask_b32_e32 v14, v14, v15, vcc
	v_cndmask_b32_e64 v16, v16, v52, s[36:37]
	v_cndmask_b32_e64 v14, v14, v52, s[36:37]
	s_movk_i32 s7, 0x1f8
	v_cmp_neq_f32_e32 vcc, v16, v14
	v_cmp_class_f32_e64 s[38:39], v16, s7
	s_or_b64 s[40:41], vcc, s[38:39]
	s_and_saveexec_b64 s[38:39], s[40:41]
	s_cbranch_execz .LBB442_87
; %bb.86:
	v_sub_f32_e32 v15, v16, v14
	s_mov_b32 s40, 0x3fb8aa3b
	v_mul_f32_e32 v16, 0x3fb8aa3b, v15
	v_fma_f32 v17, v15, s40, -v16
	v_rndne_f32_e32 v18, v16
	v_fmac_f32_e32 v17, 0x32a5705f, v15
	v_sub_f32_e32 v16, v16, v18
	v_add_f32_e32 v16, v16, v17
	v_exp_f32_e32 v16, v16
	v_cvt_i32_f32_e32 v17, v18
	s_mov_b32 s40, 0xc2ce8ed0
	v_cmp_ngt_f32_e32 vcc, s40, v15
	s_mov_b32 s40, 0x42b17218
	v_ldexp_f32 v16, v16, v17
	v_cndmask_b32_e32 v16, 0, v16, vcc
	v_mov_b32_e32 v17, 0x7f800000
	v_cmp_nlt_f32_e32 vcc, s40, v15
	v_cndmask_b32_e32 v18, v17, v16, vcc
	v_add_f32_e32 v55, 1.0, v18
	v_cvt_f64_f32_e32 v[15:16], v55
	v_add_f32_e32 v56, -1.0, v55
	v_sub_f32_e32 v57, v56, v55
	v_sub_f32_e32 v56, v18, v56
	v_frexp_exp_i32_f64_e32 v15, v[15:16]
	v_add_f32_e32 v16, 1.0, v57
	v_add_f32_e32 v16, v56, v16
	v_frexp_mant_f32_e32 v56, v55
	s_mov_b32 s41, 0x3f2aaaab
	v_cmp_gt_f32_e32 vcc, s41, v56
	s_mov_b32 s41, 0x3f317218
	s_mov_b32 s40, 0x7f800000
	v_subbrev_co_u32_e32 v15, vcc, 0, v15, vcc
	v_sub_u32_e32 v56, 0, v15
	v_ldexp_f32 v55, v55, v56
	v_ldexp_f32 v16, v16, v56
	v_add_f32_e32 v56, -1.0, v55
	v_add_f32_e32 v59, 1.0, v55
	v_add_f32_e32 v57, 1.0, v56
	v_add_f32_e32 v60, -1.0, v59
	v_sub_f32_e32 v57, v55, v57
	v_sub_f32_e32 v55, v55, v60
	v_add_f32_e32 v57, v16, v57
	v_add_f32_e32 v16, v16, v55
	;; [unrolled: 1-line block ×3, first 2 shown]
	v_rcp_f32_e32 v60, v55
	v_add_f32_e32 v58, v56, v57
	v_sub_f32_e32 v56, v56, v58
	v_add_f32_e32 v56, v57, v56
	v_sub_f32_e32 v57, v59, v55
	v_add_f32_e32 v16, v16, v57
	v_mul_f32_e32 v57, v58, v60
	v_mul_f32_e32 v59, v55, v57
	v_fma_f32 v61, v57, v55, -v59
	v_fmac_f32_e32 v61, v57, v16
	v_add_f32_e32 v62, v59, v61
	v_sub_f32_e32 v63, v58, v62
	v_sub_f32_e32 v58, v58, v63
	;; [unrolled: 1-line block ×4, first 2 shown]
	v_add_f32_e32 v56, v56, v58
	v_sub_f32_e32 v58, v59, v61
	v_add_f32_e32 v56, v58, v56
	v_add_f32_e32 v58, v63, v56
	v_mul_f32_e32 v59, v60, v58
	v_mul_f32_e32 v61, v55, v59
	v_fma_f32 v55, v59, v55, -v61
	v_fmac_f32_e32 v55, v59, v16
	v_sub_f32_e32 v16, v63, v58
	v_add_f32_e32 v16, v56, v16
	v_add_f32_e32 v56, v61, v55
	v_sub_f32_e32 v62, v58, v56
	v_sub_f32_e32 v58, v58, v62
	;; [unrolled: 1-line block ×4, first 2 shown]
	v_add_f32_e32 v16, v16, v56
	v_sub_f32_e32 v55, v61, v55
	v_add_f32_e32 v16, v55, v16
	v_add_f32_e32 v55, v57, v59
	;; [unrolled: 1-line block ×3, first 2 shown]
	v_sub_f32_e32 v56, v55, v57
	v_mul_f32_e32 v16, v60, v16
	v_sub_f32_e32 v56, v59, v56
	v_add_f32_e32 v16, v56, v16
	v_cvt_f32_i32_e32 v15, v15
	v_add_f32_e32 v56, v55, v16
	v_mul_f32_e32 v57, v56, v56
	v_mov_b32_e32 v58, 0x3ecc95a3
	v_fmac_f32_e32 v58, 0x3e9b6dac, v57
	v_mov_b32_e32 v59, 0x3f2aaada
	v_fmac_f32_e32 v59, v57, v58
	v_mul_f32_e32 v58, 0x3f317218, v15
	v_fma_f32 v60, v15, s41, -v58
	v_fmac_f32_e32 v60, 0xb102e308, v15
	v_sub_f32_e32 v15, v56, v55
	v_sub_f32_e32 v15, v16, v15
	v_add_f32_e32 v16, v58, v60
	v_sub_f32_e32 v55, v16, v58
	v_ldexp_f32 v58, v56, 1
	v_mul_f32_e32 v56, v56, v57
	v_mul_f32_e32 v56, v56, v59
	v_add_f32_e32 v57, v58, v56
	v_sub_f32_e32 v58, v57, v58
	v_ldexp_f32 v15, v15, 1
	v_sub_f32_e32 v56, v56, v58
	v_add_f32_e32 v15, v15, v56
	v_add_f32_e32 v56, v57, v15
	v_sub_f32_e32 v57, v56, v57
	v_sub_f32_e32 v15, v15, v57
	v_add_f32_e32 v57, v16, v56
	v_sub_f32_e32 v58, v57, v16
	v_sub_f32_e32 v59, v57, v58
	;; [unrolled: 1-line block ×5, first 2 shown]
	v_add_f32_e32 v16, v56, v16
	v_add_f32_e32 v56, v55, v15
	v_sub_f32_e32 v58, v56, v55
	v_sub_f32_e32 v59, v56, v58
	;; [unrolled: 1-line block ×4, first 2 shown]
	v_add_f32_e32 v16, v56, v16
	v_add_f32_e32 v15, v15, v55
	;; [unrolled: 1-line block ×3, first 2 shown]
	v_sub_f32_e32 v56, v55, v57
	v_sub_f32_e32 v16, v16, v56
	v_add_f32_e32 v15, v15, v16
	v_add_f32_e32 v15, v55, v15
	v_cmp_neq_f32_e32 vcc, s40, v18
	s_mov_b32 s40, 0x33800000
	v_cndmask_b32_e32 v15, v17, v15, vcc
	v_cmp_lt_f32_e64 vcc, |v18|, s40
	v_cndmask_b32_e32 v15, v15, v18, vcc
	v_add_f32_e32 v15, v14, v15
.LBB442_87:
	s_or_b64 exec, exec, s[38:39]
	v_bfe_u32 v14, v15, 16, 1
	s_movk_i32 s42, 0x7fff
	v_add3_u32 v14, v15, v14, s42
	v_and_b32_e32 v16, 0xffff0000, v14
	v_mov_b32_e32 v14, 0x7fc00000
	v_cmp_o_f32_e32 vcc, v15, v15
	v_cndmask_b32_e32 v15, v14, v16, vcc
	v_lshlrev_b32_sdwa v55, v13, v2 dst_sel:DWORD dst_unused:UNUSED_PAD src0_sel:DWORD src1_sel:WORD_0
	v_max_f32_e32 v13, v15, v15
	v_max_f32_e32 v57, v55, v55
	v_min_f32_e32 v16, v13, v57
	v_cmp_u_f32_e32 vcc, v15, v15
	v_max_f32_e32 v13, v13, v57
	v_cndmask_b32_e32 v16, v16, v15, vcc
	v_cmp_u_f32_e64 s[38:39], v55, v55
	v_cndmask_b32_e32 v13, v13, v15, vcc
	v_cndmask_b32_e64 v16, v16, v55, s[38:39]
	v_cndmask_b32_e64 v13, v13, v55, s[38:39]
	v_cmp_neq_f32_e32 vcc, v16, v13
	v_cmp_class_f32_e64 s[40:41], v16, s7
	s_or_b64 s[44:45], vcc, s[40:41]
	s_and_saveexec_b64 s[40:41], s[44:45]
	s_cbranch_execz .LBB442_89
; %bb.88:
	v_sub_f32_e32 v15, v16, v13
	s_mov_b32 s7, 0x3fb8aa3b
	v_mul_f32_e32 v16, 0x3fb8aa3b, v15
	v_fma_f32 v17, v15, s7, -v16
	v_rndne_f32_e32 v18, v16
	v_fmac_f32_e32 v17, 0x32a5705f, v15
	v_sub_f32_e32 v16, v16, v18
	v_add_f32_e32 v16, v16, v17
	v_exp_f32_e32 v16, v16
	v_cvt_i32_f32_e32 v17, v18
	s_mov_b32 s7, 0xc2ce8ed0
	v_cmp_ngt_f32_e32 vcc, s7, v15
	s_mov_b32 s7, 0x42b17218
	v_ldexp_f32 v16, v16, v17
	v_cndmask_b32_e32 v16, 0, v16, vcc
	v_mov_b32_e32 v17, 0x7f800000
	v_cmp_nlt_f32_e32 vcc, s7, v15
	v_cndmask_b32_e32 v18, v17, v16, vcc
	v_add_f32_e32 v56, 1.0, v18
	v_cvt_f64_f32_e32 v[15:16], v56
	v_add_f32_e32 v58, -1.0, v56
	v_sub_f32_e32 v59, v58, v56
	v_sub_f32_e32 v58, v18, v58
	v_frexp_exp_i32_f64_e32 v15, v[15:16]
	v_add_f32_e32 v16, 1.0, v59
	v_add_f32_e32 v16, v58, v16
	v_frexp_mant_f32_e32 v58, v56
	s_mov_b32 s43, 0x3f2aaaab
	v_cmp_gt_f32_e32 vcc, s43, v58
	s_mov_b32 s43, 0x3f317218
	s_mov_b32 s7, 0x7f800000
	v_subbrev_co_u32_e32 v15, vcc, 0, v15, vcc
	v_sub_u32_e32 v58, 0, v15
	v_ldexp_f32 v56, v56, v58
	v_ldexp_f32 v16, v16, v58
	v_add_f32_e32 v58, -1.0, v56
	v_add_f32_e32 v61, 1.0, v56
	v_add_f32_e32 v59, 1.0, v58
	v_add_f32_e32 v62, -1.0, v61
	v_sub_f32_e32 v59, v56, v59
	v_sub_f32_e32 v56, v56, v62
	v_add_f32_e32 v59, v16, v59
	v_add_f32_e32 v16, v16, v56
	;; [unrolled: 1-line block ×3, first 2 shown]
	v_rcp_f32_e32 v62, v56
	v_add_f32_e32 v60, v58, v59
	v_sub_f32_e32 v58, v58, v60
	v_add_f32_e32 v58, v59, v58
	v_sub_f32_e32 v59, v61, v56
	v_add_f32_e32 v16, v16, v59
	v_mul_f32_e32 v59, v60, v62
	v_mul_f32_e32 v61, v56, v59
	v_fma_f32 v63, v59, v56, -v61
	v_fmac_f32_e32 v63, v59, v16
	v_add_f32_e32 v64, v61, v63
	v_sub_f32_e32 v65, v60, v64
	v_sub_f32_e32 v60, v60, v65
	v_sub_f32_e32 v61, v64, v61
	v_sub_f32_e32 v60, v60, v64
	v_add_f32_e32 v58, v58, v60
	v_sub_f32_e32 v60, v61, v63
	v_add_f32_e32 v58, v60, v58
	v_add_f32_e32 v60, v65, v58
	v_mul_f32_e32 v61, v62, v60
	v_mul_f32_e32 v63, v56, v61
	v_fma_f32 v56, v61, v56, -v63
	v_fmac_f32_e32 v56, v61, v16
	v_sub_f32_e32 v16, v65, v60
	v_add_f32_e32 v16, v58, v16
	v_add_f32_e32 v58, v63, v56
	v_sub_f32_e32 v64, v60, v58
	v_sub_f32_e32 v60, v60, v64
	;; [unrolled: 1-line block ×4, first 2 shown]
	v_add_f32_e32 v16, v16, v58
	v_sub_f32_e32 v56, v63, v56
	v_add_f32_e32 v16, v56, v16
	v_add_f32_e32 v56, v59, v61
	;; [unrolled: 1-line block ×3, first 2 shown]
	v_sub_f32_e32 v58, v56, v59
	v_mul_f32_e32 v16, v62, v16
	v_sub_f32_e32 v58, v61, v58
	v_add_f32_e32 v16, v58, v16
	v_cvt_f32_i32_e32 v15, v15
	v_add_f32_e32 v58, v56, v16
	v_mul_f32_e32 v59, v58, v58
	v_mov_b32_e32 v60, 0x3ecc95a3
	v_fmac_f32_e32 v60, 0x3e9b6dac, v59
	v_mov_b32_e32 v61, 0x3f2aaada
	v_fmac_f32_e32 v61, v59, v60
	v_mul_f32_e32 v60, 0x3f317218, v15
	v_fma_f32 v62, v15, s43, -v60
	v_fmac_f32_e32 v62, 0xb102e308, v15
	v_sub_f32_e32 v15, v58, v56
	v_sub_f32_e32 v15, v16, v15
	v_add_f32_e32 v16, v60, v62
	v_sub_f32_e32 v56, v16, v60
	v_ldexp_f32 v60, v58, 1
	v_mul_f32_e32 v58, v58, v59
	v_mul_f32_e32 v58, v58, v61
	v_add_f32_e32 v59, v60, v58
	v_sub_f32_e32 v60, v59, v60
	v_ldexp_f32 v15, v15, 1
	v_sub_f32_e32 v58, v58, v60
	v_add_f32_e32 v15, v15, v58
	v_add_f32_e32 v58, v59, v15
	v_sub_f32_e32 v59, v58, v59
	v_sub_f32_e32 v15, v15, v59
	v_add_f32_e32 v59, v16, v58
	v_sub_f32_e32 v60, v59, v16
	v_sub_f32_e32 v61, v59, v60
	;; [unrolled: 1-line block ×5, first 2 shown]
	v_add_f32_e32 v16, v58, v16
	v_add_f32_e32 v58, v56, v15
	v_sub_f32_e32 v60, v58, v56
	v_sub_f32_e32 v61, v58, v60
	;; [unrolled: 1-line block ×4, first 2 shown]
	v_add_f32_e32 v16, v58, v16
	v_add_f32_e32 v15, v15, v56
	;; [unrolled: 1-line block ×3, first 2 shown]
	v_sub_f32_e32 v58, v56, v59
	v_sub_f32_e32 v16, v16, v58
	v_add_f32_e32 v15, v15, v16
	v_add_f32_e32 v15, v56, v15
	v_cmp_neq_f32_e32 vcc, s7, v18
	s_mov_b32 s7, 0x33800000
	v_cndmask_b32_e32 v15, v17, v15, vcc
	v_cmp_lt_f32_e64 vcc, |v18|, s7
	v_cndmask_b32_e32 v15, v15, v18, vcc
	v_add_f32_e32 v15, v13, v15
.LBB442_89:
	s_or_b64 exec, exec, s[40:41]
	v_bfe_u32 v13, v15, 16, 1
	v_add3_u32 v13, v15, v13, s42
	v_and_b32_e32 v13, 0xffff0000, v13
	v_cmp_o_f32_e32 vcc, v15, v15
	v_cndmask_b32_e32 v15, v14, v13, vcc
	v_mov_b32_e32 v13, 16
	v_lshlrev_b32_sdwa v56, v13, v2 dst_sel:DWORD dst_unused:UNUSED_PAD src0_sel:DWORD src1_sel:WORD_1
	v_max_f32_e32 v14, v15, v15
	v_max_f32_e32 v58, v56, v56
	v_min_f32_e32 v16, v14, v58
	v_cmp_u_f32_e32 vcc, v15, v15
	v_max_f32_e32 v14, v14, v58
	v_cndmask_b32_e32 v16, v16, v15, vcc
	v_cmp_u_f32_e64 s[40:41], v56, v56
	v_cndmask_b32_e32 v14, v14, v15, vcc
	v_cndmask_b32_e64 v16, v16, v56, s[40:41]
	v_cndmask_b32_e64 v14, v14, v56, s[40:41]
	s_movk_i32 s7, 0x1f8
	v_cmp_neq_f32_e32 vcc, v16, v14
	v_cmp_class_f32_e64 s[42:43], v16, s7
	s_or_b64 s[44:45], vcc, s[42:43]
	s_and_saveexec_b64 s[42:43], s[44:45]
	s_cbranch_execz .LBB442_91
; %bb.90:
	v_sub_f32_e32 v15, v16, v14
	s_mov_b32 s44, 0x3fb8aa3b
	v_mul_f32_e32 v16, 0x3fb8aa3b, v15
	v_fma_f32 v17, v15, s44, -v16
	v_rndne_f32_e32 v18, v16
	v_fmac_f32_e32 v17, 0x32a5705f, v15
	v_sub_f32_e32 v16, v16, v18
	v_add_f32_e32 v16, v16, v17
	v_exp_f32_e32 v16, v16
	v_cvt_i32_f32_e32 v17, v18
	s_mov_b32 s44, 0xc2ce8ed0
	v_cmp_ngt_f32_e32 vcc, s44, v15
	s_mov_b32 s44, 0x42b17218
	v_ldexp_f32 v16, v16, v17
	v_cndmask_b32_e32 v16, 0, v16, vcc
	v_mov_b32_e32 v17, 0x7f800000
	v_cmp_nlt_f32_e32 vcc, s44, v15
	v_cndmask_b32_e32 v18, v17, v16, vcc
	v_add_f32_e32 v59, 1.0, v18
	v_cvt_f64_f32_e32 v[15:16], v59
	v_add_f32_e32 v60, -1.0, v59
	v_sub_f32_e32 v61, v60, v59
	v_sub_f32_e32 v60, v18, v60
	v_frexp_exp_i32_f64_e32 v15, v[15:16]
	v_add_f32_e32 v16, 1.0, v61
	v_add_f32_e32 v16, v60, v16
	v_frexp_mant_f32_e32 v60, v59
	s_mov_b32 s45, 0x3f2aaaab
	v_cmp_gt_f32_e32 vcc, s45, v60
	s_mov_b32 s45, 0x3f317218
	s_mov_b32 s44, 0x7f800000
	v_subbrev_co_u32_e32 v15, vcc, 0, v15, vcc
	v_sub_u32_e32 v60, 0, v15
	v_ldexp_f32 v59, v59, v60
	v_ldexp_f32 v16, v16, v60
	v_add_f32_e32 v60, -1.0, v59
	v_add_f32_e32 v63, 1.0, v59
	v_add_f32_e32 v61, 1.0, v60
	v_add_f32_e32 v64, -1.0, v63
	v_sub_f32_e32 v61, v59, v61
	v_sub_f32_e32 v59, v59, v64
	v_add_f32_e32 v61, v16, v61
	v_add_f32_e32 v16, v16, v59
	;; [unrolled: 1-line block ×3, first 2 shown]
	v_rcp_f32_e32 v64, v59
	v_add_f32_e32 v62, v60, v61
	v_sub_f32_e32 v60, v60, v62
	v_add_f32_e32 v60, v61, v60
	v_sub_f32_e32 v61, v63, v59
	v_add_f32_e32 v16, v16, v61
	v_mul_f32_e32 v61, v62, v64
	v_mul_f32_e32 v63, v59, v61
	v_fma_f32 v65, v61, v59, -v63
	v_fmac_f32_e32 v65, v61, v16
	v_add_f32_e32 v66, v63, v65
	v_sub_f32_e32 v69, v62, v66
	v_sub_f32_e32 v62, v62, v69
	v_sub_f32_e32 v63, v66, v63
	v_sub_f32_e32 v62, v62, v66
	v_add_f32_e32 v60, v60, v62
	v_sub_f32_e32 v62, v63, v65
	v_add_f32_e32 v60, v62, v60
	v_add_f32_e32 v62, v69, v60
	v_mul_f32_e32 v63, v64, v62
	v_mul_f32_e32 v65, v59, v63
	v_fma_f32 v59, v63, v59, -v65
	v_fmac_f32_e32 v59, v63, v16
	v_sub_f32_e32 v16, v69, v62
	v_add_f32_e32 v16, v60, v16
	v_add_f32_e32 v60, v65, v59
	v_sub_f32_e32 v66, v62, v60
	v_sub_f32_e32 v62, v62, v66
	;; [unrolled: 1-line block ×4, first 2 shown]
	v_add_f32_e32 v16, v16, v60
	v_sub_f32_e32 v59, v65, v59
	v_add_f32_e32 v16, v59, v16
	v_add_f32_e32 v59, v61, v63
	;; [unrolled: 1-line block ×3, first 2 shown]
	v_sub_f32_e32 v60, v59, v61
	v_mul_f32_e32 v16, v64, v16
	v_sub_f32_e32 v60, v63, v60
	v_add_f32_e32 v16, v60, v16
	v_cvt_f32_i32_e32 v15, v15
	v_add_f32_e32 v60, v59, v16
	v_mul_f32_e32 v61, v60, v60
	v_mov_b32_e32 v62, 0x3ecc95a3
	v_fmac_f32_e32 v62, 0x3e9b6dac, v61
	v_mov_b32_e32 v63, 0x3f2aaada
	v_fmac_f32_e32 v63, v61, v62
	v_mul_f32_e32 v62, 0x3f317218, v15
	v_fma_f32 v64, v15, s45, -v62
	v_fmac_f32_e32 v64, 0xb102e308, v15
	v_sub_f32_e32 v15, v60, v59
	v_sub_f32_e32 v15, v16, v15
	v_add_f32_e32 v16, v62, v64
	v_sub_f32_e32 v59, v16, v62
	v_ldexp_f32 v62, v60, 1
	v_mul_f32_e32 v60, v60, v61
	v_mul_f32_e32 v60, v60, v63
	v_add_f32_e32 v61, v62, v60
	v_sub_f32_e32 v62, v61, v62
	v_ldexp_f32 v15, v15, 1
	v_sub_f32_e32 v60, v60, v62
	v_add_f32_e32 v15, v15, v60
	v_add_f32_e32 v60, v61, v15
	v_sub_f32_e32 v61, v60, v61
	v_sub_f32_e32 v15, v15, v61
	v_add_f32_e32 v61, v16, v60
	v_sub_f32_e32 v62, v61, v16
	v_sub_f32_e32 v63, v61, v62
	;; [unrolled: 1-line block ×5, first 2 shown]
	v_add_f32_e32 v16, v60, v16
	v_add_f32_e32 v60, v59, v15
	v_sub_f32_e32 v62, v60, v59
	v_sub_f32_e32 v63, v60, v62
	;; [unrolled: 1-line block ×4, first 2 shown]
	v_add_f32_e32 v16, v60, v16
	v_add_f32_e32 v15, v15, v59
	;; [unrolled: 1-line block ×3, first 2 shown]
	v_sub_f32_e32 v60, v59, v61
	v_sub_f32_e32 v16, v16, v60
	v_add_f32_e32 v15, v15, v16
	v_add_f32_e32 v15, v59, v15
	v_cmp_neq_f32_e32 vcc, s44, v18
	s_mov_b32 s44, 0x33800000
	v_cndmask_b32_e32 v15, v17, v15, vcc
	v_cmp_lt_f32_e64 vcc, |v18|, s44
	v_cndmask_b32_e32 v15, v15, v18, vcc
	v_add_f32_e32 v15, v14, v15
.LBB442_91:
	s_or_b64 exec, exec, s[42:43]
	v_bfe_u32 v14, v15, 16, 1
	s_movk_i32 s46, 0x7fff
	v_add3_u32 v14, v15, v14, s46
	v_and_b32_e32 v16, 0xffff0000, v14
	v_mov_b32_e32 v14, 0x7fc00000
	v_cmp_o_f32_e32 vcc, v15, v15
	v_cndmask_b32_e32 v15, v14, v16, vcc
	v_lshlrev_b32_sdwa v59, v13, v3 dst_sel:DWORD dst_unused:UNUSED_PAD src0_sel:DWORD src1_sel:WORD_0
	v_max_f32_e32 v13, v15, v15
	v_max_f32_e32 v61, v59, v59
	v_min_f32_e32 v16, v13, v61
	v_cmp_u_f32_e32 vcc, v15, v15
	v_max_f32_e32 v13, v13, v61
	v_cndmask_b32_e32 v16, v16, v15, vcc
	v_cmp_u_f32_e64 s[42:43], v59, v59
	v_cndmask_b32_e32 v13, v13, v15, vcc
	v_cndmask_b32_e64 v16, v16, v59, s[42:43]
	v_cndmask_b32_e64 v13, v13, v59, s[42:43]
	v_cmp_neq_f32_e32 vcc, v16, v13
	v_cmp_class_f32_e64 s[44:45], v16, s7
	s_or_b64 s[48:49], vcc, s[44:45]
	s_and_saveexec_b64 s[44:45], s[48:49]
	s_cbranch_execz .LBB442_93
; %bb.92:
	v_sub_f32_e32 v15, v16, v13
	s_mov_b32 s7, 0x3fb8aa3b
	v_mul_f32_e32 v16, 0x3fb8aa3b, v15
	v_fma_f32 v17, v15, s7, -v16
	v_rndne_f32_e32 v18, v16
	v_fmac_f32_e32 v17, 0x32a5705f, v15
	v_sub_f32_e32 v16, v16, v18
	v_add_f32_e32 v16, v16, v17
	v_exp_f32_e32 v16, v16
	v_cvt_i32_f32_e32 v17, v18
	s_mov_b32 s7, 0xc2ce8ed0
	v_cmp_ngt_f32_e32 vcc, s7, v15
	s_mov_b32 s7, 0x42b17218
	v_ldexp_f32 v16, v16, v17
	v_cndmask_b32_e32 v16, 0, v16, vcc
	v_mov_b32_e32 v17, 0x7f800000
	v_cmp_nlt_f32_e32 vcc, s7, v15
	v_cndmask_b32_e32 v18, v17, v16, vcc
	v_add_f32_e32 v60, 1.0, v18
	v_cvt_f64_f32_e32 v[15:16], v60
	v_add_f32_e32 v62, -1.0, v60
	v_sub_f32_e32 v63, v62, v60
	v_sub_f32_e32 v62, v18, v62
	v_frexp_exp_i32_f64_e32 v15, v[15:16]
	v_add_f32_e32 v16, 1.0, v63
	v_add_f32_e32 v16, v62, v16
	v_frexp_mant_f32_e32 v62, v60
	s_mov_b32 s47, 0x3f2aaaab
	v_cmp_gt_f32_e32 vcc, s47, v62
	s_mov_b32 s47, 0x3f317218
	s_mov_b32 s7, 0x7f800000
	v_subbrev_co_u32_e32 v15, vcc, 0, v15, vcc
	v_sub_u32_e32 v62, 0, v15
	v_ldexp_f32 v60, v60, v62
	v_ldexp_f32 v16, v16, v62
	v_add_f32_e32 v62, -1.0, v60
	v_add_f32_e32 v65, 1.0, v60
	v_add_f32_e32 v63, 1.0, v62
	v_add_f32_e32 v66, -1.0, v65
	v_sub_f32_e32 v63, v60, v63
	v_sub_f32_e32 v60, v60, v66
	v_add_f32_e32 v63, v16, v63
	v_add_f32_e32 v16, v16, v60
	;; [unrolled: 1-line block ×3, first 2 shown]
	v_rcp_f32_e32 v66, v60
	v_add_f32_e32 v64, v62, v63
	v_sub_f32_e32 v62, v62, v64
	v_add_f32_e32 v62, v63, v62
	v_sub_f32_e32 v63, v65, v60
	v_add_f32_e32 v16, v16, v63
	v_mul_f32_e32 v63, v64, v66
	v_mul_f32_e32 v65, v60, v63
	v_fma_f32 v69, v63, v60, -v65
	v_fmac_f32_e32 v69, v63, v16
	v_add_f32_e32 v70, v65, v69
	v_sub_f32_e32 v71, v64, v70
	v_sub_f32_e32 v64, v64, v71
	;; [unrolled: 1-line block ×4, first 2 shown]
	v_add_f32_e32 v62, v62, v64
	v_sub_f32_e32 v64, v65, v69
	v_add_f32_e32 v62, v64, v62
	v_add_f32_e32 v64, v71, v62
	v_mul_f32_e32 v65, v66, v64
	v_mul_f32_e32 v69, v60, v65
	v_fma_f32 v60, v65, v60, -v69
	v_fmac_f32_e32 v60, v65, v16
	v_sub_f32_e32 v16, v71, v64
	v_add_f32_e32 v16, v62, v16
	v_add_f32_e32 v62, v69, v60
	v_sub_f32_e32 v70, v64, v62
	v_sub_f32_e32 v64, v64, v70
	;; [unrolled: 1-line block ×4, first 2 shown]
	v_add_f32_e32 v16, v16, v62
	v_sub_f32_e32 v60, v69, v60
	v_add_f32_e32 v16, v60, v16
	v_add_f32_e32 v60, v63, v65
	;; [unrolled: 1-line block ×3, first 2 shown]
	v_sub_f32_e32 v62, v60, v63
	v_mul_f32_e32 v16, v66, v16
	v_sub_f32_e32 v62, v65, v62
	v_add_f32_e32 v16, v62, v16
	v_cvt_f32_i32_e32 v15, v15
	v_add_f32_e32 v62, v60, v16
	v_mul_f32_e32 v63, v62, v62
	v_mov_b32_e32 v64, 0x3ecc95a3
	v_fmac_f32_e32 v64, 0x3e9b6dac, v63
	v_mov_b32_e32 v65, 0x3f2aaada
	v_fmac_f32_e32 v65, v63, v64
	v_mul_f32_e32 v64, 0x3f317218, v15
	v_fma_f32 v66, v15, s47, -v64
	v_fmac_f32_e32 v66, 0xb102e308, v15
	v_sub_f32_e32 v15, v62, v60
	v_sub_f32_e32 v15, v16, v15
	v_add_f32_e32 v16, v64, v66
	v_sub_f32_e32 v60, v16, v64
	v_ldexp_f32 v64, v62, 1
	v_mul_f32_e32 v62, v62, v63
	v_mul_f32_e32 v62, v62, v65
	v_add_f32_e32 v63, v64, v62
	v_sub_f32_e32 v64, v63, v64
	v_ldexp_f32 v15, v15, 1
	v_sub_f32_e32 v62, v62, v64
	v_add_f32_e32 v15, v15, v62
	v_add_f32_e32 v62, v63, v15
	v_sub_f32_e32 v63, v62, v63
	v_sub_f32_e32 v15, v15, v63
	v_add_f32_e32 v63, v16, v62
	v_sub_f32_e32 v64, v63, v16
	v_sub_f32_e32 v65, v63, v64
	;; [unrolled: 1-line block ×5, first 2 shown]
	v_add_f32_e32 v16, v62, v16
	v_add_f32_e32 v62, v60, v15
	v_sub_f32_e32 v64, v62, v60
	v_sub_f32_e32 v65, v62, v64
	;; [unrolled: 1-line block ×4, first 2 shown]
	v_add_f32_e32 v16, v62, v16
	v_add_f32_e32 v15, v15, v60
	;; [unrolled: 1-line block ×3, first 2 shown]
	v_sub_f32_e32 v62, v60, v63
	v_sub_f32_e32 v16, v16, v62
	v_add_f32_e32 v15, v15, v16
	v_add_f32_e32 v15, v60, v15
	v_cmp_neq_f32_e32 vcc, s7, v18
	s_mov_b32 s7, 0x33800000
	v_cndmask_b32_e32 v15, v17, v15, vcc
	v_cmp_lt_f32_e64 vcc, |v18|, s7
	v_cndmask_b32_e32 v15, v15, v18, vcc
	v_add_f32_e32 v15, v13, v15
.LBB442_93:
	s_or_b64 exec, exec, s[44:45]
	v_bfe_u32 v13, v15, 16, 1
	v_add3_u32 v13, v15, v13, s46
	v_and_b32_e32 v13, 0xffff0000, v13
	v_cmp_o_f32_e32 vcc, v15, v15
	v_cndmask_b32_e32 v15, v14, v13, vcc
	v_mov_b32_e32 v13, 16
	v_lshlrev_b32_sdwa v60, v13, v3 dst_sel:DWORD dst_unused:UNUSED_PAD src0_sel:DWORD src1_sel:WORD_1
	v_max_f32_e32 v14, v15, v15
	v_max_f32_e32 v62, v60, v60
	v_min_f32_e32 v16, v14, v62
	v_cmp_u_f32_e32 vcc, v15, v15
	v_max_f32_e32 v14, v14, v62
	v_cndmask_b32_e32 v16, v16, v15, vcc
	v_cmp_u_f32_e64 s[44:45], v60, v60
	v_cndmask_b32_e32 v14, v14, v15, vcc
	v_cndmask_b32_e64 v16, v16, v60, s[44:45]
	v_cndmask_b32_e64 v14, v14, v60, s[44:45]
	s_movk_i32 s7, 0x1f8
	v_cmp_neq_f32_e32 vcc, v16, v14
	v_cmp_class_f32_e64 s[46:47], v16, s7
	s_or_b64 s[48:49], vcc, s[46:47]
	s_and_saveexec_b64 s[46:47], s[48:49]
	s_cbranch_execz .LBB442_95
; %bb.94:
	v_sub_f32_e32 v15, v16, v14
	s_mov_b32 s48, 0x3fb8aa3b
	v_mul_f32_e32 v16, 0x3fb8aa3b, v15
	v_fma_f32 v17, v15, s48, -v16
	v_rndne_f32_e32 v18, v16
	v_fmac_f32_e32 v17, 0x32a5705f, v15
	v_sub_f32_e32 v16, v16, v18
	v_add_f32_e32 v16, v16, v17
	v_exp_f32_e32 v16, v16
	v_cvt_i32_f32_e32 v17, v18
	s_mov_b32 s48, 0xc2ce8ed0
	v_cmp_ngt_f32_e32 vcc, s48, v15
	s_mov_b32 s48, 0x42b17218
	v_ldexp_f32 v16, v16, v17
	v_cndmask_b32_e32 v16, 0, v16, vcc
	v_mov_b32_e32 v17, 0x7f800000
	v_cmp_nlt_f32_e32 vcc, s48, v15
	v_cndmask_b32_e32 v18, v17, v16, vcc
	v_add_f32_e32 v63, 1.0, v18
	v_cvt_f64_f32_e32 v[15:16], v63
	v_add_f32_e32 v64, -1.0, v63
	v_sub_f32_e32 v65, v64, v63
	v_sub_f32_e32 v64, v18, v64
	v_frexp_exp_i32_f64_e32 v15, v[15:16]
	v_add_f32_e32 v16, 1.0, v65
	v_add_f32_e32 v16, v64, v16
	v_frexp_mant_f32_e32 v64, v63
	s_mov_b32 s49, 0x3f2aaaab
	v_cmp_gt_f32_e32 vcc, s49, v64
	s_mov_b32 s49, 0x3f317218
	s_mov_b32 s48, 0x7f800000
	v_subbrev_co_u32_e32 v15, vcc, 0, v15, vcc
	v_sub_u32_e32 v64, 0, v15
	v_ldexp_f32 v63, v63, v64
	v_ldexp_f32 v16, v16, v64
	v_add_f32_e32 v64, -1.0, v63
	v_add_f32_e32 v69, 1.0, v63
	v_add_f32_e32 v65, 1.0, v64
	v_add_f32_e32 v70, -1.0, v69
	v_sub_f32_e32 v65, v63, v65
	v_sub_f32_e32 v63, v63, v70
	v_add_f32_e32 v65, v16, v65
	v_add_f32_e32 v16, v16, v63
	;; [unrolled: 1-line block ×3, first 2 shown]
	v_rcp_f32_e32 v70, v63
	v_add_f32_e32 v66, v64, v65
	v_sub_f32_e32 v64, v64, v66
	v_add_f32_e32 v64, v65, v64
	v_sub_f32_e32 v65, v69, v63
	v_add_f32_e32 v16, v16, v65
	v_mul_f32_e32 v65, v66, v70
	v_mul_f32_e32 v69, v63, v65
	v_fma_f32 v71, v65, v63, -v69
	v_fmac_f32_e32 v71, v65, v16
	v_add_f32_e32 v72, v69, v71
	v_sub_f32_e32 v73, v66, v72
	v_sub_f32_e32 v66, v66, v73
	;; [unrolled: 1-line block ×4, first 2 shown]
	v_add_f32_e32 v64, v64, v66
	v_sub_f32_e32 v66, v69, v71
	v_add_f32_e32 v64, v66, v64
	v_add_f32_e32 v66, v73, v64
	v_mul_f32_e32 v69, v70, v66
	v_mul_f32_e32 v71, v63, v69
	v_fma_f32 v63, v69, v63, -v71
	v_fmac_f32_e32 v63, v69, v16
	v_sub_f32_e32 v16, v73, v66
	v_add_f32_e32 v16, v64, v16
	v_add_f32_e32 v64, v71, v63
	v_sub_f32_e32 v72, v66, v64
	v_sub_f32_e32 v66, v66, v72
	;; [unrolled: 1-line block ×4, first 2 shown]
	v_add_f32_e32 v16, v16, v64
	v_sub_f32_e32 v63, v71, v63
	v_add_f32_e32 v16, v63, v16
	v_add_f32_e32 v63, v65, v69
	;; [unrolled: 1-line block ×3, first 2 shown]
	v_sub_f32_e32 v64, v63, v65
	v_mul_f32_e32 v16, v70, v16
	v_sub_f32_e32 v64, v69, v64
	v_add_f32_e32 v16, v64, v16
	v_cvt_f32_i32_e32 v15, v15
	v_add_f32_e32 v64, v63, v16
	v_mul_f32_e32 v65, v64, v64
	v_mov_b32_e32 v66, 0x3ecc95a3
	v_fmac_f32_e32 v66, 0x3e9b6dac, v65
	v_mov_b32_e32 v69, 0x3f2aaada
	v_fmac_f32_e32 v69, v65, v66
	v_mul_f32_e32 v66, 0x3f317218, v15
	v_fma_f32 v70, v15, s49, -v66
	v_fmac_f32_e32 v70, 0xb102e308, v15
	v_sub_f32_e32 v15, v64, v63
	v_sub_f32_e32 v15, v16, v15
	v_add_f32_e32 v16, v66, v70
	v_sub_f32_e32 v63, v16, v66
	v_ldexp_f32 v66, v64, 1
	v_mul_f32_e32 v64, v64, v65
	v_mul_f32_e32 v64, v64, v69
	v_add_f32_e32 v65, v66, v64
	v_sub_f32_e32 v66, v65, v66
	v_ldexp_f32 v15, v15, 1
	v_sub_f32_e32 v64, v64, v66
	v_add_f32_e32 v15, v15, v64
	v_add_f32_e32 v64, v65, v15
	v_sub_f32_e32 v65, v64, v65
	v_sub_f32_e32 v15, v15, v65
	v_add_f32_e32 v65, v16, v64
	v_sub_f32_e32 v66, v65, v16
	v_sub_f32_e32 v69, v65, v66
	;; [unrolled: 1-line block ×5, first 2 shown]
	v_add_f32_e32 v16, v64, v16
	v_add_f32_e32 v64, v63, v15
	v_sub_f32_e32 v66, v64, v63
	v_sub_f32_e32 v69, v64, v66
	;; [unrolled: 1-line block ×4, first 2 shown]
	v_add_f32_e32 v16, v64, v16
	v_add_f32_e32 v15, v15, v63
	;; [unrolled: 1-line block ×3, first 2 shown]
	v_sub_f32_e32 v64, v63, v65
	v_sub_f32_e32 v16, v16, v64
	v_add_f32_e32 v15, v15, v16
	v_add_f32_e32 v15, v63, v15
	v_cmp_neq_f32_e32 vcc, s48, v18
	s_mov_b32 s48, 0x33800000
	v_cndmask_b32_e32 v15, v17, v15, vcc
	v_cmp_lt_f32_e64 vcc, |v18|, s48
	v_cndmask_b32_e32 v15, v15, v18, vcc
	v_add_f32_e32 v15, v14, v15
.LBB442_95:
	s_or_b64 exec, exec, s[46:47]
	v_bfe_u32 v14, v15, 16, 1
	s_movk_i32 s52, 0x7fff
	v_add3_u32 v14, v15, v14, s52
	v_and_b32_e32 v16, 0xffff0000, v14
	v_mov_b32_e32 v14, 0x7fc00000
	v_cmp_o_f32_e32 vcc, v15, v15
	v_cndmask_b32_e32 v15, v14, v16, vcc
	v_lshlrev_b32_sdwa v63, v13, v4 dst_sel:DWORD dst_unused:UNUSED_PAD src0_sel:DWORD src1_sel:WORD_0
	v_max_f32_e32 v13, v15, v15
	v_max_f32_e32 v65, v63, v63
	v_min_f32_e32 v16, v13, v65
	v_cmp_u_f32_e32 vcc, v15, v15
	v_max_f32_e32 v13, v13, v65
	v_cndmask_b32_e32 v16, v16, v15, vcc
	v_cmp_u_f32_e64 s[46:47], v63, v63
	v_cndmask_b32_e32 v13, v13, v15, vcc
	v_cndmask_b32_e64 v16, v16, v63, s[46:47]
	v_cndmask_b32_e64 v13, v13, v63, s[46:47]
	v_cmp_neq_f32_e32 vcc, v16, v13
	v_cmp_class_f32_e64 s[48:49], v16, s7
	s_or_b64 s[54:55], vcc, s[48:49]
	s_and_saveexec_b64 s[48:49], s[54:55]
	s_cbranch_execz .LBB442_97
; %bb.96:
	v_sub_f32_e32 v15, v16, v13
	s_mov_b32 s7, 0x3fb8aa3b
	v_mul_f32_e32 v16, 0x3fb8aa3b, v15
	v_fma_f32 v17, v15, s7, -v16
	v_rndne_f32_e32 v18, v16
	v_fmac_f32_e32 v17, 0x32a5705f, v15
	v_sub_f32_e32 v16, v16, v18
	v_add_f32_e32 v16, v16, v17
	v_exp_f32_e32 v16, v16
	v_cvt_i32_f32_e32 v17, v18
	s_mov_b32 s7, 0xc2ce8ed0
	v_cmp_ngt_f32_e32 vcc, s7, v15
	s_mov_b32 s7, 0x42b17218
	v_ldexp_f32 v16, v16, v17
	v_cndmask_b32_e32 v16, 0, v16, vcc
	v_mov_b32_e32 v17, 0x7f800000
	v_cmp_nlt_f32_e32 vcc, s7, v15
	v_cndmask_b32_e32 v18, v17, v16, vcc
	v_add_f32_e32 v64, 1.0, v18
	v_cvt_f64_f32_e32 v[15:16], v64
	v_add_f32_e32 v66, -1.0, v64
	v_sub_f32_e32 v69, v66, v64
	v_sub_f32_e32 v66, v18, v66
	v_frexp_exp_i32_f64_e32 v15, v[15:16]
	v_add_f32_e32 v16, 1.0, v69
	v_add_f32_e32 v16, v66, v16
	v_frexp_mant_f32_e32 v66, v64
	s_mov_b32 s53, 0x3f2aaaab
	v_cmp_gt_f32_e32 vcc, s53, v66
	s_mov_b32 s53, 0x3f317218
	s_mov_b32 s7, 0x7f800000
	v_subbrev_co_u32_e32 v15, vcc, 0, v15, vcc
	v_sub_u32_e32 v66, 0, v15
	v_ldexp_f32 v64, v64, v66
	v_ldexp_f32 v16, v16, v66
	v_add_f32_e32 v66, -1.0, v64
	v_add_f32_e32 v71, 1.0, v64
	v_add_f32_e32 v69, 1.0, v66
	v_add_f32_e32 v72, -1.0, v71
	v_sub_f32_e32 v69, v64, v69
	v_sub_f32_e32 v64, v64, v72
	v_add_f32_e32 v69, v16, v69
	v_add_f32_e32 v16, v16, v64
	;; [unrolled: 1-line block ×3, first 2 shown]
	v_rcp_f32_e32 v72, v64
	v_add_f32_e32 v70, v66, v69
	v_sub_f32_e32 v66, v66, v70
	v_add_f32_e32 v66, v69, v66
	v_sub_f32_e32 v69, v71, v64
	v_add_f32_e32 v16, v16, v69
	v_mul_f32_e32 v69, v70, v72
	v_mul_f32_e32 v71, v64, v69
	v_fma_f32 v73, v69, v64, -v71
	v_fmac_f32_e32 v73, v69, v16
	v_add_f32_e32 v74, v71, v73
	v_sub_f32_e32 v75, v70, v74
	v_sub_f32_e32 v70, v70, v75
	;; [unrolled: 1-line block ×4, first 2 shown]
	v_add_f32_e32 v66, v66, v70
	v_sub_f32_e32 v70, v71, v73
	v_add_f32_e32 v66, v70, v66
	v_add_f32_e32 v70, v75, v66
	v_mul_f32_e32 v71, v72, v70
	v_mul_f32_e32 v73, v64, v71
	v_fma_f32 v64, v71, v64, -v73
	v_fmac_f32_e32 v64, v71, v16
	v_sub_f32_e32 v16, v75, v70
	v_add_f32_e32 v16, v66, v16
	v_add_f32_e32 v66, v73, v64
	v_sub_f32_e32 v74, v70, v66
	v_sub_f32_e32 v70, v70, v74
	;; [unrolled: 1-line block ×4, first 2 shown]
	v_add_f32_e32 v16, v16, v66
	v_sub_f32_e32 v64, v73, v64
	v_add_f32_e32 v16, v64, v16
	v_add_f32_e32 v64, v69, v71
	;; [unrolled: 1-line block ×3, first 2 shown]
	v_sub_f32_e32 v66, v64, v69
	v_mul_f32_e32 v16, v72, v16
	v_sub_f32_e32 v66, v71, v66
	v_add_f32_e32 v16, v66, v16
	v_cvt_f32_i32_e32 v15, v15
	v_add_f32_e32 v66, v64, v16
	v_mul_f32_e32 v69, v66, v66
	v_mov_b32_e32 v70, 0x3ecc95a3
	v_fmac_f32_e32 v70, 0x3e9b6dac, v69
	v_mov_b32_e32 v71, 0x3f2aaada
	v_fmac_f32_e32 v71, v69, v70
	v_mul_f32_e32 v70, 0x3f317218, v15
	v_fma_f32 v72, v15, s53, -v70
	v_fmac_f32_e32 v72, 0xb102e308, v15
	v_sub_f32_e32 v15, v66, v64
	v_sub_f32_e32 v15, v16, v15
	v_add_f32_e32 v16, v70, v72
	v_sub_f32_e32 v64, v16, v70
	v_ldexp_f32 v70, v66, 1
	v_mul_f32_e32 v66, v66, v69
	v_mul_f32_e32 v66, v66, v71
	v_add_f32_e32 v69, v70, v66
	v_sub_f32_e32 v70, v69, v70
	v_ldexp_f32 v15, v15, 1
	v_sub_f32_e32 v66, v66, v70
	v_add_f32_e32 v15, v15, v66
	v_add_f32_e32 v66, v69, v15
	v_sub_f32_e32 v69, v66, v69
	v_sub_f32_e32 v15, v15, v69
	v_add_f32_e32 v69, v16, v66
	v_sub_f32_e32 v70, v69, v16
	v_sub_f32_e32 v71, v69, v70
	;; [unrolled: 1-line block ×5, first 2 shown]
	v_add_f32_e32 v16, v66, v16
	v_add_f32_e32 v66, v64, v15
	v_sub_f32_e32 v70, v66, v64
	v_sub_f32_e32 v71, v66, v70
	;; [unrolled: 1-line block ×4, first 2 shown]
	v_add_f32_e32 v16, v66, v16
	v_add_f32_e32 v15, v15, v64
	;; [unrolled: 1-line block ×3, first 2 shown]
	v_sub_f32_e32 v66, v64, v69
	v_sub_f32_e32 v16, v16, v66
	v_add_f32_e32 v15, v15, v16
	v_add_f32_e32 v15, v64, v15
	v_cmp_neq_f32_e32 vcc, s7, v18
	s_mov_b32 s7, 0x33800000
	v_cndmask_b32_e32 v15, v17, v15, vcc
	v_cmp_lt_f32_e64 vcc, |v18|, s7
	v_cndmask_b32_e32 v15, v15, v18, vcc
	v_add_f32_e32 v15, v13, v15
.LBB442_97:
	s_or_b64 exec, exec, s[48:49]
	v_bfe_u32 v13, v15, 16, 1
	v_add3_u32 v13, v15, v13, s52
	v_and_b32_e32 v13, 0xffff0000, v13
	v_cmp_o_f32_e32 vcc, v15, v15
	v_cndmask_b32_e32 v14, v14, v13, vcc
	v_mov_b32_e32 v13, 16
	v_lshlrev_b32_sdwa v64, v13, v4 dst_sel:DWORD dst_unused:UNUSED_PAD src0_sel:DWORD src1_sel:WORD_1
	v_max_f32_e32 v13, v14, v14
	v_max_f32_e32 v66, v64, v64
	v_min_f32_e32 v15, v13, v66
	v_cmp_u_f32_e32 vcc, v14, v14
	v_max_f32_e32 v13, v13, v66
	v_cndmask_b32_e32 v15, v15, v14, vcc
	v_cmp_u_f32_e64 s[48:49], v64, v64
	v_cndmask_b32_e32 v13, v13, v14, vcc
	v_cndmask_b32_e64 v15, v15, v64, s[48:49]
	v_cndmask_b32_e64 v13, v13, v64, s[48:49]
	s_movk_i32 s7, 0x1f8
	v_cmp_neq_f32_e32 vcc, v15, v13
	v_cmp_class_f32_e64 s[52:53], v15, s7
	s_or_b64 s[54:55], vcc, s[52:53]
	s_and_saveexec_b64 s[52:53], s[54:55]
	s_cbranch_execz .LBB442_99
; %bb.98:
	v_sub_f32_e32 v14, v15, v13
	s_mov_b32 s7, 0x3fb8aa3b
	v_mul_f32_e32 v15, 0x3fb8aa3b, v14
	v_fma_f32 v16, v14, s7, -v15
	v_rndne_f32_e32 v17, v15
	v_fmac_f32_e32 v16, 0x32a5705f, v14
	v_sub_f32_e32 v15, v15, v17
	v_add_f32_e32 v15, v15, v16
	v_exp_f32_e32 v15, v15
	v_cvt_i32_f32_e32 v16, v17
	s_mov_b32 s7, 0xc2ce8ed0
	v_cmp_ngt_f32_e32 vcc, s7, v14
	s_mov_b32 s7, 0x42b17218
	v_ldexp_f32 v15, v15, v16
	v_cndmask_b32_e32 v15, 0, v15, vcc
	v_mov_b32_e32 v16, 0x7f800000
	v_cmp_nlt_f32_e32 vcc, s7, v14
	v_cndmask_b32_e32 v17, v16, v15, vcc
	v_add_f32_e32 v18, 1.0, v17
	v_cvt_f64_f32_e32 v[14:15], v18
	v_add_f32_e32 v69, -1.0, v18
	v_sub_f32_e32 v70, v69, v18
	v_sub_f32_e32 v69, v17, v69
	v_frexp_exp_i32_f64_e32 v14, v[14:15]
	v_add_f32_e32 v15, 1.0, v70
	v_add_f32_e32 v15, v69, v15
	v_frexp_mant_f32_e32 v69, v18
	s_mov_b32 s54, 0x3f2aaaab
	v_cmp_gt_f32_e32 vcc, s54, v69
	s_mov_b32 s54, 0x3f317218
	s_mov_b32 s7, 0x7f800000
	v_subbrev_co_u32_e32 v14, vcc, 0, v14, vcc
	v_sub_u32_e32 v69, 0, v14
	v_ldexp_f32 v18, v18, v69
	v_ldexp_f32 v15, v15, v69
	v_add_f32_e32 v69, -1.0, v18
	v_add_f32_e32 v72, 1.0, v18
	v_add_f32_e32 v70, 1.0, v69
	v_add_f32_e32 v73, -1.0, v72
	v_sub_f32_e32 v70, v18, v70
	v_sub_f32_e32 v18, v18, v73
	v_add_f32_e32 v70, v15, v70
	v_add_f32_e32 v15, v15, v18
	;; [unrolled: 1-line block ×3, first 2 shown]
	v_rcp_f32_e32 v73, v18
	v_add_f32_e32 v71, v69, v70
	v_sub_f32_e32 v69, v69, v71
	v_add_f32_e32 v69, v70, v69
	v_sub_f32_e32 v70, v72, v18
	v_add_f32_e32 v15, v15, v70
	v_mul_f32_e32 v70, v71, v73
	v_mul_f32_e32 v72, v18, v70
	v_fma_f32 v74, v70, v18, -v72
	v_fmac_f32_e32 v74, v70, v15
	v_add_f32_e32 v75, v72, v74
	v_sub_f32_e32 v76, v71, v75
	v_sub_f32_e32 v71, v71, v76
	;; [unrolled: 1-line block ×4, first 2 shown]
	v_add_f32_e32 v69, v69, v71
	v_sub_f32_e32 v71, v72, v74
	v_add_f32_e32 v69, v71, v69
	v_add_f32_e32 v71, v76, v69
	v_mul_f32_e32 v72, v73, v71
	v_mul_f32_e32 v74, v18, v72
	v_fma_f32 v18, v72, v18, -v74
	v_fmac_f32_e32 v18, v72, v15
	v_sub_f32_e32 v15, v76, v71
	v_add_f32_e32 v15, v69, v15
	v_add_f32_e32 v69, v74, v18
	v_sub_f32_e32 v75, v71, v69
	v_sub_f32_e32 v71, v71, v75
	;; [unrolled: 1-line block ×4, first 2 shown]
	v_add_f32_e32 v15, v15, v69
	v_sub_f32_e32 v18, v74, v18
	v_add_f32_e32 v15, v18, v15
	v_add_f32_e32 v18, v70, v72
	;; [unrolled: 1-line block ×3, first 2 shown]
	v_sub_f32_e32 v69, v18, v70
	v_mul_f32_e32 v15, v73, v15
	v_sub_f32_e32 v69, v72, v69
	v_add_f32_e32 v15, v69, v15
	v_cvt_f32_i32_e32 v14, v14
	v_add_f32_e32 v69, v18, v15
	v_mul_f32_e32 v70, v69, v69
	v_mov_b32_e32 v71, 0x3ecc95a3
	v_fmac_f32_e32 v71, 0x3e9b6dac, v70
	v_mov_b32_e32 v72, 0x3f2aaada
	v_fmac_f32_e32 v72, v70, v71
	v_mul_f32_e32 v71, 0x3f317218, v14
	v_fma_f32 v73, v14, s54, -v71
	v_fmac_f32_e32 v73, 0xb102e308, v14
	v_sub_f32_e32 v14, v69, v18
	v_sub_f32_e32 v14, v15, v14
	v_add_f32_e32 v15, v71, v73
	v_sub_f32_e32 v18, v15, v71
	v_ldexp_f32 v71, v69, 1
	v_mul_f32_e32 v69, v69, v70
	v_mul_f32_e32 v69, v69, v72
	v_add_f32_e32 v70, v71, v69
	v_sub_f32_e32 v71, v70, v71
	v_ldexp_f32 v14, v14, 1
	v_sub_f32_e32 v69, v69, v71
	v_add_f32_e32 v14, v14, v69
	v_add_f32_e32 v69, v70, v14
	v_sub_f32_e32 v70, v69, v70
	v_sub_f32_e32 v14, v14, v70
	v_add_f32_e32 v70, v15, v69
	v_sub_f32_e32 v71, v70, v15
	v_sub_f32_e32 v72, v70, v71
	;; [unrolled: 1-line block ×5, first 2 shown]
	v_add_f32_e32 v15, v69, v15
	v_add_f32_e32 v69, v18, v14
	v_sub_f32_e32 v71, v69, v18
	v_sub_f32_e32 v72, v69, v71
	;; [unrolled: 1-line block ×4, first 2 shown]
	v_add_f32_e32 v15, v69, v15
	v_add_f32_e32 v14, v14, v18
	;; [unrolled: 1-line block ×3, first 2 shown]
	v_sub_f32_e32 v69, v18, v70
	v_sub_f32_e32 v15, v15, v69
	v_add_f32_e32 v14, v14, v15
	v_add_f32_e32 v14, v18, v14
	v_cmp_neq_f32_e32 vcc, s7, v17
	s_mov_b32 s7, 0x33800000
	v_cndmask_b32_e32 v14, v16, v14, vcc
	v_cmp_lt_f32_e64 vcc, |v17|, s7
	v_cndmask_b32_e32 v14, v14, v17, vcc
	v_add_f32_e32 v14, v13, v14
.LBB442_99:
	s_or_b64 exec, exec, s[52:53]
	v_bfe_u32 v13, v14, 16, 1
	s_movk_i32 s7, 0x7fff
	v_add3_u32 v13, v14, v13, s7
	v_cmp_o_f32_e32 vcc, v14, v14
	v_mov_b32_e32 v14, 0x7fc0
	v_cndmask_b32_sdwa v69, v14, v13, vcc dst_sel:DWORD dst_unused:UNUSED_PAD src0_sel:DWORD src1_sel:WORD_1
	v_lshrrev_b32_e32 v13, 4, v0
	v_and_b32_e32 v13, 14, v13
	v_lshl_add_u32 v13, v0, 1, v13
	v_cmp_gt_u32_e64 s[56:57], 64, v0
	ds_write_b16 v13, v69
	s_waitcnt lgkmcnt(0)
	s_barrier
	s_and_saveexec_b64 s[60:61], s[56:57]
	s_cbranch_execz .LBB442_139
; %bb.100:
	v_lshrrev_b32_e32 v13, 2, v0
	v_and_b32_e32 v13, 62, v13
	v_lshlrev_b32_e32 v14, 3, v0
	v_add_u32_e32 v13, v13, v14
	ds_read_u16 v14, v13
	ds_read_u16 v15, v13 offset:2
	s_movk_i32 s62, 0x1f8
	s_waitcnt lgkmcnt(1)
	v_lshlrev_b32_e32 v14, 16, v14
	s_waitcnt lgkmcnt(0)
	v_lshlrev_b32_e32 v16, 16, v15
	v_max_f32_e32 v17, v16, v16
	v_max_f32_e32 v15, v14, v14
	v_min_f32_e32 v18, v15, v17
	v_cmp_u_f32_e64 s[52:53], v14, v14
	v_max_f32_e32 v17, v15, v17
	v_cndmask_b32_e64 v18, v18, v14, s[52:53]
	v_cmp_u_f32_e32 vcc, v16, v16
	v_cndmask_b32_e64 v17, v17, v14, s[52:53]
	v_cndmask_b32_e32 v18, v18, v16, vcc
	v_cndmask_b32_e32 v16, v17, v16, vcc
	v_cmp_neq_f32_e32 vcc, v18, v16
	v_cmp_class_f32_e64 s[54:55], v18, s62
	s_or_b64 s[74:75], vcc, s[54:55]
	v_mov_b32_e32 v17, v14
	s_and_saveexec_b64 s[54:55], s[74:75]
	s_cbranch_execz .LBB442_102
; %bb.101:
	v_sub_f32_e32 v17, v18, v16
	s_mov_b32 s7, 0x3fb8aa3b
	v_mul_f32_e32 v18, 0x3fb8aa3b, v17
	v_fma_f32 v70, v17, s7, -v18
	v_rndne_f32_e32 v71, v18
	v_fmac_f32_e32 v70, 0x32a5705f, v17
	v_sub_f32_e32 v18, v18, v71
	v_add_f32_e32 v18, v18, v70
	v_exp_f32_e32 v18, v18
	v_cvt_i32_f32_e32 v70, v71
	s_mov_b32 s7, 0xc2ce8ed0
	v_cmp_ngt_f32_e32 vcc, s7, v17
	s_mov_b32 s7, 0x42b17218
	v_ldexp_f32 v18, v18, v70
	v_cndmask_b32_e32 v18, 0, v18, vcc
	v_mov_b32_e32 v70, 0x7f800000
	v_cmp_nlt_f32_e32 vcc, s7, v17
	v_cndmask_b32_e32 v71, v70, v18, vcc
	v_add_f32_e32 v72, 1.0, v71
	v_cvt_f64_f32_e32 v[17:18], v72
	v_add_f32_e32 v73, -1.0, v72
	v_sub_f32_e32 v74, v73, v72
	v_sub_f32_e32 v73, v71, v73
	v_frexp_exp_i32_f64_e32 v17, v[17:18]
	v_add_f32_e32 v18, 1.0, v74
	v_add_f32_e32 v18, v73, v18
	v_frexp_mant_f32_e32 v73, v72
	s_mov_b32 s63, 0x3f2aaaab
	v_cmp_gt_f32_e32 vcc, s63, v73
	s_mov_b32 s63, 0x3f317218
	s_mov_b32 s7, 0x7f800000
	v_subbrev_co_u32_e32 v17, vcc, 0, v17, vcc
	v_sub_u32_e32 v73, 0, v17
	v_ldexp_f32 v72, v72, v73
	v_ldexp_f32 v18, v18, v73
	v_add_f32_e32 v73, -1.0, v72
	v_add_f32_e32 v76, 1.0, v72
	v_add_f32_e32 v74, 1.0, v73
	v_add_f32_e32 v77, -1.0, v76
	v_sub_f32_e32 v74, v72, v74
	v_sub_f32_e32 v72, v72, v77
	v_add_f32_e32 v74, v18, v74
	v_add_f32_e32 v18, v18, v72
	;; [unrolled: 1-line block ×3, first 2 shown]
	v_rcp_f32_e32 v77, v72
	v_add_f32_e32 v75, v73, v74
	v_sub_f32_e32 v73, v73, v75
	v_add_f32_e32 v73, v74, v73
	v_sub_f32_e32 v74, v76, v72
	v_add_f32_e32 v18, v18, v74
	v_mul_f32_e32 v74, v75, v77
	v_mul_f32_e32 v76, v72, v74
	v_fma_f32 v78, v74, v72, -v76
	v_fmac_f32_e32 v78, v74, v18
	v_add_f32_e32 v79, v76, v78
	v_sub_f32_e32 v80, v75, v79
	v_sub_f32_e32 v75, v75, v80
	;; [unrolled: 1-line block ×4, first 2 shown]
	v_add_f32_e32 v73, v73, v75
	v_sub_f32_e32 v75, v76, v78
	v_add_f32_e32 v73, v75, v73
	v_add_f32_e32 v75, v80, v73
	v_mul_f32_e32 v76, v77, v75
	v_mul_f32_e32 v78, v72, v76
	v_fma_f32 v72, v76, v72, -v78
	v_fmac_f32_e32 v72, v76, v18
	v_sub_f32_e32 v18, v80, v75
	v_add_f32_e32 v18, v73, v18
	v_add_f32_e32 v73, v78, v72
	v_sub_f32_e32 v79, v75, v73
	v_sub_f32_e32 v75, v75, v79
	;; [unrolled: 1-line block ×4, first 2 shown]
	v_add_f32_e32 v18, v18, v73
	v_sub_f32_e32 v72, v78, v72
	v_add_f32_e32 v18, v72, v18
	v_add_f32_e32 v72, v74, v76
	;; [unrolled: 1-line block ×3, first 2 shown]
	v_sub_f32_e32 v73, v72, v74
	v_mul_f32_e32 v18, v77, v18
	v_sub_f32_e32 v73, v76, v73
	v_add_f32_e32 v18, v73, v18
	v_cvt_f32_i32_e32 v17, v17
	v_add_f32_e32 v73, v72, v18
	v_mul_f32_e32 v74, v73, v73
	v_mov_b32_e32 v75, 0x3ecc95a3
	v_fmac_f32_e32 v75, 0x3e9b6dac, v74
	v_mov_b32_e32 v76, 0x3f2aaada
	v_fmac_f32_e32 v76, v74, v75
	v_mul_f32_e32 v75, 0x3f317218, v17
	v_fma_f32 v77, v17, s63, -v75
	v_fmac_f32_e32 v77, 0xb102e308, v17
	v_sub_f32_e32 v17, v73, v72
	v_sub_f32_e32 v17, v18, v17
	v_add_f32_e32 v18, v75, v77
	v_sub_f32_e32 v72, v18, v75
	v_ldexp_f32 v75, v73, 1
	v_mul_f32_e32 v73, v73, v74
	v_mul_f32_e32 v73, v73, v76
	v_add_f32_e32 v74, v75, v73
	v_sub_f32_e32 v75, v74, v75
	v_ldexp_f32 v17, v17, 1
	v_sub_f32_e32 v73, v73, v75
	v_add_f32_e32 v17, v17, v73
	v_add_f32_e32 v73, v74, v17
	v_sub_f32_e32 v74, v73, v74
	v_sub_f32_e32 v17, v17, v74
	v_add_f32_e32 v74, v18, v73
	v_sub_f32_e32 v75, v74, v18
	v_sub_f32_e32 v76, v74, v75
	;; [unrolled: 1-line block ×5, first 2 shown]
	v_add_f32_e32 v18, v73, v18
	v_add_f32_e32 v73, v72, v17
	v_sub_f32_e32 v75, v73, v72
	v_sub_f32_e32 v76, v73, v75
	v_sub_f32_e32 v72, v72, v76
	v_sub_f32_e32 v17, v17, v75
	v_add_f32_e32 v18, v73, v18
	v_add_f32_e32 v17, v17, v72
	;; [unrolled: 1-line block ×3, first 2 shown]
	v_sub_f32_e32 v73, v72, v74
	v_sub_f32_e32 v18, v18, v73
	v_add_f32_e32 v17, v17, v18
	v_add_f32_e32 v17, v72, v17
	v_cmp_neq_f32_e32 vcc, s7, v71
	s_mov_b32 s7, 0x33800000
	v_cndmask_b32_e32 v17, v70, v17, vcc
	v_cmp_lt_f32_e64 vcc, |v71|, s7
	v_cndmask_b32_e32 v17, v17, v71, vcc
	v_add_f32_e32 v17, v16, v17
.LBB442_102:
	s_or_b64 exec, exec, s[54:55]
	ds_read_u16 v70, v13 offset:4
	v_bfe_u32 v16, v17, 16, 1
	s_movk_i32 s7, 0x7fff
	v_add3_u32 v16, v17, v16, s7
	v_and_b32_e32 v18, 0xffff0000, v16
	v_mov_b32_e32 v16, 0x7fc00000
	v_cmp_o_f32_e32 vcc, v17, v17
	v_cndmask_b32_e32 v18, v16, v18, vcc
	s_waitcnt lgkmcnt(0)
	v_lshlrev_b32_e32 v17, 16, v70
	v_max_f32_e32 v71, v18, v18
	v_max_f32_e32 v72, v17, v17
	v_min_f32_e32 v70, v71, v72
	v_cmp_u_f32_e32 vcc, v18, v18
	v_max_f32_e32 v71, v71, v72
	v_cndmask_b32_e32 v70, v70, v18, vcc
	v_cmp_u_f32_e64 s[54:55], v17, v17
	v_cndmask_b32_e32 v71, v71, v18, vcc
	v_cndmask_b32_e64 v70, v70, v17, s[54:55]
	v_cndmask_b32_e64 v17, v71, v17, s[54:55]
	v_cmp_neq_f32_e32 vcc, v70, v17
	v_cmp_class_f32_e64 s[54:55], v70, s62
	s_or_b64 s[62:63], vcc, s[54:55]
	s_and_saveexec_b64 s[54:55], s[62:63]
	s_cbranch_execz .LBB442_104
; %bb.103:
	v_sub_f32_e32 v18, v70, v17
	s_mov_b32 s62, 0x3fb8aa3b
	v_mul_f32_e32 v70, 0x3fb8aa3b, v18
	v_fma_f32 v71, v18, s62, -v70
	v_rndne_f32_e32 v72, v70
	v_fmac_f32_e32 v71, 0x32a5705f, v18
	v_sub_f32_e32 v70, v70, v72
	v_add_f32_e32 v70, v70, v71
	v_exp_f32_e32 v70, v70
	v_cvt_i32_f32_e32 v71, v72
	s_mov_b32 s62, 0xc2ce8ed0
	v_cmp_ngt_f32_e32 vcc, s62, v18
	s_mov_b32 s62, 0x42b17218
	v_ldexp_f32 v70, v70, v71
	v_cndmask_b32_e32 v70, 0, v70, vcc
	v_mov_b32_e32 v72, 0x7f800000
	v_cmp_nlt_f32_e32 vcc, s62, v18
	v_cndmask_b32_e32 v18, v72, v70, vcc
	v_add_f32_e32 v73, 1.0, v18
	v_cvt_f64_f32_e32 v[70:71], v73
	v_add_f32_e32 v74, -1.0, v73
	v_sub_f32_e32 v75, v74, v73
	v_sub_f32_e32 v74, v18, v74
	v_frexp_exp_i32_f64_e32 v70, v[70:71]
	v_add_f32_e32 v71, 1.0, v75
	v_add_f32_e32 v71, v74, v71
	v_frexp_mant_f32_e32 v74, v73
	s_mov_b32 s63, 0x3f2aaaab
	v_cmp_gt_f32_e32 vcc, s63, v74
	s_mov_b32 s63, 0x3f317218
	s_mov_b32 s62, 0x7f800000
	v_subbrev_co_u32_e32 v70, vcc, 0, v70, vcc
	v_sub_u32_e32 v74, 0, v70
	v_ldexp_f32 v73, v73, v74
	v_ldexp_f32 v71, v71, v74
	v_add_f32_e32 v74, -1.0, v73
	v_add_f32_e32 v77, 1.0, v73
	v_add_f32_e32 v75, 1.0, v74
	v_add_f32_e32 v78, -1.0, v77
	v_sub_f32_e32 v75, v73, v75
	v_sub_f32_e32 v73, v73, v78
	v_add_f32_e32 v75, v71, v75
	v_add_f32_e32 v71, v71, v73
	;; [unrolled: 1-line block ×3, first 2 shown]
	v_rcp_f32_e32 v78, v73
	v_add_f32_e32 v76, v74, v75
	v_sub_f32_e32 v74, v74, v76
	v_add_f32_e32 v74, v75, v74
	v_sub_f32_e32 v75, v77, v73
	v_add_f32_e32 v71, v71, v75
	v_mul_f32_e32 v75, v76, v78
	v_mul_f32_e32 v77, v73, v75
	v_fma_f32 v79, v75, v73, -v77
	v_fmac_f32_e32 v79, v75, v71
	v_add_f32_e32 v80, v77, v79
	v_sub_f32_e32 v81, v76, v80
	v_sub_f32_e32 v76, v76, v81
	;; [unrolled: 1-line block ×4, first 2 shown]
	v_add_f32_e32 v74, v74, v76
	v_sub_f32_e32 v76, v77, v79
	v_add_f32_e32 v74, v76, v74
	v_add_f32_e32 v76, v81, v74
	v_mul_f32_e32 v77, v78, v76
	v_mul_f32_e32 v79, v73, v77
	v_fma_f32 v73, v77, v73, -v79
	v_fmac_f32_e32 v73, v77, v71
	v_sub_f32_e32 v71, v81, v76
	v_add_f32_e32 v71, v74, v71
	v_add_f32_e32 v74, v79, v73
	v_sub_f32_e32 v80, v76, v74
	v_sub_f32_e32 v76, v76, v80
	;; [unrolled: 1-line block ×4, first 2 shown]
	v_add_f32_e32 v71, v71, v74
	v_sub_f32_e32 v73, v79, v73
	v_add_f32_e32 v71, v73, v71
	v_add_f32_e32 v73, v75, v77
	;; [unrolled: 1-line block ×3, first 2 shown]
	v_sub_f32_e32 v74, v73, v75
	v_mul_f32_e32 v71, v78, v71
	v_sub_f32_e32 v74, v77, v74
	v_add_f32_e32 v71, v74, v71
	v_cvt_f32_i32_e32 v70, v70
	v_add_f32_e32 v74, v73, v71
	v_mul_f32_e32 v75, v74, v74
	v_mov_b32_e32 v76, 0x3ecc95a3
	v_fmac_f32_e32 v76, 0x3e9b6dac, v75
	v_mov_b32_e32 v77, 0x3f2aaada
	v_fmac_f32_e32 v77, v75, v76
	v_mul_f32_e32 v76, 0x3f317218, v70
	v_fma_f32 v78, v70, s63, -v76
	v_fmac_f32_e32 v78, 0xb102e308, v70
	v_sub_f32_e32 v70, v74, v73
	v_sub_f32_e32 v70, v71, v70
	v_add_f32_e32 v71, v76, v78
	v_sub_f32_e32 v73, v71, v76
	v_ldexp_f32 v76, v74, 1
	v_mul_f32_e32 v74, v74, v75
	v_mul_f32_e32 v74, v74, v77
	v_add_f32_e32 v75, v76, v74
	v_sub_f32_e32 v76, v75, v76
	v_ldexp_f32 v70, v70, 1
	v_sub_f32_e32 v74, v74, v76
	v_add_f32_e32 v70, v70, v74
	v_add_f32_e32 v74, v75, v70
	v_sub_f32_e32 v75, v74, v75
	v_sub_f32_e32 v70, v70, v75
	v_add_f32_e32 v75, v71, v74
	v_sub_f32_e32 v76, v75, v71
	v_sub_f32_e32 v77, v75, v76
	;; [unrolled: 1-line block ×5, first 2 shown]
	v_add_f32_e32 v71, v74, v71
	v_add_f32_e32 v74, v73, v70
	v_sub_f32_e32 v76, v74, v73
	v_sub_f32_e32 v77, v74, v76
	;; [unrolled: 1-line block ×4, first 2 shown]
	v_add_f32_e32 v71, v74, v71
	v_add_f32_e32 v70, v70, v73
	;; [unrolled: 1-line block ×3, first 2 shown]
	v_sub_f32_e32 v74, v73, v75
	v_sub_f32_e32 v71, v71, v74
	v_add_f32_e32 v70, v70, v71
	v_add_f32_e32 v70, v73, v70
	v_cmp_neq_f32_e32 vcc, s62, v18
	s_mov_b32 s62, 0x33800000
	v_cndmask_b32_e32 v70, v72, v70, vcc
	v_cmp_lt_f32_e64 vcc, |v18|, s62
	v_cndmask_b32_e32 v18, v70, v18, vcc
	v_add_f32_e32 v18, v17, v18
.LBB442_104:
	s_or_b64 exec, exec, s[54:55]
	ds_read_u16 v70, v13 offset:6
	v_bfe_u32 v17, v18, 16, 1
	v_add3_u32 v17, v18, v17, s7
	v_and_b32_e32 v17, 0xffff0000, v17
	v_cmp_o_f32_e32 vcc, v18, v18
	v_cndmask_b32_e32 v17, v16, v17, vcc
	s_waitcnt lgkmcnt(0)
	v_lshlrev_b32_e32 v16, 16, v70
	v_max_f32_e32 v70, v17, v17
	v_max_f32_e32 v71, v16, v16
	v_min_f32_e32 v18, v70, v71
	v_cmp_u_f32_e32 vcc, v17, v17
	v_max_f32_e32 v70, v70, v71
	v_cndmask_b32_e32 v18, v18, v17, vcc
	v_cmp_u_f32_e64 s[54:55], v16, v16
	v_cndmask_b32_e32 v70, v70, v17, vcc
	v_cndmask_b32_e64 v18, v18, v16, s[54:55]
	v_cndmask_b32_e64 v16, v70, v16, s[54:55]
	s_movk_i32 s7, 0x1f8
	v_cmp_neq_f32_e32 vcc, v18, v16
	v_cmp_class_f32_e64 s[54:55], v18, s7
	s_or_b64 s[62:63], vcc, s[54:55]
	s_and_saveexec_b64 s[54:55], s[62:63]
	s_cbranch_execz .LBB442_106
; %bb.105:
	v_sub_f32_e32 v17, v18, v16
	s_mov_b32 s7, 0x3fb8aa3b
	v_mul_f32_e32 v18, 0x3fb8aa3b, v17
	v_fma_f32 v70, v17, s7, -v18
	v_rndne_f32_e32 v71, v18
	v_fmac_f32_e32 v70, 0x32a5705f, v17
	v_sub_f32_e32 v18, v18, v71
	v_add_f32_e32 v18, v18, v70
	v_exp_f32_e32 v18, v18
	v_cvt_i32_f32_e32 v70, v71
	s_mov_b32 s7, 0xc2ce8ed0
	v_cmp_ngt_f32_e32 vcc, s7, v17
	s_mov_b32 s7, 0x42b17218
	v_ldexp_f32 v18, v18, v70
	v_cndmask_b32_e32 v18, 0, v18, vcc
	v_mov_b32_e32 v70, 0x7f800000
	v_cmp_nlt_f32_e32 vcc, s7, v17
	v_cndmask_b32_e32 v71, v70, v18, vcc
	v_add_f32_e32 v72, 1.0, v71
	v_cvt_f64_f32_e32 v[17:18], v72
	v_add_f32_e32 v73, -1.0, v72
	v_sub_f32_e32 v74, v73, v72
	v_sub_f32_e32 v73, v71, v73
	v_frexp_exp_i32_f64_e32 v17, v[17:18]
	v_add_f32_e32 v18, 1.0, v74
	v_add_f32_e32 v18, v73, v18
	v_frexp_mant_f32_e32 v73, v72
	s_mov_b32 s62, 0x3f2aaaab
	v_cmp_gt_f32_e32 vcc, s62, v73
	s_mov_b32 s62, 0x3f317218
	s_mov_b32 s7, 0x7f800000
	v_subbrev_co_u32_e32 v17, vcc, 0, v17, vcc
	v_sub_u32_e32 v73, 0, v17
	v_ldexp_f32 v72, v72, v73
	v_ldexp_f32 v18, v18, v73
	v_add_f32_e32 v73, -1.0, v72
	v_add_f32_e32 v76, 1.0, v72
	v_add_f32_e32 v74, 1.0, v73
	v_add_f32_e32 v77, -1.0, v76
	v_sub_f32_e32 v74, v72, v74
	v_sub_f32_e32 v72, v72, v77
	v_add_f32_e32 v74, v18, v74
	v_add_f32_e32 v18, v18, v72
	v_add_f32_e32 v72, v76, v18
	v_rcp_f32_e32 v77, v72
	v_add_f32_e32 v75, v73, v74
	v_sub_f32_e32 v73, v73, v75
	v_add_f32_e32 v73, v74, v73
	v_sub_f32_e32 v74, v76, v72
	v_add_f32_e32 v18, v18, v74
	v_mul_f32_e32 v74, v75, v77
	v_mul_f32_e32 v76, v72, v74
	v_fma_f32 v78, v74, v72, -v76
	v_fmac_f32_e32 v78, v74, v18
	v_add_f32_e32 v79, v76, v78
	v_sub_f32_e32 v80, v75, v79
	v_sub_f32_e32 v75, v75, v80
	;; [unrolled: 1-line block ×4, first 2 shown]
	v_add_f32_e32 v73, v73, v75
	v_sub_f32_e32 v75, v76, v78
	v_add_f32_e32 v73, v75, v73
	v_add_f32_e32 v75, v80, v73
	v_mul_f32_e32 v76, v77, v75
	v_mul_f32_e32 v78, v72, v76
	v_fma_f32 v72, v76, v72, -v78
	v_fmac_f32_e32 v72, v76, v18
	v_sub_f32_e32 v18, v80, v75
	v_add_f32_e32 v18, v73, v18
	v_add_f32_e32 v73, v78, v72
	v_sub_f32_e32 v79, v75, v73
	v_sub_f32_e32 v75, v75, v79
	;; [unrolled: 1-line block ×4, first 2 shown]
	v_add_f32_e32 v18, v18, v73
	v_sub_f32_e32 v72, v78, v72
	v_add_f32_e32 v18, v72, v18
	v_add_f32_e32 v72, v74, v76
	;; [unrolled: 1-line block ×3, first 2 shown]
	v_sub_f32_e32 v73, v72, v74
	v_mul_f32_e32 v18, v77, v18
	v_sub_f32_e32 v73, v76, v73
	v_add_f32_e32 v18, v73, v18
	v_cvt_f32_i32_e32 v17, v17
	v_add_f32_e32 v73, v72, v18
	v_mul_f32_e32 v74, v73, v73
	v_mov_b32_e32 v75, 0x3ecc95a3
	v_fmac_f32_e32 v75, 0x3e9b6dac, v74
	v_mov_b32_e32 v76, 0x3f2aaada
	v_fmac_f32_e32 v76, v74, v75
	v_mul_f32_e32 v75, 0x3f317218, v17
	v_fma_f32 v77, v17, s62, -v75
	v_fmac_f32_e32 v77, 0xb102e308, v17
	v_sub_f32_e32 v17, v73, v72
	v_sub_f32_e32 v17, v18, v17
	v_add_f32_e32 v18, v75, v77
	v_sub_f32_e32 v72, v18, v75
	v_ldexp_f32 v75, v73, 1
	v_mul_f32_e32 v73, v73, v74
	v_mul_f32_e32 v73, v73, v76
	v_add_f32_e32 v74, v75, v73
	v_sub_f32_e32 v75, v74, v75
	v_ldexp_f32 v17, v17, 1
	v_sub_f32_e32 v73, v73, v75
	v_add_f32_e32 v17, v17, v73
	v_add_f32_e32 v73, v74, v17
	v_sub_f32_e32 v74, v73, v74
	v_sub_f32_e32 v17, v17, v74
	v_add_f32_e32 v74, v18, v73
	v_sub_f32_e32 v75, v74, v18
	v_sub_f32_e32 v76, v74, v75
	;; [unrolled: 1-line block ×5, first 2 shown]
	v_add_f32_e32 v18, v73, v18
	v_add_f32_e32 v73, v72, v17
	v_sub_f32_e32 v75, v73, v72
	v_sub_f32_e32 v76, v73, v75
	;; [unrolled: 1-line block ×4, first 2 shown]
	v_add_f32_e32 v18, v73, v18
	v_add_f32_e32 v17, v17, v72
	;; [unrolled: 1-line block ×3, first 2 shown]
	v_sub_f32_e32 v73, v72, v74
	v_sub_f32_e32 v18, v18, v73
	v_add_f32_e32 v17, v17, v18
	v_add_f32_e32 v17, v72, v17
	v_cmp_neq_f32_e32 vcc, s7, v71
	s_mov_b32 s7, 0x33800000
	v_cndmask_b32_e32 v17, v70, v17, vcc
	v_cmp_lt_f32_e64 vcc, |v71|, s7
	v_cndmask_b32_e32 v17, v17, v71, vcc
	v_add_f32_e32 v17, v16, v17
.LBB442_106:
	s_or_b64 exec, exec, s[54:55]
	v_bfe_u32 v16, v17, 16, 1
	s_movk_i32 s7, 0x7fff
	v_add3_u32 v16, v17, v16, s7
	v_cmp_o_f32_e32 vcc, v17, v17
	v_mov_b32_e32 v17, 0x7fc0
	v_cndmask_b32_sdwa v18, v17, v16, vcc dst_sel:DWORD dst_unused:UNUSED_PAD src0_sel:DWORD src1_sel:WORD_1
	v_mbcnt_lo_u32_b32 v16, -1, 0
	v_mbcnt_hi_u32_b32 v16, -1, v16
	v_and_b32_e32 v17, 15, v16
	v_and_b32_e32 v70, 0xffff, v18
	v_cmp_ne_u32_e32 vcc, 0, v17
	s_nop 0
	v_mov_b32_dpp v71, v70 row_shr:1 row_mask:0xf bank_mask:0xf
	s_and_saveexec_b64 s[54:55], vcc
	s_xor_b64 s[62:63], exec, s[54:55]
	s_cbranch_execz .LBB442_110
; %bb.107:
	v_lshlrev_b32_e32 v71, 16, v71
	v_lshlrev_b32_e32 v18, 16, v70
	v_max_f32_e32 v72, v18, v18
	v_max_f32_e32 v73, v71, v71
	v_min_f32_e32 v70, v73, v72
	v_cmp_u_f32_e32 vcc, v71, v71
	v_max_f32_e32 v72, v73, v72
	v_cndmask_b32_e32 v70, v70, v71, vcc
	v_cmp_u_f32_e64 s[54:55], v18, v18
	v_cndmask_b32_e32 v72, v72, v71, vcc
	v_cndmask_b32_e64 v70, v70, v18, s[54:55]
	v_cndmask_b32_e64 v18, v72, v18, s[54:55]
	s_movk_i32 s7, 0x1f8
	v_cmp_neq_f32_e32 vcc, v70, v18
	v_cmp_class_f32_e64 s[54:55], v70, s7
	s_or_b64 s[74:75], vcc, s[54:55]
	s_and_saveexec_b64 s[54:55], s[74:75]
	s_cbranch_execz .LBB442_109
; %bb.108:
	v_sub_f32_e32 v70, v70, v18
	s_mov_b32 s7, 0x3fb8aa3b
	v_mul_f32_e32 v71, 0x3fb8aa3b, v70
	v_fma_f32 v72, v70, s7, -v71
	v_rndne_f32_e32 v73, v71
	v_fmac_f32_e32 v72, 0x32a5705f, v70
	v_sub_f32_e32 v71, v71, v73
	v_add_f32_e32 v71, v71, v72
	v_exp_f32_e32 v71, v71
	v_cvt_i32_f32_e32 v72, v73
	s_mov_b32 s7, 0xc2ce8ed0
	v_cmp_ngt_f32_e32 vcc, s7, v70
	s_mov_b32 s7, 0x42b17218
	v_ldexp_f32 v71, v71, v72
	v_cndmask_b32_e32 v71, 0, v71, vcc
	v_mov_b32_e32 v72, 0x7f800000
	v_cmp_nlt_f32_e32 vcc, s7, v70
	v_cndmask_b32_e32 v73, v72, v71, vcc
	v_add_f32_e32 v74, 1.0, v73
	v_cvt_f64_f32_e32 v[70:71], v74
	v_add_f32_e32 v75, -1.0, v74
	v_sub_f32_e32 v76, v75, v74
	v_sub_f32_e32 v75, v73, v75
	v_frexp_exp_i32_f64_e32 v70, v[70:71]
	v_add_f32_e32 v71, 1.0, v76
	v_add_f32_e32 v71, v75, v71
	v_frexp_mant_f32_e32 v75, v74
	s_mov_b32 s74, 0x3f2aaaab
	v_cmp_gt_f32_e32 vcc, s74, v75
	s_mov_b32 s74, 0x3f317218
	s_mov_b32 s7, 0x7f800000
	v_subbrev_co_u32_e32 v70, vcc, 0, v70, vcc
	v_sub_u32_e32 v75, 0, v70
	v_ldexp_f32 v74, v74, v75
	v_ldexp_f32 v71, v71, v75
	v_add_f32_e32 v75, -1.0, v74
	v_add_f32_e32 v78, 1.0, v74
	v_add_f32_e32 v76, 1.0, v75
	v_add_f32_e32 v79, -1.0, v78
	v_sub_f32_e32 v76, v74, v76
	v_sub_f32_e32 v74, v74, v79
	v_add_f32_e32 v76, v71, v76
	v_add_f32_e32 v71, v71, v74
	v_add_f32_e32 v74, v78, v71
	v_rcp_f32_e32 v79, v74
	v_add_f32_e32 v77, v75, v76
	v_sub_f32_e32 v75, v75, v77
	v_add_f32_e32 v75, v76, v75
	v_sub_f32_e32 v76, v78, v74
	v_add_f32_e32 v71, v71, v76
	v_mul_f32_e32 v76, v77, v79
	v_mul_f32_e32 v78, v74, v76
	v_fma_f32 v80, v76, v74, -v78
	v_fmac_f32_e32 v80, v76, v71
	v_add_f32_e32 v81, v78, v80
	v_sub_f32_e32 v82, v77, v81
	v_sub_f32_e32 v77, v77, v82
	v_sub_f32_e32 v78, v81, v78
	v_sub_f32_e32 v77, v77, v81
	v_add_f32_e32 v75, v75, v77
	v_sub_f32_e32 v77, v78, v80
	v_add_f32_e32 v75, v77, v75
	v_add_f32_e32 v77, v82, v75
	v_mul_f32_e32 v78, v79, v77
	v_mul_f32_e32 v80, v74, v78
	v_fma_f32 v74, v78, v74, -v80
	v_fmac_f32_e32 v74, v78, v71
	v_sub_f32_e32 v71, v82, v77
	v_add_f32_e32 v71, v75, v71
	v_add_f32_e32 v75, v80, v74
	v_sub_f32_e32 v81, v77, v75
	v_sub_f32_e32 v77, v77, v81
	;; [unrolled: 1-line block ×4, first 2 shown]
	v_add_f32_e32 v71, v71, v75
	v_sub_f32_e32 v74, v80, v74
	v_add_f32_e32 v71, v74, v71
	v_add_f32_e32 v74, v76, v78
	v_add_f32_e32 v71, v81, v71
	v_sub_f32_e32 v75, v74, v76
	v_mul_f32_e32 v71, v79, v71
	v_sub_f32_e32 v75, v78, v75
	v_add_f32_e32 v71, v75, v71
	v_cvt_f32_i32_e32 v70, v70
	v_add_f32_e32 v75, v74, v71
	v_mul_f32_e32 v76, v75, v75
	v_mov_b32_e32 v77, 0x3ecc95a3
	v_fmac_f32_e32 v77, 0x3e9b6dac, v76
	v_mov_b32_e32 v78, 0x3f2aaada
	v_fmac_f32_e32 v78, v76, v77
	v_mul_f32_e32 v77, 0x3f317218, v70
	v_fma_f32 v79, v70, s74, -v77
	v_fmac_f32_e32 v79, 0xb102e308, v70
	v_sub_f32_e32 v70, v75, v74
	v_sub_f32_e32 v70, v71, v70
	v_add_f32_e32 v71, v77, v79
	v_sub_f32_e32 v74, v71, v77
	v_ldexp_f32 v77, v75, 1
	v_mul_f32_e32 v75, v75, v76
	v_mul_f32_e32 v75, v75, v78
	v_add_f32_e32 v76, v77, v75
	v_sub_f32_e32 v77, v76, v77
	v_ldexp_f32 v70, v70, 1
	v_sub_f32_e32 v75, v75, v77
	v_add_f32_e32 v70, v70, v75
	v_add_f32_e32 v75, v76, v70
	v_sub_f32_e32 v76, v75, v76
	v_sub_f32_e32 v70, v70, v76
	v_add_f32_e32 v76, v71, v75
	v_sub_f32_e32 v77, v76, v71
	v_sub_f32_e32 v78, v76, v77
	;; [unrolled: 1-line block ×5, first 2 shown]
	v_add_f32_e32 v71, v75, v71
	v_add_f32_e32 v75, v74, v70
	v_sub_f32_e32 v77, v75, v74
	v_sub_f32_e32 v78, v75, v77
	;; [unrolled: 1-line block ×4, first 2 shown]
	v_add_f32_e32 v71, v75, v71
	v_add_f32_e32 v70, v70, v74
	;; [unrolled: 1-line block ×3, first 2 shown]
	v_sub_f32_e32 v75, v74, v76
	v_sub_f32_e32 v71, v71, v75
	v_add_f32_e32 v70, v70, v71
	v_add_f32_e32 v70, v74, v70
	v_cmp_neq_f32_e32 vcc, s7, v73
	s_mov_b32 s7, 0x33800000
	v_cndmask_b32_e32 v70, v72, v70, vcc
	v_cmp_lt_f32_e64 vcc, |v73|, s7
	v_cndmask_b32_e32 v70, v70, v73, vcc
	v_add_f32_e32 v71, v18, v70
.LBB442_109:
	s_or_b64 exec, exec, s[54:55]
	v_bfe_u32 v18, v71, 16, 1
	s_movk_i32 s7, 0x7fff
	v_add3_u32 v18, v71, v18, s7
	v_cmp_o_f32_e32 vcc, v71, v71
	v_mov_b32_e32 v70, 0x7fc0
	v_cndmask_b32_sdwa v18, v70, v18, vcc dst_sel:DWORD dst_unused:UNUSED_PAD src0_sel:DWORD src1_sel:WORD_1
	v_and_b32_e32 v70, 0xffff, v18
.LBB442_110:
	s_or_b64 exec, exec, s[62:63]
	s_nop 0
	v_mov_b32_dpp v71, v70 row_shr:2 row_mask:0xf bank_mask:0xf
	v_cmp_lt_u32_e32 vcc, 1, v17
	s_and_saveexec_b64 s[62:63], vcc
	s_cbranch_execz .LBB442_114
; %bb.111:
	v_lshlrev_b32_e32 v71, 16, v71
	v_lshlrev_b32_e32 v18, 16, v70
	v_max_f32_e32 v72, v18, v18
	v_max_f32_e32 v73, v71, v71
	v_min_f32_e32 v70, v73, v72
	v_cmp_u_f32_e32 vcc, v71, v71
	v_max_f32_e32 v72, v73, v72
	v_cndmask_b32_e32 v70, v70, v71, vcc
	v_cmp_u_f32_e64 s[54:55], v18, v18
	v_cndmask_b32_e32 v72, v72, v71, vcc
	v_cndmask_b32_e64 v70, v70, v18, s[54:55]
	v_cndmask_b32_e64 v18, v72, v18, s[54:55]
	s_movk_i32 s7, 0x1f8
	v_cmp_neq_f32_e32 vcc, v70, v18
	v_cmp_class_f32_e64 s[54:55], v70, s7
	s_or_b64 s[74:75], vcc, s[54:55]
	s_and_saveexec_b64 s[54:55], s[74:75]
	s_cbranch_execz .LBB442_113
; %bb.112:
	v_sub_f32_e32 v70, v70, v18
	s_mov_b32 s7, 0x3fb8aa3b
	v_mul_f32_e32 v71, 0x3fb8aa3b, v70
	v_fma_f32 v72, v70, s7, -v71
	v_rndne_f32_e32 v73, v71
	v_fmac_f32_e32 v72, 0x32a5705f, v70
	v_sub_f32_e32 v71, v71, v73
	v_add_f32_e32 v71, v71, v72
	v_exp_f32_e32 v71, v71
	v_cvt_i32_f32_e32 v72, v73
	s_mov_b32 s7, 0xc2ce8ed0
	v_cmp_ngt_f32_e32 vcc, s7, v70
	s_mov_b32 s7, 0x42b17218
	v_ldexp_f32 v71, v71, v72
	v_cndmask_b32_e32 v71, 0, v71, vcc
	v_mov_b32_e32 v72, 0x7f800000
	v_cmp_nlt_f32_e32 vcc, s7, v70
	v_cndmask_b32_e32 v73, v72, v71, vcc
	v_add_f32_e32 v74, 1.0, v73
	v_cvt_f64_f32_e32 v[70:71], v74
	v_add_f32_e32 v75, -1.0, v74
	v_sub_f32_e32 v76, v75, v74
	v_sub_f32_e32 v75, v73, v75
	v_frexp_exp_i32_f64_e32 v70, v[70:71]
	v_add_f32_e32 v71, 1.0, v76
	v_add_f32_e32 v71, v75, v71
	v_frexp_mant_f32_e32 v75, v74
	s_mov_b32 s74, 0x3f2aaaab
	v_cmp_gt_f32_e32 vcc, s74, v75
	s_mov_b32 s74, 0x3f317218
	s_mov_b32 s7, 0x7f800000
	v_subbrev_co_u32_e32 v70, vcc, 0, v70, vcc
	v_sub_u32_e32 v75, 0, v70
	v_ldexp_f32 v74, v74, v75
	v_ldexp_f32 v71, v71, v75
	v_add_f32_e32 v75, -1.0, v74
	v_add_f32_e32 v78, 1.0, v74
	v_add_f32_e32 v76, 1.0, v75
	v_add_f32_e32 v79, -1.0, v78
	v_sub_f32_e32 v76, v74, v76
	v_sub_f32_e32 v74, v74, v79
	v_add_f32_e32 v76, v71, v76
	v_add_f32_e32 v71, v71, v74
	v_add_f32_e32 v74, v78, v71
	v_rcp_f32_e32 v79, v74
	v_add_f32_e32 v77, v75, v76
	v_sub_f32_e32 v75, v75, v77
	v_add_f32_e32 v75, v76, v75
	v_sub_f32_e32 v76, v78, v74
	v_add_f32_e32 v71, v71, v76
	v_mul_f32_e32 v76, v77, v79
	v_mul_f32_e32 v78, v74, v76
	v_fma_f32 v80, v76, v74, -v78
	v_fmac_f32_e32 v80, v76, v71
	v_add_f32_e32 v81, v78, v80
	v_sub_f32_e32 v82, v77, v81
	v_sub_f32_e32 v77, v77, v82
	;; [unrolled: 1-line block ×4, first 2 shown]
	v_add_f32_e32 v75, v75, v77
	v_sub_f32_e32 v77, v78, v80
	v_add_f32_e32 v75, v77, v75
	v_add_f32_e32 v77, v82, v75
	v_mul_f32_e32 v78, v79, v77
	v_mul_f32_e32 v80, v74, v78
	v_fma_f32 v74, v78, v74, -v80
	v_fmac_f32_e32 v74, v78, v71
	v_sub_f32_e32 v71, v82, v77
	v_add_f32_e32 v71, v75, v71
	v_add_f32_e32 v75, v80, v74
	v_sub_f32_e32 v81, v77, v75
	v_sub_f32_e32 v77, v77, v81
	;; [unrolled: 1-line block ×4, first 2 shown]
	v_add_f32_e32 v71, v71, v75
	v_sub_f32_e32 v74, v80, v74
	v_add_f32_e32 v71, v74, v71
	v_add_f32_e32 v74, v76, v78
	;; [unrolled: 1-line block ×3, first 2 shown]
	v_sub_f32_e32 v75, v74, v76
	v_mul_f32_e32 v71, v79, v71
	v_sub_f32_e32 v75, v78, v75
	v_add_f32_e32 v71, v75, v71
	v_cvt_f32_i32_e32 v70, v70
	v_add_f32_e32 v75, v74, v71
	v_mul_f32_e32 v76, v75, v75
	v_mov_b32_e32 v77, 0x3ecc95a3
	v_fmac_f32_e32 v77, 0x3e9b6dac, v76
	v_mov_b32_e32 v78, 0x3f2aaada
	v_fmac_f32_e32 v78, v76, v77
	v_mul_f32_e32 v77, 0x3f317218, v70
	v_fma_f32 v79, v70, s74, -v77
	v_fmac_f32_e32 v79, 0xb102e308, v70
	v_sub_f32_e32 v70, v75, v74
	v_sub_f32_e32 v70, v71, v70
	v_add_f32_e32 v71, v77, v79
	v_sub_f32_e32 v74, v71, v77
	v_ldexp_f32 v77, v75, 1
	v_mul_f32_e32 v75, v75, v76
	v_mul_f32_e32 v75, v75, v78
	v_add_f32_e32 v76, v77, v75
	v_sub_f32_e32 v77, v76, v77
	v_ldexp_f32 v70, v70, 1
	v_sub_f32_e32 v75, v75, v77
	v_add_f32_e32 v70, v70, v75
	v_add_f32_e32 v75, v76, v70
	v_sub_f32_e32 v76, v75, v76
	v_sub_f32_e32 v70, v70, v76
	v_add_f32_e32 v76, v71, v75
	v_sub_f32_e32 v77, v76, v71
	v_sub_f32_e32 v78, v76, v77
	;; [unrolled: 1-line block ×5, first 2 shown]
	v_add_f32_e32 v71, v75, v71
	v_add_f32_e32 v75, v74, v70
	v_sub_f32_e32 v77, v75, v74
	v_sub_f32_e32 v78, v75, v77
	;; [unrolled: 1-line block ×4, first 2 shown]
	v_add_f32_e32 v71, v75, v71
	v_add_f32_e32 v70, v70, v74
	;; [unrolled: 1-line block ×3, first 2 shown]
	v_sub_f32_e32 v75, v74, v76
	v_sub_f32_e32 v71, v71, v75
	v_add_f32_e32 v70, v70, v71
	v_add_f32_e32 v70, v74, v70
	v_cmp_neq_f32_e32 vcc, s7, v73
	s_mov_b32 s7, 0x33800000
	v_cndmask_b32_e32 v70, v72, v70, vcc
	v_cmp_lt_f32_e64 vcc, |v73|, s7
	v_cndmask_b32_e32 v70, v70, v73, vcc
	v_add_f32_e32 v71, v18, v70
.LBB442_113:
	s_or_b64 exec, exec, s[54:55]
	v_bfe_u32 v18, v71, 16, 1
	s_movk_i32 s7, 0x7fff
	v_add3_u32 v18, v71, v18, s7
	v_cmp_o_f32_e32 vcc, v71, v71
	v_mov_b32_e32 v70, 0x7fc0
	v_cndmask_b32_sdwa v18, v70, v18, vcc dst_sel:DWORD dst_unused:UNUSED_PAD src0_sel:DWORD src1_sel:WORD_1
	v_and_b32_e32 v70, 0xffff, v18
.LBB442_114:
	s_or_b64 exec, exec, s[62:63]
	s_nop 0
	v_mov_b32_dpp v71, v70 row_shr:4 row_mask:0xf bank_mask:0xf
	v_cmp_lt_u32_e32 vcc, 3, v17
	s_and_saveexec_b64 s[62:63], vcc
	s_cbranch_execz .LBB442_118
; %bb.115:
	v_lshlrev_b32_e32 v71, 16, v71
	v_lshlrev_b32_e32 v18, 16, v70
	v_max_f32_e32 v72, v18, v18
	v_max_f32_e32 v73, v71, v71
	v_min_f32_e32 v70, v73, v72
	v_cmp_u_f32_e32 vcc, v71, v71
	v_max_f32_e32 v72, v73, v72
	v_cndmask_b32_e32 v70, v70, v71, vcc
	v_cmp_u_f32_e64 s[54:55], v18, v18
	v_cndmask_b32_e32 v72, v72, v71, vcc
	v_cndmask_b32_e64 v70, v70, v18, s[54:55]
	v_cndmask_b32_e64 v18, v72, v18, s[54:55]
	s_movk_i32 s7, 0x1f8
	v_cmp_neq_f32_e32 vcc, v70, v18
	v_cmp_class_f32_e64 s[54:55], v70, s7
	s_or_b64 s[74:75], vcc, s[54:55]
	s_and_saveexec_b64 s[54:55], s[74:75]
	s_cbranch_execz .LBB442_117
; %bb.116:
	v_sub_f32_e32 v70, v70, v18
	s_mov_b32 s7, 0x3fb8aa3b
	v_mul_f32_e32 v71, 0x3fb8aa3b, v70
	v_fma_f32 v72, v70, s7, -v71
	v_rndne_f32_e32 v73, v71
	v_fmac_f32_e32 v72, 0x32a5705f, v70
	v_sub_f32_e32 v71, v71, v73
	v_add_f32_e32 v71, v71, v72
	v_exp_f32_e32 v71, v71
	v_cvt_i32_f32_e32 v72, v73
	s_mov_b32 s7, 0xc2ce8ed0
	v_cmp_ngt_f32_e32 vcc, s7, v70
	s_mov_b32 s7, 0x42b17218
	v_ldexp_f32 v71, v71, v72
	v_cndmask_b32_e32 v71, 0, v71, vcc
	v_mov_b32_e32 v72, 0x7f800000
	v_cmp_nlt_f32_e32 vcc, s7, v70
	v_cndmask_b32_e32 v73, v72, v71, vcc
	v_add_f32_e32 v74, 1.0, v73
	v_cvt_f64_f32_e32 v[70:71], v74
	v_add_f32_e32 v75, -1.0, v74
	v_sub_f32_e32 v76, v75, v74
	v_sub_f32_e32 v75, v73, v75
	v_frexp_exp_i32_f64_e32 v70, v[70:71]
	v_add_f32_e32 v71, 1.0, v76
	v_add_f32_e32 v71, v75, v71
	v_frexp_mant_f32_e32 v75, v74
	s_mov_b32 s74, 0x3f2aaaab
	v_cmp_gt_f32_e32 vcc, s74, v75
	s_mov_b32 s74, 0x3f317218
	s_mov_b32 s7, 0x7f800000
	v_subbrev_co_u32_e32 v70, vcc, 0, v70, vcc
	v_sub_u32_e32 v75, 0, v70
	v_ldexp_f32 v74, v74, v75
	v_ldexp_f32 v71, v71, v75
	v_add_f32_e32 v75, -1.0, v74
	v_add_f32_e32 v78, 1.0, v74
	v_add_f32_e32 v76, 1.0, v75
	v_add_f32_e32 v79, -1.0, v78
	v_sub_f32_e32 v76, v74, v76
	v_sub_f32_e32 v74, v74, v79
	v_add_f32_e32 v76, v71, v76
	v_add_f32_e32 v71, v71, v74
	;; [unrolled: 1-line block ×3, first 2 shown]
	v_rcp_f32_e32 v79, v74
	v_add_f32_e32 v77, v75, v76
	v_sub_f32_e32 v75, v75, v77
	v_add_f32_e32 v75, v76, v75
	v_sub_f32_e32 v76, v78, v74
	v_add_f32_e32 v71, v71, v76
	v_mul_f32_e32 v76, v77, v79
	v_mul_f32_e32 v78, v74, v76
	v_fma_f32 v80, v76, v74, -v78
	v_fmac_f32_e32 v80, v76, v71
	v_add_f32_e32 v81, v78, v80
	v_sub_f32_e32 v82, v77, v81
	v_sub_f32_e32 v77, v77, v82
	;; [unrolled: 1-line block ×4, first 2 shown]
	v_add_f32_e32 v75, v75, v77
	v_sub_f32_e32 v77, v78, v80
	v_add_f32_e32 v75, v77, v75
	v_add_f32_e32 v77, v82, v75
	v_mul_f32_e32 v78, v79, v77
	v_mul_f32_e32 v80, v74, v78
	v_fma_f32 v74, v78, v74, -v80
	v_fmac_f32_e32 v74, v78, v71
	v_sub_f32_e32 v71, v82, v77
	v_add_f32_e32 v71, v75, v71
	v_add_f32_e32 v75, v80, v74
	v_sub_f32_e32 v81, v77, v75
	v_sub_f32_e32 v77, v77, v81
	;; [unrolled: 1-line block ×4, first 2 shown]
	v_add_f32_e32 v71, v71, v75
	v_sub_f32_e32 v74, v80, v74
	v_add_f32_e32 v71, v74, v71
	v_add_f32_e32 v74, v76, v78
	;; [unrolled: 1-line block ×3, first 2 shown]
	v_sub_f32_e32 v75, v74, v76
	v_mul_f32_e32 v71, v79, v71
	v_sub_f32_e32 v75, v78, v75
	v_add_f32_e32 v71, v75, v71
	v_cvt_f32_i32_e32 v70, v70
	v_add_f32_e32 v75, v74, v71
	v_mul_f32_e32 v76, v75, v75
	v_mov_b32_e32 v77, 0x3ecc95a3
	v_fmac_f32_e32 v77, 0x3e9b6dac, v76
	v_mov_b32_e32 v78, 0x3f2aaada
	v_fmac_f32_e32 v78, v76, v77
	v_mul_f32_e32 v77, 0x3f317218, v70
	v_fma_f32 v79, v70, s74, -v77
	v_fmac_f32_e32 v79, 0xb102e308, v70
	v_sub_f32_e32 v70, v75, v74
	v_sub_f32_e32 v70, v71, v70
	v_add_f32_e32 v71, v77, v79
	v_sub_f32_e32 v74, v71, v77
	v_ldexp_f32 v77, v75, 1
	v_mul_f32_e32 v75, v75, v76
	v_mul_f32_e32 v75, v75, v78
	v_add_f32_e32 v76, v77, v75
	v_sub_f32_e32 v77, v76, v77
	v_ldexp_f32 v70, v70, 1
	v_sub_f32_e32 v75, v75, v77
	v_add_f32_e32 v70, v70, v75
	v_add_f32_e32 v75, v76, v70
	v_sub_f32_e32 v76, v75, v76
	v_sub_f32_e32 v70, v70, v76
	v_add_f32_e32 v76, v71, v75
	v_sub_f32_e32 v77, v76, v71
	v_sub_f32_e32 v78, v76, v77
	;; [unrolled: 1-line block ×5, first 2 shown]
	v_add_f32_e32 v71, v75, v71
	v_add_f32_e32 v75, v74, v70
	v_sub_f32_e32 v77, v75, v74
	v_sub_f32_e32 v78, v75, v77
	;; [unrolled: 1-line block ×4, first 2 shown]
	v_add_f32_e32 v71, v75, v71
	v_add_f32_e32 v70, v70, v74
	;; [unrolled: 1-line block ×3, first 2 shown]
	v_sub_f32_e32 v75, v74, v76
	v_sub_f32_e32 v71, v71, v75
	v_add_f32_e32 v70, v70, v71
	v_add_f32_e32 v70, v74, v70
	v_cmp_neq_f32_e32 vcc, s7, v73
	s_mov_b32 s7, 0x33800000
	v_cndmask_b32_e32 v70, v72, v70, vcc
	v_cmp_lt_f32_e64 vcc, |v73|, s7
	v_cndmask_b32_e32 v70, v70, v73, vcc
	v_add_f32_e32 v71, v18, v70
.LBB442_117:
	s_or_b64 exec, exec, s[54:55]
	v_bfe_u32 v18, v71, 16, 1
	s_movk_i32 s7, 0x7fff
	v_add3_u32 v18, v71, v18, s7
	v_cmp_o_f32_e32 vcc, v71, v71
	v_mov_b32_e32 v70, 0x7fc0
	v_cndmask_b32_sdwa v18, v70, v18, vcc dst_sel:DWORD dst_unused:UNUSED_PAD src0_sel:DWORD src1_sel:WORD_1
	v_and_b32_e32 v70, 0xffff, v18
.LBB442_118:
	s_or_b64 exec, exec, s[62:63]
	s_nop 0
	v_mov_b32_dpp v71, v70 row_shr:8 row_mask:0xf bank_mask:0xf
	v_cmp_lt_u32_e32 vcc, 7, v17
	s_and_saveexec_b64 s[62:63], vcc
	s_cbranch_execz .LBB442_122
; %bb.119:
	v_lshlrev_b32_e32 v18, 16, v71
	v_lshlrev_b32_e32 v17, 16, v70
	v_max_f32_e32 v71, v17, v17
	v_max_f32_e32 v72, v18, v18
	v_min_f32_e32 v70, v72, v71
	v_cmp_u_f32_e32 vcc, v18, v18
	v_max_f32_e32 v71, v72, v71
	v_cndmask_b32_e32 v70, v70, v18, vcc
	v_cmp_u_f32_e64 s[54:55], v17, v17
	v_cndmask_b32_e32 v71, v71, v18, vcc
	v_cndmask_b32_e64 v70, v70, v17, s[54:55]
	v_cndmask_b32_e64 v17, v71, v17, s[54:55]
	s_movk_i32 s7, 0x1f8
	v_cmp_neq_f32_e32 vcc, v70, v17
	v_cmp_class_f32_e64 s[54:55], v70, s7
	s_or_b64 s[74:75], vcc, s[54:55]
	s_and_saveexec_b64 s[54:55], s[74:75]
	s_cbranch_execz .LBB442_121
; %bb.120:
	v_sub_f32_e32 v18, v70, v17
	s_mov_b32 s7, 0x3fb8aa3b
	v_mul_f32_e32 v70, 0x3fb8aa3b, v18
	v_fma_f32 v71, v18, s7, -v70
	v_rndne_f32_e32 v72, v70
	v_fmac_f32_e32 v71, 0x32a5705f, v18
	v_sub_f32_e32 v70, v70, v72
	v_add_f32_e32 v70, v70, v71
	v_exp_f32_e32 v70, v70
	v_cvt_i32_f32_e32 v71, v72
	s_mov_b32 s7, 0xc2ce8ed0
	v_cmp_ngt_f32_e32 vcc, s7, v18
	s_mov_b32 s7, 0x42b17218
	v_ldexp_f32 v70, v70, v71
	v_cndmask_b32_e32 v70, 0, v70, vcc
	v_mov_b32_e32 v72, 0x7f800000
	v_cmp_nlt_f32_e32 vcc, s7, v18
	v_cndmask_b32_e32 v18, v72, v70, vcc
	v_add_f32_e32 v73, 1.0, v18
	v_cvt_f64_f32_e32 v[70:71], v73
	v_add_f32_e32 v74, -1.0, v73
	v_sub_f32_e32 v75, v74, v73
	v_sub_f32_e32 v74, v18, v74
	v_frexp_exp_i32_f64_e32 v70, v[70:71]
	v_add_f32_e32 v71, 1.0, v75
	v_add_f32_e32 v71, v74, v71
	v_frexp_mant_f32_e32 v74, v73
	s_mov_b32 s74, 0x3f2aaaab
	v_cmp_gt_f32_e32 vcc, s74, v74
	s_mov_b32 s74, 0x3f317218
	s_mov_b32 s7, 0x7f800000
	v_subbrev_co_u32_e32 v70, vcc, 0, v70, vcc
	v_sub_u32_e32 v74, 0, v70
	v_ldexp_f32 v73, v73, v74
	v_ldexp_f32 v71, v71, v74
	v_add_f32_e32 v74, -1.0, v73
	v_add_f32_e32 v77, 1.0, v73
	v_add_f32_e32 v75, 1.0, v74
	v_add_f32_e32 v78, -1.0, v77
	v_sub_f32_e32 v75, v73, v75
	v_sub_f32_e32 v73, v73, v78
	v_add_f32_e32 v75, v71, v75
	v_add_f32_e32 v71, v71, v73
	;; [unrolled: 1-line block ×3, first 2 shown]
	v_rcp_f32_e32 v78, v73
	v_add_f32_e32 v76, v74, v75
	v_sub_f32_e32 v74, v74, v76
	v_add_f32_e32 v74, v75, v74
	v_sub_f32_e32 v75, v77, v73
	v_add_f32_e32 v71, v71, v75
	v_mul_f32_e32 v75, v76, v78
	v_mul_f32_e32 v77, v73, v75
	v_fma_f32 v79, v75, v73, -v77
	v_fmac_f32_e32 v79, v75, v71
	v_add_f32_e32 v80, v77, v79
	v_sub_f32_e32 v81, v76, v80
	v_sub_f32_e32 v76, v76, v81
	;; [unrolled: 1-line block ×4, first 2 shown]
	v_add_f32_e32 v74, v74, v76
	v_sub_f32_e32 v76, v77, v79
	v_add_f32_e32 v74, v76, v74
	v_add_f32_e32 v76, v81, v74
	v_mul_f32_e32 v77, v78, v76
	v_mul_f32_e32 v79, v73, v77
	v_fma_f32 v73, v77, v73, -v79
	v_fmac_f32_e32 v73, v77, v71
	v_sub_f32_e32 v71, v81, v76
	v_add_f32_e32 v71, v74, v71
	v_add_f32_e32 v74, v79, v73
	v_sub_f32_e32 v80, v76, v74
	v_sub_f32_e32 v76, v76, v80
	;; [unrolled: 1-line block ×4, first 2 shown]
	v_add_f32_e32 v71, v71, v74
	v_sub_f32_e32 v73, v79, v73
	v_add_f32_e32 v71, v73, v71
	v_add_f32_e32 v73, v75, v77
	;; [unrolled: 1-line block ×3, first 2 shown]
	v_sub_f32_e32 v74, v73, v75
	v_mul_f32_e32 v71, v78, v71
	v_sub_f32_e32 v74, v77, v74
	v_add_f32_e32 v71, v74, v71
	v_cvt_f32_i32_e32 v70, v70
	v_add_f32_e32 v74, v73, v71
	v_mul_f32_e32 v75, v74, v74
	v_mov_b32_e32 v76, 0x3ecc95a3
	v_fmac_f32_e32 v76, 0x3e9b6dac, v75
	v_mov_b32_e32 v77, 0x3f2aaada
	v_fmac_f32_e32 v77, v75, v76
	v_mul_f32_e32 v76, 0x3f317218, v70
	v_fma_f32 v78, v70, s74, -v76
	v_fmac_f32_e32 v78, 0xb102e308, v70
	v_sub_f32_e32 v70, v74, v73
	v_sub_f32_e32 v70, v71, v70
	v_add_f32_e32 v71, v76, v78
	v_sub_f32_e32 v73, v71, v76
	v_ldexp_f32 v76, v74, 1
	v_mul_f32_e32 v74, v74, v75
	v_mul_f32_e32 v74, v74, v77
	v_add_f32_e32 v75, v76, v74
	v_sub_f32_e32 v76, v75, v76
	v_ldexp_f32 v70, v70, 1
	v_sub_f32_e32 v74, v74, v76
	v_add_f32_e32 v70, v70, v74
	v_add_f32_e32 v74, v75, v70
	v_sub_f32_e32 v75, v74, v75
	v_sub_f32_e32 v70, v70, v75
	v_add_f32_e32 v75, v71, v74
	v_sub_f32_e32 v76, v75, v71
	v_sub_f32_e32 v77, v75, v76
	;; [unrolled: 1-line block ×5, first 2 shown]
	v_add_f32_e32 v71, v74, v71
	v_add_f32_e32 v74, v73, v70
	v_sub_f32_e32 v76, v74, v73
	v_sub_f32_e32 v77, v74, v76
	;; [unrolled: 1-line block ×4, first 2 shown]
	v_add_f32_e32 v71, v74, v71
	v_add_f32_e32 v70, v70, v73
	;; [unrolled: 1-line block ×3, first 2 shown]
	v_sub_f32_e32 v74, v73, v75
	v_sub_f32_e32 v71, v71, v74
	v_add_f32_e32 v70, v70, v71
	v_add_f32_e32 v70, v73, v70
	v_cmp_neq_f32_e32 vcc, s7, v18
	s_mov_b32 s7, 0x33800000
	v_cndmask_b32_e32 v70, v72, v70, vcc
	v_cmp_lt_f32_e64 vcc, |v18|, s7
	v_cndmask_b32_e32 v18, v70, v18, vcc
	v_add_f32_e32 v18, v17, v18
.LBB442_121:
	s_or_b64 exec, exec, s[54:55]
	v_bfe_u32 v17, v18, 16, 1
	s_movk_i32 s7, 0x7fff
	v_add3_u32 v17, v18, v17, s7
	v_cmp_o_f32_e32 vcc, v18, v18
	v_mov_b32_e32 v18, 0x7fc0
	v_cndmask_b32_sdwa v18, v18, v17, vcc dst_sel:DWORD dst_unused:UNUSED_PAD src0_sel:DWORD src1_sel:WORD_1
	v_and_b32_e32 v70, 0xffff, v18
.LBB442_122:
	s_or_b64 exec, exec, s[62:63]
	v_and_b32_e32 v71, 16, v16
	v_mov_b32_dpp v17, v70 row_bcast:15 row_mask:0xf bank_mask:0xf
	v_cmp_ne_u32_e32 vcc, 0, v71
	s_and_saveexec_b64 s[62:63], vcc
	s_cbranch_execz .LBB442_126
; %bb.123:
	v_lshlrev_b32_e32 v18, 16, v17
	v_lshlrev_b32_e32 v17, 16, v70
	v_max_f32_e32 v71, v17, v17
	v_max_f32_e32 v72, v18, v18
	v_min_f32_e32 v70, v72, v71
	v_cmp_u_f32_e32 vcc, v18, v18
	v_max_f32_e32 v71, v72, v71
	v_cndmask_b32_e32 v70, v70, v18, vcc
	v_cmp_u_f32_e64 s[54:55], v17, v17
	v_cndmask_b32_e32 v71, v71, v18, vcc
	v_cndmask_b32_e64 v70, v70, v17, s[54:55]
	v_cndmask_b32_e64 v17, v71, v17, s[54:55]
	s_movk_i32 s7, 0x1f8
	v_cmp_neq_f32_e32 vcc, v70, v17
	v_cmp_class_f32_e64 s[54:55], v70, s7
	s_or_b64 s[74:75], vcc, s[54:55]
	s_and_saveexec_b64 s[54:55], s[74:75]
	s_cbranch_execz .LBB442_125
; %bb.124:
	v_sub_f32_e32 v18, v70, v17
	s_mov_b32 s7, 0x3fb8aa3b
	v_mul_f32_e32 v70, 0x3fb8aa3b, v18
	v_fma_f32 v71, v18, s7, -v70
	v_rndne_f32_e32 v72, v70
	v_fmac_f32_e32 v71, 0x32a5705f, v18
	v_sub_f32_e32 v70, v70, v72
	v_add_f32_e32 v70, v70, v71
	v_exp_f32_e32 v70, v70
	v_cvt_i32_f32_e32 v71, v72
	s_mov_b32 s7, 0xc2ce8ed0
	v_cmp_ngt_f32_e32 vcc, s7, v18
	s_mov_b32 s7, 0x42b17218
	v_ldexp_f32 v70, v70, v71
	v_cndmask_b32_e32 v70, 0, v70, vcc
	v_mov_b32_e32 v72, 0x7f800000
	v_cmp_nlt_f32_e32 vcc, s7, v18
	v_cndmask_b32_e32 v18, v72, v70, vcc
	v_add_f32_e32 v73, 1.0, v18
	v_cvt_f64_f32_e32 v[70:71], v73
	v_add_f32_e32 v74, -1.0, v73
	v_sub_f32_e32 v75, v74, v73
	v_sub_f32_e32 v74, v18, v74
	v_frexp_exp_i32_f64_e32 v70, v[70:71]
	v_add_f32_e32 v71, 1.0, v75
	v_add_f32_e32 v71, v74, v71
	v_frexp_mant_f32_e32 v74, v73
	s_mov_b32 s74, 0x3f2aaaab
	v_cmp_gt_f32_e32 vcc, s74, v74
	s_mov_b32 s74, 0x3f317218
	s_mov_b32 s7, 0x7f800000
	v_subbrev_co_u32_e32 v70, vcc, 0, v70, vcc
	v_sub_u32_e32 v74, 0, v70
	v_ldexp_f32 v73, v73, v74
	v_ldexp_f32 v71, v71, v74
	v_add_f32_e32 v74, -1.0, v73
	v_add_f32_e32 v77, 1.0, v73
	v_add_f32_e32 v75, 1.0, v74
	v_add_f32_e32 v78, -1.0, v77
	v_sub_f32_e32 v75, v73, v75
	v_sub_f32_e32 v73, v73, v78
	v_add_f32_e32 v75, v71, v75
	v_add_f32_e32 v71, v71, v73
	v_add_f32_e32 v73, v77, v71
	v_rcp_f32_e32 v78, v73
	v_add_f32_e32 v76, v74, v75
	v_sub_f32_e32 v74, v74, v76
	v_add_f32_e32 v74, v75, v74
	v_sub_f32_e32 v75, v77, v73
	v_add_f32_e32 v71, v71, v75
	v_mul_f32_e32 v75, v76, v78
	v_mul_f32_e32 v77, v73, v75
	v_fma_f32 v79, v75, v73, -v77
	v_fmac_f32_e32 v79, v75, v71
	v_add_f32_e32 v80, v77, v79
	v_sub_f32_e32 v81, v76, v80
	v_sub_f32_e32 v76, v76, v81
	;; [unrolled: 1-line block ×4, first 2 shown]
	v_add_f32_e32 v74, v74, v76
	v_sub_f32_e32 v76, v77, v79
	v_add_f32_e32 v74, v76, v74
	v_add_f32_e32 v76, v81, v74
	v_mul_f32_e32 v77, v78, v76
	v_mul_f32_e32 v79, v73, v77
	v_fma_f32 v73, v77, v73, -v79
	v_fmac_f32_e32 v73, v77, v71
	v_sub_f32_e32 v71, v81, v76
	v_add_f32_e32 v71, v74, v71
	v_add_f32_e32 v74, v79, v73
	v_sub_f32_e32 v80, v76, v74
	v_sub_f32_e32 v76, v76, v80
	;; [unrolled: 1-line block ×4, first 2 shown]
	v_add_f32_e32 v71, v71, v74
	v_sub_f32_e32 v73, v79, v73
	v_add_f32_e32 v71, v73, v71
	v_add_f32_e32 v73, v75, v77
	;; [unrolled: 1-line block ×3, first 2 shown]
	v_sub_f32_e32 v74, v73, v75
	v_mul_f32_e32 v71, v78, v71
	v_sub_f32_e32 v74, v77, v74
	v_add_f32_e32 v71, v74, v71
	v_cvt_f32_i32_e32 v70, v70
	v_add_f32_e32 v74, v73, v71
	v_mul_f32_e32 v75, v74, v74
	v_mov_b32_e32 v76, 0x3ecc95a3
	v_fmac_f32_e32 v76, 0x3e9b6dac, v75
	v_mov_b32_e32 v77, 0x3f2aaada
	v_fmac_f32_e32 v77, v75, v76
	v_mul_f32_e32 v76, 0x3f317218, v70
	v_fma_f32 v78, v70, s74, -v76
	v_fmac_f32_e32 v78, 0xb102e308, v70
	v_sub_f32_e32 v70, v74, v73
	v_sub_f32_e32 v70, v71, v70
	v_add_f32_e32 v71, v76, v78
	v_sub_f32_e32 v73, v71, v76
	v_ldexp_f32 v76, v74, 1
	v_mul_f32_e32 v74, v74, v75
	v_mul_f32_e32 v74, v74, v77
	v_add_f32_e32 v75, v76, v74
	v_sub_f32_e32 v76, v75, v76
	v_ldexp_f32 v70, v70, 1
	v_sub_f32_e32 v74, v74, v76
	v_add_f32_e32 v70, v70, v74
	v_add_f32_e32 v74, v75, v70
	v_sub_f32_e32 v75, v74, v75
	v_sub_f32_e32 v70, v70, v75
	v_add_f32_e32 v75, v71, v74
	v_sub_f32_e32 v76, v75, v71
	v_sub_f32_e32 v77, v75, v76
	;; [unrolled: 1-line block ×5, first 2 shown]
	v_add_f32_e32 v71, v74, v71
	v_add_f32_e32 v74, v73, v70
	v_sub_f32_e32 v76, v74, v73
	v_sub_f32_e32 v77, v74, v76
	;; [unrolled: 1-line block ×4, first 2 shown]
	v_add_f32_e32 v71, v74, v71
	v_add_f32_e32 v70, v70, v73
	;; [unrolled: 1-line block ×3, first 2 shown]
	v_sub_f32_e32 v74, v73, v75
	v_sub_f32_e32 v71, v71, v74
	v_add_f32_e32 v70, v70, v71
	v_add_f32_e32 v70, v73, v70
	v_cmp_neq_f32_e32 vcc, s7, v18
	s_mov_b32 s7, 0x33800000
	v_cndmask_b32_e32 v70, v72, v70, vcc
	v_cmp_lt_f32_e64 vcc, |v18|, s7
	v_cndmask_b32_e32 v18, v70, v18, vcc
	v_add_f32_e32 v18, v17, v18
.LBB442_125:
	s_or_b64 exec, exec, s[54:55]
	v_bfe_u32 v17, v18, 16, 1
	s_movk_i32 s7, 0x7fff
	v_add3_u32 v17, v18, v17, s7
	v_cmp_o_f32_e32 vcc, v18, v18
	v_mov_b32_e32 v18, 0x7fc0
	v_cndmask_b32_sdwa v18, v18, v17, vcc dst_sel:DWORD dst_unused:UNUSED_PAD src0_sel:DWORD src1_sel:WORD_1
	v_and_b32_e32 v70, 0xffff, v18
.LBB442_126:
	s_or_b64 exec, exec, s[62:63]
	s_nop 0
	v_mov_b32_dpp v17, v70 row_bcast:31 row_mask:0xf bank_mask:0xf
	v_cmp_lt_u32_e32 vcc, 31, v16
	s_and_saveexec_b64 s[62:63], vcc
	s_cbranch_execz .LBB442_130
; %bb.127:
	v_lshlrev_b32_e32 v18, 16, v17
	v_lshlrev_b32_e32 v17, 16, v70
	v_max_f32_e32 v71, v17, v17
	v_max_f32_e32 v72, v18, v18
	v_min_f32_e32 v70, v72, v71
	v_cmp_u_f32_e32 vcc, v18, v18
	v_max_f32_e32 v71, v72, v71
	v_cndmask_b32_e32 v70, v70, v18, vcc
	v_cmp_u_f32_e64 s[54:55], v17, v17
	v_cndmask_b32_e32 v71, v71, v18, vcc
	v_cndmask_b32_e64 v70, v70, v17, s[54:55]
	v_cndmask_b32_e64 v17, v71, v17, s[54:55]
	s_movk_i32 s7, 0x1f8
	v_cmp_neq_f32_e32 vcc, v70, v17
	v_cmp_class_f32_e64 s[54:55], v70, s7
	s_or_b64 s[74:75], vcc, s[54:55]
	s_and_saveexec_b64 s[54:55], s[74:75]
	s_cbranch_execz .LBB442_129
; %bb.128:
	v_sub_f32_e32 v18, v70, v17
	s_mov_b32 s7, 0x3fb8aa3b
	v_mul_f32_e32 v70, 0x3fb8aa3b, v18
	v_fma_f32 v71, v18, s7, -v70
	v_rndne_f32_e32 v72, v70
	v_fmac_f32_e32 v71, 0x32a5705f, v18
	v_sub_f32_e32 v70, v70, v72
	v_add_f32_e32 v70, v70, v71
	v_exp_f32_e32 v70, v70
	v_cvt_i32_f32_e32 v71, v72
	s_mov_b32 s7, 0xc2ce8ed0
	v_cmp_ngt_f32_e32 vcc, s7, v18
	s_mov_b32 s7, 0x42b17218
	v_ldexp_f32 v70, v70, v71
	v_cndmask_b32_e32 v70, 0, v70, vcc
	v_mov_b32_e32 v72, 0x7f800000
	v_cmp_nlt_f32_e32 vcc, s7, v18
	v_cndmask_b32_e32 v18, v72, v70, vcc
	v_add_f32_e32 v73, 1.0, v18
	v_cvt_f64_f32_e32 v[70:71], v73
	v_add_f32_e32 v74, -1.0, v73
	v_sub_f32_e32 v75, v74, v73
	v_sub_f32_e32 v74, v18, v74
	v_frexp_exp_i32_f64_e32 v70, v[70:71]
	v_add_f32_e32 v71, 1.0, v75
	v_add_f32_e32 v71, v74, v71
	v_frexp_mant_f32_e32 v74, v73
	s_mov_b32 s74, 0x3f2aaaab
	v_cmp_gt_f32_e32 vcc, s74, v74
	s_mov_b32 s74, 0x3f317218
	s_mov_b32 s7, 0x7f800000
	v_subbrev_co_u32_e32 v70, vcc, 0, v70, vcc
	v_sub_u32_e32 v74, 0, v70
	v_ldexp_f32 v73, v73, v74
	v_ldexp_f32 v71, v71, v74
	v_add_f32_e32 v74, -1.0, v73
	v_add_f32_e32 v77, 1.0, v73
	v_add_f32_e32 v75, 1.0, v74
	v_add_f32_e32 v78, -1.0, v77
	v_sub_f32_e32 v75, v73, v75
	v_sub_f32_e32 v73, v73, v78
	v_add_f32_e32 v75, v71, v75
	v_add_f32_e32 v71, v71, v73
	;; [unrolled: 1-line block ×3, first 2 shown]
	v_rcp_f32_e32 v78, v73
	v_add_f32_e32 v76, v74, v75
	v_sub_f32_e32 v74, v74, v76
	v_add_f32_e32 v74, v75, v74
	v_sub_f32_e32 v75, v77, v73
	v_add_f32_e32 v71, v71, v75
	v_mul_f32_e32 v75, v76, v78
	v_mul_f32_e32 v77, v73, v75
	v_fma_f32 v79, v75, v73, -v77
	v_fmac_f32_e32 v79, v75, v71
	v_add_f32_e32 v80, v77, v79
	v_sub_f32_e32 v81, v76, v80
	v_sub_f32_e32 v76, v76, v81
	;; [unrolled: 1-line block ×4, first 2 shown]
	v_add_f32_e32 v74, v74, v76
	v_sub_f32_e32 v76, v77, v79
	v_add_f32_e32 v74, v76, v74
	v_add_f32_e32 v76, v81, v74
	v_mul_f32_e32 v77, v78, v76
	v_mul_f32_e32 v79, v73, v77
	v_fma_f32 v73, v77, v73, -v79
	v_fmac_f32_e32 v73, v77, v71
	v_sub_f32_e32 v71, v81, v76
	v_add_f32_e32 v71, v74, v71
	v_add_f32_e32 v74, v79, v73
	v_sub_f32_e32 v80, v76, v74
	v_sub_f32_e32 v76, v76, v80
	;; [unrolled: 1-line block ×4, first 2 shown]
	v_add_f32_e32 v71, v71, v74
	v_sub_f32_e32 v73, v79, v73
	v_add_f32_e32 v71, v73, v71
	v_add_f32_e32 v73, v75, v77
	v_add_f32_e32 v71, v80, v71
	v_sub_f32_e32 v74, v73, v75
	v_mul_f32_e32 v71, v78, v71
	v_sub_f32_e32 v74, v77, v74
	v_add_f32_e32 v71, v74, v71
	v_cvt_f32_i32_e32 v70, v70
	v_add_f32_e32 v74, v73, v71
	v_mul_f32_e32 v75, v74, v74
	v_mov_b32_e32 v76, 0x3ecc95a3
	v_fmac_f32_e32 v76, 0x3e9b6dac, v75
	v_mov_b32_e32 v77, 0x3f2aaada
	v_fmac_f32_e32 v77, v75, v76
	v_mul_f32_e32 v76, 0x3f317218, v70
	v_fma_f32 v78, v70, s74, -v76
	v_fmac_f32_e32 v78, 0xb102e308, v70
	v_sub_f32_e32 v70, v74, v73
	v_sub_f32_e32 v70, v71, v70
	v_add_f32_e32 v71, v76, v78
	v_sub_f32_e32 v73, v71, v76
	v_ldexp_f32 v76, v74, 1
	v_mul_f32_e32 v74, v74, v75
	v_mul_f32_e32 v74, v74, v77
	v_add_f32_e32 v75, v76, v74
	v_sub_f32_e32 v76, v75, v76
	v_ldexp_f32 v70, v70, 1
	v_sub_f32_e32 v74, v74, v76
	v_add_f32_e32 v70, v70, v74
	v_add_f32_e32 v74, v75, v70
	v_sub_f32_e32 v75, v74, v75
	v_sub_f32_e32 v70, v70, v75
	v_add_f32_e32 v75, v71, v74
	v_sub_f32_e32 v76, v75, v71
	v_sub_f32_e32 v77, v75, v76
	;; [unrolled: 1-line block ×5, first 2 shown]
	v_add_f32_e32 v71, v74, v71
	v_add_f32_e32 v74, v73, v70
	v_sub_f32_e32 v76, v74, v73
	v_sub_f32_e32 v77, v74, v76
	;; [unrolled: 1-line block ×4, first 2 shown]
	v_add_f32_e32 v71, v74, v71
	v_add_f32_e32 v70, v70, v73
	;; [unrolled: 1-line block ×3, first 2 shown]
	v_sub_f32_e32 v74, v73, v75
	v_sub_f32_e32 v71, v71, v74
	v_add_f32_e32 v70, v70, v71
	v_add_f32_e32 v70, v73, v70
	v_cmp_neq_f32_e32 vcc, s7, v18
	s_mov_b32 s7, 0x33800000
	v_cndmask_b32_e32 v70, v72, v70, vcc
	v_cmp_lt_f32_e64 vcc, |v18|, s7
	v_cndmask_b32_e32 v18, v70, v18, vcc
	v_add_f32_e32 v18, v17, v18
.LBB442_129:
	s_or_b64 exec, exec, s[54:55]
	v_bfe_u32 v17, v18, 16, 1
	s_movk_i32 s7, 0x7fff
	v_add3_u32 v17, v18, v17, s7
	v_cmp_o_f32_e32 vcc, v18, v18
	v_mov_b32_e32 v18, 0x7fc0
	v_cndmask_b32_sdwa v18, v18, v17, vcc dst_sel:DWORD dst_unused:UNUSED_PAD src0_sel:DWORD src1_sel:WORD_1
.LBB442_130:
	s_or_b64 exec, exec, s[62:63]
	v_add_u32_e32 v17, -1, v16
	v_and_b32_e32 v70, 64, v16
	v_cmp_lt_i32_e32 vcc, v17, v70
	v_cndmask_b32_e32 v16, v17, v16, vcc
	v_lshlrev_b32_e32 v16, 2, v16
	v_and_b32_e32 v17, 0xffff, v18
	ds_bpermute_b32 v16, v16, v17
	s_movk_i32 s7, 0x1f8
	s_waitcnt lgkmcnt(0)
	v_lshlrev_b32_e32 v16, 16, v16
	v_max_f32_e32 v18, v16, v16
	v_min_f32_e32 v17, v18, v15
	v_cmp_u_f32_e32 vcc, v16, v16
	v_max_f32_e32 v15, v18, v15
	v_cndmask_b32_e32 v17, v17, v16, vcc
	v_cndmask_b32_e32 v15, v15, v16, vcc
	v_cndmask_b32_e64 v17, v17, v14, s[52:53]
	v_cndmask_b32_e64 v14, v15, v14, s[52:53]
	v_cmp_neq_f32_e32 vcc, v17, v14
	v_cmp_class_f32_e64 s[52:53], v17, s7
	s_or_b64 s[54:55], vcc, s[52:53]
	s_and_saveexec_b64 s[52:53], s[54:55]
	s_cbranch_execz .LBB442_132
; %bb.131:
	v_sub_f32_e32 v15, v17, v14
	s_mov_b32 s54, 0x3fb8aa3b
	v_mul_f32_e32 v16, 0x3fb8aa3b, v15
	v_fma_f32 v17, v15, s54, -v16
	v_rndne_f32_e32 v18, v16
	v_fmac_f32_e32 v17, 0x32a5705f, v15
	v_sub_f32_e32 v16, v16, v18
	v_add_f32_e32 v16, v16, v17
	v_exp_f32_e32 v16, v16
	v_cvt_i32_f32_e32 v17, v18
	s_mov_b32 s54, 0xc2ce8ed0
	v_cmp_ngt_f32_e32 vcc, s54, v15
	s_mov_b32 s54, 0x42b17218
	v_ldexp_f32 v16, v16, v17
	v_cndmask_b32_e32 v16, 0, v16, vcc
	v_mov_b32_e32 v17, 0x7f800000
	v_cmp_nlt_f32_e32 vcc, s54, v15
	v_cndmask_b32_e32 v18, v17, v16, vcc
	v_add_f32_e32 v70, 1.0, v18
	v_cvt_f64_f32_e32 v[15:16], v70
	v_add_f32_e32 v71, -1.0, v70
	v_sub_f32_e32 v72, v71, v70
	v_sub_f32_e32 v71, v18, v71
	v_frexp_exp_i32_f64_e32 v15, v[15:16]
	v_add_f32_e32 v16, 1.0, v72
	v_add_f32_e32 v16, v71, v16
	v_frexp_mant_f32_e32 v71, v70
	s_mov_b32 s55, 0x3f2aaaab
	v_cmp_gt_f32_e32 vcc, s55, v71
	s_mov_b32 s55, 0x3f317218
	s_mov_b32 s54, 0x7f800000
	v_subbrev_co_u32_e32 v15, vcc, 0, v15, vcc
	v_sub_u32_e32 v71, 0, v15
	v_ldexp_f32 v70, v70, v71
	v_ldexp_f32 v16, v16, v71
	v_add_f32_e32 v71, -1.0, v70
	v_add_f32_e32 v74, 1.0, v70
	v_add_f32_e32 v72, 1.0, v71
	v_add_f32_e32 v75, -1.0, v74
	v_sub_f32_e32 v72, v70, v72
	v_sub_f32_e32 v70, v70, v75
	v_add_f32_e32 v72, v16, v72
	v_add_f32_e32 v16, v16, v70
	;; [unrolled: 1-line block ×3, first 2 shown]
	v_rcp_f32_e32 v75, v70
	v_add_f32_e32 v73, v71, v72
	v_sub_f32_e32 v71, v71, v73
	v_add_f32_e32 v71, v72, v71
	v_sub_f32_e32 v72, v74, v70
	v_add_f32_e32 v16, v16, v72
	v_mul_f32_e32 v72, v73, v75
	v_mul_f32_e32 v74, v70, v72
	v_fma_f32 v76, v72, v70, -v74
	v_fmac_f32_e32 v76, v72, v16
	v_add_f32_e32 v77, v74, v76
	v_sub_f32_e32 v78, v73, v77
	v_sub_f32_e32 v73, v73, v78
	;; [unrolled: 1-line block ×4, first 2 shown]
	v_add_f32_e32 v71, v71, v73
	v_sub_f32_e32 v73, v74, v76
	v_add_f32_e32 v71, v73, v71
	v_add_f32_e32 v73, v78, v71
	v_mul_f32_e32 v74, v75, v73
	v_mul_f32_e32 v76, v70, v74
	v_fma_f32 v70, v74, v70, -v76
	v_fmac_f32_e32 v70, v74, v16
	v_sub_f32_e32 v16, v78, v73
	v_add_f32_e32 v16, v71, v16
	v_add_f32_e32 v71, v76, v70
	v_sub_f32_e32 v77, v73, v71
	v_sub_f32_e32 v73, v73, v77
	;; [unrolled: 1-line block ×4, first 2 shown]
	v_add_f32_e32 v16, v16, v71
	v_sub_f32_e32 v70, v76, v70
	v_add_f32_e32 v16, v70, v16
	v_add_f32_e32 v70, v72, v74
	;; [unrolled: 1-line block ×3, first 2 shown]
	v_sub_f32_e32 v71, v70, v72
	v_mul_f32_e32 v16, v75, v16
	v_sub_f32_e32 v71, v74, v71
	v_add_f32_e32 v16, v71, v16
	v_cvt_f32_i32_e32 v15, v15
	v_add_f32_e32 v71, v70, v16
	v_mul_f32_e32 v72, v71, v71
	v_mov_b32_e32 v73, 0x3ecc95a3
	v_fmac_f32_e32 v73, 0x3e9b6dac, v72
	v_mov_b32_e32 v74, 0x3f2aaada
	v_fmac_f32_e32 v74, v72, v73
	v_mul_f32_e32 v73, 0x3f317218, v15
	v_fma_f32 v75, v15, s55, -v73
	v_fmac_f32_e32 v75, 0xb102e308, v15
	v_sub_f32_e32 v15, v71, v70
	v_sub_f32_e32 v15, v16, v15
	v_add_f32_e32 v16, v73, v75
	v_sub_f32_e32 v70, v16, v73
	v_ldexp_f32 v73, v71, 1
	v_mul_f32_e32 v71, v71, v72
	v_mul_f32_e32 v71, v71, v74
	v_add_f32_e32 v72, v73, v71
	v_sub_f32_e32 v73, v72, v73
	v_ldexp_f32 v15, v15, 1
	v_sub_f32_e32 v71, v71, v73
	v_add_f32_e32 v15, v15, v71
	v_add_f32_e32 v71, v72, v15
	v_sub_f32_e32 v72, v71, v72
	v_sub_f32_e32 v15, v15, v72
	v_add_f32_e32 v72, v16, v71
	v_sub_f32_e32 v73, v72, v16
	v_sub_f32_e32 v74, v72, v73
	;; [unrolled: 1-line block ×5, first 2 shown]
	v_add_f32_e32 v16, v71, v16
	v_add_f32_e32 v71, v70, v15
	v_sub_f32_e32 v73, v71, v70
	v_sub_f32_e32 v74, v71, v73
	;; [unrolled: 1-line block ×4, first 2 shown]
	v_add_f32_e32 v16, v71, v16
	v_add_f32_e32 v15, v15, v70
	v_add_f32_e32 v70, v72, v16
	v_sub_f32_e32 v71, v70, v72
	v_sub_f32_e32 v16, v16, v71
	v_add_f32_e32 v15, v15, v16
	v_add_f32_e32 v15, v70, v15
	v_cmp_neq_f32_e32 vcc, s54, v18
	s_mov_b32 s54, 0x33800000
	v_cndmask_b32_e32 v15, v17, v15, vcc
	v_cmp_lt_f32_e64 vcc, |v18|, s54
	v_cndmask_b32_e32 v15, v15, v18, vcc
	v_add_f32_e32 v16, v14, v15
.LBB442_132:
	s_or_b64 exec, exec, s[52:53]
	v_bfe_u32 v14, v16, 16, 1
	s_movk_i32 s54, 0x7fff
	v_add3_u32 v15, v16, v14, s54
	v_cmp_o_f32_e32 vcc, v16, v16
	v_mov_b32_e32 v14, 0x7fc0
	v_cndmask_b32_sdwa v15, v14, v15, vcc dst_sel:DWORD dst_unused:UNUSED_PAD src0_sel:DWORD src1_sel:WORD_1
	v_cmp_eq_u32_e32 vcc, 0, v0
	v_cndmask_b32_e32 v15, v15, v69, vcc
	; wave barrier
	ds_write_b16 v13, v15
	; wave barrier
	ds_read_u16 v17, v13 offset:2
	v_lshlrev_b32_e32 v16, 16, v15
	v_max_f32_e32 v18, v16, v16
	v_cmp_u_f32_e32 vcc, v16, v16
	s_waitcnt lgkmcnt(0)
	v_lshlrev_b32_e32 v15, 16, v17
	v_max_f32_e32 v70, v15, v15
	v_min_f32_e32 v17, v18, v70
	v_max_f32_e32 v18, v18, v70
	v_cndmask_b32_e32 v17, v17, v16, vcc
	v_cmp_u_f32_e64 s[52:53], v15, v15
	v_cndmask_b32_e32 v18, v18, v16, vcc
	v_cndmask_b32_e64 v17, v17, v15, s[52:53]
	v_cndmask_b32_e64 v15, v18, v15, s[52:53]
	v_cmp_neq_f32_e32 vcc, v17, v15
	v_cmp_class_f32_e64 s[52:53], v17, s7
	s_or_b64 s[62:63], vcc, s[52:53]
	s_and_saveexec_b64 s[52:53], s[62:63]
	s_cbranch_execz .LBB442_134
; %bb.133:
	v_sub_f32_e32 v16, v17, v15
	s_mov_b32 s7, 0x3fb8aa3b
	v_mul_f32_e32 v17, 0x3fb8aa3b, v16
	v_fma_f32 v18, v16, s7, -v17
	v_rndne_f32_e32 v70, v17
	v_fmac_f32_e32 v18, 0x32a5705f, v16
	v_sub_f32_e32 v17, v17, v70
	v_add_f32_e32 v17, v17, v18
	v_exp_f32_e32 v17, v17
	v_cvt_i32_f32_e32 v18, v70
	s_mov_b32 s7, 0xc2ce8ed0
	v_cmp_ngt_f32_e32 vcc, s7, v16
	s_mov_b32 s7, 0x42b17218
	v_ldexp_f32 v17, v17, v18
	v_cndmask_b32_e32 v17, 0, v17, vcc
	v_mov_b32_e32 v18, 0x7f800000
	v_cmp_nlt_f32_e32 vcc, s7, v16
	v_cndmask_b32_e32 v70, v18, v17, vcc
	v_add_f32_e32 v71, 1.0, v70
	v_cvt_f64_f32_e32 v[16:17], v71
	v_add_f32_e32 v72, -1.0, v71
	v_sub_f32_e32 v73, v72, v71
	v_sub_f32_e32 v72, v70, v72
	v_frexp_exp_i32_f64_e32 v16, v[16:17]
	v_add_f32_e32 v17, 1.0, v73
	v_add_f32_e32 v17, v72, v17
	v_frexp_mant_f32_e32 v72, v71
	s_mov_b32 s55, 0x3f2aaaab
	v_cmp_gt_f32_e32 vcc, s55, v72
	s_mov_b32 s55, 0x3f317218
	s_mov_b32 s7, 0x7f800000
	v_subbrev_co_u32_e32 v16, vcc, 0, v16, vcc
	v_sub_u32_e32 v72, 0, v16
	v_ldexp_f32 v71, v71, v72
	v_ldexp_f32 v17, v17, v72
	v_add_f32_e32 v72, -1.0, v71
	v_add_f32_e32 v75, 1.0, v71
	v_add_f32_e32 v73, 1.0, v72
	v_add_f32_e32 v76, -1.0, v75
	v_sub_f32_e32 v73, v71, v73
	v_sub_f32_e32 v71, v71, v76
	v_add_f32_e32 v73, v17, v73
	v_add_f32_e32 v17, v17, v71
	;; [unrolled: 1-line block ×3, first 2 shown]
	v_rcp_f32_e32 v76, v71
	v_add_f32_e32 v74, v72, v73
	v_sub_f32_e32 v72, v72, v74
	v_add_f32_e32 v72, v73, v72
	v_sub_f32_e32 v73, v75, v71
	v_add_f32_e32 v17, v17, v73
	v_mul_f32_e32 v73, v74, v76
	v_mul_f32_e32 v75, v71, v73
	v_fma_f32 v77, v73, v71, -v75
	v_fmac_f32_e32 v77, v73, v17
	v_add_f32_e32 v78, v75, v77
	v_sub_f32_e32 v79, v74, v78
	v_sub_f32_e32 v74, v74, v79
	;; [unrolled: 1-line block ×4, first 2 shown]
	v_add_f32_e32 v72, v72, v74
	v_sub_f32_e32 v74, v75, v77
	v_add_f32_e32 v72, v74, v72
	v_add_f32_e32 v74, v79, v72
	v_mul_f32_e32 v75, v76, v74
	v_mul_f32_e32 v77, v71, v75
	v_fma_f32 v71, v75, v71, -v77
	v_fmac_f32_e32 v71, v75, v17
	v_sub_f32_e32 v17, v79, v74
	v_add_f32_e32 v17, v72, v17
	v_add_f32_e32 v72, v77, v71
	v_sub_f32_e32 v78, v74, v72
	v_sub_f32_e32 v74, v74, v78
	;; [unrolled: 1-line block ×4, first 2 shown]
	v_add_f32_e32 v17, v17, v72
	v_sub_f32_e32 v71, v77, v71
	v_add_f32_e32 v17, v71, v17
	v_add_f32_e32 v71, v73, v75
	v_add_f32_e32 v17, v78, v17
	v_sub_f32_e32 v72, v71, v73
	v_mul_f32_e32 v17, v76, v17
	v_sub_f32_e32 v72, v75, v72
	v_add_f32_e32 v17, v72, v17
	v_cvt_f32_i32_e32 v16, v16
	v_add_f32_e32 v72, v71, v17
	v_mul_f32_e32 v73, v72, v72
	v_mov_b32_e32 v74, 0x3ecc95a3
	v_fmac_f32_e32 v74, 0x3e9b6dac, v73
	v_mov_b32_e32 v75, 0x3f2aaada
	v_fmac_f32_e32 v75, v73, v74
	v_mul_f32_e32 v74, 0x3f317218, v16
	v_fma_f32 v76, v16, s55, -v74
	v_fmac_f32_e32 v76, 0xb102e308, v16
	v_sub_f32_e32 v16, v72, v71
	v_sub_f32_e32 v16, v17, v16
	v_add_f32_e32 v17, v74, v76
	v_sub_f32_e32 v71, v17, v74
	v_ldexp_f32 v74, v72, 1
	v_mul_f32_e32 v72, v72, v73
	v_mul_f32_e32 v72, v72, v75
	v_add_f32_e32 v73, v74, v72
	v_sub_f32_e32 v74, v73, v74
	v_ldexp_f32 v16, v16, 1
	v_sub_f32_e32 v72, v72, v74
	v_add_f32_e32 v16, v16, v72
	v_add_f32_e32 v72, v73, v16
	v_sub_f32_e32 v73, v72, v73
	v_sub_f32_e32 v16, v16, v73
	v_add_f32_e32 v73, v17, v72
	v_sub_f32_e32 v74, v73, v17
	v_sub_f32_e32 v75, v73, v74
	;; [unrolled: 1-line block ×5, first 2 shown]
	v_add_f32_e32 v17, v72, v17
	v_add_f32_e32 v72, v71, v16
	v_sub_f32_e32 v74, v72, v71
	v_sub_f32_e32 v75, v72, v74
	;; [unrolled: 1-line block ×4, first 2 shown]
	v_add_f32_e32 v17, v72, v17
	v_add_f32_e32 v16, v16, v71
	;; [unrolled: 1-line block ×3, first 2 shown]
	v_sub_f32_e32 v72, v71, v73
	v_sub_f32_e32 v17, v17, v72
	v_add_f32_e32 v16, v16, v17
	v_add_f32_e32 v16, v71, v16
	v_cmp_neq_f32_e32 vcc, s7, v70
	s_mov_b32 s7, 0x33800000
	v_cndmask_b32_e32 v16, v18, v16, vcc
	v_cmp_lt_f32_e64 vcc, |v70|, s7
	v_cndmask_b32_e32 v16, v16, v70, vcc
	v_add_f32_e32 v16, v15, v16
.LBB442_134:
	s_or_b64 exec, exec, s[52:53]
	v_bfe_u32 v15, v16, 16, 1
	v_add3_u32 v15, v16, v15, s54
	v_cmp_o_f32_e32 vcc, v16, v16
	ds_read_u16 v16, v13 offset:4
	v_cndmask_b32_sdwa v14, v14, v15, vcc dst_sel:DWORD dst_unused:UNUSED_PAD src0_sel:DWORD src1_sel:WORD_1
	ds_write_b16 v13, v14 offset:2
	v_lshlrev_b32_e32 v15, 16, v14
	v_max_f32_e32 v17, v15, v15
	s_waitcnt lgkmcnt(1)
	v_lshlrev_b32_e32 v14, 16, v16
	v_max_f32_e32 v18, v14, v14
	v_min_f32_e32 v16, v17, v18
	v_cmp_u_f32_e32 vcc, v15, v15
	v_max_f32_e32 v17, v17, v18
	v_cndmask_b32_e32 v16, v16, v15, vcc
	v_cmp_u_f32_e64 s[52:53], v14, v14
	v_cndmask_b32_e32 v17, v17, v15, vcc
	v_cndmask_b32_e64 v16, v16, v14, s[52:53]
	v_cndmask_b32_e64 v14, v17, v14, s[52:53]
	s_movk_i32 s7, 0x1f8
	v_cmp_neq_f32_e32 vcc, v16, v14
	v_cmp_class_f32_e64 s[52:53], v16, s7
	s_or_b64 s[54:55], vcc, s[52:53]
	s_and_saveexec_b64 s[52:53], s[54:55]
	s_cbranch_execz .LBB442_136
; %bb.135:
	v_sub_f32_e32 v15, v16, v14
	s_mov_b32 s54, 0x3fb8aa3b
	v_mul_f32_e32 v16, 0x3fb8aa3b, v15
	v_fma_f32 v17, v15, s54, -v16
	v_rndne_f32_e32 v18, v16
	v_fmac_f32_e32 v17, 0x32a5705f, v15
	v_sub_f32_e32 v16, v16, v18
	v_add_f32_e32 v16, v16, v17
	v_exp_f32_e32 v16, v16
	v_cvt_i32_f32_e32 v17, v18
	s_mov_b32 s54, 0xc2ce8ed0
	v_cmp_ngt_f32_e32 vcc, s54, v15
	s_mov_b32 s54, 0x42b17218
	v_ldexp_f32 v16, v16, v17
	v_cndmask_b32_e32 v16, 0, v16, vcc
	v_mov_b32_e32 v17, 0x7f800000
	v_cmp_nlt_f32_e32 vcc, s54, v15
	v_cndmask_b32_e32 v18, v17, v16, vcc
	v_add_f32_e32 v70, 1.0, v18
	v_cvt_f64_f32_e32 v[15:16], v70
	v_add_f32_e32 v71, -1.0, v70
	v_sub_f32_e32 v72, v71, v70
	v_sub_f32_e32 v71, v18, v71
	v_frexp_exp_i32_f64_e32 v15, v[15:16]
	v_add_f32_e32 v16, 1.0, v72
	v_add_f32_e32 v16, v71, v16
	v_frexp_mant_f32_e32 v71, v70
	s_mov_b32 s55, 0x3f2aaaab
	v_cmp_gt_f32_e32 vcc, s55, v71
	s_mov_b32 s55, 0x3f317218
	s_mov_b32 s54, 0x7f800000
	v_subbrev_co_u32_e32 v15, vcc, 0, v15, vcc
	v_sub_u32_e32 v71, 0, v15
	v_ldexp_f32 v70, v70, v71
	v_ldexp_f32 v16, v16, v71
	v_add_f32_e32 v71, -1.0, v70
	v_add_f32_e32 v74, 1.0, v70
	v_add_f32_e32 v72, 1.0, v71
	v_add_f32_e32 v75, -1.0, v74
	v_sub_f32_e32 v72, v70, v72
	v_sub_f32_e32 v70, v70, v75
	v_add_f32_e32 v72, v16, v72
	v_add_f32_e32 v16, v16, v70
	;; [unrolled: 1-line block ×3, first 2 shown]
	v_rcp_f32_e32 v75, v70
	v_add_f32_e32 v73, v71, v72
	v_sub_f32_e32 v71, v71, v73
	v_add_f32_e32 v71, v72, v71
	v_sub_f32_e32 v72, v74, v70
	v_add_f32_e32 v16, v16, v72
	v_mul_f32_e32 v72, v73, v75
	v_mul_f32_e32 v74, v70, v72
	v_fma_f32 v76, v72, v70, -v74
	v_fmac_f32_e32 v76, v72, v16
	v_add_f32_e32 v77, v74, v76
	v_sub_f32_e32 v78, v73, v77
	v_sub_f32_e32 v73, v73, v78
	;; [unrolled: 1-line block ×4, first 2 shown]
	v_add_f32_e32 v71, v71, v73
	v_sub_f32_e32 v73, v74, v76
	v_add_f32_e32 v71, v73, v71
	v_add_f32_e32 v73, v78, v71
	v_mul_f32_e32 v74, v75, v73
	v_mul_f32_e32 v76, v70, v74
	v_fma_f32 v70, v74, v70, -v76
	v_fmac_f32_e32 v70, v74, v16
	v_sub_f32_e32 v16, v78, v73
	v_add_f32_e32 v16, v71, v16
	v_add_f32_e32 v71, v76, v70
	v_sub_f32_e32 v77, v73, v71
	v_sub_f32_e32 v73, v73, v77
	;; [unrolled: 1-line block ×4, first 2 shown]
	v_add_f32_e32 v16, v16, v71
	v_sub_f32_e32 v70, v76, v70
	v_add_f32_e32 v16, v70, v16
	v_add_f32_e32 v70, v72, v74
	;; [unrolled: 1-line block ×3, first 2 shown]
	v_sub_f32_e32 v71, v70, v72
	v_mul_f32_e32 v16, v75, v16
	v_sub_f32_e32 v71, v74, v71
	v_add_f32_e32 v16, v71, v16
	v_cvt_f32_i32_e32 v15, v15
	v_add_f32_e32 v71, v70, v16
	v_mul_f32_e32 v72, v71, v71
	v_mov_b32_e32 v73, 0x3ecc95a3
	v_fmac_f32_e32 v73, 0x3e9b6dac, v72
	v_mov_b32_e32 v74, 0x3f2aaada
	v_fmac_f32_e32 v74, v72, v73
	v_mul_f32_e32 v73, 0x3f317218, v15
	v_fma_f32 v75, v15, s55, -v73
	v_fmac_f32_e32 v75, 0xb102e308, v15
	v_sub_f32_e32 v15, v71, v70
	v_sub_f32_e32 v15, v16, v15
	v_add_f32_e32 v16, v73, v75
	v_sub_f32_e32 v70, v16, v73
	v_ldexp_f32 v73, v71, 1
	v_mul_f32_e32 v71, v71, v72
	v_mul_f32_e32 v71, v71, v74
	v_add_f32_e32 v72, v73, v71
	v_sub_f32_e32 v73, v72, v73
	v_ldexp_f32 v15, v15, 1
	v_sub_f32_e32 v71, v71, v73
	v_add_f32_e32 v15, v15, v71
	v_add_f32_e32 v71, v72, v15
	v_sub_f32_e32 v72, v71, v72
	v_sub_f32_e32 v15, v15, v72
	v_add_f32_e32 v72, v16, v71
	v_sub_f32_e32 v73, v72, v16
	v_sub_f32_e32 v74, v72, v73
	;; [unrolled: 1-line block ×5, first 2 shown]
	v_add_f32_e32 v16, v71, v16
	v_add_f32_e32 v71, v70, v15
	v_sub_f32_e32 v73, v71, v70
	v_sub_f32_e32 v74, v71, v73
	;; [unrolled: 1-line block ×4, first 2 shown]
	v_add_f32_e32 v16, v71, v16
	v_add_f32_e32 v15, v15, v70
	;; [unrolled: 1-line block ×3, first 2 shown]
	v_sub_f32_e32 v71, v70, v72
	v_sub_f32_e32 v16, v16, v71
	v_add_f32_e32 v15, v15, v16
	v_add_f32_e32 v15, v70, v15
	v_cmp_neq_f32_e32 vcc, s54, v18
	s_mov_b32 s54, 0x33800000
	v_cndmask_b32_e32 v15, v17, v15, vcc
	v_cmp_lt_f32_e64 vcc, |v18|, s54
	v_cndmask_b32_e32 v15, v15, v18, vcc
	v_add_f32_e32 v15, v14, v15
.LBB442_136:
	s_or_b64 exec, exec, s[52:53]
	v_bfe_u32 v14, v15, 16, 1
	s_movk_i32 s54, 0x7fff
	v_add3_u32 v16, v15, v14, s54
	v_cmp_o_f32_e32 vcc, v15, v15
	ds_read_u16 v15, v13 offset:6
	v_mov_b32_e32 v14, 0x7fc0
	v_cndmask_b32_sdwa v16, v14, v16, vcc dst_sel:DWORD dst_unused:UNUSED_PAD src0_sel:DWORD src1_sel:WORD_1
	ds_write_b16 v13, v16 offset:4
	v_lshlrev_b32_e32 v16, 16, v16
	s_waitcnt lgkmcnt(1)
	v_lshlrev_b32_e32 v15, 16, v15
	v_max_f32_e32 v18, v16, v16
	v_max_f32_e32 v70, v15, v15
	v_min_f32_e32 v17, v18, v70
	v_cmp_u_f32_e32 vcc, v16, v16
	v_max_f32_e32 v18, v18, v70
	v_cndmask_b32_e32 v17, v17, v16, vcc
	v_cmp_u_f32_e64 s[52:53], v15, v15
	v_cndmask_b32_e32 v18, v18, v16, vcc
	v_cndmask_b32_e64 v17, v17, v15, s[52:53]
	v_cndmask_b32_e64 v15, v18, v15, s[52:53]
	v_cmp_neq_f32_e32 vcc, v17, v15
	v_cmp_class_f32_e64 s[52:53], v17, s7
	s_or_b64 s[62:63], vcc, s[52:53]
	s_and_saveexec_b64 s[52:53], s[62:63]
	s_cbranch_execz .LBB442_138
; %bb.137:
	v_sub_f32_e32 v16, v17, v15
	s_mov_b32 s7, 0x3fb8aa3b
	v_mul_f32_e32 v17, 0x3fb8aa3b, v16
	v_fma_f32 v18, v16, s7, -v17
	v_rndne_f32_e32 v70, v17
	v_fmac_f32_e32 v18, 0x32a5705f, v16
	v_sub_f32_e32 v17, v17, v70
	v_add_f32_e32 v17, v17, v18
	v_exp_f32_e32 v17, v17
	v_cvt_i32_f32_e32 v18, v70
	s_mov_b32 s7, 0xc2ce8ed0
	v_cmp_ngt_f32_e32 vcc, s7, v16
	s_mov_b32 s7, 0x42b17218
	v_ldexp_f32 v17, v17, v18
	v_cndmask_b32_e32 v17, 0, v17, vcc
	v_mov_b32_e32 v18, 0x7f800000
	v_cmp_nlt_f32_e32 vcc, s7, v16
	v_cndmask_b32_e32 v70, v18, v17, vcc
	v_add_f32_e32 v71, 1.0, v70
	v_cvt_f64_f32_e32 v[16:17], v71
	v_add_f32_e32 v72, -1.0, v71
	v_sub_f32_e32 v73, v72, v71
	v_sub_f32_e32 v72, v70, v72
	v_frexp_exp_i32_f64_e32 v16, v[16:17]
	v_add_f32_e32 v17, 1.0, v73
	v_add_f32_e32 v17, v72, v17
	v_frexp_mant_f32_e32 v72, v71
	s_mov_b32 s55, 0x3f2aaaab
	v_cmp_gt_f32_e32 vcc, s55, v72
	s_mov_b32 s55, 0x3f317218
	s_mov_b32 s7, 0x7f800000
	v_subbrev_co_u32_e32 v16, vcc, 0, v16, vcc
	v_sub_u32_e32 v72, 0, v16
	v_ldexp_f32 v71, v71, v72
	v_ldexp_f32 v17, v17, v72
	v_add_f32_e32 v72, -1.0, v71
	v_add_f32_e32 v75, 1.0, v71
	v_add_f32_e32 v73, 1.0, v72
	v_add_f32_e32 v76, -1.0, v75
	v_sub_f32_e32 v73, v71, v73
	v_sub_f32_e32 v71, v71, v76
	v_add_f32_e32 v73, v17, v73
	v_add_f32_e32 v17, v17, v71
	;; [unrolled: 1-line block ×3, first 2 shown]
	v_rcp_f32_e32 v76, v71
	v_add_f32_e32 v74, v72, v73
	v_sub_f32_e32 v72, v72, v74
	v_add_f32_e32 v72, v73, v72
	v_sub_f32_e32 v73, v75, v71
	v_add_f32_e32 v17, v17, v73
	v_mul_f32_e32 v73, v74, v76
	v_mul_f32_e32 v75, v71, v73
	v_fma_f32 v77, v73, v71, -v75
	v_fmac_f32_e32 v77, v73, v17
	v_add_f32_e32 v78, v75, v77
	v_sub_f32_e32 v79, v74, v78
	v_sub_f32_e32 v74, v74, v79
	;; [unrolled: 1-line block ×4, first 2 shown]
	v_add_f32_e32 v72, v72, v74
	v_sub_f32_e32 v74, v75, v77
	v_add_f32_e32 v72, v74, v72
	v_add_f32_e32 v74, v79, v72
	v_mul_f32_e32 v75, v76, v74
	v_mul_f32_e32 v77, v71, v75
	v_fma_f32 v71, v75, v71, -v77
	v_fmac_f32_e32 v71, v75, v17
	v_sub_f32_e32 v17, v79, v74
	v_add_f32_e32 v17, v72, v17
	v_add_f32_e32 v72, v77, v71
	v_sub_f32_e32 v78, v74, v72
	v_sub_f32_e32 v74, v74, v78
	;; [unrolled: 1-line block ×4, first 2 shown]
	v_add_f32_e32 v17, v17, v72
	v_sub_f32_e32 v71, v77, v71
	v_add_f32_e32 v17, v71, v17
	v_add_f32_e32 v71, v73, v75
	;; [unrolled: 1-line block ×3, first 2 shown]
	v_sub_f32_e32 v72, v71, v73
	v_mul_f32_e32 v17, v76, v17
	v_sub_f32_e32 v72, v75, v72
	v_add_f32_e32 v17, v72, v17
	v_cvt_f32_i32_e32 v16, v16
	v_add_f32_e32 v72, v71, v17
	v_mul_f32_e32 v73, v72, v72
	v_mov_b32_e32 v74, 0x3ecc95a3
	v_fmac_f32_e32 v74, 0x3e9b6dac, v73
	v_mov_b32_e32 v75, 0x3f2aaada
	v_fmac_f32_e32 v75, v73, v74
	v_mul_f32_e32 v74, 0x3f317218, v16
	v_fma_f32 v76, v16, s55, -v74
	v_fmac_f32_e32 v76, 0xb102e308, v16
	v_sub_f32_e32 v16, v72, v71
	v_sub_f32_e32 v16, v17, v16
	v_add_f32_e32 v17, v74, v76
	v_sub_f32_e32 v71, v17, v74
	v_ldexp_f32 v74, v72, 1
	v_mul_f32_e32 v72, v72, v73
	v_mul_f32_e32 v72, v72, v75
	v_add_f32_e32 v73, v74, v72
	v_sub_f32_e32 v74, v73, v74
	v_ldexp_f32 v16, v16, 1
	v_sub_f32_e32 v72, v72, v74
	v_add_f32_e32 v16, v16, v72
	v_add_f32_e32 v72, v73, v16
	v_sub_f32_e32 v73, v72, v73
	v_sub_f32_e32 v16, v16, v73
	v_add_f32_e32 v73, v17, v72
	v_sub_f32_e32 v74, v73, v17
	v_sub_f32_e32 v75, v73, v74
	;; [unrolled: 1-line block ×5, first 2 shown]
	v_add_f32_e32 v17, v72, v17
	v_add_f32_e32 v72, v71, v16
	v_sub_f32_e32 v74, v72, v71
	v_sub_f32_e32 v75, v72, v74
	;; [unrolled: 1-line block ×4, first 2 shown]
	v_add_f32_e32 v17, v72, v17
	v_add_f32_e32 v16, v16, v71
	;; [unrolled: 1-line block ×3, first 2 shown]
	v_sub_f32_e32 v72, v71, v73
	v_sub_f32_e32 v17, v17, v72
	v_add_f32_e32 v16, v16, v17
	v_add_f32_e32 v16, v71, v16
	v_cmp_neq_f32_e32 vcc, s7, v70
	s_mov_b32 s7, 0x33800000
	v_cndmask_b32_e32 v16, v18, v16, vcc
	v_cmp_lt_f32_e64 vcc, |v70|, s7
	v_cndmask_b32_e32 v16, v16, v70, vcc
	v_add_f32_e32 v16, v15, v16
.LBB442_138:
	s_or_b64 exec, exec, s[52:53]
	v_bfe_u32 v15, v16, 16, 1
	v_add3_u32 v15, v16, v15, s54
	v_cmp_o_f32_e32 vcc, v16, v16
	v_cndmask_b32_sdwa v14, v14, v15, vcc dst_sel:DWORD dst_unused:UNUSED_PAD src0_sel:DWORD src1_sel:WORD_1
	ds_write_b16 v13, v14 offset:6
.LBB442_139:
	s_or_b64 exec, exec, s[60:61]
	v_cmp_eq_u32_e64 s[54:55], 0, v0
	v_cmp_ne_u32_e64 s[52:53], 0, v0
	s_waitcnt lgkmcnt(0)
	s_barrier
	s_and_saveexec_b64 s[60:61], s[52:53]
; %bb.140:
	v_add_u32_e32 v13, -1, v0
	v_lshrrev_b32_e32 v14, 4, v13
	v_and_b32_e32 v14, 0xffffffe, v14
	v_lshl_add_u32 v13, v13, 1, v14
	ds_read_u16 v69, v13
; %bb.141:
	s_or_b64 exec, exec, s[60:61]
	s_and_saveexec_b64 s[62:63], s[56:57]
	s_cbranch_execz .LBB442_213
; %bb.142:
	v_mov_b32_e32 v15, 0
	ds_read_u16 v70, v15 offset:524
	v_mbcnt_lo_u32_b32 v13, -1, 0
	v_mbcnt_hi_u32_b32 v18, -1, v13
	s_mov_b32 s75, 0
	v_cmp_eq_u32_e64 s[56:57], 0, v18
	s_and_saveexec_b64 s[60:61], s[56:57]
	s_cbranch_execz .LBB442_144
; %bb.143:
	s_add_i32 s74, s6, 64
	s_lshl_b64 s[74:75], s[74:75], 2
	s_add_u32 s74, s72, s74
	s_addc_u32 s75, s73, s75
	s_waitcnt lgkmcnt(0)
	v_or_b32_e32 v13, 0x10000, v70
	global_store_dword v15, v13, s[74:75]
.LBB442_144:
	s_or_b64 exec, exec, s[60:61]
	v_xad_u32 v13, v18, -1, s6
	v_add_u32_e32 v14, 64, v13
	v_lshlrev_b64 v[16:17], 2, v[14:15]
	v_mov_b32_e32 v14, s73
	v_add_co_u32_e32 v16, vcc, s72, v16
	v_addc_co_u32_e32 v17, vcc, v14, v17, vcc
	global_load_dword v89, v[16:17], off glc
	s_waitcnt vmcnt(0)
	v_lshrrev_b32_e32 v71, 16, v89
	v_cmp_eq_u16_sdwa s[74:75], v71, v15 src0_sel:BYTE_0 src1_sel:DWORD
	s_and_saveexec_b64 s[60:61], s[74:75]
	s_cbranch_execz .LBB442_148
; %bb.145:
	s_mov_b64 s[74:75], 0
	v_mov_b32_e32 v14, 0
.LBB442_146:                            ; =>This Inner Loop Header: Depth=1
	global_load_dword v89, v[16:17], off glc
	s_waitcnt vmcnt(0)
	v_lshrrev_b32_e32 v71, 16, v89
	v_cmp_ne_u16_sdwa s[78:79], v71, v14 src0_sel:BYTE_0 src1_sel:DWORD
	s_or_b64 s[74:75], s[78:79], s[74:75]
	s_andn2_b64 exec, exec, s[74:75]
	s_cbranch_execnz .LBB442_146
; %bb.147:
	s_or_b64 exec, exec, s[74:75]
.LBB442_148:
	s_or_b64 exec, exec, s[60:61]
	v_and_b32_e32 v72, 63, v18
	v_mov_b32_e32 v14, 2
	v_lshlrev_b64 v[15:16], v18, -1
	v_cmp_ne_u32_e32 vcc, 63, v72
	v_cmp_eq_u16_sdwa s[60:61], v71, v14 src0_sel:BYTE_0 src1_sel:DWORD
	v_addc_co_u32_e32 v17, vcc, 0, v18, vcc
	v_and_b32_e32 v14, s61, v16
	v_lshlrev_b32_e32 v73, 2, v17
	v_and_b32_e32 v17, 0xffff, v89
	v_or_b32_e32 v14, 0x80000000, v14
	ds_bpermute_b32 v74, v73, v17
	v_and_b32_e32 v75, s60, v15
	v_ffbl_b32_e32 v14, v14
	v_add_u32_e32 v14, 32, v14
	v_ffbl_b32_e32 v75, v75
	v_min_u32_e32 v14, v75, v14
	v_cmp_lt_u32_e32 vcc, v72, v14
	s_and_saveexec_b64 s[74:75], vcc
	s_cbranch_execz .LBB442_152
; %bb.149:
	s_waitcnt lgkmcnt(0)
	v_lshlrev_b32_e32 v74, 16, v74
	v_lshlrev_b32_e32 v17, 16, v17
	v_max_f32_e32 v76, v17, v17
	v_max_f32_e32 v77, v74, v74
	v_min_f32_e32 v75, v77, v76
	v_cmp_u_f32_e32 vcc, v74, v74
	v_max_f32_e32 v76, v77, v76
	v_cndmask_b32_e32 v75, v75, v74, vcc
	v_cmp_u_f32_e64 s[60:61], v17, v17
	v_cndmask_b32_e32 v76, v76, v74, vcc
	v_cndmask_b32_e64 v75, v75, v17, s[60:61]
	v_cndmask_b32_e64 v17, v76, v17, s[60:61]
	s_movk_i32 s7, 0x1f8
	v_cmp_neq_f32_e32 vcc, v75, v17
	v_cmp_class_f32_e64 s[60:61], v75, s7
	s_or_b64 s[78:79], vcc, s[60:61]
	s_and_saveexec_b64 s[60:61], s[78:79]
	s_cbranch_execz .LBB442_151
; %bb.150:
	v_sub_f32_e32 v74, v75, v17
	s_mov_b32 s7, 0x3fb8aa3b
	v_mul_f32_e32 v75, 0x3fb8aa3b, v74
	v_fma_f32 v76, v74, s7, -v75
	v_rndne_f32_e32 v77, v75
	v_fmac_f32_e32 v76, 0x32a5705f, v74
	v_sub_f32_e32 v75, v75, v77
	v_add_f32_e32 v75, v75, v76
	v_exp_f32_e32 v75, v75
	v_cvt_i32_f32_e32 v76, v77
	s_mov_b32 s7, 0xc2ce8ed0
	v_cmp_ngt_f32_e32 vcc, s7, v74
	s_mov_b32 s7, 0x42b17218
	v_ldexp_f32 v75, v75, v76
	v_cndmask_b32_e32 v75, 0, v75, vcc
	v_mov_b32_e32 v76, 0x7f800000
	v_cmp_nlt_f32_e32 vcc, s7, v74
	v_cndmask_b32_e32 v77, v76, v75, vcc
	v_add_f32_e32 v78, 1.0, v77
	v_cvt_f64_f32_e32 v[74:75], v78
	v_add_f32_e32 v79, -1.0, v78
	v_sub_f32_e32 v80, v79, v78
	v_sub_f32_e32 v79, v77, v79
	v_frexp_exp_i32_f64_e32 v74, v[74:75]
	v_add_f32_e32 v75, 1.0, v80
	v_add_f32_e32 v75, v79, v75
	v_frexp_mant_f32_e32 v79, v78
	s_mov_b32 s77, 0x3f2aaaab
	v_cmp_gt_f32_e32 vcc, s77, v79
	s_mov_b32 s77, 0x3f317218
	s_mov_b32 s7, 0x7f800000
	v_subbrev_co_u32_e32 v74, vcc, 0, v74, vcc
	v_sub_u32_e32 v79, 0, v74
	v_ldexp_f32 v78, v78, v79
	v_ldexp_f32 v75, v75, v79
	v_add_f32_e32 v79, -1.0, v78
	v_add_f32_e32 v82, 1.0, v78
	v_add_f32_e32 v80, 1.0, v79
	v_add_f32_e32 v83, -1.0, v82
	v_sub_f32_e32 v80, v78, v80
	v_sub_f32_e32 v78, v78, v83
	v_add_f32_e32 v80, v75, v80
	v_add_f32_e32 v75, v75, v78
	;; [unrolled: 1-line block ×3, first 2 shown]
	v_rcp_f32_e32 v83, v78
	v_add_f32_e32 v81, v79, v80
	v_sub_f32_e32 v79, v79, v81
	v_add_f32_e32 v79, v80, v79
	v_sub_f32_e32 v80, v82, v78
	v_add_f32_e32 v75, v75, v80
	v_mul_f32_e32 v80, v81, v83
	v_mul_f32_e32 v82, v78, v80
	v_fma_f32 v84, v80, v78, -v82
	v_fmac_f32_e32 v84, v80, v75
	v_add_f32_e32 v85, v82, v84
	v_sub_f32_e32 v86, v81, v85
	v_sub_f32_e32 v81, v81, v86
	;; [unrolled: 1-line block ×4, first 2 shown]
	v_add_f32_e32 v79, v79, v81
	v_sub_f32_e32 v81, v82, v84
	v_add_f32_e32 v79, v81, v79
	v_add_f32_e32 v81, v86, v79
	v_mul_f32_e32 v82, v83, v81
	v_mul_f32_e32 v84, v78, v82
	v_fma_f32 v78, v82, v78, -v84
	v_fmac_f32_e32 v78, v82, v75
	v_sub_f32_e32 v75, v86, v81
	v_add_f32_e32 v75, v79, v75
	v_add_f32_e32 v79, v84, v78
	v_sub_f32_e32 v85, v81, v79
	v_sub_f32_e32 v81, v81, v85
	;; [unrolled: 1-line block ×4, first 2 shown]
	v_add_f32_e32 v75, v75, v79
	v_sub_f32_e32 v78, v84, v78
	v_add_f32_e32 v75, v78, v75
	v_add_f32_e32 v78, v80, v82
	;; [unrolled: 1-line block ×3, first 2 shown]
	v_sub_f32_e32 v79, v78, v80
	v_mul_f32_e32 v75, v83, v75
	v_sub_f32_e32 v79, v82, v79
	v_add_f32_e32 v75, v79, v75
	v_cvt_f32_i32_e32 v74, v74
	v_add_f32_e32 v79, v78, v75
	v_mul_f32_e32 v80, v79, v79
	v_mov_b32_e32 v81, 0x3ecc95a3
	v_fmac_f32_e32 v81, 0x3e9b6dac, v80
	v_mov_b32_e32 v82, 0x3f2aaada
	v_fmac_f32_e32 v82, v80, v81
	v_mul_f32_e32 v81, 0x3f317218, v74
	v_fma_f32 v83, v74, s77, -v81
	v_fmac_f32_e32 v83, 0xb102e308, v74
	v_sub_f32_e32 v74, v79, v78
	v_sub_f32_e32 v74, v75, v74
	v_add_f32_e32 v75, v81, v83
	v_sub_f32_e32 v78, v75, v81
	v_ldexp_f32 v81, v79, 1
	v_mul_f32_e32 v79, v79, v80
	v_mul_f32_e32 v79, v79, v82
	v_add_f32_e32 v80, v81, v79
	v_sub_f32_e32 v81, v80, v81
	v_ldexp_f32 v74, v74, 1
	v_sub_f32_e32 v79, v79, v81
	v_add_f32_e32 v74, v74, v79
	v_add_f32_e32 v79, v80, v74
	v_sub_f32_e32 v80, v79, v80
	v_sub_f32_e32 v74, v74, v80
	v_add_f32_e32 v80, v75, v79
	v_sub_f32_e32 v81, v80, v75
	v_sub_f32_e32 v82, v80, v81
	;; [unrolled: 1-line block ×5, first 2 shown]
	v_add_f32_e32 v75, v79, v75
	v_add_f32_e32 v79, v78, v74
	v_sub_f32_e32 v81, v79, v78
	v_sub_f32_e32 v82, v79, v81
	v_sub_f32_e32 v78, v78, v82
	v_sub_f32_e32 v74, v74, v81
	v_add_f32_e32 v75, v79, v75
	v_add_f32_e32 v74, v74, v78
	;; [unrolled: 1-line block ×3, first 2 shown]
	v_sub_f32_e32 v79, v78, v80
	v_sub_f32_e32 v75, v75, v79
	v_add_f32_e32 v74, v74, v75
	v_add_f32_e32 v74, v78, v74
	v_cmp_neq_f32_e32 vcc, s7, v77
	s_mov_b32 s7, 0x33800000
	v_cndmask_b32_e32 v74, v76, v74, vcc
	v_cmp_lt_f32_e64 vcc, |v77|, s7
	v_cndmask_b32_e32 v74, v74, v77, vcc
	v_add_f32_e32 v74, v17, v74
.LBB442_151:
	s_or_b64 exec, exec, s[60:61]
	v_bfe_u32 v17, v74, 16, 1
	s_movk_i32 s7, 0x7fff
	v_add3_u32 v17, v74, v17, s7
	v_cmp_o_f32_e32 vcc, v74, v74
	v_mov_b32_e32 v74, 0x7fc0
	v_cndmask_b32_sdwa v89, v74, v17, vcc dst_sel:DWORD dst_unused:UNUSED_PAD src0_sel:DWORD src1_sel:WORD_1
	v_and_b32_e32 v17, 0xffff, v89
.LBB442_152:
	s_or_b64 exec, exec, s[74:75]
	v_cmp_gt_u32_e32 vcc, 62, v72
	s_waitcnt lgkmcnt(0)
	v_cndmask_b32_e64 v74, 0, 2, vcc
	v_add_lshl_u32 v74, v74, v18, 2
	ds_bpermute_b32 v76, v74, v17
	v_add_u32_e32 v75, 2, v72
	v_cmp_le_u32_e32 vcc, v75, v14
	s_and_saveexec_b64 s[74:75], vcc
	s_cbranch_execz .LBB442_156
; %bb.153:
	s_waitcnt lgkmcnt(0)
	v_lshlrev_b32_e32 v76, 16, v76
	v_lshlrev_b32_e32 v17, 16, v17
	v_max_f32_e32 v78, v17, v17
	v_max_f32_e32 v79, v76, v76
	v_min_f32_e32 v77, v79, v78
	v_cmp_u_f32_e32 vcc, v76, v76
	v_max_f32_e32 v78, v79, v78
	v_cndmask_b32_e32 v77, v77, v76, vcc
	v_cmp_u_f32_e64 s[60:61], v17, v17
	v_cndmask_b32_e32 v78, v78, v76, vcc
	v_cndmask_b32_e64 v77, v77, v17, s[60:61]
	v_cndmask_b32_e64 v17, v78, v17, s[60:61]
	s_movk_i32 s7, 0x1f8
	v_cmp_neq_f32_e32 vcc, v77, v17
	v_cmp_class_f32_e64 s[60:61], v77, s7
	s_or_b64 s[78:79], vcc, s[60:61]
	s_and_saveexec_b64 s[60:61], s[78:79]
	s_cbranch_execz .LBB442_155
; %bb.154:
	v_sub_f32_e32 v76, v77, v17
	s_mov_b32 s7, 0x3fb8aa3b
	v_mul_f32_e32 v77, 0x3fb8aa3b, v76
	v_fma_f32 v78, v76, s7, -v77
	v_rndne_f32_e32 v79, v77
	v_fmac_f32_e32 v78, 0x32a5705f, v76
	v_sub_f32_e32 v77, v77, v79
	v_add_f32_e32 v77, v77, v78
	v_exp_f32_e32 v77, v77
	v_cvt_i32_f32_e32 v78, v79
	s_mov_b32 s7, 0xc2ce8ed0
	v_cmp_ngt_f32_e32 vcc, s7, v76
	s_mov_b32 s7, 0x42b17218
	v_ldexp_f32 v77, v77, v78
	v_cndmask_b32_e32 v77, 0, v77, vcc
	v_mov_b32_e32 v78, 0x7f800000
	v_cmp_nlt_f32_e32 vcc, s7, v76
	v_cndmask_b32_e32 v79, v78, v77, vcc
	v_add_f32_e32 v80, 1.0, v79
	v_cvt_f64_f32_e32 v[76:77], v80
	v_add_f32_e32 v81, -1.0, v80
	v_sub_f32_e32 v82, v81, v80
	v_sub_f32_e32 v81, v79, v81
	v_frexp_exp_i32_f64_e32 v76, v[76:77]
	v_add_f32_e32 v77, 1.0, v82
	v_add_f32_e32 v77, v81, v77
	v_frexp_mant_f32_e32 v81, v80
	s_mov_b32 s77, 0x3f2aaaab
	v_cmp_gt_f32_e32 vcc, s77, v81
	s_mov_b32 s77, 0x3f317218
	s_mov_b32 s7, 0x7f800000
	v_subbrev_co_u32_e32 v76, vcc, 0, v76, vcc
	v_sub_u32_e32 v81, 0, v76
	v_ldexp_f32 v80, v80, v81
	v_ldexp_f32 v77, v77, v81
	v_add_f32_e32 v81, -1.0, v80
	v_add_f32_e32 v84, 1.0, v80
	v_add_f32_e32 v82, 1.0, v81
	v_add_f32_e32 v85, -1.0, v84
	v_sub_f32_e32 v82, v80, v82
	v_sub_f32_e32 v80, v80, v85
	v_add_f32_e32 v82, v77, v82
	v_add_f32_e32 v77, v77, v80
	;; [unrolled: 1-line block ×3, first 2 shown]
	v_rcp_f32_e32 v85, v80
	v_add_f32_e32 v83, v81, v82
	v_sub_f32_e32 v81, v81, v83
	v_add_f32_e32 v81, v82, v81
	v_sub_f32_e32 v82, v84, v80
	v_add_f32_e32 v77, v77, v82
	v_mul_f32_e32 v82, v83, v85
	v_mul_f32_e32 v84, v80, v82
	v_fma_f32 v86, v82, v80, -v84
	v_fmac_f32_e32 v86, v82, v77
	v_add_f32_e32 v87, v84, v86
	v_sub_f32_e32 v88, v83, v87
	v_sub_f32_e32 v83, v83, v88
	;; [unrolled: 1-line block ×4, first 2 shown]
	v_add_f32_e32 v81, v81, v83
	v_sub_f32_e32 v83, v84, v86
	v_add_f32_e32 v81, v83, v81
	v_add_f32_e32 v83, v88, v81
	v_mul_f32_e32 v84, v85, v83
	v_mul_f32_e32 v86, v80, v84
	v_fma_f32 v80, v84, v80, -v86
	v_fmac_f32_e32 v80, v84, v77
	v_sub_f32_e32 v77, v88, v83
	v_add_f32_e32 v77, v81, v77
	v_add_f32_e32 v81, v86, v80
	v_sub_f32_e32 v87, v83, v81
	v_sub_f32_e32 v83, v83, v87
	;; [unrolled: 1-line block ×4, first 2 shown]
	v_add_f32_e32 v77, v77, v81
	v_sub_f32_e32 v80, v86, v80
	v_add_f32_e32 v77, v80, v77
	v_add_f32_e32 v80, v82, v84
	;; [unrolled: 1-line block ×3, first 2 shown]
	v_sub_f32_e32 v81, v80, v82
	v_mul_f32_e32 v77, v85, v77
	v_sub_f32_e32 v81, v84, v81
	v_add_f32_e32 v77, v81, v77
	v_cvt_f32_i32_e32 v76, v76
	v_add_f32_e32 v81, v80, v77
	v_mul_f32_e32 v82, v81, v81
	v_mov_b32_e32 v83, 0x3ecc95a3
	v_fmac_f32_e32 v83, 0x3e9b6dac, v82
	v_mov_b32_e32 v84, 0x3f2aaada
	v_fmac_f32_e32 v84, v82, v83
	v_mul_f32_e32 v83, 0x3f317218, v76
	v_fma_f32 v85, v76, s77, -v83
	v_fmac_f32_e32 v85, 0xb102e308, v76
	v_sub_f32_e32 v76, v81, v80
	v_sub_f32_e32 v76, v77, v76
	v_add_f32_e32 v77, v83, v85
	v_sub_f32_e32 v80, v77, v83
	v_ldexp_f32 v83, v81, 1
	v_mul_f32_e32 v81, v81, v82
	v_mul_f32_e32 v81, v81, v84
	v_add_f32_e32 v82, v83, v81
	v_sub_f32_e32 v83, v82, v83
	v_ldexp_f32 v76, v76, 1
	v_sub_f32_e32 v81, v81, v83
	v_add_f32_e32 v76, v76, v81
	v_add_f32_e32 v81, v82, v76
	v_sub_f32_e32 v82, v81, v82
	v_sub_f32_e32 v76, v76, v82
	v_add_f32_e32 v82, v77, v81
	v_sub_f32_e32 v83, v82, v77
	v_sub_f32_e32 v84, v82, v83
	;; [unrolled: 1-line block ×5, first 2 shown]
	v_add_f32_e32 v77, v81, v77
	v_add_f32_e32 v81, v80, v76
	v_sub_f32_e32 v83, v81, v80
	v_sub_f32_e32 v84, v81, v83
	;; [unrolled: 1-line block ×4, first 2 shown]
	v_add_f32_e32 v77, v81, v77
	v_add_f32_e32 v76, v76, v80
	v_add_f32_e32 v80, v82, v77
	v_sub_f32_e32 v81, v80, v82
	v_sub_f32_e32 v77, v77, v81
	v_add_f32_e32 v76, v76, v77
	v_add_f32_e32 v76, v80, v76
	v_cmp_neq_f32_e32 vcc, s7, v79
	s_mov_b32 s7, 0x33800000
	v_cndmask_b32_e32 v76, v78, v76, vcc
	v_cmp_lt_f32_e64 vcc, |v79|, s7
	v_cndmask_b32_e32 v76, v76, v79, vcc
	v_add_f32_e32 v76, v17, v76
.LBB442_155:
	s_or_b64 exec, exec, s[60:61]
	v_bfe_u32 v17, v76, 16, 1
	s_movk_i32 s7, 0x7fff
	v_add3_u32 v17, v76, v17, s7
	v_cmp_o_f32_e32 vcc, v76, v76
	v_mov_b32_e32 v76, 0x7fc0
	v_cndmask_b32_sdwa v89, v76, v17, vcc dst_sel:DWORD dst_unused:UNUSED_PAD src0_sel:DWORD src1_sel:WORD_1
	v_and_b32_e32 v17, 0xffff, v89
.LBB442_156:
	s_or_b64 exec, exec, s[74:75]
	v_cmp_gt_u32_e32 vcc, 60, v72
	s_waitcnt lgkmcnt(0)
	v_cndmask_b32_e64 v76, 0, 4, vcc
	v_add_lshl_u32 v76, v76, v18, 2
	ds_bpermute_b32 v78, v76, v17
	v_add_u32_e32 v77, 4, v72
	v_cmp_le_u32_e32 vcc, v77, v14
	s_and_saveexec_b64 s[74:75], vcc
	s_cbranch_execz .LBB442_160
; %bb.157:
	s_waitcnt lgkmcnt(0)
	v_lshlrev_b32_e32 v78, 16, v78
	v_lshlrev_b32_e32 v17, 16, v17
	v_max_f32_e32 v80, v17, v17
	v_max_f32_e32 v81, v78, v78
	v_min_f32_e32 v79, v81, v80
	v_cmp_u_f32_e32 vcc, v78, v78
	v_max_f32_e32 v80, v81, v80
	v_cndmask_b32_e32 v79, v79, v78, vcc
	v_cmp_u_f32_e64 s[60:61], v17, v17
	v_cndmask_b32_e32 v80, v80, v78, vcc
	v_cndmask_b32_e64 v79, v79, v17, s[60:61]
	v_cndmask_b32_e64 v17, v80, v17, s[60:61]
	s_movk_i32 s7, 0x1f8
	v_cmp_neq_f32_e32 vcc, v79, v17
	v_cmp_class_f32_e64 s[60:61], v79, s7
	s_or_b64 s[78:79], vcc, s[60:61]
	s_and_saveexec_b64 s[60:61], s[78:79]
	s_cbranch_execz .LBB442_159
; %bb.158:
	v_sub_f32_e32 v78, v79, v17
	s_mov_b32 s7, 0x3fb8aa3b
	v_mul_f32_e32 v79, 0x3fb8aa3b, v78
	v_fma_f32 v80, v78, s7, -v79
	v_rndne_f32_e32 v81, v79
	v_fmac_f32_e32 v80, 0x32a5705f, v78
	v_sub_f32_e32 v79, v79, v81
	v_add_f32_e32 v79, v79, v80
	v_exp_f32_e32 v79, v79
	v_cvt_i32_f32_e32 v80, v81
	s_mov_b32 s7, 0xc2ce8ed0
	v_cmp_ngt_f32_e32 vcc, s7, v78
	s_mov_b32 s7, 0x42b17218
	v_ldexp_f32 v79, v79, v80
	v_cndmask_b32_e32 v79, 0, v79, vcc
	v_mov_b32_e32 v80, 0x7f800000
	v_cmp_nlt_f32_e32 vcc, s7, v78
	v_cndmask_b32_e32 v81, v80, v79, vcc
	v_add_f32_e32 v82, 1.0, v81
	v_cvt_f64_f32_e32 v[78:79], v82
	v_add_f32_e32 v83, -1.0, v82
	v_sub_f32_e32 v84, v83, v82
	v_sub_f32_e32 v83, v81, v83
	v_frexp_exp_i32_f64_e32 v78, v[78:79]
	v_add_f32_e32 v79, 1.0, v84
	v_add_f32_e32 v79, v83, v79
	v_frexp_mant_f32_e32 v83, v82
	s_mov_b32 s77, 0x3f2aaaab
	v_cmp_gt_f32_e32 vcc, s77, v83
	s_mov_b32 s77, 0x3f317218
	s_mov_b32 s7, 0x7f800000
	v_subbrev_co_u32_e32 v78, vcc, 0, v78, vcc
	v_sub_u32_e32 v83, 0, v78
	v_ldexp_f32 v82, v82, v83
	v_ldexp_f32 v79, v79, v83
	v_add_f32_e32 v83, -1.0, v82
	v_add_f32_e32 v86, 1.0, v82
	v_add_f32_e32 v84, 1.0, v83
	v_add_f32_e32 v87, -1.0, v86
	v_sub_f32_e32 v84, v82, v84
	v_sub_f32_e32 v82, v82, v87
	v_add_f32_e32 v84, v79, v84
	v_add_f32_e32 v79, v79, v82
	;; [unrolled: 1-line block ×3, first 2 shown]
	v_rcp_f32_e32 v87, v82
	v_add_f32_e32 v85, v83, v84
	v_sub_f32_e32 v83, v83, v85
	v_add_f32_e32 v83, v84, v83
	v_sub_f32_e32 v84, v86, v82
	v_add_f32_e32 v79, v79, v84
	v_mul_f32_e32 v84, v85, v87
	v_mul_f32_e32 v86, v82, v84
	v_fma_f32 v88, v84, v82, -v86
	v_fmac_f32_e32 v88, v84, v79
	v_add_f32_e32 v89, v86, v88
	v_sub_f32_e32 v90, v85, v89
	v_sub_f32_e32 v85, v85, v90
	;; [unrolled: 1-line block ×4, first 2 shown]
	v_add_f32_e32 v83, v83, v85
	v_sub_f32_e32 v85, v86, v88
	v_add_f32_e32 v83, v85, v83
	v_add_f32_e32 v85, v90, v83
	v_mul_f32_e32 v86, v87, v85
	v_mul_f32_e32 v88, v82, v86
	v_fma_f32 v82, v86, v82, -v88
	v_fmac_f32_e32 v82, v86, v79
	v_sub_f32_e32 v79, v90, v85
	v_add_f32_e32 v79, v83, v79
	v_add_f32_e32 v83, v88, v82
	v_sub_f32_e32 v89, v85, v83
	v_sub_f32_e32 v85, v85, v89
	;; [unrolled: 1-line block ×4, first 2 shown]
	v_add_f32_e32 v79, v79, v83
	v_sub_f32_e32 v82, v88, v82
	v_add_f32_e32 v79, v82, v79
	v_add_f32_e32 v82, v84, v86
	;; [unrolled: 1-line block ×3, first 2 shown]
	v_sub_f32_e32 v83, v82, v84
	v_mul_f32_e32 v79, v87, v79
	v_sub_f32_e32 v83, v86, v83
	v_add_f32_e32 v79, v83, v79
	v_cvt_f32_i32_e32 v78, v78
	v_add_f32_e32 v83, v82, v79
	v_mul_f32_e32 v84, v83, v83
	v_mov_b32_e32 v85, 0x3ecc95a3
	v_fmac_f32_e32 v85, 0x3e9b6dac, v84
	v_mov_b32_e32 v86, 0x3f2aaada
	v_fmac_f32_e32 v86, v84, v85
	v_mul_f32_e32 v85, 0x3f317218, v78
	v_fma_f32 v87, v78, s77, -v85
	v_fmac_f32_e32 v87, 0xb102e308, v78
	v_sub_f32_e32 v78, v83, v82
	v_sub_f32_e32 v78, v79, v78
	v_add_f32_e32 v79, v85, v87
	v_sub_f32_e32 v82, v79, v85
	v_ldexp_f32 v85, v83, 1
	v_mul_f32_e32 v83, v83, v84
	v_mul_f32_e32 v83, v83, v86
	v_add_f32_e32 v84, v85, v83
	v_sub_f32_e32 v85, v84, v85
	v_ldexp_f32 v78, v78, 1
	v_sub_f32_e32 v83, v83, v85
	v_add_f32_e32 v78, v78, v83
	v_add_f32_e32 v83, v84, v78
	v_sub_f32_e32 v84, v83, v84
	v_sub_f32_e32 v78, v78, v84
	v_add_f32_e32 v84, v79, v83
	v_sub_f32_e32 v85, v84, v79
	v_sub_f32_e32 v86, v84, v85
	;; [unrolled: 1-line block ×5, first 2 shown]
	v_add_f32_e32 v79, v83, v79
	v_add_f32_e32 v83, v82, v78
	v_sub_f32_e32 v85, v83, v82
	v_sub_f32_e32 v86, v83, v85
	;; [unrolled: 1-line block ×4, first 2 shown]
	v_add_f32_e32 v79, v83, v79
	v_add_f32_e32 v78, v78, v82
	;; [unrolled: 1-line block ×3, first 2 shown]
	v_sub_f32_e32 v83, v82, v84
	v_sub_f32_e32 v79, v79, v83
	v_add_f32_e32 v78, v78, v79
	v_add_f32_e32 v78, v82, v78
	v_cmp_neq_f32_e32 vcc, s7, v81
	s_mov_b32 s7, 0x33800000
	v_cndmask_b32_e32 v78, v80, v78, vcc
	v_cmp_lt_f32_e64 vcc, |v81|, s7
	v_cndmask_b32_e32 v78, v78, v81, vcc
	v_add_f32_e32 v78, v17, v78
.LBB442_159:
	s_or_b64 exec, exec, s[60:61]
	v_bfe_u32 v17, v78, 16, 1
	s_movk_i32 s7, 0x7fff
	v_add3_u32 v17, v78, v17, s7
	v_cmp_o_f32_e32 vcc, v78, v78
	v_mov_b32_e32 v78, 0x7fc0
	v_cndmask_b32_sdwa v89, v78, v17, vcc dst_sel:DWORD dst_unused:UNUSED_PAD src0_sel:DWORD src1_sel:WORD_1
	v_and_b32_e32 v17, 0xffff, v89
.LBB442_160:
	s_or_b64 exec, exec, s[74:75]
	v_cmp_gt_u32_e32 vcc, 56, v72
	s_waitcnt lgkmcnt(0)
	v_cndmask_b32_e64 v78, 0, 8, vcc
	v_add_lshl_u32 v78, v78, v18, 2
	ds_bpermute_b32 v80, v78, v17
	v_add_u32_e32 v79, 8, v72
	v_cmp_le_u32_e32 vcc, v79, v14
	s_and_saveexec_b64 s[74:75], vcc
	s_cbranch_execz .LBB442_164
; %bb.161:
	s_waitcnt lgkmcnt(0)
	v_lshlrev_b32_e32 v80, 16, v80
	v_lshlrev_b32_e32 v17, 16, v17
	v_max_f32_e32 v82, v17, v17
	v_max_f32_e32 v83, v80, v80
	v_min_f32_e32 v81, v83, v82
	v_cmp_u_f32_e32 vcc, v80, v80
	v_max_f32_e32 v82, v83, v82
	v_cndmask_b32_e32 v81, v81, v80, vcc
	v_cmp_u_f32_e64 s[60:61], v17, v17
	v_cndmask_b32_e32 v82, v82, v80, vcc
	v_cndmask_b32_e64 v81, v81, v17, s[60:61]
	v_cndmask_b32_e64 v17, v82, v17, s[60:61]
	s_movk_i32 s7, 0x1f8
	v_cmp_neq_f32_e32 vcc, v81, v17
	v_cmp_class_f32_e64 s[60:61], v81, s7
	s_or_b64 s[78:79], vcc, s[60:61]
	s_and_saveexec_b64 s[60:61], s[78:79]
	s_cbranch_execz .LBB442_163
; %bb.162:
	v_sub_f32_e32 v80, v81, v17
	s_mov_b32 s7, 0x3fb8aa3b
	v_mul_f32_e32 v81, 0x3fb8aa3b, v80
	v_fma_f32 v82, v80, s7, -v81
	v_rndne_f32_e32 v83, v81
	v_fmac_f32_e32 v82, 0x32a5705f, v80
	v_sub_f32_e32 v81, v81, v83
	v_add_f32_e32 v81, v81, v82
	v_exp_f32_e32 v81, v81
	v_cvt_i32_f32_e32 v82, v83
	s_mov_b32 s7, 0xc2ce8ed0
	v_cmp_ngt_f32_e32 vcc, s7, v80
	s_mov_b32 s7, 0x42b17218
	v_ldexp_f32 v81, v81, v82
	v_cndmask_b32_e32 v81, 0, v81, vcc
	v_mov_b32_e32 v82, 0x7f800000
	v_cmp_nlt_f32_e32 vcc, s7, v80
	v_cndmask_b32_e32 v83, v82, v81, vcc
	v_add_f32_e32 v84, 1.0, v83
	v_cvt_f64_f32_e32 v[80:81], v84
	v_add_f32_e32 v85, -1.0, v84
	v_sub_f32_e32 v86, v85, v84
	v_sub_f32_e32 v85, v83, v85
	v_frexp_exp_i32_f64_e32 v80, v[80:81]
	v_add_f32_e32 v81, 1.0, v86
	v_add_f32_e32 v81, v85, v81
	v_frexp_mant_f32_e32 v85, v84
	s_mov_b32 s77, 0x3f2aaaab
	v_cmp_gt_f32_e32 vcc, s77, v85
	s_mov_b32 s77, 0x3f317218
	s_mov_b32 s7, 0x7f800000
	v_subbrev_co_u32_e32 v80, vcc, 0, v80, vcc
	v_sub_u32_e32 v85, 0, v80
	v_ldexp_f32 v84, v84, v85
	v_ldexp_f32 v81, v81, v85
	v_add_f32_e32 v85, -1.0, v84
	v_add_f32_e32 v88, 1.0, v84
	v_add_f32_e32 v86, 1.0, v85
	v_add_f32_e32 v89, -1.0, v88
	v_sub_f32_e32 v86, v84, v86
	v_sub_f32_e32 v84, v84, v89
	v_add_f32_e32 v86, v81, v86
	v_add_f32_e32 v81, v81, v84
	;; [unrolled: 1-line block ×3, first 2 shown]
	v_rcp_f32_e32 v89, v84
	v_add_f32_e32 v87, v85, v86
	v_sub_f32_e32 v85, v85, v87
	v_add_f32_e32 v85, v86, v85
	v_sub_f32_e32 v86, v88, v84
	v_add_f32_e32 v81, v81, v86
	v_mul_f32_e32 v86, v87, v89
	v_mul_f32_e32 v88, v84, v86
	v_fma_f32 v90, v86, v84, -v88
	v_fmac_f32_e32 v90, v86, v81
	v_add_f32_e32 v91, v88, v90
	v_sub_f32_e32 v92, v87, v91
	v_sub_f32_e32 v87, v87, v92
	;; [unrolled: 1-line block ×4, first 2 shown]
	v_add_f32_e32 v85, v85, v87
	v_sub_f32_e32 v87, v88, v90
	v_add_f32_e32 v85, v87, v85
	v_add_f32_e32 v87, v92, v85
	v_mul_f32_e32 v88, v89, v87
	v_mul_f32_e32 v90, v84, v88
	v_fma_f32 v84, v88, v84, -v90
	v_fmac_f32_e32 v84, v88, v81
	v_sub_f32_e32 v81, v92, v87
	v_add_f32_e32 v81, v85, v81
	v_add_f32_e32 v85, v90, v84
	v_sub_f32_e32 v91, v87, v85
	v_sub_f32_e32 v87, v87, v91
	;; [unrolled: 1-line block ×4, first 2 shown]
	v_add_f32_e32 v81, v81, v85
	v_sub_f32_e32 v84, v90, v84
	v_add_f32_e32 v81, v84, v81
	v_add_f32_e32 v84, v86, v88
	;; [unrolled: 1-line block ×3, first 2 shown]
	v_sub_f32_e32 v85, v84, v86
	v_mul_f32_e32 v81, v89, v81
	v_sub_f32_e32 v85, v88, v85
	v_add_f32_e32 v81, v85, v81
	v_cvt_f32_i32_e32 v80, v80
	v_add_f32_e32 v85, v84, v81
	v_mul_f32_e32 v86, v85, v85
	v_mov_b32_e32 v87, 0x3ecc95a3
	v_fmac_f32_e32 v87, 0x3e9b6dac, v86
	v_mov_b32_e32 v88, 0x3f2aaada
	v_fmac_f32_e32 v88, v86, v87
	v_mul_f32_e32 v87, 0x3f317218, v80
	v_fma_f32 v89, v80, s77, -v87
	v_fmac_f32_e32 v89, 0xb102e308, v80
	v_sub_f32_e32 v80, v85, v84
	v_sub_f32_e32 v80, v81, v80
	v_add_f32_e32 v81, v87, v89
	v_sub_f32_e32 v84, v81, v87
	v_ldexp_f32 v87, v85, 1
	v_mul_f32_e32 v85, v85, v86
	v_mul_f32_e32 v85, v85, v88
	v_add_f32_e32 v86, v87, v85
	v_sub_f32_e32 v87, v86, v87
	v_ldexp_f32 v80, v80, 1
	v_sub_f32_e32 v85, v85, v87
	v_add_f32_e32 v80, v80, v85
	v_add_f32_e32 v85, v86, v80
	v_sub_f32_e32 v86, v85, v86
	v_sub_f32_e32 v80, v80, v86
	v_add_f32_e32 v86, v81, v85
	v_sub_f32_e32 v87, v86, v81
	v_sub_f32_e32 v88, v86, v87
	;; [unrolled: 1-line block ×5, first 2 shown]
	v_add_f32_e32 v81, v85, v81
	v_add_f32_e32 v85, v84, v80
	v_sub_f32_e32 v87, v85, v84
	v_sub_f32_e32 v88, v85, v87
	;; [unrolled: 1-line block ×4, first 2 shown]
	v_add_f32_e32 v81, v85, v81
	v_add_f32_e32 v80, v80, v84
	;; [unrolled: 1-line block ×3, first 2 shown]
	v_sub_f32_e32 v85, v84, v86
	v_sub_f32_e32 v81, v81, v85
	v_add_f32_e32 v80, v80, v81
	v_add_f32_e32 v80, v84, v80
	v_cmp_neq_f32_e32 vcc, s7, v83
	s_mov_b32 s7, 0x33800000
	v_cndmask_b32_e32 v80, v82, v80, vcc
	v_cmp_lt_f32_e64 vcc, |v83|, s7
	v_cndmask_b32_e32 v80, v80, v83, vcc
	v_add_f32_e32 v80, v17, v80
.LBB442_163:
	s_or_b64 exec, exec, s[60:61]
	v_bfe_u32 v17, v80, 16, 1
	s_movk_i32 s7, 0x7fff
	v_add3_u32 v17, v80, v17, s7
	v_cmp_o_f32_e32 vcc, v80, v80
	v_mov_b32_e32 v80, 0x7fc0
	v_cndmask_b32_sdwa v89, v80, v17, vcc dst_sel:DWORD dst_unused:UNUSED_PAD src0_sel:DWORD src1_sel:WORD_1
	v_and_b32_e32 v17, 0xffff, v89
.LBB442_164:
	s_or_b64 exec, exec, s[74:75]
	v_cmp_gt_u32_e32 vcc, 48, v72
	s_waitcnt lgkmcnt(0)
	v_cndmask_b32_e64 v80, 0, 16, vcc
	v_add_lshl_u32 v80, v80, v18, 2
	ds_bpermute_b32 v82, v80, v17
	v_add_u32_e32 v81, 16, v72
	v_cmp_le_u32_e32 vcc, v81, v14
	s_and_saveexec_b64 s[74:75], vcc
	s_cbranch_execz .LBB442_168
; %bb.165:
	s_waitcnt lgkmcnt(0)
	v_lshlrev_b32_e32 v82, 16, v82
	v_lshlrev_b32_e32 v17, 16, v17
	v_max_f32_e32 v84, v17, v17
	v_max_f32_e32 v85, v82, v82
	v_min_f32_e32 v83, v85, v84
	v_cmp_u_f32_e32 vcc, v82, v82
	v_max_f32_e32 v84, v85, v84
	v_cndmask_b32_e32 v83, v83, v82, vcc
	v_cmp_u_f32_e64 s[60:61], v17, v17
	v_cndmask_b32_e32 v84, v84, v82, vcc
	v_cndmask_b32_e64 v83, v83, v17, s[60:61]
	v_cndmask_b32_e64 v17, v84, v17, s[60:61]
	s_movk_i32 s7, 0x1f8
	v_cmp_neq_f32_e32 vcc, v83, v17
	v_cmp_class_f32_e64 s[60:61], v83, s7
	s_or_b64 s[78:79], vcc, s[60:61]
	s_and_saveexec_b64 s[60:61], s[78:79]
	s_cbranch_execz .LBB442_167
; %bb.166:
	v_sub_f32_e32 v82, v83, v17
	s_mov_b32 s7, 0x3fb8aa3b
	v_mul_f32_e32 v83, 0x3fb8aa3b, v82
	v_fma_f32 v84, v82, s7, -v83
	v_rndne_f32_e32 v85, v83
	v_fmac_f32_e32 v84, 0x32a5705f, v82
	v_sub_f32_e32 v83, v83, v85
	v_add_f32_e32 v83, v83, v84
	v_exp_f32_e32 v83, v83
	v_cvt_i32_f32_e32 v84, v85
	s_mov_b32 s7, 0xc2ce8ed0
	v_cmp_ngt_f32_e32 vcc, s7, v82
	s_mov_b32 s7, 0x42b17218
	v_ldexp_f32 v83, v83, v84
	v_cndmask_b32_e32 v83, 0, v83, vcc
	v_mov_b32_e32 v84, 0x7f800000
	v_cmp_nlt_f32_e32 vcc, s7, v82
	v_cndmask_b32_e32 v85, v84, v83, vcc
	v_add_f32_e32 v86, 1.0, v85
	v_cvt_f64_f32_e32 v[82:83], v86
	v_add_f32_e32 v87, -1.0, v86
	v_sub_f32_e32 v88, v87, v86
	v_sub_f32_e32 v87, v85, v87
	v_frexp_exp_i32_f64_e32 v82, v[82:83]
	v_add_f32_e32 v83, 1.0, v88
	v_add_f32_e32 v83, v87, v83
	v_frexp_mant_f32_e32 v87, v86
	s_mov_b32 s77, 0x3f2aaaab
	v_cmp_gt_f32_e32 vcc, s77, v87
	s_mov_b32 s77, 0x3f317218
	s_mov_b32 s7, 0x7f800000
	v_subbrev_co_u32_e32 v82, vcc, 0, v82, vcc
	v_sub_u32_e32 v87, 0, v82
	v_ldexp_f32 v86, v86, v87
	v_ldexp_f32 v83, v83, v87
	v_add_f32_e32 v87, -1.0, v86
	v_add_f32_e32 v90, 1.0, v86
	v_add_f32_e32 v88, 1.0, v87
	v_add_f32_e32 v91, -1.0, v90
	v_sub_f32_e32 v88, v86, v88
	v_sub_f32_e32 v86, v86, v91
	v_add_f32_e32 v88, v83, v88
	v_add_f32_e32 v83, v83, v86
	;; [unrolled: 1-line block ×3, first 2 shown]
	v_rcp_f32_e32 v91, v86
	v_add_f32_e32 v89, v87, v88
	v_sub_f32_e32 v87, v87, v89
	v_add_f32_e32 v87, v88, v87
	v_sub_f32_e32 v88, v90, v86
	v_add_f32_e32 v83, v83, v88
	v_mul_f32_e32 v88, v89, v91
	v_mul_f32_e32 v90, v86, v88
	v_fma_f32 v92, v88, v86, -v90
	v_fmac_f32_e32 v92, v88, v83
	v_add_f32_e32 v93, v90, v92
	v_sub_f32_e32 v94, v89, v93
	v_sub_f32_e32 v89, v89, v94
	;; [unrolled: 1-line block ×4, first 2 shown]
	v_add_f32_e32 v87, v87, v89
	v_sub_f32_e32 v89, v90, v92
	v_add_f32_e32 v87, v89, v87
	v_add_f32_e32 v89, v94, v87
	v_mul_f32_e32 v90, v91, v89
	v_mul_f32_e32 v92, v86, v90
	v_fma_f32 v86, v90, v86, -v92
	v_fmac_f32_e32 v86, v90, v83
	v_sub_f32_e32 v83, v94, v89
	v_add_f32_e32 v83, v87, v83
	v_add_f32_e32 v87, v92, v86
	v_sub_f32_e32 v93, v89, v87
	v_sub_f32_e32 v89, v89, v93
	;; [unrolled: 1-line block ×4, first 2 shown]
	v_add_f32_e32 v83, v83, v87
	v_sub_f32_e32 v86, v92, v86
	v_add_f32_e32 v83, v86, v83
	v_add_f32_e32 v86, v88, v90
	;; [unrolled: 1-line block ×3, first 2 shown]
	v_sub_f32_e32 v87, v86, v88
	v_mul_f32_e32 v83, v91, v83
	v_sub_f32_e32 v87, v90, v87
	v_add_f32_e32 v83, v87, v83
	v_cvt_f32_i32_e32 v82, v82
	v_add_f32_e32 v87, v86, v83
	v_mul_f32_e32 v88, v87, v87
	v_mov_b32_e32 v89, 0x3ecc95a3
	v_fmac_f32_e32 v89, 0x3e9b6dac, v88
	v_mov_b32_e32 v90, 0x3f2aaada
	v_fmac_f32_e32 v90, v88, v89
	v_mul_f32_e32 v89, 0x3f317218, v82
	v_fma_f32 v91, v82, s77, -v89
	v_fmac_f32_e32 v91, 0xb102e308, v82
	v_sub_f32_e32 v82, v87, v86
	v_sub_f32_e32 v82, v83, v82
	v_add_f32_e32 v83, v89, v91
	v_sub_f32_e32 v86, v83, v89
	v_ldexp_f32 v89, v87, 1
	v_mul_f32_e32 v87, v87, v88
	v_mul_f32_e32 v87, v87, v90
	v_add_f32_e32 v88, v89, v87
	v_sub_f32_e32 v89, v88, v89
	v_ldexp_f32 v82, v82, 1
	v_sub_f32_e32 v87, v87, v89
	v_add_f32_e32 v82, v82, v87
	v_add_f32_e32 v87, v88, v82
	v_sub_f32_e32 v88, v87, v88
	v_sub_f32_e32 v82, v82, v88
	v_add_f32_e32 v88, v83, v87
	v_sub_f32_e32 v89, v88, v83
	v_sub_f32_e32 v90, v88, v89
	;; [unrolled: 1-line block ×5, first 2 shown]
	v_add_f32_e32 v83, v87, v83
	v_add_f32_e32 v87, v86, v82
	v_sub_f32_e32 v89, v87, v86
	v_sub_f32_e32 v90, v87, v89
	;; [unrolled: 1-line block ×4, first 2 shown]
	v_add_f32_e32 v83, v87, v83
	v_add_f32_e32 v82, v82, v86
	;; [unrolled: 1-line block ×3, first 2 shown]
	v_sub_f32_e32 v87, v86, v88
	v_sub_f32_e32 v83, v83, v87
	v_add_f32_e32 v82, v82, v83
	v_add_f32_e32 v82, v86, v82
	v_cmp_neq_f32_e32 vcc, s7, v85
	s_mov_b32 s7, 0x33800000
	v_cndmask_b32_e32 v82, v84, v82, vcc
	v_cmp_lt_f32_e64 vcc, |v85|, s7
	v_cndmask_b32_e32 v82, v82, v85, vcc
	v_add_f32_e32 v82, v17, v82
.LBB442_167:
	s_or_b64 exec, exec, s[60:61]
	v_bfe_u32 v17, v82, 16, 1
	s_movk_i32 s7, 0x7fff
	v_add3_u32 v17, v82, v17, s7
	v_cmp_o_f32_e32 vcc, v82, v82
	v_mov_b32_e32 v82, 0x7fc0
	v_cndmask_b32_sdwa v89, v82, v17, vcc dst_sel:DWORD dst_unused:UNUSED_PAD src0_sel:DWORD src1_sel:WORD_1
	v_and_b32_e32 v17, 0xffff, v89
.LBB442_168:
	s_or_b64 exec, exec, s[74:75]
	s_waitcnt lgkmcnt(0)
	v_mov_b32_e32 v82, 0x80
	v_lshl_or_b32 v82, v18, 2, v82
	ds_bpermute_b32 v18, v82, v17
	v_add_u32_e32 v83, 32, v72
	v_cmp_le_u32_e32 vcc, v83, v14
	s_and_saveexec_b64 s[74:75], vcc
	s_cbranch_execz .LBB442_172
; %bb.169:
	s_waitcnt lgkmcnt(0)
	v_lshlrev_b32_e32 v18, 16, v18
	v_lshlrev_b32_e32 v14, 16, v17
	v_max_f32_e32 v84, v14, v14
	v_max_f32_e32 v85, v18, v18
	v_min_f32_e32 v17, v85, v84
	v_cmp_u_f32_e32 vcc, v18, v18
	v_max_f32_e32 v84, v85, v84
	v_cndmask_b32_e32 v17, v17, v18, vcc
	v_cmp_u_f32_e64 s[60:61], v14, v14
	v_cndmask_b32_e32 v84, v84, v18, vcc
	v_cndmask_b32_e64 v17, v17, v14, s[60:61]
	v_cndmask_b32_e64 v14, v84, v14, s[60:61]
	s_movk_i32 s7, 0x1f8
	v_cmp_neq_f32_e32 vcc, v17, v14
	v_cmp_class_f32_e64 s[60:61], v17, s7
	s_or_b64 s[78:79], vcc, s[60:61]
	s_and_saveexec_b64 s[60:61], s[78:79]
	s_cbranch_execz .LBB442_171
; %bb.170:
	v_sub_f32_e32 v17, v17, v14
	s_mov_b32 s7, 0x3fb8aa3b
	v_mul_f32_e32 v18, 0x3fb8aa3b, v17
	v_fma_f32 v84, v17, s7, -v18
	v_rndne_f32_e32 v85, v18
	v_fmac_f32_e32 v84, 0x32a5705f, v17
	v_sub_f32_e32 v18, v18, v85
	v_add_f32_e32 v18, v18, v84
	v_exp_f32_e32 v18, v18
	v_cvt_i32_f32_e32 v84, v85
	s_mov_b32 s7, 0xc2ce8ed0
	v_cmp_ngt_f32_e32 vcc, s7, v17
	s_mov_b32 s7, 0x42b17218
	v_ldexp_f32 v18, v18, v84
	v_cndmask_b32_e32 v18, 0, v18, vcc
	v_mov_b32_e32 v84, 0x7f800000
	v_cmp_nlt_f32_e32 vcc, s7, v17
	v_cndmask_b32_e32 v85, v84, v18, vcc
	v_add_f32_e32 v86, 1.0, v85
	v_cvt_f64_f32_e32 v[17:18], v86
	v_add_f32_e32 v87, -1.0, v86
	v_sub_f32_e32 v88, v87, v86
	v_sub_f32_e32 v87, v85, v87
	v_frexp_exp_i32_f64_e32 v17, v[17:18]
	v_add_f32_e32 v18, 1.0, v88
	v_add_f32_e32 v18, v87, v18
	v_frexp_mant_f32_e32 v87, v86
	s_mov_b32 s77, 0x3f2aaaab
	v_cmp_gt_f32_e32 vcc, s77, v87
	s_mov_b32 s77, 0x3f317218
	s_mov_b32 s7, 0x7f800000
	v_subbrev_co_u32_e32 v17, vcc, 0, v17, vcc
	v_sub_u32_e32 v87, 0, v17
	v_ldexp_f32 v86, v86, v87
	v_ldexp_f32 v18, v18, v87
	v_add_f32_e32 v87, -1.0, v86
	v_add_f32_e32 v90, 1.0, v86
	v_add_f32_e32 v88, 1.0, v87
	v_add_f32_e32 v91, -1.0, v90
	v_sub_f32_e32 v88, v86, v88
	v_sub_f32_e32 v86, v86, v91
	v_add_f32_e32 v88, v18, v88
	v_add_f32_e32 v18, v18, v86
	;; [unrolled: 1-line block ×3, first 2 shown]
	v_rcp_f32_e32 v91, v86
	v_add_f32_e32 v89, v87, v88
	v_sub_f32_e32 v87, v87, v89
	v_add_f32_e32 v87, v88, v87
	v_sub_f32_e32 v88, v90, v86
	v_add_f32_e32 v18, v18, v88
	v_mul_f32_e32 v88, v89, v91
	v_mul_f32_e32 v90, v86, v88
	v_fma_f32 v92, v88, v86, -v90
	v_fmac_f32_e32 v92, v88, v18
	v_add_f32_e32 v93, v90, v92
	v_sub_f32_e32 v94, v89, v93
	v_sub_f32_e32 v89, v89, v94
	;; [unrolled: 1-line block ×4, first 2 shown]
	v_add_f32_e32 v87, v87, v89
	v_sub_f32_e32 v89, v90, v92
	v_add_f32_e32 v87, v89, v87
	v_add_f32_e32 v89, v94, v87
	v_mul_f32_e32 v90, v91, v89
	v_mul_f32_e32 v92, v86, v90
	v_fma_f32 v86, v90, v86, -v92
	v_fmac_f32_e32 v86, v90, v18
	v_sub_f32_e32 v18, v94, v89
	v_add_f32_e32 v18, v87, v18
	v_add_f32_e32 v87, v92, v86
	v_sub_f32_e32 v93, v89, v87
	v_sub_f32_e32 v89, v89, v93
	;; [unrolled: 1-line block ×4, first 2 shown]
	v_add_f32_e32 v18, v18, v87
	v_sub_f32_e32 v86, v92, v86
	v_add_f32_e32 v18, v86, v18
	v_add_f32_e32 v86, v88, v90
	;; [unrolled: 1-line block ×3, first 2 shown]
	v_sub_f32_e32 v87, v86, v88
	v_mul_f32_e32 v18, v91, v18
	v_sub_f32_e32 v87, v90, v87
	v_add_f32_e32 v18, v87, v18
	v_cvt_f32_i32_e32 v17, v17
	v_add_f32_e32 v87, v86, v18
	v_mul_f32_e32 v88, v87, v87
	v_mov_b32_e32 v89, 0x3ecc95a3
	v_fmac_f32_e32 v89, 0x3e9b6dac, v88
	v_mov_b32_e32 v90, 0x3f2aaada
	v_fmac_f32_e32 v90, v88, v89
	v_mul_f32_e32 v89, 0x3f317218, v17
	v_fma_f32 v91, v17, s77, -v89
	v_fmac_f32_e32 v91, 0xb102e308, v17
	v_sub_f32_e32 v17, v87, v86
	v_sub_f32_e32 v17, v18, v17
	v_add_f32_e32 v18, v89, v91
	v_sub_f32_e32 v86, v18, v89
	v_ldexp_f32 v89, v87, 1
	v_mul_f32_e32 v87, v87, v88
	v_mul_f32_e32 v87, v87, v90
	v_add_f32_e32 v88, v89, v87
	v_sub_f32_e32 v89, v88, v89
	v_ldexp_f32 v17, v17, 1
	v_sub_f32_e32 v87, v87, v89
	v_add_f32_e32 v17, v17, v87
	v_add_f32_e32 v87, v88, v17
	v_sub_f32_e32 v88, v87, v88
	v_sub_f32_e32 v17, v17, v88
	v_add_f32_e32 v88, v18, v87
	v_sub_f32_e32 v89, v88, v18
	v_sub_f32_e32 v90, v88, v89
	;; [unrolled: 1-line block ×5, first 2 shown]
	v_add_f32_e32 v18, v87, v18
	v_add_f32_e32 v87, v86, v17
	v_sub_f32_e32 v89, v87, v86
	v_sub_f32_e32 v90, v87, v89
	;; [unrolled: 1-line block ×4, first 2 shown]
	v_add_f32_e32 v18, v87, v18
	v_add_f32_e32 v17, v17, v86
	;; [unrolled: 1-line block ×3, first 2 shown]
	v_sub_f32_e32 v87, v86, v88
	v_sub_f32_e32 v18, v18, v87
	v_add_f32_e32 v17, v17, v18
	v_add_f32_e32 v17, v86, v17
	v_cmp_neq_f32_e32 vcc, s7, v85
	s_mov_b32 s7, 0x33800000
	v_cndmask_b32_e32 v17, v84, v17, vcc
	v_cmp_lt_f32_e64 vcc, |v85|, s7
	v_cndmask_b32_e32 v17, v17, v85, vcc
	v_add_f32_e32 v18, v14, v17
.LBB442_171:
	s_or_b64 exec, exec, s[60:61]
	v_bfe_u32 v14, v18, 16, 1
	s_movk_i32 s7, 0x7fff
	v_add3_u32 v14, v18, v14, s7
	v_cmp_o_f32_e32 vcc, v18, v18
	v_mov_b32_e32 v17, 0x7fc0
	v_cndmask_b32_sdwa v89, v17, v14, vcc dst_sel:DWORD dst_unused:UNUSED_PAD src0_sel:DWORD src1_sel:WORD_1
.LBB442_172:
	s_or_b64 exec, exec, s[74:75]
	v_mov_b32_e32 v14, 0
	s_movk_i32 s7, 0x1f8
	s_mov_b32 s77, 0x3fb8aa3b
	s_mov_b32 s78, 0xc2ce8ed0
	;; [unrolled: 1-line block ×5, first 2 shown]
	v_mov_b32_e32 v85, 0x3f2aaada
	s_mov_b32 s82, 0x3f317218
	s_mov_b32 s83, 0x33800000
	s_movk_i32 s84, 0x7fff
	v_mov_b32_e32 v86, 2
	v_mov_b32_e32 v87, 0x7f800000
	;; [unrolled: 1-line block ×3, first 2 shown]
	s_branch .LBB442_175
.LBB442_173:                            ;   in Loop: Header=BB442_175 Depth=1
	s_or_b64 exec, exec, s[60:61]
	v_bfe_u32 v17, v18, 16, 1
	v_add3_u32 v17, v18, v17, s84
	v_cmp_o_f32_e32 vcc, v18, v18
	v_subrev_u32_e32 v13, 64, v13
	v_cndmask_b32_sdwa v89, v88, v17, vcc dst_sel:DWORD dst_unused:UNUSED_PAD src0_sel:DWORD src1_sel:WORD_1
	s_mov_b64 s[60:61], 0
.LBB442_174:                            ;   in Loop: Header=BB442_175 Depth=1
	s_and_b64 vcc, exec, s[60:61]
	s_cbranch_vccnz .LBB442_207
.LBB442_175:                            ; =>This Loop Header: Depth=1
                                        ;     Child Loop BB442_178 Depth 2
	v_cmp_ne_u16_sdwa s[60:61], v71, v86 src0_sel:BYTE_0 src1_sel:DWORD
	v_mov_b32_e32 v84, v89
	s_cmp_lg_u64 s[60:61], exec
	s_mov_b64 s[60:61], -1
                                        ; implicit-def: $vgpr89
                                        ; implicit-def: $vgpr71
	s_cbranch_scc1 .LBB442_174
; %bb.176:                              ;   in Loop: Header=BB442_175 Depth=1
	s_waitcnt lgkmcnt(0)
	v_lshlrev_b64 v[17:18], 2, v[13:14]
	v_mov_b32_e32 v71, s73
	v_add_co_u32_e32 v17, vcc, s72, v17
	v_addc_co_u32_e32 v18, vcc, v71, v18, vcc
	global_load_dword v89, v[17:18], off glc
	s_waitcnt vmcnt(0)
	v_lshrrev_b32_e32 v71, 16, v89
	v_cmp_eq_u16_sdwa s[74:75], v71, v14 src0_sel:BYTE_0 src1_sel:DWORD
	s_and_saveexec_b64 s[60:61], s[74:75]
	s_cbranch_execz .LBB442_180
; %bb.177:                              ;   in Loop: Header=BB442_175 Depth=1
	s_mov_b64 s[74:75], 0
.LBB442_178:                            ;   Parent Loop BB442_175 Depth=1
                                        ; =>  This Inner Loop Header: Depth=2
	global_load_dword v89, v[17:18], off glc
	s_waitcnt vmcnt(0)
	v_lshrrev_b32_e32 v71, 16, v89
	v_cmp_ne_u16_sdwa s[86:87], v71, v14 src0_sel:BYTE_0 src1_sel:DWORD
	s_or_b64 s[74:75], s[86:87], s[74:75]
	s_andn2_b64 exec, exec, s[74:75]
	s_cbranch_execnz .LBB442_178
; %bb.179:                              ;   in Loop: Header=BB442_175 Depth=1
	s_or_b64 exec, exec, s[74:75]
.LBB442_180:                            ;   in Loop: Header=BB442_175 Depth=1
	s_or_b64 exec, exec, s[60:61]
	v_cmp_eq_u16_sdwa s[60:61], v71, v86 src0_sel:BYTE_0 src1_sel:DWORD
	v_and_b32_e32 v17, s61, v16
	v_and_b32_e32 v18, 0xffff, v89
	v_or_b32_e32 v17, 0x80000000, v17
	ds_bpermute_b32 v90, v73, v18
	v_and_b32_e32 v91, s60, v15
	v_ffbl_b32_e32 v17, v17
	v_add_u32_e32 v17, 32, v17
	v_ffbl_b32_e32 v91, v91
	v_min_u32_e32 v17, v91, v17
	v_cmp_lt_u32_e32 vcc, v72, v17
	s_and_saveexec_b64 s[74:75], vcc
	s_cbranch_execz .LBB442_184
; %bb.181:                              ;   in Loop: Header=BB442_175 Depth=1
	s_waitcnt lgkmcnt(0)
	v_lshlrev_b32_e32 v89, 16, v90
	v_lshlrev_b32_e32 v18, 16, v18
	v_max_f32_e32 v91, v18, v18
	v_max_f32_e32 v92, v89, v89
	v_min_f32_e32 v90, v92, v91
	v_cmp_u_f32_e32 vcc, v89, v89
	v_max_f32_e32 v91, v92, v91
	v_cndmask_b32_e32 v90, v90, v89, vcc
	v_cmp_u_f32_e64 s[60:61], v18, v18
	v_cndmask_b32_e32 v91, v91, v89, vcc
	v_cndmask_b32_e64 v90, v90, v18, s[60:61]
	v_cndmask_b32_e64 v18, v91, v18, s[60:61]
	v_cmp_neq_f32_e32 vcc, v90, v18
	v_cmp_class_f32_e64 s[60:61], v90, s7
	s_or_b64 s[86:87], vcc, s[60:61]
	s_and_saveexec_b64 s[60:61], s[86:87]
	s_cbranch_execz .LBB442_183
; %bb.182:                              ;   in Loop: Header=BB442_175 Depth=1
	v_sub_f32_e32 v89, v90, v18
	v_mul_f32_e32 v90, 0x3fb8aa3b, v89
	v_fma_f32 v91, v89, s77, -v90
	v_rndne_f32_e32 v92, v90
	v_fmac_f32_e32 v91, 0x32a5705f, v89
	v_sub_f32_e32 v90, v90, v92
	v_add_f32_e32 v90, v90, v91
	v_cvt_i32_f32_e32 v91, v92
	v_exp_f32_e32 v90, v90
	v_cmp_ngt_f32_e32 vcc, s78, v89
	v_ldexp_f32 v90, v90, v91
	v_cndmask_b32_e32 v90, 0, v90, vcc
	v_cmp_nlt_f32_e32 vcc, s79, v89
	v_cndmask_b32_e32 v91, v87, v90, vcc
	v_add_f32_e32 v92, 1.0, v91
	v_cvt_f64_f32_e32 v[89:90], v92
	v_add_f32_e32 v93, -1.0, v92
	v_sub_f32_e32 v94, v93, v92
	v_sub_f32_e32 v93, v91, v93
	v_frexp_exp_i32_f64_e32 v89, v[89:90]
	v_frexp_mant_f32_e32 v90, v92
	v_cmp_gt_f32_e32 vcc, s81, v90
	v_add_f32_e32 v94, 1.0, v94
	v_add_f32_e32 v93, v93, v94
	v_subbrev_co_u32_e32 v89, vcc, 0, v89, vcc
	v_sub_u32_e32 v90, 0, v89
	v_ldexp_f32 v92, v92, v90
	v_ldexp_f32 v90, v93, v90
	v_add_f32_e32 v93, -1.0, v92
	v_add_f32_e32 v96, 1.0, v92
	v_add_f32_e32 v94, 1.0, v93
	v_add_f32_e32 v97, -1.0, v96
	v_sub_f32_e32 v94, v92, v94
	v_sub_f32_e32 v92, v92, v97
	v_add_f32_e32 v94, v90, v94
	v_add_f32_e32 v90, v90, v92
	;; [unrolled: 1-line block ×3, first 2 shown]
	v_rcp_f32_e32 v97, v92
	v_add_f32_e32 v95, v93, v94
	v_sub_f32_e32 v93, v93, v95
	v_add_f32_e32 v93, v94, v93
	v_sub_f32_e32 v94, v96, v92
	v_add_f32_e32 v90, v90, v94
	v_mul_f32_e32 v94, v95, v97
	v_mul_f32_e32 v96, v92, v94
	v_fma_f32 v98, v94, v92, -v96
	v_fmac_f32_e32 v98, v94, v90
	v_add_f32_e32 v99, v96, v98
	v_sub_f32_e32 v100, v95, v99
	v_sub_f32_e32 v95, v95, v100
	;; [unrolled: 1-line block ×4, first 2 shown]
	v_add_f32_e32 v93, v93, v95
	v_sub_f32_e32 v95, v96, v98
	v_add_f32_e32 v93, v95, v93
	v_add_f32_e32 v95, v100, v93
	v_mul_f32_e32 v96, v97, v95
	v_mul_f32_e32 v98, v92, v96
	v_fma_f32 v92, v96, v92, -v98
	v_fmac_f32_e32 v92, v96, v90
	v_sub_f32_e32 v90, v100, v95
	v_add_f32_e32 v90, v93, v90
	v_add_f32_e32 v93, v98, v92
	v_sub_f32_e32 v99, v95, v93
	v_sub_f32_e32 v95, v95, v99
	;; [unrolled: 1-line block ×4, first 2 shown]
	v_add_f32_e32 v90, v90, v93
	v_sub_f32_e32 v92, v98, v92
	v_cvt_f32_i32_e32 v89, v89
	v_add_f32_e32 v90, v92, v90
	v_add_f32_e32 v92, v94, v96
	;; [unrolled: 1-line block ×3, first 2 shown]
	v_sub_f32_e32 v93, v92, v94
	v_mul_f32_e32 v90, v97, v90
	v_sub_f32_e32 v93, v96, v93
	v_add_f32_e32 v90, v93, v90
	v_mul_f32_e32 v96, 0x3f317218, v89
	v_add_f32_e32 v93, v92, v90
	v_fma_f32 v97, v89, s82, -v96
	v_mul_f32_e32 v94, v93, v93
	v_mov_b32_e32 v95, 0x3ecc95a3
	v_fmac_f32_e32 v97, 0xb102e308, v89
	v_sub_f32_e32 v89, v93, v92
	v_fmac_f32_e32 v95, 0x3e9b6dac, v94
	v_sub_f32_e32 v89, v90, v89
	v_add_f32_e32 v90, v96, v97
	v_fma_f32 v95, v94, v95, v85
	v_sub_f32_e32 v92, v90, v96
	v_ldexp_f32 v96, v93, 1
	v_mul_f32_e32 v93, v93, v94
	v_mul_f32_e32 v93, v93, v95
	v_add_f32_e32 v94, v96, v93
	v_sub_f32_e32 v95, v94, v96
	v_ldexp_f32 v89, v89, 1
	v_sub_f32_e32 v93, v93, v95
	v_add_f32_e32 v89, v89, v93
	v_add_f32_e32 v93, v94, v89
	v_sub_f32_e32 v94, v93, v94
	v_sub_f32_e32 v89, v89, v94
	v_add_f32_e32 v94, v90, v93
	v_sub_f32_e32 v95, v94, v90
	v_sub_f32_e32 v96, v94, v95
	;; [unrolled: 1-line block ×5, first 2 shown]
	v_add_f32_e32 v90, v93, v90
	v_add_f32_e32 v93, v92, v89
	v_sub_f32_e32 v95, v93, v92
	v_sub_f32_e32 v96, v93, v95
	;; [unrolled: 1-line block ×4, first 2 shown]
	v_add_f32_e32 v90, v93, v90
	v_add_f32_e32 v89, v89, v92
	;; [unrolled: 1-line block ×3, first 2 shown]
	v_sub_f32_e32 v93, v92, v94
	v_sub_f32_e32 v90, v90, v93
	v_add_f32_e32 v89, v89, v90
	v_add_f32_e32 v89, v92, v89
	v_cmp_neq_f32_e32 vcc, s80, v91
	v_cndmask_b32_e32 v89, v87, v89, vcc
	v_cmp_lt_f32_e64 vcc, |v91|, s83
	v_cndmask_b32_e32 v89, v89, v91, vcc
	v_add_f32_e32 v89, v18, v89
.LBB442_183:                            ;   in Loop: Header=BB442_175 Depth=1
	s_or_b64 exec, exec, s[60:61]
	v_bfe_u32 v18, v89, 16, 1
	v_add3_u32 v18, v89, v18, s84
	v_cmp_o_f32_e32 vcc, v89, v89
	v_cndmask_b32_sdwa v89, v88, v18, vcc dst_sel:DWORD dst_unused:UNUSED_PAD src0_sel:DWORD src1_sel:WORD_1
	v_and_b32_e32 v18, 0xffff, v89
.LBB442_184:                            ;   in Loop: Header=BB442_175 Depth=1
	s_or_b64 exec, exec, s[74:75]
	s_waitcnt lgkmcnt(0)
	ds_bpermute_b32 v90, v74, v18
	v_cmp_le_u32_e32 vcc, v75, v17
	s_and_saveexec_b64 s[74:75], vcc
	s_cbranch_execz .LBB442_188
; %bb.185:                              ;   in Loop: Header=BB442_175 Depth=1
	s_waitcnt lgkmcnt(0)
	v_lshlrev_b32_e32 v89, 16, v90
	v_lshlrev_b32_e32 v18, 16, v18
	v_max_f32_e32 v91, v18, v18
	v_max_f32_e32 v92, v89, v89
	v_min_f32_e32 v90, v92, v91
	v_cmp_u_f32_e32 vcc, v89, v89
	v_max_f32_e32 v91, v92, v91
	v_cndmask_b32_e32 v90, v90, v89, vcc
	v_cmp_u_f32_e64 s[60:61], v18, v18
	v_cndmask_b32_e32 v91, v91, v89, vcc
	v_cndmask_b32_e64 v90, v90, v18, s[60:61]
	v_cndmask_b32_e64 v18, v91, v18, s[60:61]
	v_cmp_neq_f32_e32 vcc, v90, v18
	v_cmp_class_f32_e64 s[60:61], v90, s7
	s_or_b64 s[86:87], vcc, s[60:61]
	s_and_saveexec_b64 s[60:61], s[86:87]
	s_cbranch_execz .LBB442_187
; %bb.186:                              ;   in Loop: Header=BB442_175 Depth=1
	v_sub_f32_e32 v89, v90, v18
	v_mul_f32_e32 v90, 0x3fb8aa3b, v89
	v_fma_f32 v91, v89, s77, -v90
	v_rndne_f32_e32 v92, v90
	v_fmac_f32_e32 v91, 0x32a5705f, v89
	v_sub_f32_e32 v90, v90, v92
	v_add_f32_e32 v90, v90, v91
	v_cvt_i32_f32_e32 v91, v92
	v_exp_f32_e32 v90, v90
	v_cmp_ngt_f32_e32 vcc, s78, v89
	v_ldexp_f32 v90, v90, v91
	v_cndmask_b32_e32 v90, 0, v90, vcc
	v_cmp_nlt_f32_e32 vcc, s79, v89
	v_cndmask_b32_e32 v91, v87, v90, vcc
	v_add_f32_e32 v92, 1.0, v91
	v_cvt_f64_f32_e32 v[89:90], v92
	v_add_f32_e32 v93, -1.0, v92
	v_sub_f32_e32 v94, v93, v92
	v_sub_f32_e32 v93, v91, v93
	v_frexp_exp_i32_f64_e32 v89, v[89:90]
	v_frexp_mant_f32_e32 v90, v92
	v_cmp_gt_f32_e32 vcc, s81, v90
	v_add_f32_e32 v94, 1.0, v94
	v_add_f32_e32 v93, v93, v94
	v_subbrev_co_u32_e32 v89, vcc, 0, v89, vcc
	v_sub_u32_e32 v90, 0, v89
	v_ldexp_f32 v92, v92, v90
	v_ldexp_f32 v90, v93, v90
	v_add_f32_e32 v93, -1.0, v92
	v_add_f32_e32 v96, 1.0, v92
	v_add_f32_e32 v94, 1.0, v93
	v_add_f32_e32 v97, -1.0, v96
	v_sub_f32_e32 v94, v92, v94
	v_sub_f32_e32 v92, v92, v97
	v_add_f32_e32 v94, v90, v94
	v_add_f32_e32 v90, v90, v92
	;; [unrolled: 1-line block ×3, first 2 shown]
	v_rcp_f32_e32 v97, v92
	v_add_f32_e32 v95, v93, v94
	v_sub_f32_e32 v93, v93, v95
	v_add_f32_e32 v93, v94, v93
	v_sub_f32_e32 v94, v96, v92
	v_add_f32_e32 v90, v90, v94
	v_mul_f32_e32 v94, v95, v97
	v_mul_f32_e32 v96, v92, v94
	v_fma_f32 v98, v94, v92, -v96
	v_fmac_f32_e32 v98, v94, v90
	v_add_f32_e32 v99, v96, v98
	v_sub_f32_e32 v100, v95, v99
	v_sub_f32_e32 v95, v95, v100
	;; [unrolled: 1-line block ×4, first 2 shown]
	v_add_f32_e32 v93, v93, v95
	v_sub_f32_e32 v95, v96, v98
	v_add_f32_e32 v93, v95, v93
	v_add_f32_e32 v95, v100, v93
	v_mul_f32_e32 v96, v97, v95
	v_mul_f32_e32 v98, v92, v96
	v_fma_f32 v92, v96, v92, -v98
	v_fmac_f32_e32 v92, v96, v90
	v_sub_f32_e32 v90, v100, v95
	v_add_f32_e32 v90, v93, v90
	v_add_f32_e32 v93, v98, v92
	v_sub_f32_e32 v99, v95, v93
	v_sub_f32_e32 v95, v95, v99
	;; [unrolled: 1-line block ×4, first 2 shown]
	v_add_f32_e32 v90, v90, v93
	v_sub_f32_e32 v92, v98, v92
	v_cvt_f32_i32_e32 v89, v89
	v_add_f32_e32 v90, v92, v90
	v_add_f32_e32 v92, v94, v96
	;; [unrolled: 1-line block ×3, first 2 shown]
	v_sub_f32_e32 v93, v92, v94
	v_mul_f32_e32 v90, v97, v90
	v_sub_f32_e32 v93, v96, v93
	v_add_f32_e32 v90, v93, v90
	v_mul_f32_e32 v96, 0x3f317218, v89
	v_add_f32_e32 v93, v92, v90
	v_fma_f32 v97, v89, s82, -v96
	v_mul_f32_e32 v94, v93, v93
	v_mov_b32_e32 v95, 0x3ecc95a3
	v_fmac_f32_e32 v97, 0xb102e308, v89
	v_sub_f32_e32 v89, v93, v92
	v_fmac_f32_e32 v95, 0x3e9b6dac, v94
	v_sub_f32_e32 v89, v90, v89
	v_add_f32_e32 v90, v96, v97
	v_fma_f32 v95, v94, v95, v85
	v_sub_f32_e32 v92, v90, v96
	v_ldexp_f32 v96, v93, 1
	v_mul_f32_e32 v93, v93, v94
	v_mul_f32_e32 v93, v93, v95
	v_add_f32_e32 v94, v96, v93
	v_sub_f32_e32 v95, v94, v96
	v_ldexp_f32 v89, v89, 1
	v_sub_f32_e32 v93, v93, v95
	v_add_f32_e32 v89, v89, v93
	v_add_f32_e32 v93, v94, v89
	v_sub_f32_e32 v94, v93, v94
	v_sub_f32_e32 v89, v89, v94
	v_add_f32_e32 v94, v90, v93
	v_sub_f32_e32 v95, v94, v90
	v_sub_f32_e32 v96, v94, v95
	;; [unrolled: 1-line block ×5, first 2 shown]
	v_add_f32_e32 v90, v93, v90
	v_add_f32_e32 v93, v92, v89
	v_sub_f32_e32 v95, v93, v92
	v_sub_f32_e32 v96, v93, v95
	;; [unrolled: 1-line block ×4, first 2 shown]
	v_add_f32_e32 v90, v93, v90
	v_add_f32_e32 v89, v89, v92
	v_add_f32_e32 v92, v94, v90
	v_sub_f32_e32 v93, v92, v94
	v_sub_f32_e32 v90, v90, v93
	v_add_f32_e32 v89, v89, v90
	v_add_f32_e32 v89, v92, v89
	v_cmp_neq_f32_e32 vcc, s80, v91
	v_cndmask_b32_e32 v89, v87, v89, vcc
	v_cmp_lt_f32_e64 vcc, |v91|, s83
	v_cndmask_b32_e32 v89, v89, v91, vcc
	v_add_f32_e32 v89, v18, v89
.LBB442_187:                            ;   in Loop: Header=BB442_175 Depth=1
	s_or_b64 exec, exec, s[60:61]
	v_bfe_u32 v18, v89, 16, 1
	v_add3_u32 v18, v89, v18, s84
	v_cmp_o_f32_e32 vcc, v89, v89
	v_cndmask_b32_sdwa v89, v88, v18, vcc dst_sel:DWORD dst_unused:UNUSED_PAD src0_sel:DWORD src1_sel:WORD_1
	v_and_b32_e32 v18, 0xffff, v89
.LBB442_188:                            ;   in Loop: Header=BB442_175 Depth=1
	s_or_b64 exec, exec, s[74:75]
	s_waitcnt lgkmcnt(0)
	ds_bpermute_b32 v90, v76, v18
	v_cmp_le_u32_e32 vcc, v77, v17
	s_and_saveexec_b64 s[74:75], vcc
	s_cbranch_execz .LBB442_192
; %bb.189:                              ;   in Loop: Header=BB442_175 Depth=1
	s_waitcnt lgkmcnt(0)
	v_lshlrev_b32_e32 v89, 16, v90
	v_lshlrev_b32_e32 v18, 16, v18
	v_max_f32_e32 v91, v18, v18
	v_max_f32_e32 v92, v89, v89
	v_min_f32_e32 v90, v92, v91
	v_cmp_u_f32_e32 vcc, v89, v89
	v_max_f32_e32 v91, v92, v91
	v_cndmask_b32_e32 v90, v90, v89, vcc
	v_cmp_u_f32_e64 s[60:61], v18, v18
	v_cndmask_b32_e32 v91, v91, v89, vcc
	v_cndmask_b32_e64 v90, v90, v18, s[60:61]
	v_cndmask_b32_e64 v18, v91, v18, s[60:61]
	v_cmp_neq_f32_e32 vcc, v90, v18
	v_cmp_class_f32_e64 s[60:61], v90, s7
	s_or_b64 s[86:87], vcc, s[60:61]
	s_and_saveexec_b64 s[60:61], s[86:87]
	s_cbranch_execz .LBB442_191
; %bb.190:                              ;   in Loop: Header=BB442_175 Depth=1
	v_sub_f32_e32 v89, v90, v18
	v_mul_f32_e32 v90, 0x3fb8aa3b, v89
	v_fma_f32 v91, v89, s77, -v90
	v_rndne_f32_e32 v92, v90
	v_fmac_f32_e32 v91, 0x32a5705f, v89
	v_sub_f32_e32 v90, v90, v92
	v_add_f32_e32 v90, v90, v91
	v_cvt_i32_f32_e32 v91, v92
	v_exp_f32_e32 v90, v90
	v_cmp_ngt_f32_e32 vcc, s78, v89
	v_ldexp_f32 v90, v90, v91
	v_cndmask_b32_e32 v90, 0, v90, vcc
	v_cmp_nlt_f32_e32 vcc, s79, v89
	v_cndmask_b32_e32 v91, v87, v90, vcc
	v_add_f32_e32 v92, 1.0, v91
	v_cvt_f64_f32_e32 v[89:90], v92
	v_add_f32_e32 v93, -1.0, v92
	v_sub_f32_e32 v94, v93, v92
	v_sub_f32_e32 v93, v91, v93
	v_frexp_exp_i32_f64_e32 v89, v[89:90]
	v_frexp_mant_f32_e32 v90, v92
	v_cmp_gt_f32_e32 vcc, s81, v90
	v_add_f32_e32 v94, 1.0, v94
	v_add_f32_e32 v93, v93, v94
	v_subbrev_co_u32_e32 v89, vcc, 0, v89, vcc
	v_sub_u32_e32 v90, 0, v89
	v_ldexp_f32 v92, v92, v90
	v_ldexp_f32 v90, v93, v90
	v_add_f32_e32 v93, -1.0, v92
	v_add_f32_e32 v96, 1.0, v92
	v_add_f32_e32 v94, 1.0, v93
	v_add_f32_e32 v97, -1.0, v96
	v_sub_f32_e32 v94, v92, v94
	v_sub_f32_e32 v92, v92, v97
	v_add_f32_e32 v94, v90, v94
	v_add_f32_e32 v90, v90, v92
	;; [unrolled: 1-line block ×3, first 2 shown]
	v_rcp_f32_e32 v97, v92
	v_add_f32_e32 v95, v93, v94
	v_sub_f32_e32 v93, v93, v95
	v_add_f32_e32 v93, v94, v93
	v_sub_f32_e32 v94, v96, v92
	v_add_f32_e32 v90, v90, v94
	v_mul_f32_e32 v94, v95, v97
	v_mul_f32_e32 v96, v92, v94
	v_fma_f32 v98, v94, v92, -v96
	v_fmac_f32_e32 v98, v94, v90
	v_add_f32_e32 v99, v96, v98
	v_sub_f32_e32 v100, v95, v99
	v_sub_f32_e32 v95, v95, v100
	;; [unrolled: 1-line block ×4, first 2 shown]
	v_add_f32_e32 v93, v93, v95
	v_sub_f32_e32 v95, v96, v98
	v_add_f32_e32 v93, v95, v93
	v_add_f32_e32 v95, v100, v93
	v_mul_f32_e32 v96, v97, v95
	v_mul_f32_e32 v98, v92, v96
	v_fma_f32 v92, v96, v92, -v98
	v_fmac_f32_e32 v92, v96, v90
	v_sub_f32_e32 v90, v100, v95
	v_add_f32_e32 v90, v93, v90
	v_add_f32_e32 v93, v98, v92
	v_sub_f32_e32 v99, v95, v93
	v_sub_f32_e32 v95, v95, v99
	v_sub_f32_e32 v98, v93, v98
	v_sub_f32_e32 v93, v95, v93
	v_add_f32_e32 v90, v90, v93
	v_sub_f32_e32 v92, v98, v92
	v_cvt_f32_i32_e32 v89, v89
	v_add_f32_e32 v90, v92, v90
	v_add_f32_e32 v92, v94, v96
	v_add_f32_e32 v90, v99, v90
	v_sub_f32_e32 v93, v92, v94
	v_mul_f32_e32 v90, v97, v90
	v_sub_f32_e32 v93, v96, v93
	v_add_f32_e32 v90, v93, v90
	v_mul_f32_e32 v96, 0x3f317218, v89
	v_add_f32_e32 v93, v92, v90
	v_fma_f32 v97, v89, s82, -v96
	v_mul_f32_e32 v94, v93, v93
	v_mov_b32_e32 v95, 0x3ecc95a3
	v_fmac_f32_e32 v97, 0xb102e308, v89
	v_sub_f32_e32 v89, v93, v92
	v_fmac_f32_e32 v95, 0x3e9b6dac, v94
	v_sub_f32_e32 v89, v90, v89
	v_add_f32_e32 v90, v96, v97
	v_fma_f32 v95, v94, v95, v85
	v_sub_f32_e32 v92, v90, v96
	v_ldexp_f32 v96, v93, 1
	v_mul_f32_e32 v93, v93, v94
	v_mul_f32_e32 v93, v93, v95
	v_add_f32_e32 v94, v96, v93
	v_sub_f32_e32 v95, v94, v96
	v_ldexp_f32 v89, v89, 1
	v_sub_f32_e32 v93, v93, v95
	v_add_f32_e32 v89, v89, v93
	v_add_f32_e32 v93, v94, v89
	v_sub_f32_e32 v94, v93, v94
	v_sub_f32_e32 v89, v89, v94
	v_add_f32_e32 v94, v90, v93
	v_sub_f32_e32 v95, v94, v90
	v_sub_f32_e32 v96, v94, v95
	;; [unrolled: 1-line block ×5, first 2 shown]
	v_add_f32_e32 v90, v93, v90
	v_add_f32_e32 v93, v92, v89
	v_sub_f32_e32 v95, v93, v92
	v_sub_f32_e32 v96, v93, v95
	;; [unrolled: 1-line block ×4, first 2 shown]
	v_add_f32_e32 v90, v93, v90
	v_add_f32_e32 v89, v89, v92
	;; [unrolled: 1-line block ×3, first 2 shown]
	v_sub_f32_e32 v93, v92, v94
	v_sub_f32_e32 v90, v90, v93
	v_add_f32_e32 v89, v89, v90
	v_add_f32_e32 v89, v92, v89
	v_cmp_neq_f32_e32 vcc, s80, v91
	v_cndmask_b32_e32 v89, v87, v89, vcc
	v_cmp_lt_f32_e64 vcc, |v91|, s83
	v_cndmask_b32_e32 v89, v89, v91, vcc
	v_add_f32_e32 v89, v18, v89
.LBB442_191:                            ;   in Loop: Header=BB442_175 Depth=1
	s_or_b64 exec, exec, s[60:61]
	v_bfe_u32 v18, v89, 16, 1
	v_add3_u32 v18, v89, v18, s84
	v_cmp_o_f32_e32 vcc, v89, v89
	v_cndmask_b32_sdwa v89, v88, v18, vcc dst_sel:DWORD dst_unused:UNUSED_PAD src0_sel:DWORD src1_sel:WORD_1
	v_and_b32_e32 v18, 0xffff, v89
.LBB442_192:                            ;   in Loop: Header=BB442_175 Depth=1
	s_or_b64 exec, exec, s[74:75]
	s_waitcnt lgkmcnt(0)
	ds_bpermute_b32 v90, v78, v18
	v_cmp_le_u32_e32 vcc, v79, v17
	s_and_saveexec_b64 s[74:75], vcc
	s_cbranch_execz .LBB442_196
; %bb.193:                              ;   in Loop: Header=BB442_175 Depth=1
	s_waitcnt lgkmcnt(0)
	v_lshlrev_b32_e32 v89, 16, v90
	v_lshlrev_b32_e32 v18, 16, v18
	v_max_f32_e32 v91, v18, v18
	v_max_f32_e32 v92, v89, v89
	v_min_f32_e32 v90, v92, v91
	v_cmp_u_f32_e32 vcc, v89, v89
	v_max_f32_e32 v91, v92, v91
	v_cndmask_b32_e32 v90, v90, v89, vcc
	v_cmp_u_f32_e64 s[60:61], v18, v18
	v_cndmask_b32_e32 v91, v91, v89, vcc
	v_cndmask_b32_e64 v90, v90, v18, s[60:61]
	v_cndmask_b32_e64 v18, v91, v18, s[60:61]
	v_cmp_neq_f32_e32 vcc, v90, v18
	v_cmp_class_f32_e64 s[60:61], v90, s7
	s_or_b64 s[86:87], vcc, s[60:61]
	s_and_saveexec_b64 s[60:61], s[86:87]
	s_cbranch_execz .LBB442_195
; %bb.194:                              ;   in Loop: Header=BB442_175 Depth=1
	v_sub_f32_e32 v89, v90, v18
	v_mul_f32_e32 v90, 0x3fb8aa3b, v89
	v_fma_f32 v91, v89, s77, -v90
	v_rndne_f32_e32 v92, v90
	v_fmac_f32_e32 v91, 0x32a5705f, v89
	v_sub_f32_e32 v90, v90, v92
	v_add_f32_e32 v90, v90, v91
	v_cvt_i32_f32_e32 v91, v92
	v_exp_f32_e32 v90, v90
	v_cmp_ngt_f32_e32 vcc, s78, v89
	v_ldexp_f32 v90, v90, v91
	v_cndmask_b32_e32 v90, 0, v90, vcc
	v_cmp_nlt_f32_e32 vcc, s79, v89
	v_cndmask_b32_e32 v91, v87, v90, vcc
	v_add_f32_e32 v92, 1.0, v91
	v_cvt_f64_f32_e32 v[89:90], v92
	v_add_f32_e32 v93, -1.0, v92
	v_sub_f32_e32 v94, v93, v92
	v_sub_f32_e32 v93, v91, v93
	v_frexp_exp_i32_f64_e32 v89, v[89:90]
	v_frexp_mant_f32_e32 v90, v92
	v_cmp_gt_f32_e32 vcc, s81, v90
	v_add_f32_e32 v94, 1.0, v94
	v_add_f32_e32 v93, v93, v94
	v_subbrev_co_u32_e32 v89, vcc, 0, v89, vcc
	v_sub_u32_e32 v90, 0, v89
	v_ldexp_f32 v92, v92, v90
	v_ldexp_f32 v90, v93, v90
	v_add_f32_e32 v93, -1.0, v92
	v_add_f32_e32 v96, 1.0, v92
	v_add_f32_e32 v94, 1.0, v93
	v_add_f32_e32 v97, -1.0, v96
	v_sub_f32_e32 v94, v92, v94
	v_sub_f32_e32 v92, v92, v97
	v_add_f32_e32 v94, v90, v94
	v_add_f32_e32 v90, v90, v92
	;; [unrolled: 1-line block ×3, first 2 shown]
	v_rcp_f32_e32 v97, v92
	v_add_f32_e32 v95, v93, v94
	v_sub_f32_e32 v93, v93, v95
	v_add_f32_e32 v93, v94, v93
	v_sub_f32_e32 v94, v96, v92
	v_add_f32_e32 v90, v90, v94
	v_mul_f32_e32 v94, v95, v97
	v_mul_f32_e32 v96, v92, v94
	v_fma_f32 v98, v94, v92, -v96
	v_fmac_f32_e32 v98, v94, v90
	v_add_f32_e32 v99, v96, v98
	v_sub_f32_e32 v100, v95, v99
	v_sub_f32_e32 v95, v95, v100
	v_sub_f32_e32 v96, v99, v96
	v_sub_f32_e32 v95, v95, v99
	v_add_f32_e32 v93, v93, v95
	v_sub_f32_e32 v95, v96, v98
	v_add_f32_e32 v93, v95, v93
	v_add_f32_e32 v95, v100, v93
	v_mul_f32_e32 v96, v97, v95
	v_mul_f32_e32 v98, v92, v96
	v_fma_f32 v92, v96, v92, -v98
	v_fmac_f32_e32 v92, v96, v90
	v_sub_f32_e32 v90, v100, v95
	v_add_f32_e32 v90, v93, v90
	v_add_f32_e32 v93, v98, v92
	v_sub_f32_e32 v99, v95, v93
	v_sub_f32_e32 v95, v95, v99
	;; [unrolled: 1-line block ×4, first 2 shown]
	v_add_f32_e32 v90, v90, v93
	v_sub_f32_e32 v92, v98, v92
	v_cvt_f32_i32_e32 v89, v89
	v_add_f32_e32 v90, v92, v90
	v_add_f32_e32 v92, v94, v96
	;; [unrolled: 1-line block ×3, first 2 shown]
	v_sub_f32_e32 v93, v92, v94
	v_mul_f32_e32 v90, v97, v90
	v_sub_f32_e32 v93, v96, v93
	v_add_f32_e32 v90, v93, v90
	v_mul_f32_e32 v96, 0x3f317218, v89
	v_add_f32_e32 v93, v92, v90
	v_fma_f32 v97, v89, s82, -v96
	v_mul_f32_e32 v94, v93, v93
	v_mov_b32_e32 v95, 0x3ecc95a3
	v_fmac_f32_e32 v97, 0xb102e308, v89
	v_sub_f32_e32 v89, v93, v92
	v_fmac_f32_e32 v95, 0x3e9b6dac, v94
	v_sub_f32_e32 v89, v90, v89
	v_add_f32_e32 v90, v96, v97
	v_fma_f32 v95, v94, v95, v85
	v_sub_f32_e32 v92, v90, v96
	v_ldexp_f32 v96, v93, 1
	v_mul_f32_e32 v93, v93, v94
	v_mul_f32_e32 v93, v93, v95
	v_add_f32_e32 v94, v96, v93
	v_sub_f32_e32 v95, v94, v96
	v_ldexp_f32 v89, v89, 1
	v_sub_f32_e32 v93, v93, v95
	v_add_f32_e32 v89, v89, v93
	v_add_f32_e32 v93, v94, v89
	v_sub_f32_e32 v94, v93, v94
	v_sub_f32_e32 v89, v89, v94
	v_add_f32_e32 v94, v90, v93
	v_sub_f32_e32 v95, v94, v90
	v_sub_f32_e32 v96, v94, v95
	;; [unrolled: 1-line block ×5, first 2 shown]
	v_add_f32_e32 v90, v93, v90
	v_add_f32_e32 v93, v92, v89
	v_sub_f32_e32 v95, v93, v92
	v_sub_f32_e32 v96, v93, v95
	;; [unrolled: 1-line block ×4, first 2 shown]
	v_add_f32_e32 v90, v93, v90
	v_add_f32_e32 v89, v89, v92
	v_add_f32_e32 v92, v94, v90
	v_sub_f32_e32 v93, v92, v94
	v_sub_f32_e32 v90, v90, v93
	v_add_f32_e32 v89, v89, v90
	v_add_f32_e32 v89, v92, v89
	v_cmp_neq_f32_e32 vcc, s80, v91
	v_cndmask_b32_e32 v89, v87, v89, vcc
	v_cmp_lt_f32_e64 vcc, |v91|, s83
	v_cndmask_b32_e32 v89, v89, v91, vcc
	v_add_f32_e32 v89, v18, v89
.LBB442_195:                            ;   in Loop: Header=BB442_175 Depth=1
	s_or_b64 exec, exec, s[60:61]
	v_bfe_u32 v18, v89, 16, 1
	v_add3_u32 v18, v89, v18, s84
	v_cmp_o_f32_e32 vcc, v89, v89
	v_cndmask_b32_sdwa v89, v88, v18, vcc dst_sel:DWORD dst_unused:UNUSED_PAD src0_sel:DWORD src1_sel:WORD_1
	v_and_b32_e32 v18, 0xffff, v89
.LBB442_196:                            ;   in Loop: Header=BB442_175 Depth=1
	s_or_b64 exec, exec, s[74:75]
	s_waitcnt lgkmcnt(0)
	ds_bpermute_b32 v90, v80, v18
	v_cmp_le_u32_e32 vcc, v81, v17
	s_and_saveexec_b64 s[74:75], vcc
	s_cbranch_execz .LBB442_200
; %bb.197:                              ;   in Loop: Header=BB442_175 Depth=1
	s_waitcnt lgkmcnt(0)
	v_lshlrev_b32_e32 v89, 16, v90
	v_lshlrev_b32_e32 v18, 16, v18
	v_max_f32_e32 v91, v18, v18
	v_max_f32_e32 v92, v89, v89
	v_min_f32_e32 v90, v92, v91
	v_cmp_u_f32_e32 vcc, v89, v89
	v_max_f32_e32 v91, v92, v91
	v_cndmask_b32_e32 v90, v90, v89, vcc
	v_cmp_u_f32_e64 s[60:61], v18, v18
	v_cndmask_b32_e32 v91, v91, v89, vcc
	v_cndmask_b32_e64 v90, v90, v18, s[60:61]
	v_cndmask_b32_e64 v18, v91, v18, s[60:61]
	v_cmp_neq_f32_e32 vcc, v90, v18
	v_cmp_class_f32_e64 s[60:61], v90, s7
	s_or_b64 s[86:87], vcc, s[60:61]
	s_and_saveexec_b64 s[60:61], s[86:87]
	s_cbranch_execz .LBB442_199
; %bb.198:                              ;   in Loop: Header=BB442_175 Depth=1
	v_sub_f32_e32 v89, v90, v18
	v_mul_f32_e32 v90, 0x3fb8aa3b, v89
	v_fma_f32 v91, v89, s77, -v90
	v_rndne_f32_e32 v92, v90
	v_fmac_f32_e32 v91, 0x32a5705f, v89
	v_sub_f32_e32 v90, v90, v92
	v_add_f32_e32 v90, v90, v91
	v_cvt_i32_f32_e32 v91, v92
	v_exp_f32_e32 v90, v90
	v_cmp_ngt_f32_e32 vcc, s78, v89
	v_ldexp_f32 v90, v90, v91
	v_cndmask_b32_e32 v90, 0, v90, vcc
	v_cmp_nlt_f32_e32 vcc, s79, v89
	v_cndmask_b32_e32 v91, v87, v90, vcc
	v_add_f32_e32 v92, 1.0, v91
	v_cvt_f64_f32_e32 v[89:90], v92
	v_add_f32_e32 v93, -1.0, v92
	v_sub_f32_e32 v94, v93, v92
	v_sub_f32_e32 v93, v91, v93
	v_frexp_exp_i32_f64_e32 v89, v[89:90]
	v_frexp_mant_f32_e32 v90, v92
	v_cmp_gt_f32_e32 vcc, s81, v90
	v_add_f32_e32 v94, 1.0, v94
	v_add_f32_e32 v93, v93, v94
	v_subbrev_co_u32_e32 v89, vcc, 0, v89, vcc
	v_sub_u32_e32 v90, 0, v89
	v_ldexp_f32 v92, v92, v90
	v_ldexp_f32 v90, v93, v90
	v_add_f32_e32 v93, -1.0, v92
	v_add_f32_e32 v96, 1.0, v92
	v_add_f32_e32 v94, 1.0, v93
	v_add_f32_e32 v97, -1.0, v96
	v_sub_f32_e32 v94, v92, v94
	v_sub_f32_e32 v92, v92, v97
	v_add_f32_e32 v94, v90, v94
	v_add_f32_e32 v90, v90, v92
	;; [unrolled: 1-line block ×3, first 2 shown]
	v_rcp_f32_e32 v97, v92
	v_add_f32_e32 v95, v93, v94
	v_sub_f32_e32 v93, v93, v95
	v_add_f32_e32 v93, v94, v93
	v_sub_f32_e32 v94, v96, v92
	v_add_f32_e32 v90, v90, v94
	v_mul_f32_e32 v94, v95, v97
	v_mul_f32_e32 v96, v92, v94
	v_fma_f32 v98, v94, v92, -v96
	v_fmac_f32_e32 v98, v94, v90
	v_add_f32_e32 v99, v96, v98
	v_sub_f32_e32 v100, v95, v99
	v_sub_f32_e32 v95, v95, v100
	;; [unrolled: 1-line block ×4, first 2 shown]
	v_add_f32_e32 v93, v93, v95
	v_sub_f32_e32 v95, v96, v98
	v_add_f32_e32 v93, v95, v93
	v_add_f32_e32 v95, v100, v93
	v_mul_f32_e32 v96, v97, v95
	v_mul_f32_e32 v98, v92, v96
	v_fma_f32 v92, v96, v92, -v98
	v_fmac_f32_e32 v92, v96, v90
	v_sub_f32_e32 v90, v100, v95
	v_add_f32_e32 v90, v93, v90
	v_add_f32_e32 v93, v98, v92
	v_sub_f32_e32 v99, v95, v93
	v_sub_f32_e32 v95, v95, v99
	;; [unrolled: 1-line block ×4, first 2 shown]
	v_add_f32_e32 v90, v90, v93
	v_sub_f32_e32 v92, v98, v92
	v_cvt_f32_i32_e32 v89, v89
	v_add_f32_e32 v90, v92, v90
	v_add_f32_e32 v92, v94, v96
	;; [unrolled: 1-line block ×3, first 2 shown]
	v_sub_f32_e32 v93, v92, v94
	v_mul_f32_e32 v90, v97, v90
	v_sub_f32_e32 v93, v96, v93
	v_add_f32_e32 v90, v93, v90
	v_mul_f32_e32 v96, 0x3f317218, v89
	v_add_f32_e32 v93, v92, v90
	v_fma_f32 v97, v89, s82, -v96
	v_mul_f32_e32 v94, v93, v93
	v_mov_b32_e32 v95, 0x3ecc95a3
	v_fmac_f32_e32 v97, 0xb102e308, v89
	v_sub_f32_e32 v89, v93, v92
	v_fmac_f32_e32 v95, 0x3e9b6dac, v94
	v_sub_f32_e32 v89, v90, v89
	v_add_f32_e32 v90, v96, v97
	v_fma_f32 v95, v94, v95, v85
	v_sub_f32_e32 v92, v90, v96
	v_ldexp_f32 v96, v93, 1
	v_mul_f32_e32 v93, v93, v94
	v_mul_f32_e32 v93, v93, v95
	v_add_f32_e32 v94, v96, v93
	v_sub_f32_e32 v95, v94, v96
	v_ldexp_f32 v89, v89, 1
	v_sub_f32_e32 v93, v93, v95
	v_add_f32_e32 v89, v89, v93
	v_add_f32_e32 v93, v94, v89
	v_sub_f32_e32 v94, v93, v94
	v_sub_f32_e32 v89, v89, v94
	v_add_f32_e32 v94, v90, v93
	v_sub_f32_e32 v95, v94, v90
	v_sub_f32_e32 v96, v94, v95
	;; [unrolled: 1-line block ×5, first 2 shown]
	v_add_f32_e32 v90, v93, v90
	v_add_f32_e32 v93, v92, v89
	v_sub_f32_e32 v95, v93, v92
	v_sub_f32_e32 v96, v93, v95
	;; [unrolled: 1-line block ×4, first 2 shown]
	v_add_f32_e32 v90, v93, v90
	v_add_f32_e32 v89, v89, v92
	;; [unrolled: 1-line block ×3, first 2 shown]
	v_sub_f32_e32 v93, v92, v94
	v_sub_f32_e32 v90, v90, v93
	v_add_f32_e32 v89, v89, v90
	v_add_f32_e32 v89, v92, v89
	v_cmp_neq_f32_e32 vcc, s80, v91
	v_cndmask_b32_e32 v89, v87, v89, vcc
	v_cmp_lt_f32_e64 vcc, |v91|, s83
	v_cndmask_b32_e32 v89, v89, v91, vcc
	v_add_f32_e32 v89, v18, v89
.LBB442_199:                            ;   in Loop: Header=BB442_175 Depth=1
	s_or_b64 exec, exec, s[60:61]
	v_bfe_u32 v18, v89, 16, 1
	v_add3_u32 v18, v89, v18, s84
	v_cmp_o_f32_e32 vcc, v89, v89
	v_cndmask_b32_sdwa v89, v88, v18, vcc dst_sel:DWORD dst_unused:UNUSED_PAD src0_sel:DWORD src1_sel:WORD_1
	v_and_b32_e32 v18, 0xffff, v89
.LBB442_200:                            ;   in Loop: Header=BB442_175 Depth=1
	s_or_b64 exec, exec, s[74:75]
	s_waitcnt lgkmcnt(0)
	ds_bpermute_b32 v90, v82, v18
	v_cmp_le_u32_e32 vcc, v83, v17
	s_and_saveexec_b64 s[74:75], vcc
	s_cbranch_execz .LBB442_204
; %bb.201:                              ;   in Loop: Header=BB442_175 Depth=1
	s_waitcnt lgkmcnt(0)
	v_lshlrev_b32_e32 v89, 16, v90
	v_lshlrev_b32_e32 v17, 16, v18
	v_max_f32_e32 v90, v17, v17
	v_max_f32_e32 v91, v89, v89
	v_min_f32_e32 v18, v91, v90
	v_cmp_u_f32_e32 vcc, v89, v89
	v_max_f32_e32 v90, v91, v90
	v_cndmask_b32_e32 v18, v18, v89, vcc
	v_cmp_u_f32_e64 s[60:61], v17, v17
	v_cndmask_b32_e32 v90, v90, v89, vcc
	v_cndmask_b32_e64 v18, v18, v17, s[60:61]
	v_cndmask_b32_e64 v17, v90, v17, s[60:61]
	v_cmp_neq_f32_e32 vcc, v18, v17
	v_cmp_class_f32_e64 s[60:61], v18, s7
	s_or_b64 s[86:87], vcc, s[60:61]
	s_and_saveexec_b64 s[60:61], s[86:87]
	s_cbranch_execz .LBB442_203
; %bb.202:                              ;   in Loop: Header=BB442_175 Depth=1
	v_sub_f32_e32 v18, v18, v17
	v_mul_f32_e32 v89, 0x3fb8aa3b, v18
	v_fma_f32 v90, v18, s77, -v89
	v_rndne_f32_e32 v91, v89
	v_fmac_f32_e32 v90, 0x32a5705f, v18
	v_sub_f32_e32 v89, v89, v91
	v_add_f32_e32 v89, v89, v90
	v_cvt_i32_f32_e32 v90, v91
	v_exp_f32_e32 v89, v89
	v_cmp_ngt_f32_e32 vcc, s78, v18
	v_ldexp_f32 v89, v89, v90
	v_cndmask_b32_e32 v89, 0, v89, vcc
	v_cmp_nlt_f32_e32 vcc, s79, v18
	v_cndmask_b32_e32 v18, v87, v89, vcc
	v_add_f32_e32 v91, 1.0, v18
	v_cvt_f64_f32_e32 v[89:90], v91
	v_add_f32_e32 v92, -1.0, v91
	v_sub_f32_e32 v93, v92, v91
	v_sub_f32_e32 v92, v18, v92
	v_frexp_exp_i32_f64_e32 v89, v[89:90]
	v_frexp_mant_f32_e32 v90, v91
	v_cmp_gt_f32_e32 vcc, s81, v90
	v_add_f32_e32 v93, 1.0, v93
	v_add_f32_e32 v92, v92, v93
	v_subbrev_co_u32_e32 v89, vcc, 0, v89, vcc
	v_sub_u32_e32 v90, 0, v89
	v_ldexp_f32 v91, v91, v90
	v_ldexp_f32 v90, v92, v90
	v_add_f32_e32 v92, -1.0, v91
	v_add_f32_e32 v95, 1.0, v91
	v_add_f32_e32 v93, 1.0, v92
	v_add_f32_e32 v96, -1.0, v95
	v_sub_f32_e32 v93, v91, v93
	v_sub_f32_e32 v91, v91, v96
	v_add_f32_e32 v93, v90, v93
	v_add_f32_e32 v90, v90, v91
	;; [unrolled: 1-line block ×3, first 2 shown]
	v_rcp_f32_e32 v96, v91
	v_add_f32_e32 v94, v92, v93
	v_sub_f32_e32 v92, v92, v94
	v_add_f32_e32 v92, v93, v92
	v_sub_f32_e32 v93, v95, v91
	v_add_f32_e32 v90, v90, v93
	v_mul_f32_e32 v93, v94, v96
	v_mul_f32_e32 v95, v91, v93
	v_fma_f32 v97, v93, v91, -v95
	v_fmac_f32_e32 v97, v93, v90
	v_add_f32_e32 v98, v95, v97
	v_sub_f32_e32 v99, v94, v98
	v_sub_f32_e32 v94, v94, v99
	;; [unrolled: 1-line block ×4, first 2 shown]
	v_add_f32_e32 v92, v92, v94
	v_sub_f32_e32 v94, v95, v97
	v_add_f32_e32 v92, v94, v92
	v_add_f32_e32 v94, v99, v92
	v_mul_f32_e32 v95, v96, v94
	v_mul_f32_e32 v97, v91, v95
	v_fma_f32 v91, v95, v91, -v97
	v_fmac_f32_e32 v91, v95, v90
	v_sub_f32_e32 v90, v99, v94
	v_add_f32_e32 v90, v92, v90
	v_add_f32_e32 v92, v97, v91
	v_sub_f32_e32 v98, v94, v92
	v_sub_f32_e32 v94, v94, v98
	;; [unrolled: 1-line block ×4, first 2 shown]
	v_add_f32_e32 v90, v90, v92
	v_sub_f32_e32 v91, v97, v91
	v_cvt_f32_i32_e32 v89, v89
	v_add_f32_e32 v90, v91, v90
	v_add_f32_e32 v91, v93, v95
	;; [unrolled: 1-line block ×3, first 2 shown]
	v_sub_f32_e32 v92, v91, v93
	v_mul_f32_e32 v90, v96, v90
	v_sub_f32_e32 v92, v95, v92
	v_add_f32_e32 v90, v92, v90
	v_mul_f32_e32 v95, 0x3f317218, v89
	v_add_f32_e32 v92, v91, v90
	v_fma_f32 v96, v89, s82, -v95
	v_mul_f32_e32 v93, v92, v92
	v_mov_b32_e32 v94, 0x3ecc95a3
	v_fmac_f32_e32 v96, 0xb102e308, v89
	v_sub_f32_e32 v89, v92, v91
	v_fmac_f32_e32 v94, 0x3e9b6dac, v93
	v_sub_f32_e32 v89, v90, v89
	v_add_f32_e32 v90, v95, v96
	v_fma_f32 v94, v93, v94, v85
	v_sub_f32_e32 v91, v90, v95
	v_ldexp_f32 v95, v92, 1
	v_mul_f32_e32 v92, v92, v93
	v_mul_f32_e32 v92, v92, v94
	v_add_f32_e32 v93, v95, v92
	v_sub_f32_e32 v94, v93, v95
	v_ldexp_f32 v89, v89, 1
	v_sub_f32_e32 v92, v92, v94
	v_add_f32_e32 v89, v89, v92
	v_add_f32_e32 v92, v93, v89
	v_sub_f32_e32 v93, v92, v93
	v_sub_f32_e32 v89, v89, v93
	v_add_f32_e32 v93, v90, v92
	v_sub_f32_e32 v94, v93, v90
	v_sub_f32_e32 v95, v93, v94
	;; [unrolled: 1-line block ×5, first 2 shown]
	v_add_f32_e32 v90, v92, v90
	v_add_f32_e32 v92, v91, v89
	v_sub_f32_e32 v94, v92, v91
	v_sub_f32_e32 v95, v92, v94
	;; [unrolled: 1-line block ×4, first 2 shown]
	v_add_f32_e32 v90, v92, v90
	v_add_f32_e32 v89, v89, v91
	;; [unrolled: 1-line block ×3, first 2 shown]
	v_sub_f32_e32 v92, v91, v93
	v_sub_f32_e32 v90, v90, v92
	v_add_f32_e32 v89, v89, v90
	v_add_f32_e32 v89, v91, v89
	v_cmp_neq_f32_e32 vcc, s80, v18
	v_cndmask_b32_e32 v89, v87, v89, vcc
	v_cmp_lt_f32_e64 vcc, |v18|, s83
	v_cndmask_b32_e32 v18, v89, v18, vcc
	v_add_f32_e32 v89, v17, v18
.LBB442_203:                            ;   in Loop: Header=BB442_175 Depth=1
	s_or_b64 exec, exec, s[60:61]
	v_bfe_u32 v17, v89, 16, 1
	v_add3_u32 v17, v89, v17, s84
	v_cmp_o_f32_e32 vcc, v89, v89
	v_cndmask_b32_sdwa v89, v88, v17, vcc dst_sel:DWORD dst_unused:UNUSED_PAD src0_sel:DWORD src1_sel:WORD_1
.LBB442_204:                            ;   in Loop: Header=BB442_175 Depth=1
	s_or_b64 exec, exec, s[74:75]
	v_lshlrev_b32_e32 v18, 16, v89
	v_lshlrev_b32_e32 v17, 16, v84
	s_waitcnt lgkmcnt(0)
	v_max_f32_e32 v90, v17, v17
	v_max_f32_e32 v91, v18, v18
	v_min_f32_e32 v89, v91, v90
	v_cmp_u_f32_e32 vcc, v18, v18
	v_max_f32_e32 v90, v91, v90
	v_cndmask_b32_e32 v89, v89, v18, vcc
	v_cmp_u_f32_e64 s[60:61], v17, v17
	v_cndmask_b32_e32 v90, v90, v18, vcc
	v_cndmask_b32_e64 v89, v89, v17, s[60:61]
	v_cndmask_b32_e64 v17, v90, v17, s[60:61]
	v_cmp_neq_f32_e32 vcc, v89, v17
	v_cmp_class_f32_e64 s[60:61], v89, s7
	s_or_b64 s[74:75], vcc, s[60:61]
	s_and_saveexec_b64 s[60:61], s[74:75]
	s_cbranch_execz .LBB442_173
; %bb.205:                              ;   in Loop: Header=BB442_175 Depth=1
	v_sub_f32_e32 v18, v89, v17
	v_mul_f32_e32 v89, 0x3fb8aa3b, v18
	v_fma_f32 v90, v18, s77, -v89
	v_rndne_f32_e32 v91, v89
	v_fmac_f32_e32 v90, 0x32a5705f, v18
	v_sub_f32_e32 v89, v89, v91
	v_add_f32_e32 v89, v89, v90
	v_cvt_i32_f32_e32 v90, v91
	v_exp_f32_e32 v89, v89
	v_cmp_ngt_f32_e32 vcc, s78, v18
	v_ldexp_f32 v89, v89, v90
	v_cndmask_b32_e32 v89, 0, v89, vcc
	v_cmp_nlt_f32_e32 vcc, s79, v18
	v_cndmask_b32_e32 v18, v87, v89, vcc
	v_add_f32_e32 v91, 1.0, v18
	v_cvt_f64_f32_e32 v[89:90], v91
	v_add_f32_e32 v92, -1.0, v91
	v_sub_f32_e32 v93, v92, v91
	v_sub_f32_e32 v92, v18, v92
	v_frexp_exp_i32_f64_e32 v89, v[89:90]
	v_frexp_mant_f32_e32 v90, v91
	v_cmp_gt_f32_e32 vcc, s81, v90
	v_add_f32_e32 v93, 1.0, v93
	v_add_f32_e32 v92, v92, v93
	v_subbrev_co_u32_e32 v89, vcc, 0, v89, vcc
	v_sub_u32_e32 v90, 0, v89
	v_ldexp_f32 v91, v91, v90
	v_ldexp_f32 v90, v92, v90
	v_add_f32_e32 v92, -1.0, v91
	v_add_f32_e32 v95, 1.0, v91
	v_add_f32_e32 v93, 1.0, v92
	v_add_f32_e32 v96, -1.0, v95
	v_sub_f32_e32 v93, v91, v93
	v_sub_f32_e32 v91, v91, v96
	v_add_f32_e32 v93, v90, v93
	v_add_f32_e32 v90, v90, v91
	;; [unrolled: 1-line block ×3, first 2 shown]
	v_rcp_f32_e32 v96, v91
	v_add_f32_e32 v94, v92, v93
	v_sub_f32_e32 v92, v92, v94
	v_add_f32_e32 v92, v93, v92
	v_sub_f32_e32 v93, v95, v91
	v_add_f32_e32 v90, v90, v93
	v_mul_f32_e32 v93, v94, v96
	v_mul_f32_e32 v95, v91, v93
	v_fma_f32 v97, v93, v91, -v95
	v_fmac_f32_e32 v97, v93, v90
	v_add_f32_e32 v98, v95, v97
	v_sub_f32_e32 v99, v94, v98
	v_sub_f32_e32 v94, v94, v99
	;; [unrolled: 1-line block ×4, first 2 shown]
	v_add_f32_e32 v92, v92, v94
	v_sub_f32_e32 v94, v95, v97
	v_add_f32_e32 v92, v94, v92
	v_add_f32_e32 v94, v99, v92
	v_mul_f32_e32 v95, v96, v94
	v_mul_f32_e32 v97, v91, v95
	v_fma_f32 v91, v95, v91, -v97
	v_fmac_f32_e32 v91, v95, v90
	v_sub_f32_e32 v90, v99, v94
	v_add_f32_e32 v90, v92, v90
	v_add_f32_e32 v92, v97, v91
	v_sub_f32_e32 v98, v94, v92
	v_sub_f32_e32 v94, v94, v98
	;; [unrolled: 1-line block ×4, first 2 shown]
	v_add_f32_e32 v90, v90, v92
	v_sub_f32_e32 v91, v97, v91
	v_cvt_f32_i32_e32 v89, v89
	v_add_f32_e32 v90, v91, v90
	v_add_f32_e32 v91, v93, v95
	;; [unrolled: 1-line block ×3, first 2 shown]
	v_sub_f32_e32 v92, v91, v93
	v_mul_f32_e32 v90, v96, v90
	v_sub_f32_e32 v92, v95, v92
	v_add_f32_e32 v90, v92, v90
	v_mul_f32_e32 v95, 0x3f317218, v89
	v_add_f32_e32 v92, v91, v90
	v_fma_f32 v96, v89, s82, -v95
	v_mul_f32_e32 v93, v92, v92
	v_mov_b32_e32 v94, 0x3ecc95a3
	v_fmac_f32_e32 v96, 0xb102e308, v89
	v_sub_f32_e32 v89, v92, v91
	v_fmac_f32_e32 v94, 0x3e9b6dac, v93
	v_sub_f32_e32 v89, v90, v89
	v_add_f32_e32 v90, v95, v96
	v_fma_f32 v94, v93, v94, v85
	v_sub_f32_e32 v91, v90, v95
	v_ldexp_f32 v95, v92, 1
	v_mul_f32_e32 v92, v92, v93
	v_mul_f32_e32 v92, v92, v94
	v_add_f32_e32 v93, v95, v92
	v_sub_f32_e32 v94, v93, v95
	v_ldexp_f32 v89, v89, 1
	v_sub_f32_e32 v92, v92, v94
	v_add_f32_e32 v89, v89, v92
	v_add_f32_e32 v92, v93, v89
	v_sub_f32_e32 v93, v92, v93
	v_sub_f32_e32 v89, v89, v93
	v_add_f32_e32 v93, v90, v92
	v_sub_f32_e32 v94, v93, v90
	v_sub_f32_e32 v95, v93, v94
	;; [unrolled: 1-line block ×5, first 2 shown]
	v_add_f32_e32 v90, v92, v90
	v_add_f32_e32 v92, v91, v89
	v_sub_f32_e32 v94, v92, v91
	v_sub_f32_e32 v95, v92, v94
	;; [unrolled: 1-line block ×4, first 2 shown]
	v_add_f32_e32 v90, v92, v90
	v_add_f32_e32 v89, v89, v91
	;; [unrolled: 1-line block ×3, first 2 shown]
	v_sub_f32_e32 v92, v91, v93
	v_sub_f32_e32 v90, v90, v92
	v_add_f32_e32 v89, v89, v90
	v_add_f32_e32 v89, v91, v89
	v_cmp_neq_f32_e32 vcc, s80, v18
	v_cndmask_b32_e32 v89, v87, v89, vcc
	v_cmp_lt_f32_e64 vcc, |v18|, s83
	v_cndmask_b32_e32 v18, v89, v18, vcc
	v_add_f32_e32 v18, v17, v18
	s_branch .LBB442_173
.LBB442_206:
                                        ; implicit-def: $vgpr13
                                        ; implicit-def: $vgpr14
                                        ; implicit-def: $vgpr15
                                        ; implicit-def: $vgpr16
                                        ; implicit-def: $vgpr17
                                        ; implicit-def: $vgpr18
                                        ; implicit-def: $vgpr21
                                        ; implicit-def: $vgpr22
                                        ; implicit-def: $vgpr23
                                        ; implicit-def: $vgpr24
                                        ; implicit-def: $vgpr25
                                        ; implicit-def: $vgpr26
                                        ; implicit-def: $vgpr27
                                        ; implicit-def: $vgpr28
                                        ; implicit-def: $vgpr29
                                        ; implicit-def: $vgpr30
                                        ; implicit-def: $vgpr31
                                        ; implicit-def: $vgpr32
                                        ; implicit-def: $vgpr33
                                        ; implicit-def: $vgpr34
                                        ; implicit-def: $vgpr35
                                        ; implicit-def: $vgpr36
                                        ; implicit-def: $vgpr37
                                        ; implicit-def: $vgpr38
	s_load_dwordx8 s[56:63], s[4:5], 0x38
	s_cbranch_execnz .LBB442_266
	s_branch .LBB442_409
.LBB442_207:
	s_and_saveexec_b64 s[60:61], s[56:57]
	s_cbranch_execz .LBB442_211
; %bb.208:
	v_lshlrev_b32_e32 v14, 16, v84
	v_lshlrev_b32_e32 v13, 16, v70
	v_max_f32_e32 v16, v13, v13
	v_max_f32_e32 v17, v14, v14
	v_min_f32_e32 v15, v17, v16
	v_cmp_u_f32_e32 vcc, v14, v14
	v_max_f32_e32 v16, v17, v16
	v_cndmask_b32_e32 v15, v15, v14, vcc
	v_cmp_u_f32_e64 s[56:57], v13, v13
	v_cndmask_b32_e32 v16, v16, v14, vcc
	v_cndmask_b32_e64 v15, v15, v13, s[56:57]
	v_cndmask_b32_e64 v13, v16, v13, s[56:57]
	s_movk_i32 s7, 0x1f8
	v_cmp_neq_f32_e32 vcc, v15, v13
	v_cmp_class_f32_e64 s[56:57], v15, s7
	s_or_b64 s[74:75], vcc, s[56:57]
	s_and_saveexec_b64 s[56:57], s[74:75]
	s_cbranch_execz .LBB442_210
; %bb.209:
	v_sub_f32_e32 v14, v15, v13
	s_mov_b32 s7, 0x3fb8aa3b
	v_mul_f32_e32 v15, 0x3fb8aa3b, v14
	v_fma_f32 v16, v14, s7, -v15
	v_rndne_f32_e32 v17, v15
	v_fmac_f32_e32 v16, 0x32a5705f, v14
	v_sub_f32_e32 v15, v15, v17
	v_add_f32_e32 v15, v15, v16
	v_exp_f32_e32 v15, v15
	v_cvt_i32_f32_e32 v16, v17
	s_mov_b32 s7, 0xc2ce8ed0
	v_cmp_ngt_f32_e32 vcc, s7, v14
	s_mov_b32 s7, 0x42b17218
	v_ldexp_f32 v15, v15, v16
	v_cndmask_b32_e32 v15, 0, v15, vcc
	v_mov_b32_e32 v16, 0x7f800000
	v_cmp_nlt_f32_e32 vcc, s7, v14
	v_cndmask_b32_e32 v17, v16, v15, vcc
	s_waitcnt lgkmcnt(0)
	v_add_f32_e32 v18, 1.0, v17
	v_cvt_f64_f32_e32 v[14:15], v18
	v_add_f32_e32 v70, -1.0, v18
	v_sub_f32_e32 v71, v70, v18
	v_sub_f32_e32 v70, v17, v70
	v_frexp_exp_i32_f64_e32 v14, v[14:15]
	v_add_f32_e32 v15, 1.0, v71
	v_add_f32_e32 v15, v70, v15
	v_frexp_mant_f32_e32 v70, v18
	s_mov_b32 s74, 0x3f2aaaab
	v_cmp_gt_f32_e32 vcc, s74, v70
	s_mov_b32 s74, 0x3f317218
	s_mov_b32 s7, 0x7f800000
	v_subbrev_co_u32_e32 v14, vcc, 0, v14, vcc
	v_sub_u32_e32 v70, 0, v14
	v_ldexp_f32 v18, v18, v70
	v_ldexp_f32 v15, v15, v70
	v_add_f32_e32 v70, -1.0, v18
	v_add_f32_e32 v73, 1.0, v18
	v_add_f32_e32 v71, 1.0, v70
	v_add_f32_e32 v74, -1.0, v73
	v_sub_f32_e32 v71, v18, v71
	v_sub_f32_e32 v18, v18, v74
	v_add_f32_e32 v71, v15, v71
	v_add_f32_e32 v15, v15, v18
	;; [unrolled: 1-line block ×3, first 2 shown]
	v_rcp_f32_e32 v74, v18
	v_add_f32_e32 v72, v70, v71
	v_sub_f32_e32 v70, v70, v72
	v_add_f32_e32 v70, v71, v70
	v_sub_f32_e32 v71, v73, v18
	v_add_f32_e32 v15, v15, v71
	v_mul_f32_e32 v71, v72, v74
	v_mul_f32_e32 v73, v18, v71
	v_fma_f32 v75, v71, v18, -v73
	v_fmac_f32_e32 v75, v71, v15
	v_add_f32_e32 v76, v73, v75
	v_sub_f32_e32 v77, v72, v76
	v_sub_f32_e32 v72, v72, v77
	;; [unrolled: 1-line block ×4, first 2 shown]
	v_add_f32_e32 v70, v70, v72
	v_sub_f32_e32 v72, v73, v75
	v_add_f32_e32 v70, v72, v70
	v_add_f32_e32 v72, v77, v70
	v_mul_f32_e32 v73, v74, v72
	v_mul_f32_e32 v75, v18, v73
	v_fma_f32 v18, v73, v18, -v75
	v_fmac_f32_e32 v18, v73, v15
	v_sub_f32_e32 v15, v77, v72
	v_add_f32_e32 v15, v70, v15
	v_add_f32_e32 v70, v75, v18
	v_sub_f32_e32 v76, v72, v70
	v_sub_f32_e32 v72, v72, v76
	;; [unrolled: 1-line block ×4, first 2 shown]
	v_add_f32_e32 v15, v15, v70
	v_sub_f32_e32 v18, v75, v18
	v_add_f32_e32 v15, v18, v15
	v_add_f32_e32 v18, v71, v73
	;; [unrolled: 1-line block ×3, first 2 shown]
	v_sub_f32_e32 v70, v18, v71
	v_mul_f32_e32 v15, v74, v15
	v_sub_f32_e32 v70, v73, v70
	v_add_f32_e32 v15, v70, v15
	v_cvt_f32_i32_e32 v14, v14
	v_add_f32_e32 v70, v18, v15
	v_mul_f32_e32 v71, v70, v70
	v_mov_b32_e32 v72, 0x3ecc95a3
	v_fmac_f32_e32 v72, 0x3e9b6dac, v71
	v_mov_b32_e32 v73, 0x3f2aaada
	v_fmac_f32_e32 v73, v71, v72
	v_mul_f32_e32 v72, 0x3f317218, v14
	v_fma_f32 v74, v14, s74, -v72
	v_fmac_f32_e32 v74, 0xb102e308, v14
	v_sub_f32_e32 v14, v70, v18
	v_sub_f32_e32 v14, v15, v14
	v_add_f32_e32 v15, v72, v74
	v_sub_f32_e32 v18, v15, v72
	v_ldexp_f32 v72, v70, 1
	v_mul_f32_e32 v70, v70, v71
	v_mul_f32_e32 v70, v70, v73
	v_add_f32_e32 v71, v72, v70
	v_sub_f32_e32 v72, v71, v72
	v_ldexp_f32 v14, v14, 1
	v_sub_f32_e32 v70, v70, v72
	v_add_f32_e32 v14, v14, v70
	v_add_f32_e32 v70, v71, v14
	v_sub_f32_e32 v71, v70, v71
	v_sub_f32_e32 v14, v14, v71
	v_add_f32_e32 v71, v15, v70
	v_sub_f32_e32 v72, v71, v15
	v_sub_f32_e32 v73, v71, v72
	;; [unrolled: 1-line block ×5, first 2 shown]
	v_add_f32_e32 v15, v70, v15
	v_add_f32_e32 v70, v18, v14
	v_sub_f32_e32 v72, v70, v18
	v_sub_f32_e32 v73, v70, v72
	;; [unrolled: 1-line block ×4, first 2 shown]
	v_add_f32_e32 v15, v70, v15
	v_add_f32_e32 v14, v14, v18
	;; [unrolled: 1-line block ×3, first 2 shown]
	v_sub_f32_e32 v70, v18, v71
	v_sub_f32_e32 v15, v15, v70
	v_add_f32_e32 v14, v14, v15
	v_add_f32_e32 v14, v18, v14
	v_cmp_neq_f32_e32 vcc, s7, v17
	s_mov_b32 s7, 0x33800000
	v_cndmask_b32_e32 v14, v16, v14, vcc
	v_cmp_lt_f32_e64 vcc, |v17|, s7
	v_cndmask_b32_e32 v14, v14, v17, vcc
	v_add_f32_e32 v14, v13, v14
.LBB442_210:
	s_or_b64 exec, exec, s[56:57]
	v_bfe_u32 v13, v14, 16, 1
	s_movk_i32 s7, 0x7fff
	v_add3_u32 v13, v14, v13, s7
	s_add_i32 s6, s6, 64
	s_mov_b32 s7, 0
	s_lshl_b64 s[6:7], s[6:7], 2
	s_mov_b32 s56, 0x20000
	s_add_u32 s6, s72, s6
	v_or_b32_sdwa v13, v13, s56 dst_sel:DWORD dst_unused:UNUSED_PAD src0_sel:WORD_1 src1_sel:DWORD
	v_mov_b32_e32 v16, 0x27fc0
	v_cmp_o_f32_e32 vcc, v14, v14
	s_addc_u32 s7, s73, s7
	v_mov_b32_e32 v15, 0
	v_cndmask_b32_e32 v13, v16, v13, vcc
	global_store_dword v15, v13, s[6:7]
.LBB442_211:
	s_or_b64 exec, exec, s[60:61]
	s_and_b64 exec, exec, s[54:55]
; %bb.212:
	v_mov_b32_e32 v13, 0
	ds_write_b16 v13, v84
.LBB442_213:
	s_or_b64 exec, exec, s[62:63]
	v_mov_b32_e32 v13, 0
	s_waitcnt vmcnt(0) lgkmcnt(0)
	s_barrier
	ds_read_u16 v13, v13
	s_and_saveexec_b64 s[6:7], s[52:53]
	s_cbranch_execz .LBB442_217
; %bb.214:
	v_lshlrev_b32_e32 v15, 16, v69
	v_max_f32_e32 v14, v15, v15
	v_min_f32_e32 v16, v14, v68
	v_cmp_u_f32_e32 vcc, v15, v15
	v_max_f32_e32 v14, v14, v68
	v_cndmask_b32_e32 v16, v16, v15, vcc
	v_cndmask_b32_e32 v14, v14, v15, vcc
	v_cndmask_b32_e64 v16, v16, v67, s[50:51]
	v_cndmask_b32_e64 v14, v14, v67, s[50:51]
	s_movk_i32 s50, 0x1f8
	v_cmp_neq_f32_e32 vcc, v16, v14
	v_cmp_class_f32_e64 s[50:51], v16, s50
	s_or_b64 s[52:53], vcc, s[50:51]
	s_and_saveexec_b64 s[50:51], s[52:53]
	s_cbranch_execz .LBB442_216
; %bb.215:
	v_sub_f32_e32 v15, v16, v14
	s_mov_b32 s52, 0x3fb8aa3b
	v_mul_f32_e32 v16, 0x3fb8aa3b, v15
	v_fma_f32 v17, v15, s52, -v16
	v_rndne_f32_e32 v18, v16
	v_fmac_f32_e32 v17, 0x32a5705f, v15
	v_sub_f32_e32 v16, v16, v18
	v_add_f32_e32 v16, v16, v17
	v_exp_f32_e32 v16, v16
	v_cvt_i32_f32_e32 v17, v18
	s_mov_b32 s52, 0xc2ce8ed0
	v_cmp_ngt_f32_e32 vcc, s52, v15
	s_mov_b32 s52, 0x42b17218
	v_ldexp_f32 v16, v16, v17
	v_cndmask_b32_e32 v16, 0, v16, vcc
	v_mov_b32_e32 v17, 0x7f800000
	v_cmp_nlt_f32_e32 vcc, s52, v15
	v_cndmask_b32_e32 v18, v17, v16, vcc
	v_add_f32_e32 v67, 1.0, v18
	v_cvt_f64_f32_e32 v[15:16], v67
	v_add_f32_e32 v68, -1.0, v67
	v_sub_f32_e32 v69, v68, v67
	v_sub_f32_e32 v68, v18, v68
	v_frexp_exp_i32_f64_e32 v15, v[15:16]
	v_add_f32_e32 v16, 1.0, v69
	v_add_f32_e32 v16, v68, v16
	v_frexp_mant_f32_e32 v68, v67
	s_mov_b32 s53, 0x3f2aaaab
	v_cmp_gt_f32_e32 vcc, s53, v68
	s_mov_b32 s53, 0x3f317218
	s_mov_b32 s52, 0x7f800000
	v_subbrev_co_u32_e32 v15, vcc, 0, v15, vcc
	v_sub_u32_e32 v68, 0, v15
	v_ldexp_f32 v67, v67, v68
	v_ldexp_f32 v16, v16, v68
	v_add_f32_e32 v68, -1.0, v67
	v_add_f32_e32 v71, 1.0, v67
	v_add_f32_e32 v69, 1.0, v68
	v_add_f32_e32 v72, -1.0, v71
	v_sub_f32_e32 v69, v67, v69
	v_sub_f32_e32 v67, v67, v72
	v_add_f32_e32 v69, v16, v69
	v_add_f32_e32 v16, v16, v67
	;; [unrolled: 1-line block ×3, first 2 shown]
	v_rcp_f32_e32 v72, v67
	v_add_f32_e32 v70, v68, v69
	v_sub_f32_e32 v68, v68, v70
	v_add_f32_e32 v68, v69, v68
	v_sub_f32_e32 v69, v71, v67
	v_add_f32_e32 v16, v16, v69
	v_mul_f32_e32 v69, v70, v72
	v_mul_f32_e32 v71, v67, v69
	v_fma_f32 v73, v69, v67, -v71
	v_fmac_f32_e32 v73, v69, v16
	v_add_f32_e32 v74, v71, v73
	v_sub_f32_e32 v75, v70, v74
	v_sub_f32_e32 v70, v70, v75
	;; [unrolled: 1-line block ×4, first 2 shown]
	v_add_f32_e32 v68, v68, v70
	v_sub_f32_e32 v70, v71, v73
	v_add_f32_e32 v68, v70, v68
	v_add_f32_e32 v70, v75, v68
	v_mul_f32_e32 v71, v72, v70
	v_mul_f32_e32 v73, v67, v71
	v_fma_f32 v67, v71, v67, -v73
	v_fmac_f32_e32 v67, v71, v16
	v_sub_f32_e32 v16, v75, v70
	v_add_f32_e32 v16, v68, v16
	v_add_f32_e32 v68, v73, v67
	v_sub_f32_e32 v74, v70, v68
	v_sub_f32_e32 v70, v70, v74
	;; [unrolled: 1-line block ×4, first 2 shown]
	v_add_f32_e32 v16, v16, v68
	v_sub_f32_e32 v67, v73, v67
	v_add_f32_e32 v16, v67, v16
	v_add_f32_e32 v67, v69, v71
	;; [unrolled: 1-line block ×3, first 2 shown]
	v_sub_f32_e32 v68, v67, v69
	v_mul_f32_e32 v16, v72, v16
	v_sub_f32_e32 v68, v71, v68
	v_add_f32_e32 v16, v68, v16
	v_cvt_f32_i32_e32 v15, v15
	v_add_f32_e32 v68, v67, v16
	v_mul_f32_e32 v69, v68, v68
	v_mov_b32_e32 v70, 0x3ecc95a3
	v_fmac_f32_e32 v70, 0x3e9b6dac, v69
	v_mov_b32_e32 v71, 0x3f2aaada
	v_fmac_f32_e32 v71, v69, v70
	v_mul_f32_e32 v70, 0x3f317218, v15
	v_fma_f32 v72, v15, s53, -v70
	v_fmac_f32_e32 v72, 0xb102e308, v15
	v_sub_f32_e32 v15, v68, v67
	v_sub_f32_e32 v15, v16, v15
	v_add_f32_e32 v16, v70, v72
	v_sub_f32_e32 v67, v16, v70
	v_ldexp_f32 v70, v68, 1
	v_mul_f32_e32 v68, v68, v69
	v_mul_f32_e32 v68, v68, v71
	v_add_f32_e32 v69, v70, v68
	v_sub_f32_e32 v70, v69, v70
	v_ldexp_f32 v15, v15, 1
	v_sub_f32_e32 v68, v68, v70
	v_add_f32_e32 v15, v15, v68
	v_add_f32_e32 v68, v69, v15
	v_sub_f32_e32 v69, v68, v69
	v_sub_f32_e32 v15, v15, v69
	v_add_f32_e32 v69, v16, v68
	v_sub_f32_e32 v70, v69, v16
	v_sub_f32_e32 v71, v69, v70
	;; [unrolled: 1-line block ×5, first 2 shown]
	v_add_f32_e32 v16, v68, v16
	v_add_f32_e32 v68, v67, v15
	v_sub_f32_e32 v70, v68, v67
	v_sub_f32_e32 v71, v68, v70
	;; [unrolled: 1-line block ×4, first 2 shown]
	v_add_f32_e32 v16, v68, v16
	v_add_f32_e32 v15, v15, v67
	v_add_f32_e32 v67, v69, v16
	v_sub_f32_e32 v68, v67, v69
	v_sub_f32_e32 v16, v16, v68
	v_add_f32_e32 v15, v15, v16
	v_add_f32_e32 v15, v67, v15
	v_cmp_neq_f32_e32 vcc, s52, v18
	s_mov_b32 s52, 0x33800000
	v_cndmask_b32_e32 v15, v17, v15, vcc
	v_cmp_lt_f32_e64 vcc, |v18|, s52
	v_cndmask_b32_e32 v15, v15, v18, vcc
	v_add_f32_e32 v15, v14, v15
.LBB442_216:
	s_or_b64 exec, exec, s[50:51]
	v_bfe_u32 v14, v15, 16, 1
	s_movk_i32 s50, 0x7fff
	v_add3_u32 v14, v15, v14, s50
	v_and_b32_e32 v14, 0xffff0000, v14
	v_mov_b32_e32 v16, 0x7fc00000
	v_cmp_o_f32_e32 vcc, v15, v15
	v_cndmask_b32_e32 v67, v16, v14, vcc
.LBB442_217:
	s_or_b64 exec, exec, s[6:7]
	s_waitcnt lgkmcnt(0)
	v_lshlrev_b32_e32 v14, 16, v13
	v_max_f32_e32 v13, v67, v67
	v_max_f32_e32 v16, v14, v14
	v_min_f32_e32 v15, v16, v13
	v_cmp_u_f32_e32 vcc, v14, v14
	v_max_f32_e32 v13, v16, v13
	v_cndmask_b32_e32 v15, v15, v14, vcc
	v_cmp_u_f32_e64 s[6:7], v67, v67
	v_cndmask_b32_e32 v13, v13, v14, vcc
	v_cndmask_b32_e64 v15, v15, v67, s[6:7]
	v_cndmask_b32_e64 v13, v13, v67, s[6:7]
	s_movk_i32 s50, 0x1f8
	v_cmp_neq_f32_e32 vcc, v15, v13
	v_cmp_class_f32_e64 s[6:7], v15, s50
	s_or_b64 s[52:53], vcc, s[6:7]
	s_and_saveexec_b64 s[6:7], s[52:53]
	s_cbranch_execz .LBB442_219
; %bb.218:
	v_sub_f32_e32 v14, v15, v13
	s_mov_b32 s51, 0x3fb8aa3b
	v_mul_f32_e32 v15, 0x3fb8aa3b, v14
	v_fma_f32 v16, v14, s51, -v15
	v_rndne_f32_e32 v17, v15
	v_fmac_f32_e32 v16, 0x32a5705f, v14
	v_sub_f32_e32 v15, v15, v17
	v_add_f32_e32 v15, v15, v16
	v_exp_f32_e32 v15, v15
	v_cvt_i32_f32_e32 v16, v17
	s_mov_b32 s51, 0xc2ce8ed0
	v_cmp_ngt_f32_e32 vcc, s51, v14
	s_mov_b32 s51, 0x42b17218
	v_ldexp_f32 v15, v15, v16
	v_cndmask_b32_e32 v15, 0, v15, vcc
	v_mov_b32_e32 v16, 0x7f800000
	v_cmp_nlt_f32_e32 vcc, s51, v14
	v_cndmask_b32_e32 v17, v16, v15, vcc
	v_add_f32_e32 v18, 1.0, v17
	v_cvt_f64_f32_e32 v[14:15], v18
	v_add_f32_e32 v67, -1.0, v18
	v_sub_f32_e32 v68, v67, v18
	v_sub_f32_e32 v67, v17, v67
	v_frexp_exp_i32_f64_e32 v14, v[14:15]
	v_add_f32_e32 v15, 1.0, v68
	v_add_f32_e32 v15, v67, v15
	v_frexp_mant_f32_e32 v67, v18
	s_mov_b32 s52, 0x3f2aaaab
	v_cmp_gt_f32_e32 vcc, s52, v67
	s_mov_b32 s52, 0x3f317218
	s_mov_b32 s51, 0x7f800000
	v_subbrev_co_u32_e32 v14, vcc, 0, v14, vcc
	v_sub_u32_e32 v67, 0, v14
	v_ldexp_f32 v18, v18, v67
	v_ldexp_f32 v15, v15, v67
	v_add_f32_e32 v67, -1.0, v18
	v_add_f32_e32 v70, 1.0, v18
	v_add_f32_e32 v68, 1.0, v67
	v_add_f32_e32 v71, -1.0, v70
	v_sub_f32_e32 v68, v18, v68
	v_sub_f32_e32 v18, v18, v71
	v_add_f32_e32 v68, v15, v68
	v_add_f32_e32 v15, v15, v18
	v_add_f32_e32 v18, v70, v15
	v_rcp_f32_e32 v71, v18
	v_add_f32_e32 v69, v67, v68
	v_sub_f32_e32 v67, v67, v69
	v_add_f32_e32 v67, v68, v67
	v_sub_f32_e32 v68, v70, v18
	v_add_f32_e32 v15, v15, v68
	v_mul_f32_e32 v68, v69, v71
	v_mul_f32_e32 v70, v18, v68
	v_fma_f32 v72, v68, v18, -v70
	v_fmac_f32_e32 v72, v68, v15
	v_add_f32_e32 v73, v70, v72
	v_sub_f32_e32 v74, v69, v73
	v_sub_f32_e32 v69, v69, v74
	;; [unrolled: 1-line block ×4, first 2 shown]
	v_add_f32_e32 v67, v67, v69
	v_sub_f32_e32 v69, v70, v72
	v_add_f32_e32 v67, v69, v67
	v_add_f32_e32 v69, v74, v67
	v_mul_f32_e32 v70, v71, v69
	v_mul_f32_e32 v72, v18, v70
	v_fma_f32 v18, v70, v18, -v72
	v_fmac_f32_e32 v18, v70, v15
	v_sub_f32_e32 v15, v74, v69
	v_add_f32_e32 v15, v67, v15
	v_add_f32_e32 v67, v72, v18
	v_sub_f32_e32 v73, v69, v67
	v_sub_f32_e32 v69, v69, v73
	;; [unrolled: 1-line block ×4, first 2 shown]
	v_add_f32_e32 v15, v15, v67
	v_sub_f32_e32 v18, v72, v18
	v_add_f32_e32 v15, v18, v15
	v_add_f32_e32 v18, v68, v70
	;; [unrolled: 1-line block ×3, first 2 shown]
	v_sub_f32_e32 v67, v18, v68
	v_mul_f32_e32 v15, v71, v15
	v_sub_f32_e32 v67, v70, v67
	v_add_f32_e32 v15, v67, v15
	v_cvt_f32_i32_e32 v14, v14
	v_add_f32_e32 v67, v18, v15
	v_mul_f32_e32 v68, v67, v67
	v_mov_b32_e32 v69, 0x3ecc95a3
	v_fmac_f32_e32 v69, 0x3e9b6dac, v68
	v_mov_b32_e32 v70, 0x3f2aaada
	v_fmac_f32_e32 v70, v68, v69
	v_mul_f32_e32 v69, 0x3f317218, v14
	v_fma_f32 v71, v14, s52, -v69
	v_fmac_f32_e32 v71, 0xb102e308, v14
	v_sub_f32_e32 v14, v67, v18
	v_sub_f32_e32 v14, v15, v14
	v_add_f32_e32 v15, v69, v71
	v_sub_f32_e32 v18, v15, v69
	v_ldexp_f32 v69, v67, 1
	v_mul_f32_e32 v67, v67, v68
	v_mul_f32_e32 v67, v67, v70
	v_add_f32_e32 v68, v69, v67
	v_sub_f32_e32 v69, v68, v69
	v_ldexp_f32 v14, v14, 1
	v_sub_f32_e32 v67, v67, v69
	v_add_f32_e32 v14, v14, v67
	v_add_f32_e32 v67, v68, v14
	v_sub_f32_e32 v68, v67, v68
	v_sub_f32_e32 v14, v14, v68
	v_add_f32_e32 v68, v15, v67
	v_sub_f32_e32 v69, v68, v15
	v_sub_f32_e32 v70, v68, v69
	;; [unrolled: 1-line block ×5, first 2 shown]
	v_add_f32_e32 v15, v67, v15
	v_add_f32_e32 v67, v18, v14
	v_sub_f32_e32 v69, v67, v18
	v_sub_f32_e32 v70, v67, v69
	;; [unrolled: 1-line block ×4, first 2 shown]
	v_add_f32_e32 v15, v67, v15
	v_add_f32_e32 v14, v14, v18
	;; [unrolled: 1-line block ×3, first 2 shown]
	v_sub_f32_e32 v67, v18, v68
	v_sub_f32_e32 v15, v15, v67
	v_add_f32_e32 v14, v14, v15
	v_add_f32_e32 v14, v18, v14
	v_cmp_neq_f32_e32 vcc, s51, v17
	s_mov_b32 s51, 0x33800000
	v_cndmask_b32_e32 v14, v16, v14, vcc
	v_cmp_lt_f32_e64 vcc, |v17|, s51
	v_cndmask_b32_e32 v14, v14, v17, vcc
	v_add_f32_e32 v14, v13, v14
.LBB442_219:
	s_or_b64 exec, exec, s[6:7]
	v_bfe_u32 v13, v14, 16, 1
	s_movk_i32 s6, 0x7fff
	v_add3_u32 v13, v14, v13, s6
	v_cmp_o_f32_e32 vcc, v14, v14
	v_mov_b32_e32 v14, 0x7fc0
	v_cndmask_b32_sdwa v13, v14, v13, vcc dst_sel:DWORD dst_unused:UNUSED_PAD src0_sel:DWORD src1_sel:WORD_1
	v_lshlrev_b32_e32 v16, 16, v13
	v_max_f32_e32 v15, v16, v16
	v_min_f32_e32 v17, v15, v22
	v_cmp_u_f32_e32 vcc, v16, v16
	v_max_f32_e32 v15, v15, v22
	v_cndmask_b32_e32 v17, v17, v16, vcc
	v_cndmask_b32_e32 v15, v15, v16, vcc
	v_cndmask_b32_e64 v17, v17, v21, s[0:1]
	v_cndmask_b32_e64 v15, v15, v21, s[0:1]
	v_cmp_neq_f32_e32 vcc, v17, v15
	v_cmp_class_f32_e64 s[0:1], v17, s50
	s_or_b64 s[50:51], vcc, s[0:1]
	s_and_saveexec_b64 s[0:1], s[50:51]
	s_cbranch_execz .LBB442_221
; %bb.220:
	v_sub_f32_e32 v16, v17, v15
	s_mov_b32 s7, 0x3fb8aa3b
	v_mul_f32_e32 v17, 0x3fb8aa3b, v16
	v_fma_f32 v18, v16, s7, -v17
	v_rndne_f32_e32 v21, v17
	v_fmac_f32_e32 v18, 0x32a5705f, v16
	v_sub_f32_e32 v17, v17, v21
	v_add_f32_e32 v17, v17, v18
	v_exp_f32_e32 v17, v17
	v_cvt_i32_f32_e32 v18, v21
	s_mov_b32 s7, 0xc2ce8ed0
	v_cmp_ngt_f32_e32 vcc, s7, v16
	s_mov_b32 s7, 0x42b17218
	v_ldexp_f32 v17, v17, v18
	v_cndmask_b32_e32 v17, 0, v17, vcc
	v_mov_b32_e32 v18, 0x7f800000
	v_cmp_nlt_f32_e32 vcc, s7, v16
	v_cndmask_b32_e32 v21, v18, v17, vcc
	v_add_f32_e32 v22, 1.0, v21
	v_cvt_f64_f32_e32 v[16:17], v22
	v_add_f32_e32 v67, -1.0, v22
	v_sub_f32_e32 v68, v67, v22
	v_sub_f32_e32 v67, v21, v67
	v_frexp_exp_i32_f64_e32 v16, v[16:17]
	v_add_f32_e32 v17, 1.0, v68
	v_add_f32_e32 v17, v67, v17
	v_frexp_mant_f32_e32 v67, v22
	s_mov_b32 s50, 0x3f2aaaab
	v_cmp_gt_f32_e32 vcc, s50, v67
	s_mov_b32 s50, 0x3f317218
	s_mov_b32 s7, 0x7f800000
	v_subbrev_co_u32_e32 v16, vcc, 0, v16, vcc
	v_sub_u32_e32 v67, 0, v16
	v_ldexp_f32 v22, v22, v67
	v_ldexp_f32 v17, v17, v67
	v_add_f32_e32 v67, -1.0, v22
	v_add_f32_e32 v70, 1.0, v22
	v_add_f32_e32 v68, 1.0, v67
	v_add_f32_e32 v71, -1.0, v70
	v_sub_f32_e32 v68, v22, v68
	v_sub_f32_e32 v22, v22, v71
	v_add_f32_e32 v68, v17, v68
	v_add_f32_e32 v17, v17, v22
	;; [unrolled: 1-line block ×3, first 2 shown]
	v_rcp_f32_e32 v71, v22
	v_add_f32_e32 v69, v67, v68
	v_sub_f32_e32 v67, v67, v69
	v_add_f32_e32 v67, v68, v67
	v_sub_f32_e32 v68, v70, v22
	v_add_f32_e32 v17, v17, v68
	v_mul_f32_e32 v68, v69, v71
	v_mul_f32_e32 v70, v22, v68
	v_fma_f32 v72, v68, v22, -v70
	v_fmac_f32_e32 v72, v68, v17
	v_add_f32_e32 v73, v70, v72
	v_sub_f32_e32 v74, v69, v73
	v_sub_f32_e32 v69, v69, v74
	;; [unrolled: 1-line block ×4, first 2 shown]
	v_add_f32_e32 v67, v67, v69
	v_sub_f32_e32 v69, v70, v72
	v_add_f32_e32 v67, v69, v67
	v_add_f32_e32 v69, v74, v67
	v_mul_f32_e32 v70, v71, v69
	v_mul_f32_e32 v72, v22, v70
	v_fma_f32 v22, v70, v22, -v72
	v_fmac_f32_e32 v22, v70, v17
	v_sub_f32_e32 v17, v74, v69
	v_add_f32_e32 v17, v67, v17
	v_add_f32_e32 v67, v72, v22
	v_sub_f32_e32 v73, v69, v67
	v_sub_f32_e32 v69, v69, v73
	v_sub_f32_e32 v72, v67, v72
	v_sub_f32_e32 v67, v69, v67
	v_add_f32_e32 v17, v17, v67
	v_sub_f32_e32 v22, v72, v22
	v_add_f32_e32 v17, v22, v17
	v_add_f32_e32 v22, v68, v70
	;; [unrolled: 1-line block ×3, first 2 shown]
	v_sub_f32_e32 v67, v22, v68
	v_mul_f32_e32 v17, v71, v17
	v_sub_f32_e32 v67, v70, v67
	v_add_f32_e32 v17, v67, v17
	v_cvt_f32_i32_e32 v16, v16
	v_add_f32_e32 v67, v22, v17
	v_mul_f32_e32 v68, v67, v67
	v_mov_b32_e32 v69, 0x3ecc95a3
	v_fmac_f32_e32 v69, 0x3e9b6dac, v68
	v_mov_b32_e32 v70, 0x3f2aaada
	v_fmac_f32_e32 v70, v68, v69
	v_mul_f32_e32 v69, 0x3f317218, v16
	v_fma_f32 v71, v16, s50, -v69
	v_fmac_f32_e32 v71, 0xb102e308, v16
	v_sub_f32_e32 v16, v67, v22
	v_sub_f32_e32 v16, v17, v16
	v_add_f32_e32 v17, v69, v71
	v_sub_f32_e32 v22, v17, v69
	v_ldexp_f32 v69, v67, 1
	v_mul_f32_e32 v67, v67, v68
	v_mul_f32_e32 v67, v67, v70
	v_add_f32_e32 v68, v69, v67
	v_sub_f32_e32 v69, v68, v69
	v_ldexp_f32 v16, v16, 1
	v_sub_f32_e32 v67, v67, v69
	v_add_f32_e32 v16, v16, v67
	v_add_f32_e32 v67, v68, v16
	v_sub_f32_e32 v68, v67, v68
	v_sub_f32_e32 v16, v16, v68
	v_add_f32_e32 v68, v17, v67
	v_sub_f32_e32 v69, v68, v17
	v_sub_f32_e32 v70, v68, v69
	;; [unrolled: 1-line block ×5, first 2 shown]
	v_add_f32_e32 v17, v67, v17
	v_add_f32_e32 v67, v22, v16
	v_sub_f32_e32 v69, v67, v22
	v_sub_f32_e32 v70, v67, v69
	;; [unrolled: 1-line block ×4, first 2 shown]
	v_add_f32_e32 v17, v67, v17
	v_add_f32_e32 v16, v16, v22
	;; [unrolled: 1-line block ×3, first 2 shown]
	v_sub_f32_e32 v67, v22, v68
	v_sub_f32_e32 v17, v17, v67
	v_add_f32_e32 v16, v16, v17
	v_add_f32_e32 v16, v22, v16
	v_cmp_neq_f32_e32 vcc, s7, v21
	s_mov_b32 s7, 0x33800000
	v_cndmask_b32_e32 v16, v18, v16, vcc
	v_cmp_lt_f32_e64 vcc, |v21|, s7
	v_cndmask_b32_e32 v16, v16, v21, vcc
	v_add_f32_e32 v16, v15, v16
.LBB442_221:
	s_or_b64 exec, exec, s[0:1]
	v_bfe_u32 v15, v16, 16, 1
	v_add3_u32 v15, v16, v15, s6
	v_cmp_o_f32_e32 vcc, v16, v16
	v_cndmask_b32_sdwa v14, v14, v15, vcc dst_sel:DWORD dst_unused:UNUSED_PAD src0_sel:DWORD src1_sel:WORD_1
	v_lshlrev_b32_e32 v16, 16, v14
	v_max_f32_e32 v15, v16, v16
	v_min_f32_e32 v17, v15, v25
	v_cmp_u_f32_e32 vcc, v16, v16
	v_max_f32_e32 v15, v15, v25
	v_cndmask_b32_e32 v17, v17, v16, vcc
	v_cndmask_b32_e32 v15, v15, v16, vcc
	v_cndmask_b32_e64 v17, v17, v23, s[2:3]
	v_cndmask_b32_e64 v15, v15, v23, s[2:3]
	s_movk_i32 s2, 0x1f8
	v_cmp_neq_f32_e32 vcc, v17, v15
	v_cmp_class_f32_e64 s[0:1], v17, s2
	s_or_b64 s[6:7], vcc, s[0:1]
	s_and_saveexec_b64 s[0:1], s[6:7]
	s_cbranch_execz .LBB442_223
; %bb.222:
	v_sub_f32_e32 v16, v17, v15
	s_mov_b32 s3, 0x3fb8aa3b
	v_mul_f32_e32 v17, 0x3fb8aa3b, v16
	v_fma_f32 v18, v16, s3, -v17
	v_rndne_f32_e32 v21, v17
	v_fmac_f32_e32 v18, 0x32a5705f, v16
	v_sub_f32_e32 v17, v17, v21
	v_add_f32_e32 v17, v17, v18
	v_exp_f32_e32 v17, v17
	v_cvt_i32_f32_e32 v18, v21
	s_mov_b32 s3, 0xc2ce8ed0
	v_cmp_ngt_f32_e32 vcc, s3, v16
	s_mov_b32 s3, 0x42b17218
	v_ldexp_f32 v17, v17, v18
	v_cndmask_b32_e32 v17, 0, v17, vcc
	v_mov_b32_e32 v18, 0x7f800000
	v_cmp_nlt_f32_e32 vcc, s3, v16
	v_cndmask_b32_e32 v21, v18, v17, vcc
	v_add_f32_e32 v22, 1.0, v21
	v_cvt_f64_f32_e32 v[16:17], v22
	v_add_f32_e32 v23, -1.0, v22
	v_sub_f32_e32 v25, v23, v22
	v_sub_f32_e32 v23, v21, v23
	v_frexp_exp_i32_f64_e32 v16, v[16:17]
	v_add_f32_e32 v17, 1.0, v25
	v_add_f32_e32 v17, v23, v17
	v_frexp_mant_f32_e32 v23, v22
	s_mov_b32 s6, 0x3f2aaaab
	v_cmp_gt_f32_e32 vcc, s6, v23
	s_mov_b32 s6, 0x3f317218
	s_mov_b32 s3, 0x7f800000
	v_subbrev_co_u32_e32 v16, vcc, 0, v16, vcc
	v_sub_u32_e32 v23, 0, v16
	v_ldexp_f32 v22, v22, v23
	v_ldexp_f32 v17, v17, v23
	v_add_f32_e32 v23, -1.0, v22
	v_add_f32_e32 v68, 1.0, v22
	v_add_f32_e32 v25, 1.0, v23
	v_add_f32_e32 v69, -1.0, v68
	v_sub_f32_e32 v25, v22, v25
	v_sub_f32_e32 v22, v22, v69
	v_add_f32_e32 v25, v17, v25
	v_add_f32_e32 v17, v17, v22
	;; [unrolled: 1-line block ×3, first 2 shown]
	v_rcp_f32_e32 v69, v22
	v_add_f32_e32 v67, v23, v25
	v_sub_f32_e32 v23, v23, v67
	v_add_f32_e32 v23, v25, v23
	v_sub_f32_e32 v25, v68, v22
	v_add_f32_e32 v17, v17, v25
	v_mul_f32_e32 v25, v67, v69
	v_mul_f32_e32 v68, v22, v25
	v_fma_f32 v70, v25, v22, -v68
	v_fmac_f32_e32 v70, v25, v17
	v_add_f32_e32 v71, v68, v70
	v_sub_f32_e32 v72, v67, v71
	v_sub_f32_e32 v67, v67, v72
	;; [unrolled: 1-line block ×4, first 2 shown]
	v_add_f32_e32 v23, v23, v67
	v_sub_f32_e32 v67, v68, v70
	v_add_f32_e32 v23, v67, v23
	v_add_f32_e32 v67, v72, v23
	v_mul_f32_e32 v68, v69, v67
	v_mul_f32_e32 v70, v22, v68
	v_fma_f32 v22, v68, v22, -v70
	v_fmac_f32_e32 v22, v68, v17
	v_sub_f32_e32 v17, v72, v67
	v_add_f32_e32 v17, v23, v17
	v_add_f32_e32 v23, v70, v22
	v_sub_f32_e32 v71, v67, v23
	v_sub_f32_e32 v67, v67, v71
	v_sub_f32_e32 v70, v23, v70
	v_sub_f32_e32 v23, v67, v23
	v_add_f32_e32 v17, v17, v23
	v_sub_f32_e32 v22, v70, v22
	v_add_f32_e32 v17, v22, v17
	v_add_f32_e32 v22, v25, v68
	;; [unrolled: 1-line block ×3, first 2 shown]
	v_sub_f32_e32 v23, v22, v25
	v_mul_f32_e32 v17, v69, v17
	v_sub_f32_e32 v23, v68, v23
	v_add_f32_e32 v17, v23, v17
	v_cvt_f32_i32_e32 v16, v16
	v_add_f32_e32 v23, v22, v17
	v_mul_f32_e32 v25, v23, v23
	v_mov_b32_e32 v67, 0x3ecc95a3
	v_fmac_f32_e32 v67, 0x3e9b6dac, v25
	v_mov_b32_e32 v68, 0x3f2aaada
	v_fmac_f32_e32 v68, v25, v67
	v_mul_f32_e32 v67, 0x3f317218, v16
	v_fma_f32 v69, v16, s6, -v67
	v_fmac_f32_e32 v69, 0xb102e308, v16
	v_sub_f32_e32 v16, v23, v22
	v_sub_f32_e32 v16, v17, v16
	v_add_f32_e32 v17, v67, v69
	v_sub_f32_e32 v22, v17, v67
	v_ldexp_f32 v67, v23, 1
	v_mul_f32_e32 v23, v23, v25
	v_mul_f32_e32 v23, v23, v68
	v_add_f32_e32 v25, v67, v23
	v_sub_f32_e32 v67, v25, v67
	v_ldexp_f32 v16, v16, 1
	v_sub_f32_e32 v23, v23, v67
	v_add_f32_e32 v16, v16, v23
	v_add_f32_e32 v23, v25, v16
	v_sub_f32_e32 v25, v23, v25
	v_sub_f32_e32 v16, v16, v25
	v_add_f32_e32 v25, v17, v23
	v_sub_f32_e32 v67, v25, v17
	v_sub_f32_e32 v68, v25, v67
	;; [unrolled: 1-line block ×5, first 2 shown]
	v_add_f32_e32 v17, v23, v17
	v_add_f32_e32 v23, v22, v16
	v_sub_f32_e32 v67, v23, v22
	v_sub_f32_e32 v68, v23, v67
	;; [unrolled: 1-line block ×4, first 2 shown]
	v_add_f32_e32 v17, v23, v17
	v_add_f32_e32 v16, v16, v22
	;; [unrolled: 1-line block ×3, first 2 shown]
	v_sub_f32_e32 v23, v22, v25
	v_sub_f32_e32 v17, v17, v23
	v_add_f32_e32 v16, v16, v17
	v_add_f32_e32 v16, v22, v16
	v_cmp_neq_f32_e32 vcc, s3, v21
	s_mov_b32 s3, 0x33800000
	v_cndmask_b32_e32 v16, v18, v16, vcc
	v_cmp_lt_f32_e64 vcc, |v21|, s3
	v_cndmask_b32_e32 v16, v16, v21, vcc
	v_add_f32_e32 v16, v15, v16
.LBB442_223:
	s_or_b64 exec, exec, s[0:1]
	v_bfe_u32 v15, v16, 16, 1
	s_movk_i32 s3, 0x7fff
	v_add3_u32 v15, v16, v15, s3
	v_cmp_o_f32_e32 vcc, v16, v16
	v_mov_b32_e32 v16, 0x7fc0
	v_cndmask_b32_sdwa v15, v16, v15, vcc dst_sel:DWORD dst_unused:UNUSED_PAD src0_sel:DWORD src1_sel:WORD_1
	v_lshlrev_b32_e32 v18, 16, v15
	v_max_f32_e32 v17, v18, v18
	v_min_f32_e32 v21, v17, v26
	v_cmp_u_f32_e32 vcc, v18, v18
	v_max_f32_e32 v17, v17, v26
	v_cndmask_b32_e32 v21, v21, v18, vcc
	v_cndmask_b32_e32 v17, v17, v18, vcc
	v_cndmask_b32_e64 v21, v21, v24, s[58:59]
	v_cndmask_b32_e64 v17, v17, v24, s[58:59]
	v_cmp_neq_f32_e32 vcc, v21, v17
	v_cmp_class_f32_e64 s[0:1], v21, s2
	s_or_b64 s[6:7], vcc, s[0:1]
	s_and_saveexec_b64 s[0:1], s[6:7]
	s_cbranch_execz .LBB442_225
; %bb.224:
	v_sub_f32_e32 v18, v21, v17
	s_mov_b32 s2, 0x3fb8aa3b
	v_mul_f32_e32 v21, 0x3fb8aa3b, v18
	v_fma_f32 v22, v18, s2, -v21
	v_rndne_f32_e32 v23, v21
	v_fmac_f32_e32 v22, 0x32a5705f, v18
	v_sub_f32_e32 v21, v21, v23
	v_add_f32_e32 v21, v21, v22
	v_exp_f32_e32 v21, v21
	v_cvt_i32_f32_e32 v22, v23
	s_mov_b32 s2, 0xc2ce8ed0
	v_cmp_ngt_f32_e32 vcc, s2, v18
	s_mov_b32 s2, 0x42b17218
	v_ldexp_f32 v21, v21, v22
	v_cndmask_b32_e32 v21, 0, v21, vcc
	v_mov_b32_e32 v23, 0x7f800000
	v_cmp_nlt_f32_e32 vcc, s2, v18
	v_cndmask_b32_e32 v18, v23, v21, vcc
	v_add_f32_e32 v24, 1.0, v18
	v_cvt_f64_f32_e32 v[21:22], v24
	v_add_f32_e32 v25, -1.0, v24
	v_sub_f32_e32 v26, v25, v24
	v_sub_f32_e32 v25, v18, v25
	v_frexp_exp_i32_f64_e32 v21, v[21:22]
	v_add_f32_e32 v22, 1.0, v26
	v_add_f32_e32 v22, v25, v22
	v_frexp_mant_f32_e32 v25, v24
	s_mov_b32 s6, 0x3f2aaaab
	v_cmp_gt_f32_e32 vcc, s6, v25
	s_mov_b32 s6, 0x3f317218
	s_mov_b32 s2, 0x7f800000
	v_subbrev_co_u32_e32 v21, vcc, 0, v21, vcc
	v_sub_u32_e32 v25, 0, v21
	v_ldexp_f32 v24, v24, v25
	v_ldexp_f32 v22, v22, v25
	v_add_f32_e32 v25, -1.0, v24
	v_add_f32_e32 v68, 1.0, v24
	v_add_f32_e32 v26, 1.0, v25
	v_add_f32_e32 v69, -1.0, v68
	v_sub_f32_e32 v26, v24, v26
	v_sub_f32_e32 v24, v24, v69
	v_add_f32_e32 v26, v22, v26
	v_add_f32_e32 v22, v22, v24
	v_add_f32_e32 v24, v68, v22
	v_rcp_f32_e32 v69, v24
	v_add_f32_e32 v67, v25, v26
	v_sub_f32_e32 v25, v25, v67
	v_add_f32_e32 v25, v26, v25
	v_sub_f32_e32 v26, v68, v24
	v_add_f32_e32 v22, v22, v26
	v_mul_f32_e32 v26, v67, v69
	v_mul_f32_e32 v68, v24, v26
	v_fma_f32 v70, v26, v24, -v68
	v_fmac_f32_e32 v70, v26, v22
	v_add_f32_e32 v71, v68, v70
	v_sub_f32_e32 v72, v67, v71
	v_sub_f32_e32 v67, v67, v72
	;; [unrolled: 1-line block ×4, first 2 shown]
	v_add_f32_e32 v25, v25, v67
	v_sub_f32_e32 v67, v68, v70
	v_add_f32_e32 v25, v67, v25
	v_add_f32_e32 v67, v72, v25
	v_mul_f32_e32 v68, v69, v67
	v_mul_f32_e32 v70, v24, v68
	v_fma_f32 v24, v68, v24, -v70
	v_fmac_f32_e32 v24, v68, v22
	v_sub_f32_e32 v22, v72, v67
	v_add_f32_e32 v22, v25, v22
	v_add_f32_e32 v25, v70, v24
	v_sub_f32_e32 v71, v67, v25
	v_sub_f32_e32 v67, v67, v71
	;; [unrolled: 1-line block ×4, first 2 shown]
	v_add_f32_e32 v22, v22, v25
	v_sub_f32_e32 v24, v70, v24
	v_add_f32_e32 v22, v24, v22
	v_add_f32_e32 v24, v26, v68
	;; [unrolled: 1-line block ×3, first 2 shown]
	v_sub_f32_e32 v25, v24, v26
	v_mul_f32_e32 v22, v69, v22
	v_sub_f32_e32 v25, v68, v25
	v_add_f32_e32 v22, v25, v22
	v_cvt_f32_i32_e32 v21, v21
	v_add_f32_e32 v25, v24, v22
	v_mul_f32_e32 v26, v25, v25
	v_mov_b32_e32 v67, 0x3ecc95a3
	v_fmac_f32_e32 v67, 0x3e9b6dac, v26
	v_mov_b32_e32 v68, 0x3f2aaada
	v_fmac_f32_e32 v68, v26, v67
	v_mul_f32_e32 v67, 0x3f317218, v21
	v_fma_f32 v69, v21, s6, -v67
	v_fmac_f32_e32 v69, 0xb102e308, v21
	v_sub_f32_e32 v21, v25, v24
	v_sub_f32_e32 v21, v22, v21
	v_add_f32_e32 v22, v67, v69
	v_sub_f32_e32 v24, v22, v67
	v_ldexp_f32 v67, v25, 1
	v_mul_f32_e32 v25, v25, v26
	v_mul_f32_e32 v25, v25, v68
	v_add_f32_e32 v26, v67, v25
	v_sub_f32_e32 v67, v26, v67
	v_ldexp_f32 v21, v21, 1
	v_sub_f32_e32 v25, v25, v67
	v_add_f32_e32 v21, v21, v25
	v_add_f32_e32 v25, v26, v21
	v_sub_f32_e32 v26, v25, v26
	v_sub_f32_e32 v21, v21, v26
	v_add_f32_e32 v26, v22, v25
	v_sub_f32_e32 v67, v26, v22
	v_sub_f32_e32 v68, v26, v67
	;; [unrolled: 1-line block ×5, first 2 shown]
	v_add_f32_e32 v22, v25, v22
	v_add_f32_e32 v25, v24, v21
	v_sub_f32_e32 v67, v25, v24
	v_sub_f32_e32 v68, v25, v67
	;; [unrolled: 1-line block ×4, first 2 shown]
	v_add_f32_e32 v22, v25, v22
	v_add_f32_e32 v21, v21, v24
	;; [unrolled: 1-line block ×3, first 2 shown]
	v_sub_f32_e32 v25, v24, v26
	v_sub_f32_e32 v22, v22, v25
	v_add_f32_e32 v21, v21, v22
	v_add_f32_e32 v21, v24, v21
	v_cmp_neq_f32_e32 vcc, s2, v18
	s_mov_b32 s2, 0x33800000
	v_cndmask_b32_e32 v21, v23, v21, vcc
	v_cmp_lt_f32_e64 vcc, |v18|, s2
	v_cndmask_b32_e32 v18, v21, v18, vcc
	v_add_f32_e32 v18, v17, v18
.LBB442_225:
	s_or_b64 exec, exec, s[0:1]
	v_bfe_u32 v17, v18, 16, 1
	v_add3_u32 v17, v18, v17, s3
	v_cmp_o_f32_e32 vcc, v18, v18
	v_cndmask_b32_sdwa v16, v16, v17, vcc dst_sel:DWORD dst_unused:UNUSED_PAD src0_sel:DWORD src1_sel:WORD_1
	v_lshlrev_b32_e32 v18, 16, v16
	v_max_f32_e32 v17, v18, v18
	v_min_f32_e32 v21, v17, v29
	v_cmp_u_f32_e32 vcc, v18, v18
	v_max_f32_e32 v17, v17, v29
	v_cndmask_b32_e32 v21, v21, v18, vcc
	v_cndmask_b32_e32 v17, v17, v18, vcc
	v_cndmask_b32_e64 v21, v21, v27, s[8:9]
	v_cndmask_b32_e64 v17, v17, v27, s[8:9]
	s_movk_i32 s2, 0x1f8
	v_cmp_neq_f32_e32 vcc, v21, v17
	v_cmp_class_f32_e64 s[0:1], v21, s2
	s_or_b64 s[6:7], vcc, s[0:1]
	s_and_saveexec_b64 s[0:1], s[6:7]
	s_cbranch_execz .LBB442_227
; %bb.226:
	v_sub_f32_e32 v18, v21, v17
	s_mov_b32 s3, 0x3fb8aa3b
	v_mul_f32_e32 v21, 0x3fb8aa3b, v18
	v_fma_f32 v22, v18, s3, -v21
	v_rndne_f32_e32 v23, v21
	v_fmac_f32_e32 v22, 0x32a5705f, v18
	v_sub_f32_e32 v21, v21, v23
	v_add_f32_e32 v21, v21, v22
	v_exp_f32_e32 v21, v21
	v_cvt_i32_f32_e32 v22, v23
	s_mov_b32 s3, 0xc2ce8ed0
	v_cmp_ngt_f32_e32 vcc, s3, v18
	s_mov_b32 s3, 0x42b17218
	v_ldexp_f32 v21, v21, v22
	v_cndmask_b32_e32 v21, 0, v21, vcc
	v_mov_b32_e32 v23, 0x7f800000
	v_cmp_nlt_f32_e32 vcc, s3, v18
	v_cndmask_b32_e32 v18, v23, v21, vcc
	v_add_f32_e32 v24, 1.0, v18
	v_cvt_f64_f32_e32 v[21:22], v24
	v_add_f32_e32 v25, -1.0, v24
	v_sub_f32_e32 v26, v25, v24
	v_sub_f32_e32 v25, v18, v25
	v_frexp_exp_i32_f64_e32 v21, v[21:22]
	v_add_f32_e32 v22, 1.0, v26
	v_add_f32_e32 v22, v25, v22
	v_frexp_mant_f32_e32 v25, v24
	s_mov_b32 s6, 0x3f2aaaab
	v_cmp_gt_f32_e32 vcc, s6, v25
	s_mov_b32 s6, 0x3f317218
	s_mov_b32 s3, 0x7f800000
	v_subbrev_co_u32_e32 v21, vcc, 0, v21, vcc
	v_sub_u32_e32 v25, 0, v21
	v_ldexp_f32 v24, v24, v25
	v_ldexp_f32 v22, v22, v25
	v_add_f32_e32 v25, -1.0, v24
	v_add_f32_e32 v29, 1.0, v24
	v_add_f32_e32 v26, 1.0, v25
	v_add_f32_e32 v67, -1.0, v29
	v_sub_f32_e32 v26, v24, v26
	v_sub_f32_e32 v24, v24, v67
	v_add_f32_e32 v26, v22, v26
	v_add_f32_e32 v22, v22, v24
	;; [unrolled: 1-line block ×3, first 2 shown]
	v_rcp_f32_e32 v67, v24
	v_add_f32_e32 v27, v25, v26
	v_sub_f32_e32 v25, v25, v27
	v_add_f32_e32 v25, v26, v25
	v_sub_f32_e32 v26, v29, v24
	v_add_f32_e32 v22, v22, v26
	v_mul_f32_e32 v26, v27, v67
	v_mul_f32_e32 v29, v24, v26
	v_fma_f32 v68, v26, v24, -v29
	v_fmac_f32_e32 v68, v26, v22
	v_add_f32_e32 v69, v29, v68
	v_sub_f32_e32 v70, v27, v69
	v_sub_f32_e32 v27, v27, v70
	;; [unrolled: 1-line block ×4, first 2 shown]
	v_add_f32_e32 v25, v25, v27
	v_sub_f32_e32 v27, v29, v68
	v_add_f32_e32 v25, v27, v25
	v_add_f32_e32 v27, v70, v25
	v_mul_f32_e32 v29, v67, v27
	v_mul_f32_e32 v68, v24, v29
	v_fma_f32 v24, v29, v24, -v68
	v_fmac_f32_e32 v24, v29, v22
	v_sub_f32_e32 v22, v70, v27
	v_add_f32_e32 v22, v25, v22
	v_add_f32_e32 v25, v68, v24
	v_sub_f32_e32 v69, v27, v25
	v_sub_f32_e32 v27, v27, v69
	v_sub_f32_e32 v68, v25, v68
	v_sub_f32_e32 v25, v27, v25
	v_add_f32_e32 v22, v22, v25
	v_sub_f32_e32 v24, v68, v24
	v_add_f32_e32 v22, v24, v22
	v_add_f32_e32 v24, v26, v29
	;; [unrolled: 1-line block ×3, first 2 shown]
	v_sub_f32_e32 v25, v24, v26
	v_mul_f32_e32 v22, v67, v22
	v_sub_f32_e32 v25, v29, v25
	v_add_f32_e32 v22, v25, v22
	v_cvt_f32_i32_e32 v21, v21
	v_add_f32_e32 v25, v24, v22
	v_mul_f32_e32 v26, v25, v25
	v_mov_b32_e32 v27, 0x3ecc95a3
	v_fmac_f32_e32 v27, 0x3e9b6dac, v26
	v_mov_b32_e32 v29, 0x3f2aaada
	v_fmac_f32_e32 v29, v26, v27
	v_mul_f32_e32 v27, 0x3f317218, v21
	v_fma_f32 v67, v21, s6, -v27
	v_fmac_f32_e32 v67, 0xb102e308, v21
	v_sub_f32_e32 v21, v25, v24
	v_sub_f32_e32 v21, v22, v21
	v_add_f32_e32 v22, v27, v67
	v_sub_f32_e32 v24, v22, v27
	v_ldexp_f32 v27, v25, 1
	v_mul_f32_e32 v25, v25, v26
	v_mul_f32_e32 v25, v25, v29
	v_add_f32_e32 v26, v27, v25
	v_sub_f32_e32 v27, v26, v27
	v_ldexp_f32 v21, v21, 1
	v_sub_f32_e32 v25, v25, v27
	v_add_f32_e32 v21, v21, v25
	v_add_f32_e32 v25, v26, v21
	v_sub_f32_e32 v26, v25, v26
	v_sub_f32_e32 v21, v21, v26
	v_add_f32_e32 v26, v22, v25
	v_sub_f32_e32 v27, v26, v22
	v_sub_f32_e32 v29, v26, v27
	;; [unrolled: 1-line block ×5, first 2 shown]
	v_add_f32_e32 v22, v25, v22
	v_add_f32_e32 v25, v24, v21
	v_sub_f32_e32 v27, v25, v24
	v_sub_f32_e32 v29, v25, v27
	;; [unrolled: 1-line block ×4, first 2 shown]
	v_add_f32_e32 v22, v25, v22
	v_add_f32_e32 v21, v21, v24
	;; [unrolled: 1-line block ×3, first 2 shown]
	v_sub_f32_e32 v25, v24, v26
	v_sub_f32_e32 v22, v22, v25
	v_add_f32_e32 v21, v21, v22
	v_add_f32_e32 v21, v24, v21
	v_cmp_neq_f32_e32 vcc, s3, v18
	s_mov_b32 s3, 0x33800000
	v_cndmask_b32_e32 v21, v23, v21, vcc
	v_cmp_lt_f32_e64 vcc, |v18|, s3
	v_cndmask_b32_e32 v18, v21, v18, vcc
	v_add_f32_e32 v18, v17, v18
.LBB442_227:
	s_or_b64 exec, exec, s[0:1]
	v_bfe_u32 v17, v18, 16, 1
	s_movk_i32 s3, 0x7fff
	v_add3_u32 v17, v18, v17, s3
	v_cmp_o_f32_e32 vcc, v18, v18
	v_mov_b32_e32 v18, 0x7fc0
	v_cndmask_b32_sdwa v17, v18, v17, vcc dst_sel:DWORD dst_unused:UNUSED_PAD src0_sel:DWORD src1_sel:WORD_1
	v_lshlrev_b32_e32 v22, 16, v17
	v_max_f32_e32 v21, v22, v22
	v_min_f32_e32 v23, v21, v30
	v_cmp_u_f32_e32 vcc, v22, v22
	v_max_f32_e32 v21, v21, v30
	v_cndmask_b32_e32 v23, v23, v22, vcc
	v_cndmask_b32_e32 v21, v21, v22, vcc
	v_cndmask_b32_e64 v23, v23, v28, s[10:11]
	v_cndmask_b32_e64 v21, v21, v28, s[10:11]
	v_cmp_neq_f32_e32 vcc, v23, v21
	v_cmp_class_f32_e64 s[0:1], v23, s2
	s_or_b64 s[6:7], vcc, s[0:1]
	s_and_saveexec_b64 s[0:1], s[6:7]
	s_cbranch_execz .LBB442_229
; %bb.228:
	v_sub_f32_e32 v22, v23, v21
	s_mov_b32 s2, 0x3fb8aa3b
	v_mul_f32_e32 v23, 0x3fb8aa3b, v22
	v_fma_f32 v24, v22, s2, -v23
	v_rndne_f32_e32 v25, v23
	v_fmac_f32_e32 v24, 0x32a5705f, v22
	v_sub_f32_e32 v23, v23, v25
	v_add_f32_e32 v23, v23, v24
	v_exp_f32_e32 v23, v23
	v_cvt_i32_f32_e32 v24, v25
	s_mov_b32 s2, 0xc2ce8ed0
	v_cmp_ngt_f32_e32 vcc, s2, v22
	s_mov_b32 s2, 0x42b17218
	v_ldexp_f32 v23, v23, v24
	v_cndmask_b32_e32 v23, 0, v23, vcc
	v_mov_b32_e32 v24, 0x7f800000
	v_cmp_nlt_f32_e32 vcc, s2, v22
	v_cndmask_b32_e32 v25, v24, v23, vcc
	v_add_f32_e32 v26, 1.0, v25
	v_cvt_f64_f32_e32 v[22:23], v26
	v_add_f32_e32 v27, -1.0, v26
	v_sub_f32_e32 v28, v27, v26
	v_sub_f32_e32 v27, v25, v27
	v_frexp_exp_i32_f64_e32 v22, v[22:23]
	v_add_f32_e32 v23, 1.0, v28
	v_add_f32_e32 v23, v27, v23
	v_frexp_mant_f32_e32 v27, v26
	s_mov_b32 s6, 0x3f2aaaab
	v_cmp_gt_f32_e32 vcc, s6, v27
	s_mov_b32 s6, 0x3f317218
	s_mov_b32 s2, 0x7f800000
	v_subbrev_co_u32_e32 v22, vcc, 0, v22, vcc
	v_sub_u32_e32 v27, 0, v22
	v_ldexp_f32 v26, v26, v27
	v_ldexp_f32 v23, v23, v27
	v_add_f32_e32 v27, -1.0, v26
	v_add_f32_e32 v30, 1.0, v26
	v_add_f32_e32 v28, 1.0, v27
	v_add_f32_e32 v67, -1.0, v30
	v_sub_f32_e32 v28, v26, v28
	v_sub_f32_e32 v26, v26, v67
	v_add_f32_e32 v28, v23, v28
	v_add_f32_e32 v23, v23, v26
	;; [unrolled: 1-line block ×3, first 2 shown]
	v_rcp_f32_e32 v67, v26
	v_add_f32_e32 v29, v27, v28
	v_sub_f32_e32 v27, v27, v29
	v_add_f32_e32 v27, v28, v27
	v_sub_f32_e32 v28, v30, v26
	v_add_f32_e32 v23, v23, v28
	v_mul_f32_e32 v28, v29, v67
	v_mul_f32_e32 v30, v26, v28
	v_fma_f32 v68, v28, v26, -v30
	v_fmac_f32_e32 v68, v28, v23
	v_add_f32_e32 v69, v30, v68
	v_sub_f32_e32 v70, v29, v69
	v_sub_f32_e32 v29, v29, v70
	;; [unrolled: 1-line block ×4, first 2 shown]
	v_add_f32_e32 v27, v27, v29
	v_sub_f32_e32 v29, v30, v68
	v_add_f32_e32 v27, v29, v27
	v_add_f32_e32 v29, v70, v27
	v_mul_f32_e32 v30, v67, v29
	v_mul_f32_e32 v68, v26, v30
	v_fma_f32 v26, v30, v26, -v68
	v_fmac_f32_e32 v26, v30, v23
	v_sub_f32_e32 v23, v70, v29
	v_add_f32_e32 v23, v27, v23
	v_add_f32_e32 v27, v68, v26
	v_sub_f32_e32 v69, v29, v27
	v_sub_f32_e32 v29, v29, v69
	;; [unrolled: 1-line block ×4, first 2 shown]
	v_add_f32_e32 v23, v23, v27
	v_sub_f32_e32 v26, v68, v26
	v_add_f32_e32 v23, v26, v23
	v_add_f32_e32 v26, v28, v30
	;; [unrolled: 1-line block ×3, first 2 shown]
	v_sub_f32_e32 v27, v26, v28
	v_mul_f32_e32 v23, v67, v23
	v_sub_f32_e32 v27, v30, v27
	v_add_f32_e32 v23, v27, v23
	v_cvt_f32_i32_e32 v22, v22
	v_add_f32_e32 v27, v26, v23
	v_mul_f32_e32 v28, v27, v27
	v_mov_b32_e32 v29, 0x3ecc95a3
	v_fmac_f32_e32 v29, 0x3e9b6dac, v28
	v_mov_b32_e32 v30, 0x3f2aaada
	v_fmac_f32_e32 v30, v28, v29
	v_mul_f32_e32 v29, 0x3f317218, v22
	v_fma_f32 v67, v22, s6, -v29
	v_fmac_f32_e32 v67, 0xb102e308, v22
	v_sub_f32_e32 v22, v27, v26
	v_sub_f32_e32 v22, v23, v22
	v_add_f32_e32 v23, v29, v67
	v_sub_f32_e32 v26, v23, v29
	v_ldexp_f32 v29, v27, 1
	v_mul_f32_e32 v27, v27, v28
	v_mul_f32_e32 v27, v27, v30
	v_add_f32_e32 v28, v29, v27
	v_sub_f32_e32 v29, v28, v29
	v_ldexp_f32 v22, v22, 1
	v_sub_f32_e32 v27, v27, v29
	v_add_f32_e32 v22, v22, v27
	v_add_f32_e32 v27, v28, v22
	v_sub_f32_e32 v28, v27, v28
	v_sub_f32_e32 v22, v22, v28
	v_add_f32_e32 v28, v23, v27
	v_sub_f32_e32 v29, v28, v23
	v_sub_f32_e32 v30, v28, v29
	;; [unrolled: 1-line block ×5, first 2 shown]
	v_add_f32_e32 v23, v27, v23
	v_add_f32_e32 v27, v26, v22
	v_sub_f32_e32 v29, v27, v26
	v_sub_f32_e32 v30, v27, v29
	;; [unrolled: 1-line block ×4, first 2 shown]
	v_add_f32_e32 v23, v27, v23
	v_add_f32_e32 v22, v22, v26
	;; [unrolled: 1-line block ×3, first 2 shown]
	v_sub_f32_e32 v27, v26, v28
	v_sub_f32_e32 v23, v23, v27
	v_add_f32_e32 v22, v22, v23
	v_add_f32_e32 v22, v26, v22
	v_cmp_neq_f32_e32 vcc, s2, v25
	s_mov_b32 s2, 0x33800000
	v_cndmask_b32_e32 v22, v24, v22, vcc
	v_cmp_lt_f32_e64 vcc, |v25|, s2
	v_cndmask_b32_e32 v22, v22, v25, vcc
	v_add_f32_e32 v22, v21, v22
.LBB442_229:
	s_or_b64 exec, exec, s[0:1]
	v_bfe_u32 v21, v22, 16, 1
	v_add3_u32 v21, v22, v21, s3
	v_cmp_o_f32_e32 vcc, v22, v22
	v_cndmask_b32_sdwa v18, v18, v21, vcc dst_sel:DWORD dst_unused:UNUSED_PAD src0_sel:DWORD src1_sel:WORD_1
	v_lshlrev_b32_e32 v22, 16, v18
	v_max_f32_e32 v21, v22, v22
	v_min_f32_e32 v23, v21, v33
	v_cmp_u_f32_e32 vcc, v22, v22
	v_max_f32_e32 v21, v21, v33
	v_cndmask_b32_e32 v23, v23, v22, vcc
	v_cndmask_b32_e32 v21, v21, v22, vcc
	v_cndmask_b32_e64 v23, v23, v31, s[12:13]
	v_cndmask_b32_e64 v21, v21, v31, s[12:13]
	s_movk_i32 s2, 0x1f8
	v_cmp_neq_f32_e32 vcc, v23, v21
	v_cmp_class_f32_e64 s[0:1], v23, s2
	s_or_b64 s[6:7], vcc, s[0:1]
	s_and_saveexec_b64 s[0:1], s[6:7]
	s_cbranch_execz .LBB442_231
; %bb.230:
	v_sub_f32_e32 v22, v23, v21
	s_mov_b32 s3, 0x3fb8aa3b
	v_mul_f32_e32 v23, 0x3fb8aa3b, v22
	v_fma_f32 v24, v22, s3, -v23
	v_rndne_f32_e32 v25, v23
	v_fmac_f32_e32 v24, 0x32a5705f, v22
	v_sub_f32_e32 v23, v23, v25
	v_add_f32_e32 v23, v23, v24
	v_exp_f32_e32 v23, v23
	v_cvt_i32_f32_e32 v24, v25
	s_mov_b32 s3, 0xc2ce8ed0
	v_cmp_ngt_f32_e32 vcc, s3, v22
	s_mov_b32 s3, 0x42b17218
	v_ldexp_f32 v23, v23, v24
	v_cndmask_b32_e32 v23, 0, v23, vcc
	v_mov_b32_e32 v24, 0x7f800000
	v_cmp_nlt_f32_e32 vcc, s3, v22
	v_cndmask_b32_e32 v25, v24, v23, vcc
	v_add_f32_e32 v26, 1.0, v25
	v_cvt_f64_f32_e32 v[22:23], v26
	v_add_f32_e32 v27, -1.0, v26
	v_sub_f32_e32 v28, v27, v26
	v_sub_f32_e32 v27, v25, v27
	v_frexp_exp_i32_f64_e32 v22, v[22:23]
	v_add_f32_e32 v23, 1.0, v28
	v_add_f32_e32 v23, v27, v23
	v_frexp_mant_f32_e32 v27, v26
	s_mov_b32 s6, 0x3f2aaaab
	v_cmp_gt_f32_e32 vcc, s6, v27
	s_mov_b32 s6, 0x3f317218
	s_mov_b32 s3, 0x7f800000
	v_subbrev_co_u32_e32 v22, vcc, 0, v22, vcc
	v_sub_u32_e32 v27, 0, v22
	v_ldexp_f32 v26, v26, v27
	v_ldexp_f32 v23, v23, v27
	v_add_f32_e32 v27, -1.0, v26
	v_add_f32_e32 v30, 1.0, v26
	v_add_f32_e32 v28, 1.0, v27
	v_add_f32_e32 v31, -1.0, v30
	v_sub_f32_e32 v28, v26, v28
	v_sub_f32_e32 v26, v26, v31
	v_add_f32_e32 v28, v23, v28
	v_add_f32_e32 v23, v23, v26
	;; [unrolled: 1-line block ×3, first 2 shown]
	v_rcp_f32_e32 v31, v26
	v_add_f32_e32 v29, v27, v28
	v_sub_f32_e32 v27, v27, v29
	v_add_f32_e32 v27, v28, v27
	v_sub_f32_e32 v28, v30, v26
	v_add_f32_e32 v23, v23, v28
	v_mul_f32_e32 v28, v29, v31
	v_mul_f32_e32 v30, v26, v28
	v_fma_f32 v33, v28, v26, -v30
	v_fmac_f32_e32 v33, v28, v23
	v_add_f32_e32 v67, v30, v33
	v_sub_f32_e32 v68, v29, v67
	v_sub_f32_e32 v29, v29, v68
	;; [unrolled: 1-line block ×4, first 2 shown]
	v_add_f32_e32 v27, v27, v29
	v_sub_f32_e32 v29, v30, v33
	v_add_f32_e32 v27, v29, v27
	v_add_f32_e32 v29, v68, v27
	v_mul_f32_e32 v30, v31, v29
	v_mul_f32_e32 v33, v26, v30
	v_fma_f32 v26, v30, v26, -v33
	v_fmac_f32_e32 v26, v30, v23
	v_sub_f32_e32 v23, v68, v29
	v_add_f32_e32 v23, v27, v23
	v_add_f32_e32 v27, v33, v26
	v_sub_f32_e32 v67, v29, v27
	v_sub_f32_e32 v29, v29, v67
	;; [unrolled: 1-line block ×4, first 2 shown]
	v_add_f32_e32 v23, v23, v27
	v_sub_f32_e32 v26, v33, v26
	v_add_f32_e32 v23, v26, v23
	v_add_f32_e32 v26, v28, v30
	;; [unrolled: 1-line block ×3, first 2 shown]
	v_sub_f32_e32 v27, v26, v28
	v_mul_f32_e32 v23, v31, v23
	v_sub_f32_e32 v27, v30, v27
	v_add_f32_e32 v23, v27, v23
	v_cvt_f32_i32_e32 v22, v22
	v_add_f32_e32 v27, v26, v23
	v_mul_f32_e32 v28, v27, v27
	v_mov_b32_e32 v29, 0x3ecc95a3
	v_fmac_f32_e32 v29, 0x3e9b6dac, v28
	v_mov_b32_e32 v30, 0x3f2aaada
	v_fmac_f32_e32 v30, v28, v29
	v_mul_f32_e32 v29, 0x3f317218, v22
	v_fma_f32 v31, v22, s6, -v29
	v_fmac_f32_e32 v31, 0xb102e308, v22
	v_sub_f32_e32 v22, v27, v26
	v_sub_f32_e32 v22, v23, v22
	v_add_f32_e32 v23, v29, v31
	v_sub_f32_e32 v26, v23, v29
	v_ldexp_f32 v29, v27, 1
	v_mul_f32_e32 v27, v27, v28
	v_mul_f32_e32 v27, v27, v30
	v_add_f32_e32 v28, v29, v27
	v_sub_f32_e32 v29, v28, v29
	v_ldexp_f32 v22, v22, 1
	v_sub_f32_e32 v27, v27, v29
	v_add_f32_e32 v22, v22, v27
	v_add_f32_e32 v27, v28, v22
	v_sub_f32_e32 v28, v27, v28
	v_sub_f32_e32 v22, v22, v28
	v_add_f32_e32 v28, v23, v27
	v_sub_f32_e32 v29, v28, v23
	v_sub_f32_e32 v30, v28, v29
	;; [unrolled: 1-line block ×5, first 2 shown]
	v_add_f32_e32 v23, v27, v23
	v_add_f32_e32 v27, v26, v22
	v_sub_f32_e32 v29, v27, v26
	v_sub_f32_e32 v30, v27, v29
	;; [unrolled: 1-line block ×4, first 2 shown]
	v_add_f32_e32 v23, v27, v23
	v_add_f32_e32 v22, v22, v26
	;; [unrolled: 1-line block ×3, first 2 shown]
	v_sub_f32_e32 v27, v26, v28
	v_sub_f32_e32 v23, v23, v27
	v_add_f32_e32 v22, v22, v23
	v_add_f32_e32 v22, v26, v22
	v_cmp_neq_f32_e32 vcc, s3, v25
	s_mov_b32 s3, 0x33800000
	v_cndmask_b32_e32 v22, v24, v22, vcc
	v_cmp_lt_f32_e64 vcc, |v25|, s3
	v_cndmask_b32_e32 v22, v22, v25, vcc
	v_add_f32_e32 v22, v21, v22
.LBB442_231:
	s_or_b64 exec, exec, s[0:1]
	v_bfe_u32 v21, v22, 16, 1
	s_movk_i32 s3, 0x7fff
	v_add3_u32 v21, v22, v21, s3
	v_cmp_o_f32_e32 vcc, v22, v22
	v_mov_b32_e32 v22, 0x7fc0
	v_cndmask_b32_sdwa v21, v22, v21, vcc dst_sel:DWORD dst_unused:UNUSED_PAD src0_sel:DWORD src1_sel:WORD_1
	v_lshlrev_b32_e32 v24, 16, v21
	v_max_f32_e32 v23, v24, v24
	v_min_f32_e32 v25, v23, v34
	v_cmp_u_f32_e32 vcc, v24, v24
	v_max_f32_e32 v23, v23, v34
	v_cndmask_b32_e32 v25, v25, v24, vcc
	v_cndmask_b32_e32 v23, v23, v24, vcc
	v_cndmask_b32_e64 v25, v25, v32, s[14:15]
	v_cndmask_b32_e64 v23, v23, v32, s[14:15]
	v_cmp_neq_f32_e32 vcc, v25, v23
	v_cmp_class_f32_e64 s[0:1], v25, s2
	s_or_b64 s[6:7], vcc, s[0:1]
	s_and_saveexec_b64 s[0:1], s[6:7]
	s_cbranch_execz .LBB442_233
; %bb.232:
	v_sub_f32_e32 v24, v25, v23
	s_mov_b32 s2, 0x3fb8aa3b
	v_mul_f32_e32 v25, 0x3fb8aa3b, v24
	v_fma_f32 v26, v24, s2, -v25
	v_rndne_f32_e32 v27, v25
	v_fmac_f32_e32 v26, 0x32a5705f, v24
	v_sub_f32_e32 v25, v25, v27
	v_add_f32_e32 v25, v25, v26
	v_exp_f32_e32 v25, v25
	v_cvt_i32_f32_e32 v26, v27
	s_mov_b32 s2, 0xc2ce8ed0
	v_cmp_ngt_f32_e32 vcc, s2, v24
	s_mov_b32 s2, 0x42b17218
	v_ldexp_f32 v25, v25, v26
	v_cndmask_b32_e32 v25, 0, v25, vcc
	v_mov_b32_e32 v26, 0x7f800000
	v_cmp_nlt_f32_e32 vcc, s2, v24
	v_cndmask_b32_e32 v27, v26, v25, vcc
	v_add_f32_e32 v28, 1.0, v27
	v_cvt_f64_f32_e32 v[24:25], v28
	v_add_f32_e32 v29, -1.0, v28
	v_sub_f32_e32 v30, v29, v28
	v_sub_f32_e32 v29, v27, v29
	v_frexp_exp_i32_f64_e32 v24, v[24:25]
	v_add_f32_e32 v25, 1.0, v30
	v_add_f32_e32 v25, v29, v25
	v_frexp_mant_f32_e32 v29, v28
	s_mov_b32 s6, 0x3f2aaaab
	v_cmp_gt_f32_e32 vcc, s6, v29
	s_mov_b32 s6, 0x3f317218
	s_mov_b32 s2, 0x7f800000
	v_subbrev_co_u32_e32 v24, vcc, 0, v24, vcc
	v_sub_u32_e32 v29, 0, v24
	v_ldexp_f32 v28, v28, v29
	v_ldexp_f32 v25, v25, v29
	v_add_f32_e32 v29, -1.0, v28
	v_add_f32_e32 v32, 1.0, v28
	v_add_f32_e32 v30, 1.0, v29
	v_add_f32_e32 v33, -1.0, v32
	v_sub_f32_e32 v30, v28, v30
	v_sub_f32_e32 v28, v28, v33
	v_add_f32_e32 v30, v25, v30
	v_add_f32_e32 v25, v25, v28
	;; [unrolled: 1-line block ×3, first 2 shown]
	v_rcp_f32_e32 v33, v28
	v_add_f32_e32 v31, v29, v30
	v_sub_f32_e32 v29, v29, v31
	v_add_f32_e32 v29, v30, v29
	v_sub_f32_e32 v30, v32, v28
	v_add_f32_e32 v25, v25, v30
	v_mul_f32_e32 v30, v31, v33
	v_mul_f32_e32 v32, v28, v30
	v_fma_f32 v34, v30, v28, -v32
	v_fmac_f32_e32 v34, v30, v25
	v_add_f32_e32 v67, v32, v34
	v_sub_f32_e32 v68, v31, v67
	v_sub_f32_e32 v31, v31, v68
	;; [unrolled: 1-line block ×4, first 2 shown]
	v_add_f32_e32 v29, v29, v31
	v_sub_f32_e32 v31, v32, v34
	v_add_f32_e32 v29, v31, v29
	v_add_f32_e32 v31, v68, v29
	v_mul_f32_e32 v32, v33, v31
	v_mul_f32_e32 v34, v28, v32
	v_fma_f32 v28, v32, v28, -v34
	v_fmac_f32_e32 v28, v32, v25
	v_sub_f32_e32 v25, v68, v31
	v_add_f32_e32 v25, v29, v25
	v_add_f32_e32 v29, v34, v28
	v_sub_f32_e32 v67, v31, v29
	v_sub_f32_e32 v31, v31, v67
	;; [unrolled: 1-line block ×4, first 2 shown]
	v_add_f32_e32 v25, v25, v29
	v_sub_f32_e32 v28, v34, v28
	v_add_f32_e32 v25, v28, v25
	v_add_f32_e32 v28, v30, v32
	;; [unrolled: 1-line block ×3, first 2 shown]
	v_sub_f32_e32 v29, v28, v30
	v_mul_f32_e32 v25, v33, v25
	v_sub_f32_e32 v29, v32, v29
	v_add_f32_e32 v25, v29, v25
	v_cvt_f32_i32_e32 v24, v24
	v_add_f32_e32 v29, v28, v25
	v_mul_f32_e32 v30, v29, v29
	v_mov_b32_e32 v31, 0x3ecc95a3
	v_fmac_f32_e32 v31, 0x3e9b6dac, v30
	v_mov_b32_e32 v32, 0x3f2aaada
	v_fmac_f32_e32 v32, v30, v31
	v_mul_f32_e32 v31, 0x3f317218, v24
	v_fma_f32 v33, v24, s6, -v31
	v_fmac_f32_e32 v33, 0xb102e308, v24
	v_sub_f32_e32 v24, v29, v28
	v_sub_f32_e32 v24, v25, v24
	v_add_f32_e32 v25, v31, v33
	v_sub_f32_e32 v28, v25, v31
	v_ldexp_f32 v31, v29, 1
	v_mul_f32_e32 v29, v29, v30
	v_mul_f32_e32 v29, v29, v32
	v_add_f32_e32 v30, v31, v29
	v_sub_f32_e32 v31, v30, v31
	v_ldexp_f32 v24, v24, 1
	v_sub_f32_e32 v29, v29, v31
	v_add_f32_e32 v24, v24, v29
	v_add_f32_e32 v29, v30, v24
	v_sub_f32_e32 v30, v29, v30
	v_sub_f32_e32 v24, v24, v30
	v_add_f32_e32 v30, v25, v29
	v_sub_f32_e32 v31, v30, v25
	v_sub_f32_e32 v32, v30, v31
	v_sub_f32_e32 v28, v33, v28
	v_sub_f32_e32 v25, v25, v32
	v_sub_f32_e32 v29, v29, v31
	v_add_f32_e32 v25, v29, v25
	v_add_f32_e32 v29, v28, v24
	v_sub_f32_e32 v31, v29, v28
	v_sub_f32_e32 v32, v29, v31
	;; [unrolled: 1-line block ×4, first 2 shown]
	v_add_f32_e32 v25, v29, v25
	v_add_f32_e32 v24, v24, v28
	;; [unrolled: 1-line block ×3, first 2 shown]
	v_sub_f32_e32 v29, v28, v30
	v_sub_f32_e32 v25, v25, v29
	v_add_f32_e32 v24, v24, v25
	v_add_f32_e32 v24, v28, v24
	v_cmp_neq_f32_e32 vcc, s2, v27
	s_mov_b32 s2, 0x33800000
	v_cndmask_b32_e32 v24, v26, v24, vcc
	v_cmp_lt_f32_e64 vcc, |v27|, s2
	v_cndmask_b32_e32 v24, v24, v27, vcc
	v_add_f32_e32 v24, v23, v24
.LBB442_233:
	s_or_b64 exec, exec, s[0:1]
	v_bfe_u32 v23, v24, 16, 1
	v_add3_u32 v23, v24, v23, s3
	v_cmp_o_f32_e32 vcc, v24, v24
	v_cndmask_b32_sdwa v22, v22, v23, vcc dst_sel:DWORD dst_unused:UNUSED_PAD src0_sel:DWORD src1_sel:WORD_1
	v_lshlrev_b32_e32 v24, 16, v22
	v_max_f32_e32 v23, v24, v24
	v_min_f32_e32 v25, v23, v37
	v_cmp_u_f32_e32 vcc, v24, v24
	v_max_f32_e32 v23, v23, v37
	v_cndmask_b32_e32 v25, v25, v24, vcc
	v_cndmask_b32_e32 v23, v23, v24, vcc
	v_cndmask_b32_e64 v25, v25, v35, s[16:17]
	v_cndmask_b32_e64 v23, v23, v35, s[16:17]
	s_movk_i32 s2, 0x1f8
	v_cmp_neq_f32_e32 vcc, v25, v23
	v_cmp_class_f32_e64 s[0:1], v25, s2
	s_or_b64 s[6:7], vcc, s[0:1]
	s_and_saveexec_b64 s[0:1], s[6:7]
	s_cbranch_execz .LBB442_235
; %bb.234:
	v_sub_f32_e32 v24, v25, v23
	s_mov_b32 s3, 0x3fb8aa3b
	v_mul_f32_e32 v25, 0x3fb8aa3b, v24
	v_fma_f32 v26, v24, s3, -v25
	v_rndne_f32_e32 v27, v25
	v_fmac_f32_e32 v26, 0x32a5705f, v24
	v_sub_f32_e32 v25, v25, v27
	v_add_f32_e32 v25, v25, v26
	v_exp_f32_e32 v25, v25
	v_cvt_i32_f32_e32 v26, v27
	s_mov_b32 s3, 0xc2ce8ed0
	v_cmp_ngt_f32_e32 vcc, s3, v24
	s_mov_b32 s3, 0x42b17218
	v_ldexp_f32 v25, v25, v26
	v_cndmask_b32_e32 v25, 0, v25, vcc
	v_mov_b32_e32 v26, 0x7f800000
	v_cmp_nlt_f32_e32 vcc, s3, v24
	v_cndmask_b32_e32 v27, v26, v25, vcc
	v_add_f32_e32 v28, 1.0, v27
	v_cvt_f64_f32_e32 v[24:25], v28
	v_add_f32_e32 v29, -1.0, v28
	v_sub_f32_e32 v30, v29, v28
	v_sub_f32_e32 v29, v27, v29
	v_frexp_exp_i32_f64_e32 v24, v[24:25]
	v_add_f32_e32 v25, 1.0, v30
	v_add_f32_e32 v25, v29, v25
	v_frexp_mant_f32_e32 v29, v28
	s_mov_b32 s6, 0x3f2aaaab
	v_cmp_gt_f32_e32 vcc, s6, v29
	s_mov_b32 s6, 0x3f317218
	s_mov_b32 s3, 0x7f800000
	v_subbrev_co_u32_e32 v24, vcc, 0, v24, vcc
	v_sub_u32_e32 v29, 0, v24
	v_ldexp_f32 v28, v28, v29
	v_ldexp_f32 v25, v25, v29
	v_add_f32_e32 v29, -1.0, v28
	v_add_f32_e32 v32, 1.0, v28
	v_add_f32_e32 v30, 1.0, v29
	v_add_f32_e32 v33, -1.0, v32
	v_sub_f32_e32 v30, v28, v30
	v_sub_f32_e32 v28, v28, v33
	v_add_f32_e32 v30, v25, v30
	v_add_f32_e32 v25, v25, v28
	;; [unrolled: 1-line block ×3, first 2 shown]
	v_rcp_f32_e32 v33, v28
	v_add_f32_e32 v31, v29, v30
	v_sub_f32_e32 v29, v29, v31
	v_add_f32_e32 v29, v30, v29
	v_sub_f32_e32 v30, v32, v28
	v_add_f32_e32 v25, v25, v30
	v_mul_f32_e32 v30, v31, v33
	v_mul_f32_e32 v32, v28, v30
	v_fma_f32 v34, v30, v28, -v32
	v_fmac_f32_e32 v34, v30, v25
	v_add_f32_e32 v35, v32, v34
	v_sub_f32_e32 v37, v31, v35
	v_sub_f32_e32 v31, v31, v37
	;; [unrolled: 1-line block ×4, first 2 shown]
	v_add_f32_e32 v29, v29, v31
	v_sub_f32_e32 v31, v32, v34
	v_add_f32_e32 v29, v31, v29
	v_add_f32_e32 v31, v37, v29
	v_mul_f32_e32 v32, v33, v31
	v_mul_f32_e32 v34, v28, v32
	v_fma_f32 v28, v32, v28, -v34
	v_fmac_f32_e32 v28, v32, v25
	v_sub_f32_e32 v25, v37, v31
	v_add_f32_e32 v25, v29, v25
	v_add_f32_e32 v29, v34, v28
	v_sub_f32_e32 v35, v31, v29
	v_sub_f32_e32 v31, v31, v35
	;; [unrolled: 1-line block ×4, first 2 shown]
	v_add_f32_e32 v25, v25, v29
	v_sub_f32_e32 v28, v34, v28
	v_add_f32_e32 v25, v28, v25
	v_add_f32_e32 v28, v30, v32
	;; [unrolled: 1-line block ×3, first 2 shown]
	v_sub_f32_e32 v29, v28, v30
	v_mul_f32_e32 v25, v33, v25
	v_sub_f32_e32 v29, v32, v29
	v_add_f32_e32 v25, v29, v25
	v_cvt_f32_i32_e32 v24, v24
	v_add_f32_e32 v29, v28, v25
	v_mul_f32_e32 v30, v29, v29
	v_mov_b32_e32 v31, 0x3ecc95a3
	v_fmac_f32_e32 v31, 0x3e9b6dac, v30
	v_mov_b32_e32 v32, 0x3f2aaada
	v_fmac_f32_e32 v32, v30, v31
	v_mul_f32_e32 v31, 0x3f317218, v24
	v_fma_f32 v33, v24, s6, -v31
	v_fmac_f32_e32 v33, 0xb102e308, v24
	v_sub_f32_e32 v24, v29, v28
	v_sub_f32_e32 v24, v25, v24
	v_add_f32_e32 v25, v31, v33
	v_sub_f32_e32 v28, v25, v31
	v_ldexp_f32 v31, v29, 1
	v_mul_f32_e32 v29, v29, v30
	v_mul_f32_e32 v29, v29, v32
	v_add_f32_e32 v30, v31, v29
	v_sub_f32_e32 v31, v30, v31
	v_ldexp_f32 v24, v24, 1
	v_sub_f32_e32 v29, v29, v31
	v_add_f32_e32 v24, v24, v29
	v_add_f32_e32 v29, v30, v24
	v_sub_f32_e32 v30, v29, v30
	v_sub_f32_e32 v24, v24, v30
	v_add_f32_e32 v30, v25, v29
	v_sub_f32_e32 v31, v30, v25
	v_sub_f32_e32 v32, v30, v31
	;; [unrolled: 1-line block ×5, first 2 shown]
	v_add_f32_e32 v25, v29, v25
	v_add_f32_e32 v29, v28, v24
	v_sub_f32_e32 v31, v29, v28
	v_sub_f32_e32 v32, v29, v31
	;; [unrolled: 1-line block ×4, first 2 shown]
	v_add_f32_e32 v25, v29, v25
	v_add_f32_e32 v24, v24, v28
	;; [unrolled: 1-line block ×3, first 2 shown]
	v_sub_f32_e32 v29, v28, v30
	v_sub_f32_e32 v25, v25, v29
	v_add_f32_e32 v24, v24, v25
	v_add_f32_e32 v24, v28, v24
	v_cmp_neq_f32_e32 vcc, s3, v27
	s_mov_b32 s3, 0x33800000
	v_cndmask_b32_e32 v24, v26, v24, vcc
	v_cmp_lt_f32_e64 vcc, |v27|, s3
	v_cndmask_b32_e32 v24, v24, v27, vcc
	v_add_f32_e32 v24, v23, v24
.LBB442_235:
	s_or_b64 exec, exec, s[0:1]
	v_bfe_u32 v23, v24, 16, 1
	s_movk_i32 s3, 0x7fff
	v_add3_u32 v23, v24, v23, s3
	v_cmp_o_f32_e32 vcc, v24, v24
	v_mov_b32_e32 v24, 0x7fc0
	v_cndmask_b32_sdwa v23, v24, v23, vcc dst_sel:DWORD dst_unused:UNUSED_PAD src0_sel:DWORD src1_sel:WORD_1
	v_lshlrev_b32_e32 v26, 16, v23
	v_max_f32_e32 v25, v26, v26
	v_min_f32_e32 v27, v25, v38
	v_cmp_u_f32_e32 vcc, v26, v26
	v_max_f32_e32 v25, v25, v38
	v_cndmask_b32_e32 v27, v27, v26, vcc
	v_cndmask_b32_e32 v25, v25, v26, vcc
	v_cndmask_b32_e64 v27, v27, v36, s[18:19]
	v_cndmask_b32_e64 v25, v25, v36, s[18:19]
	v_cmp_neq_f32_e32 vcc, v27, v25
	v_cmp_class_f32_e64 s[0:1], v27, s2
	s_or_b64 s[6:7], vcc, s[0:1]
	s_and_saveexec_b64 s[0:1], s[6:7]
	s_cbranch_execz .LBB442_237
; %bb.236:
	v_sub_f32_e32 v26, v27, v25
	s_mov_b32 s2, 0x3fb8aa3b
	v_mul_f32_e32 v27, 0x3fb8aa3b, v26
	v_fma_f32 v28, v26, s2, -v27
	v_rndne_f32_e32 v29, v27
	v_fmac_f32_e32 v28, 0x32a5705f, v26
	v_sub_f32_e32 v27, v27, v29
	v_add_f32_e32 v27, v27, v28
	v_exp_f32_e32 v27, v27
	v_cvt_i32_f32_e32 v28, v29
	s_mov_b32 s2, 0xc2ce8ed0
	v_cmp_ngt_f32_e32 vcc, s2, v26
	s_mov_b32 s2, 0x42b17218
	v_ldexp_f32 v27, v27, v28
	v_cndmask_b32_e32 v27, 0, v27, vcc
	v_mov_b32_e32 v28, 0x7f800000
	v_cmp_nlt_f32_e32 vcc, s2, v26
	v_cndmask_b32_e32 v29, v28, v27, vcc
	v_add_f32_e32 v30, 1.0, v29
	v_cvt_f64_f32_e32 v[26:27], v30
	v_add_f32_e32 v31, -1.0, v30
	v_sub_f32_e32 v32, v31, v30
	v_sub_f32_e32 v31, v29, v31
	v_frexp_exp_i32_f64_e32 v26, v[26:27]
	v_add_f32_e32 v27, 1.0, v32
	v_add_f32_e32 v27, v31, v27
	v_frexp_mant_f32_e32 v31, v30
	s_mov_b32 s6, 0x3f2aaaab
	v_cmp_gt_f32_e32 vcc, s6, v31
	s_mov_b32 s6, 0x3f317218
	s_mov_b32 s2, 0x7f800000
	v_subbrev_co_u32_e32 v26, vcc, 0, v26, vcc
	v_sub_u32_e32 v31, 0, v26
	v_ldexp_f32 v30, v30, v31
	v_ldexp_f32 v27, v27, v31
	v_add_f32_e32 v31, -1.0, v30
	v_add_f32_e32 v34, 1.0, v30
	v_add_f32_e32 v32, 1.0, v31
	v_add_f32_e32 v35, -1.0, v34
	v_sub_f32_e32 v32, v30, v32
	v_sub_f32_e32 v30, v30, v35
	v_add_f32_e32 v32, v27, v32
	v_add_f32_e32 v27, v27, v30
	;; [unrolled: 1-line block ×3, first 2 shown]
	v_rcp_f32_e32 v35, v30
	v_add_f32_e32 v33, v31, v32
	v_sub_f32_e32 v31, v31, v33
	v_add_f32_e32 v31, v32, v31
	v_sub_f32_e32 v32, v34, v30
	v_add_f32_e32 v27, v27, v32
	v_mul_f32_e32 v32, v33, v35
	v_mul_f32_e32 v34, v30, v32
	v_fma_f32 v36, v32, v30, -v34
	v_fmac_f32_e32 v36, v32, v27
	v_add_f32_e32 v37, v34, v36
	v_sub_f32_e32 v38, v33, v37
	v_sub_f32_e32 v33, v33, v38
	;; [unrolled: 1-line block ×4, first 2 shown]
	v_add_f32_e32 v31, v31, v33
	v_sub_f32_e32 v33, v34, v36
	v_add_f32_e32 v31, v33, v31
	v_add_f32_e32 v33, v38, v31
	v_mul_f32_e32 v34, v35, v33
	v_mul_f32_e32 v36, v30, v34
	v_fma_f32 v30, v34, v30, -v36
	v_fmac_f32_e32 v30, v34, v27
	v_sub_f32_e32 v27, v38, v33
	v_add_f32_e32 v27, v31, v27
	v_add_f32_e32 v31, v36, v30
	v_sub_f32_e32 v37, v33, v31
	v_sub_f32_e32 v33, v33, v37
	;; [unrolled: 1-line block ×4, first 2 shown]
	v_add_f32_e32 v27, v27, v31
	v_sub_f32_e32 v30, v36, v30
	v_add_f32_e32 v27, v30, v27
	v_add_f32_e32 v30, v32, v34
	;; [unrolled: 1-line block ×3, first 2 shown]
	v_sub_f32_e32 v31, v30, v32
	v_mul_f32_e32 v27, v35, v27
	v_sub_f32_e32 v31, v34, v31
	v_add_f32_e32 v27, v31, v27
	v_cvt_f32_i32_e32 v26, v26
	v_add_f32_e32 v31, v30, v27
	v_mul_f32_e32 v32, v31, v31
	v_mov_b32_e32 v33, 0x3ecc95a3
	v_fmac_f32_e32 v33, 0x3e9b6dac, v32
	v_mov_b32_e32 v34, 0x3f2aaada
	v_fmac_f32_e32 v34, v32, v33
	v_mul_f32_e32 v33, 0x3f317218, v26
	v_fma_f32 v35, v26, s6, -v33
	v_fmac_f32_e32 v35, 0xb102e308, v26
	v_sub_f32_e32 v26, v31, v30
	v_sub_f32_e32 v26, v27, v26
	v_add_f32_e32 v27, v33, v35
	v_sub_f32_e32 v30, v27, v33
	v_ldexp_f32 v33, v31, 1
	v_mul_f32_e32 v31, v31, v32
	v_mul_f32_e32 v31, v31, v34
	v_add_f32_e32 v32, v33, v31
	v_sub_f32_e32 v33, v32, v33
	v_ldexp_f32 v26, v26, 1
	v_sub_f32_e32 v31, v31, v33
	v_add_f32_e32 v26, v26, v31
	v_add_f32_e32 v31, v32, v26
	v_sub_f32_e32 v32, v31, v32
	v_sub_f32_e32 v26, v26, v32
	v_add_f32_e32 v32, v27, v31
	v_sub_f32_e32 v33, v32, v27
	v_sub_f32_e32 v34, v32, v33
	;; [unrolled: 1-line block ×5, first 2 shown]
	v_add_f32_e32 v27, v31, v27
	v_add_f32_e32 v31, v30, v26
	v_sub_f32_e32 v33, v31, v30
	v_sub_f32_e32 v34, v31, v33
	;; [unrolled: 1-line block ×4, first 2 shown]
	v_add_f32_e32 v27, v31, v27
	v_add_f32_e32 v26, v26, v30
	;; [unrolled: 1-line block ×3, first 2 shown]
	v_sub_f32_e32 v31, v30, v32
	v_sub_f32_e32 v27, v27, v31
	v_add_f32_e32 v26, v26, v27
	v_add_f32_e32 v26, v30, v26
	v_cmp_neq_f32_e32 vcc, s2, v29
	s_mov_b32 s2, 0x33800000
	v_cndmask_b32_e32 v26, v28, v26, vcc
	v_cmp_lt_f32_e64 vcc, |v29|, s2
	v_cndmask_b32_e32 v26, v26, v29, vcc
	v_add_f32_e32 v26, v25, v26
.LBB442_237:
	s_or_b64 exec, exec, s[0:1]
	v_bfe_u32 v25, v26, 16, 1
	v_add3_u32 v25, v26, v25, s3
	v_cmp_o_f32_e32 vcc, v26, v26
	v_cndmask_b32_sdwa v24, v24, v25, vcc dst_sel:DWORD dst_unused:UNUSED_PAD src0_sel:DWORD src1_sel:WORD_1
	v_lshlrev_b32_e32 v26, 16, v24
	v_max_f32_e32 v25, v26, v26
	v_min_f32_e32 v27, v25, v41
	v_cmp_u_f32_e32 vcc, v26, v26
	v_max_f32_e32 v25, v25, v41
	v_cndmask_b32_e32 v27, v27, v26, vcc
	v_cndmask_b32_e32 v25, v25, v26, vcc
	v_cndmask_b32_e64 v27, v27, v39, s[20:21]
	v_cndmask_b32_e64 v25, v25, v39, s[20:21]
	s_movk_i32 s2, 0x1f8
	v_cmp_neq_f32_e32 vcc, v27, v25
	v_cmp_class_f32_e64 s[0:1], v27, s2
	s_or_b64 s[6:7], vcc, s[0:1]
	s_and_saveexec_b64 s[0:1], s[6:7]
	s_cbranch_execz .LBB442_239
; %bb.238:
	v_sub_f32_e32 v26, v27, v25
	s_mov_b32 s3, 0x3fb8aa3b
	v_mul_f32_e32 v27, 0x3fb8aa3b, v26
	v_fma_f32 v28, v26, s3, -v27
	v_rndne_f32_e32 v29, v27
	v_fmac_f32_e32 v28, 0x32a5705f, v26
	v_sub_f32_e32 v27, v27, v29
	v_add_f32_e32 v27, v27, v28
	v_exp_f32_e32 v27, v27
	v_cvt_i32_f32_e32 v28, v29
	s_mov_b32 s3, 0xc2ce8ed0
	v_cmp_ngt_f32_e32 vcc, s3, v26
	s_mov_b32 s3, 0x42b17218
	v_ldexp_f32 v27, v27, v28
	v_cndmask_b32_e32 v27, 0, v27, vcc
	v_mov_b32_e32 v28, 0x7f800000
	v_cmp_nlt_f32_e32 vcc, s3, v26
	v_cndmask_b32_e32 v29, v28, v27, vcc
	v_add_f32_e32 v30, 1.0, v29
	v_cvt_f64_f32_e32 v[26:27], v30
	v_add_f32_e32 v31, -1.0, v30
	v_sub_f32_e32 v32, v31, v30
	v_sub_f32_e32 v31, v29, v31
	v_frexp_exp_i32_f64_e32 v26, v[26:27]
	v_add_f32_e32 v27, 1.0, v32
	v_add_f32_e32 v27, v31, v27
	v_frexp_mant_f32_e32 v31, v30
	s_mov_b32 s6, 0x3f2aaaab
	v_cmp_gt_f32_e32 vcc, s6, v31
	s_mov_b32 s6, 0x3f317218
	s_mov_b32 s3, 0x7f800000
	v_subbrev_co_u32_e32 v26, vcc, 0, v26, vcc
	v_sub_u32_e32 v31, 0, v26
	v_ldexp_f32 v30, v30, v31
	v_ldexp_f32 v27, v27, v31
	v_add_f32_e32 v31, -1.0, v30
	v_add_f32_e32 v34, 1.0, v30
	v_add_f32_e32 v32, 1.0, v31
	v_add_f32_e32 v35, -1.0, v34
	v_sub_f32_e32 v32, v30, v32
	v_sub_f32_e32 v30, v30, v35
	v_add_f32_e32 v32, v27, v32
	v_add_f32_e32 v27, v27, v30
	;; [unrolled: 1-line block ×3, first 2 shown]
	v_rcp_f32_e32 v35, v30
	v_add_f32_e32 v33, v31, v32
	v_sub_f32_e32 v31, v31, v33
	v_add_f32_e32 v31, v32, v31
	v_sub_f32_e32 v32, v34, v30
	v_add_f32_e32 v27, v27, v32
	v_mul_f32_e32 v32, v33, v35
	v_mul_f32_e32 v34, v30, v32
	v_fma_f32 v36, v32, v30, -v34
	v_fmac_f32_e32 v36, v32, v27
	v_add_f32_e32 v37, v34, v36
	v_sub_f32_e32 v38, v33, v37
	v_sub_f32_e32 v33, v33, v38
	v_sub_f32_e32 v34, v37, v34
	v_sub_f32_e32 v33, v33, v37
	v_add_f32_e32 v31, v31, v33
	v_sub_f32_e32 v33, v34, v36
	v_add_f32_e32 v31, v33, v31
	v_add_f32_e32 v33, v38, v31
	v_mul_f32_e32 v34, v35, v33
	v_mul_f32_e32 v36, v30, v34
	v_fma_f32 v30, v34, v30, -v36
	v_fmac_f32_e32 v30, v34, v27
	v_sub_f32_e32 v27, v38, v33
	v_add_f32_e32 v27, v31, v27
	v_add_f32_e32 v31, v36, v30
	v_sub_f32_e32 v37, v33, v31
	v_sub_f32_e32 v33, v33, v37
	;; [unrolled: 1-line block ×4, first 2 shown]
	v_add_f32_e32 v27, v27, v31
	v_sub_f32_e32 v30, v36, v30
	v_add_f32_e32 v27, v30, v27
	v_add_f32_e32 v30, v32, v34
	v_add_f32_e32 v27, v37, v27
	v_sub_f32_e32 v31, v30, v32
	v_mul_f32_e32 v27, v35, v27
	v_sub_f32_e32 v31, v34, v31
	v_add_f32_e32 v27, v31, v27
	v_cvt_f32_i32_e32 v26, v26
	v_add_f32_e32 v31, v30, v27
	v_mul_f32_e32 v32, v31, v31
	v_mov_b32_e32 v33, 0x3ecc95a3
	v_fmac_f32_e32 v33, 0x3e9b6dac, v32
	v_mov_b32_e32 v34, 0x3f2aaada
	v_fmac_f32_e32 v34, v32, v33
	v_mul_f32_e32 v33, 0x3f317218, v26
	v_fma_f32 v35, v26, s6, -v33
	v_fmac_f32_e32 v35, 0xb102e308, v26
	v_sub_f32_e32 v26, v31, v30
	v_sub_f32_e32 v26, v27, v26
	v_add_f32_e32 v27, v33, v35
	v_sub_f32_e32 v30, v27, v33
	v_ldexp_f32 v33, v31, 1
	v_mul_f32_e32 v31, v31, v32
	v_mul_f32_e32 v31, v31, v34
	v_add_f32_e32 v32, v33, v31
	v_sub_f32_e32 v33, v32, v33
	v_ldexp_f32 v26, v26, 1
	v_sub_f32_e32 v31, v31, v33
	v_add_f32_e32 v26, v26, v31
	v_add_f32_e32 v31, v32, v26
	v_sub_f32_e32 v32, v31, v32
	v_sub_f32_e32 v26, v26, v32
	v_add_f32_e32 v32, v27, v31
	v_sub_f32_e32 v33, v32, v27
	v_sub_f32_e32 v34, v32, v33
	v_sub_f32_e32 v30, v35, v30
	v_sub_f32_e32 v27, v27, v34
	v_sub_f32_e32 v31, v31, v33
	v_add_f32_e32 v27, v31, v27
	v_add_f32_e32 v31, v30, v26
	v_sub_f32_e32 v33, v31, v30
	v_sub_f32_e32 v34, v31, v33
	;; [unrolled: 1-line block ×4, first 2 shown]
	v_add_f32_e32 v27, v31, v27
	v_add_f32_e32 v26, v26, v30
	;; [unrolled: 1-line block ×3, first 2 shown]
	v_sub_f32_e32 v31, v30, v32
	v_sub_f32_e32 v27, v27, v31
	v_add_f32_e32 v26, v26, v27
	v_add_f32_e32 v26, v30, v26
	v_cmp_neq_f32_e32 vcc, s3, v29
	s_mov_b32 s3, 0x33800000
	v_cndmask_b32_e32 v26, v28, v26, vcc
	v_cmp_lt_f32_e64 vcc, |v29|, s3
	v_cndmask_b32_e32 v26, v26, v29, vcc
	v_add_f32_e32 v26, v25, v26
.LBB442_239:
	s_or_b64 exec, exec, s[0:1]
	v_bfe_u32 v25, v26, 16, 1
	s_movk_i32 s3, 0x7fff
	v_add3_u32 v25, v26, v25, s3
	v_cmp_o_f32_e32 vcc, v26, v26
	v_mov_b32_e32 v26, 0x7fc0
	v_cndmask_b32_sdwa v25, v26, v25, vcc dst_sel:DWORD dst_unused:UNUSED_PAD src0_sel:DWORD src1_sel:WORD_1
	v_lshlrev_b32_e32 v28, 16, v25
	v_max_f32_e32 v27, v28, v28
	v_min_f32_e32 v29, v27, v42
	v_cmp_u_f32_e32 vcc, v28, v28
	v_max_f32_e32 v27, v27, v42
	v_cndmask_b32_e32 v29, v29, v28, vcc
	v_cndmask_b32_e32 v27, v27, v28, vcc
	v_cndmask_b32_e64 v29, v29, v40, s[22:23]
	v_cndmask_b32_e64 v27, v27, v40, s[22:23]
	v_cmp_neq_f32_e32 vcc, v29, v27
	v_cmp_class_f32_e64 s[0:1], v29, s2
	s_or_b64 s[6:7], vcc, s[0:1]
	s_and_saveexec_b64 s[0:1], s[6:7]
	s_cbranch_execz .LBB442_241
; %bb.240:
	v_sub_f32_e32 v28, v29, v27
	s_mov_b32 s2, 0x3fb8aa3b
	v_mul_f32_e32 v29, 0x3fb8aa3b, v28
	v_fma_f32 v30, v28, s2, -v29
	v_rndne_f32_e32 v31, v29
	v_fmac_f32_e32 v30, 0x32a5705f, v28
	v_sub_f32_e32 v29, v29, v31
	v_add_f32_e32 v29, v29, v30
	v_exp_f32_e32 v29, v29
	v_cvt_i32_f32_e32 v30, v31
	s_mov_b32 s2, 0xc2ce8ed0
	v_cmp_ngt_f32_e32 vcc, s2, v28
	s_mov_b32 s2, 0x42b17218
	v_ldexp_f32 v29, v29, v30
	v_cndmask_b32_e32 v29, 0, v29, vcc
	v_mov_b32_e32 v30, 0x7f800000
	v_cmp_nlt_f32_e32 vcc, s2, v28
	v_cndmask_b32_e32 v31, v30, v29, vcc
	v_add_f32_e32 v32, 1.0, v31
	v_cvt_f64_f32_e32 v[28:29], v32
	v_add_f32_e32 v33, -1.0, v32
	v_sub_f32_e32 v34, v33, v32
	v_sub_f32_e32 v33, v31, v33
	v_frexp_exp_i32_f64_e32 v28, v[28:29]
	v_add_f32_e32 v29, 1.0, v34
	v_add_f32_e32 v29, v33, v29
	v_frexp_mant_f32_e32 v33, v32
	s_mov_b32 s6, 0x3f2aaaab
	v_cmp_gt_f32_e32 vcc, s6, v33
	s_mov_b32 s6, 0x3f317218
	s_mov_b32 s2, 0x7f800000
	v_subbrev_co_u32_e32 v28, vcc, 0, v28, vcc
	v_sub_u32_e32 v33, 0, v28
	v_ldexp_f32 v32, v32, v33
	v_ldexp_f32 v29, v29, v33
	v_add_f32_e32 v33, -1.0, v32
	v_add_f32_e32 v36, 1.0, v32
	v_add_f32_e32 v34, 1.0, v33
	v_add_f32_e32 v37, -1.0, v36
	v_sub_f32_e32 v34, v32, v34
	v_sub_f32_e32 v32, v32, v37
	v_add_f32_e32 v34, v29, v34
	v_add_f32_e32 v29, v29, v32
	;; [unrolled: 1-line block ×3, first 2 shown]
	v_rcp_f32_e32 v37, v32
	v_add_f32_e32 v35, v33, v34
	v_sub_f32_e32 v33, v33, v35
	v_add_f32_e32 v33, v34, v33
	v_sub_f32_e32 v34, v36, v32
	v_add_f32_e32 v29, v29, v34
	v_mul_f32_e32 v34, v35, v37
	v_mul_f32_e32 v36, v32, v34
	v_fma_f32 v38, v34, v32, -v36
	v_fmac_f32_e32 v38, v34, v29
	v_add_f32_e32 v39, v36, v38
	v_sub_f32_e32 v40, v35, v39
	v_sub_f32_e32 v35, v35, v40
	;; [unrolled: 1-line block ×4, first 2 shown]
	v_add_f32_e32 v33, v33, v35
	v_sub_f32_e32 v35, v36, v38
	v_add_f32_e32 v33, v35, v33
	v_add_f32_e32 v35, v40, v33
	v_mul_f32_e32 v36, v37, v35
	v_mul_f32_e32 v38, v32, v36
	v_fma_f32 v32, v36, v32, -v38
	v_fmac_f32_e32 v32, v36, v29
	v_sub_f32_e32 v29, v40, v35
	v_add_f32_e32 v29, v33, v29
	v_add_f32_e32 v33, v38, v32
	v_sub_f32_e32 v39, v35, v33
	v_sub_f32_e32 v35, v35, v39
	;; [unrolled: 1-line block ×4, first 2 shown]
	v_add_f32_e32 v29, v29, v33
	v_sub_f32_e32 v32, v38, v32
	v_add_f32_e32 v29, v32, v29
	v_add_f32_e32 v32, v34, v36
	;; [unrolled: 1-line block ×3, first 2 shown]
	v_sub_f32_e32 v33, v32, v34
	v_mul_f32_e32 v29, v37, v29
	v_sub_f32_e32 v33, v36, v33
	v_add_f32_e32 v29, v33, v29
	v_cvt_f32_i32_e32 v28, v28
	v_add_f32_e32 v33, v32, v29
	v_mul_f32_e32 v34, v33, v33
	v_mov_b32_e32 v35, 0x3ecc95a3
	v_fmac_f32_e32 v35, 0x3e9b6dac, v34
	v_mov_b32_e32 v36, 0x3f2aaada
	v_fmac_f32_e32 v36, v34, v35
	v_mul_f32_e32 v35, 0x3f317218, v28
	v_fma_f32 v37, v28, s6, -v35
	v_fmac_f32_e32 v37, 0xb102e308, v28
	v_sub_f32_e32 v28, v33, v32
	v_sub_f32_e32 v28, v29, v28
	v_add_f32_e32 v29, v35, v37
	v_sub_f32_e32 v32, v29, v35
	v_ldexp_f32 v35, v33, 1
	v_mul_f32_e32 v33, v33, v34
	v_mul_f32_e32 v33, v33, v36
	v_add_f32_e32 v34, v35, v33
	v_sub_f32_e32 v35, v34, v35
	v_ldexp_f32 v28, v28, 1
	v_sub_f32_e32 v33, v33, v35
	v_add_f32_e32 v28, v28, v33
	v_add_f32_e32 v33, v34, v28
	v_sub_f32_e32 v34, v33, v34
	v_sub_f32_e32 v28, v28, v34
	v_add_f32_e32 v34, v29, v33
	v_sub_f32_e32 v35, v34, v29
	v_sub_f32_e32 v36, v34, v35
	;; [unrolled: 1-line block ×5, first 2 shown]
	v_add_f32_e32 v29, v33, v29
	v_add_f32_e32 v33, v32, v28
	v_sub_f32_e32 v35, v33, v32
	v_sub_f32_e32 v36, v33, v35
	;; [unrolled: 1-line block ×4, first 2 shown]
	v_add_f32_e32 v29, v33, v29
	v_add_f32_e32 v28, v28, v32
	;; [unrolled: 1-line block ×3, first 2 shown]
	v_sub_f32_e32 v33, v32, v34
	v_sub_f32_e32 v29, v29, v33
	v_add_f32_e32 v28, v28, v29
	v_add_f32_e32 v28, v32, v28
	v_cmp_neq_f32_e32 vcc, s2, v31
	s_mov_b32 s2, 0x33800000
	v_cndmask_b32_e32 v28, v30, v28, vcc
	v_cmp_lt_f32_e64 vcc, |v31|, s2
	v_cndmask_b32_e32 v28, v28, v31, vcc
	v_add_f32_e32 v28, v27, v28
.LBB442_241:
	s_or_b64 exec, exec, s[0:1]
	v_bfe_u32 v27, v28, 16, 1
	v_add3_u32 v27, v28, v27, s3
	v_cmp_o_f32_e32 vcc, v28, v28
	v_cndmask_b32_sdwa v26, v26, v27, vcc dst_sel:DWORD dst_unused:UNUSED_PAD src0_sel:DWORD src1_sel:WORD_1
	v_lshlrev_b32_e32 v28, 16, v26
	v_max_f32_e32 v27, v28, v28
	v_min_f32_e32 v29, v27, v45
	v_cmp_u_f32_e32 vcc, v28, v28
	v_max_f32_e32 v27, v27, v45
	v_cndmask_b32_e32 v29, v29, v28, vcc
	v_cndmask_b32_e32 v27, v27, v28, vcc
	v_cndmask_b32_e64 v29, v29, v43, s[24:25]
	v_cndmask_b32_e64 v27, v27, v43, s[24:25]
	s_movk_i32 s2, 0x1f8
	v_cmp_neq_f32_e32 vcc, v29, v27
	v_cmp_class_f32_e64 s[0:1], v29, s2
	s_or_b64 s[6:7], vcc, s[0:1]
	s_and_saveexec_b64 s[0:1], s[6:7]
	s_cbranch_execz .LBB442_243
; %bb.242:
	v_sub_f32_e32 v28, v29, v27
	s_mov_b32 s3, 0x3fb8aa3b
	v_mul_f32_e32 v29, 0x3fb8aa3b, v28
	v_fma_f32 v30, v28, s3, -v29
	v_rndne_f32_e32 v31, v29
	v_fmac_f32_e32 v30, 0x32a5705f, v28
	v_sub_f32_e32 v29, v29, v31
	v_add_f32_e32 v29, v29, v30
	v_exp_f32_e32 v29, v29
	v_cvt_i32_f32_e32 v30, v31
	s_mov_b32 s3, 0xc2ce8ed0
	v_cmp_ngt_f32_e32 vcc, s3, v28
	s_mov_b32 s3, 0x42b17218
	v_ldexp_f32 v29, v29, v30
	v_cndmask_b32_e32 v29, 0, v29, vcc
	v_mov_b32_e32 v30, 0x7f800000
	v_cmp_nlt_f32_e32 vcc, s3, v28
	v_cndmask_b32_e32 v31, v30, v29, vcc
	v_add_f32_e32 v32, 1.0, v31
	v_cvt_f64_f32_e32 v[28:29], v32
	v_add_f32_e32 v33, -1.0, v32
	v_sub_f32_e32 v34, v33, v32
	v_sub_f32_e32 v33, v31, v33
	v_frexp_exp_i32_f64_e32 v28, v[28:29]
	v_add_f32_e32 v29, 1.0, v34
	v_add_f32_e32 v29, v33, v29
	v_frexp_mant_f32_e32 v33, v32
	s_mov_b32 s6, 0x3f2aaaab
	v_cmp_gt_f32_e32 vcc, s6, v33
	s_mov_b32 s6, 0x3f317218
	s_mov_b32 s3, 0x7f800000
	v_subbrev_co_u32_e32 v28, vcc, 0, v28, vcc
	v_sub_u32_e32 v33, 0, v28
	v_ldexp_f32 v32, v32, v33
	v_ldexp_f32 v29, v29, v33
	v_add_f32_e32 v33, -1.0, v32
	v_add_f32_e32 v36, 1.0, v32
	v_add_f32_e32 v34, 1.0, v33
	v_add_f32_e32 v37, -1.0, v36
	v_sub_f32_e32 v34, v32, v34
	v_sub_f32_e32 v32, v32, v37
	v_add_f32_e32 v34, v29, v34
	v_add_f32_e32 v29, v29, v32
	;; [unrolled: 1-line block ×3, first 2 shown]
	v_rcp_f32_e32 v37, v32
	v_add_f32_e32 v35, v33, v34
	v_sub_f32_e32 v33, v33, v35
	v_add_f32_e32 v33, v34, v33
	v_sub_f32_e32 v34, v36, v32
	v_add_f32_e32 v29, v29, v34
	v_mul_f32_e32 v34, v35, v37
	v_mul_f32_e32 v36, v32, v34
	v_fma_f32 v38, v34, v32, -v36
	v_fmac_f32_e32 v38, v34, v29
	v_add_f32_e32 v39, v36, v38
	v_sub_f32_e32 v40, v35, v39
	v_sub_f32_e32 v35, v35, v40
	;; [unrolled: 1-line block ×4, first 2 shown]
	v_add_f32_e32 v33, v33, v35
	v_sub_f32_e32 v35, v36, v38
	v_add_f32_e32 v33, v35, v33
	v_add_f32_e32 v35, v40, v33
	v_mul_f32_e32 v36, v37, v35
	v_mul_f32_e32 v38, v32, v36
	v_fma_f32 v32, v36, v32, -v38
	v_fmac_f32_e32 v32, v36, v29
	v_sub_f32_e32 v29, v40, v35
	v_add_f32_e32 v29, v33, v29
	v_add_f32_e32 v33, v38, v32
	v_sub_f32_e32 v39, v35, v33
	v_sub_f32_e32 v35, v35, v39
	;; [unrolled: 1-line block ×4, first 2 shown]
	v_add_f32_e32 v29, v29, v33
	v_sub_f32_e32 v32, v38, v32
	v_add_f32_e32 v29, v32, v29
	v_add_f32_e32 v32, v34, v36
	;; [unrolled: 1-line block ×3, first 2 shown]
	v_sub_f32_e32 v33, v32, v34
	v_mul_f32_e32 v29, v37, v29
	v_sub_f32_e32 v33, v36, v33
	v_add_f32_e32 v29, v33, v29
	v_cvt_f32_i32_e32 v28, v28
	v_add_f32_e32 v33, v32, v29
	v_mul_f32_e32 v34, v33, v33
	v_mov_b32_e32 v35, 0x3ecc95a3
	v_fmac_f32_e32 v35, 0x3e9b6dac, v34
	v_mov_b32_e32 v36, 0x3f2aaada
	v_fmac_f32_e32 v36, v34, v35
	v_mul_f32_e32 v35, 0x3f317218, v28
	v_fma_f32 v37, v28, s6, -v35
	v_fmac_f32_e32 v37, 0xb102e308, v28
	v_sub_f32_e32 v28, v33, v32
	v_sub_f32_e32 v28, v29, v28
	v_add_f32_e32 v29, v35, v37
	v_sub_f32_e32 v32, v29, v35
	v_ldexp_f32 v35, v33, 1
	v_mul_f32_e32 v33, v33, v34
	v_mul_f32_e32 v33, v33, v36
	v_add_f32_e32 v34, v35, v33
	v_sub_f32_e32 v35, v34, v35
	v_ldexp_f32 v28, v28, 1
	v_sub_f32_e32 v33, v33, v35
	v_add_f32_e32 v28, v28, v33
	v_add_f32_e32 v33, v34, v28
	v_sub_f32_e32 v34, v33, v34
	v_sub_f32_e32 v28, v28, v34
	v_add_f32_e32 v34, v29, v33
	v_sub_f32_e32 v35, v34, v29
	v_sub_f32_e32 v36, v34, v35
	v_sub_f32_e32 v32, v37, v32
	v_sub_f32_e32 v29, v29, v36
	v_sub_f32_e32 v33, v33, v35
	v_add_f32_e32 v29, v33, v29
	v_add_f32_e32 v33, v32, v28
	v_sub_f32_e32 v35, v33, v32
	v_sub_f32_e32 v36, v33, v35
	;; [unrolled: 1-line block ×4, first 2 shown]
	v_add_f32_e32 v29, v33, v29
	v_add_f32_e32 v28, v28, v32
	;; [unrolled: 1-line block ×3, first 2 shown]
	v_sub_f32_e32 v33, v32, v34
	v_sub_f32_e32 v29, v29, v33
	v_add_f32_e32 v28, v28, v29
	v_add_f32_e32 v28, v32, v28
	v_cmp_neq_f32_e32 vcc, s3, v31
	s_mov_b32 s3, 0x33800000
	v_cndmask_b32_e32 v28, v30, v28, vcc
	v_cmp_lt_f32_e64 vcc, |v31|, s3
	v_cndmask_b32_e32 v28, v28, v31, vcc
	v_add_f32_e32 v28, v27, v28
.LBB442_243:
	s_or_b64 exec, exec, s[0:1]
	v_bfe_u32 v27, v28, 16, 1
	s_movk_i32 s3, 0x7fff
	v_add3_u32 v27, v28, v27, s3
	v_cmp_o_f32_e32 vcc, v28, v28
	v_mov_b32_e32 v28, 0x7fc0
	v_cndmask_b32_sdwa v27, v28, v27, vcc dst_sel:DWORD dst_unused:UNUSED_PAD src0_sel:DWORD src1_sel:WORD_1
	v_lshlrev_b32_e32 v30, 16, v27
	v_max_f32_e32 v29, v30, v30
	v_min_f32_e32 v31, v29, v46
	v_cmp_u_f32_e32 vcc, v30, v30
	v_max_f32_e32 v29, v29, v46
	v_cndmask_b32_e32 v31, v31, v30, vcc
	v_cndmask_b32_e32 v29, v29, v30, vcc
	v_cndmask_b32_e64 v31, v31, v44, s[26:27]
	v_cndmask_b32_e64 v29, v29, v44, s[26:27]
	v_cmp_neq_f32_e32 vcc, v31, v29
	v_cmp_class_f32_e64 s[0:1], v31, s2
	s_or_b64 s[6:7], vcc, s[0:1]
	s_and_saveexec_b64 s[0:1], s[6:7]
	s_cbranch_execz .LBB442_245
; %bb.244:
	v_sub_f32_e32 v30, v31, v29
	s_mov_b32 s2, 0x3fb8aa3b
	v_mul_f32_e32 v31, 0x3fb8aa3b, v30
	v_fma_f32 v32, v30, s2, -v31
	v_rndne_f32_e32 v33, v31
	v_fmac_f32_e32 v32, 0x32a5705f, v30
	v_sub_f32_e32 v31, v31, v33
	v_add_f32_e32 v31, v31, v32
	v_exp_f32_e32 v31, v31
	v_cvt_i32_f32_e32 v32, v33
	s_mov_b32 s2, 0xc2ce8ed0
	v_cmp_ngt_f32_e32 vcc, s2, v30
	s_mov_b32 s2, 0x42b17218
	v_ldexp_f32 v31, v31, v32
	v_cndmask_b32_e32 v31, 0, v31, vcc
	v_mov_b32_e32 v32, 0x7f800000
	v_cmp_nlt_f32_e32 vcc, s2, v30
	v_cndmask_b32_e32 v33, v32, v31, vcc
	v_add_f32_e32 v34, 1.0, v33
	v_cvt_f64_f32_e32 v[30:31], v34
	v_add_f32_e32 v35, -1.0, v34
	v_sub_f32_e32 v36, v35, v34
	v_sub_f32_e32 v35, v33, v35
	v_frexp_exp_i32_f64_e32 v30, v[30:31]
	v_add_f32_e32 v31, 1.0, v36
	v_add_f32_e32 v31, v35, v31
	v_frexp_mant_f32_e32 v35, v34
	s_mov_b32 s6, 0x3f2aaaab
	v_cmp_gt_f32_e32 vcc, s6, v35
	s_mov_b32 s6, 0x3f317218
	s_mov_b32 s2, 0x7f800000
	v_subbrev_co_u32_e32 v30, vcc, 0, v30, vcc
	v_sub_u32_e32 v35, 0, v30
	v_ldexp_f32 v34, v34, v35
	v_ldexp_f32 v31, v31, v35
	v_add_f32_e32 v35, -1.0, v34
	v_add_f32_e32 v38, 1.0, v34
	v_add_f32_e32 v36, 1.0, v35
	v_add_f32_e32 v39, -1.0, v38
	v_sub_f32_e32 v36, v34, v36
	v_sub_f32_e32 v34, v34, v39
	v_add_f32_e32 v36, v31, v36
	v_add_f32_e32 v31, v31, v34
	;; [unrolled: 1-line block ×3, first 2 shown]
	v_rcp_f32_e32 v39, v34
	v_add_f32_e32 v37, v35, v36
	v_sub_f32_e32 v35, v35, v37
	v_add_f32_e32 v35, v36, v35
	v_sub_f32_e32 v36, v38, v34
	v_add_f32_e32 v31, v31, v36
	v_mul_f32_e32 v36, v37, v39
	v_mul_f32_e32 v38, v34, v36
	v_fma_f32 v40, v36, v34, -v38
	v_fmac_f32_e32 v40, v36, v31
	v_add_f32_e32 v41, v38, v40
	v_sub_f32_e32 v42, v37, v41
	v_sub_f32_e32 v37, v37, v42
	v_sub_f32_e32 v38, v41, v38
	v_sub_f32_e32 v37, v37, v41
	v_add_f32_e32 v35, v35, v37
	v_sub_f32_e32 v37, v38, v40
	v_add_f32_e32 v35, v37, v35
	v_add_f32_e32 v37, v42, v35
	v_mul_f32_e32 v38, v39, v37
	v_mul_f32_e32 v40, v34, v38
	v_fma_f32 v34, v38, v34, -v40
	v_fmac_f32_e32 v34, v38, v31
	v_sub_f32_e32 v31, v42, v37
	v_add_f32_e32 v31, v35, v31
	v_add_f32_e32 v35, v40, v34
	v_sub_f32_e32 v41, v37, v35
	v_sub_f32_e32 v37, v37, v41
	;; [unrolled: 1-line block ×4, first 2 shown]
	v_add_f32_e32 v31, v31, v35
	v_sub_f32_e32 v34, v40, v34
	v_add_f32_e32 v31, v34, v31
	v_add_f32_e32 v34, v36, v38
	;; [unrolled: 1-line block ×3, first 2 shown]
	v_sub_f32_e32 v35, v34, v36
	v_mul_f32_e32 v31, v39, v31
	v_sub_f32_e32 v35, v38, v35
	v_add_f32_e32 v31, v35, v31
	v_cvt_f32_i32_e32 v30, v30
	v_add_f32_e32 v35, v34, v31
	v_mul_f32_e32 v36, v35, v35
	v_mov_b32_e32 v37, 0x3ecc95a3
	v_fmac_f32_e32 v37, 0x3e9b6dac, v36
	v_mov_b32_e32 v38, 0x3f2aaada
	v_fmac_f32_e32 v38, v36, v37
	v_mul_f32_e32 v37, 0x3f317218, v30
	v_fma_f32 v39, v30, s6, -v37
	v_fmac_f32_e32 v39, 0xb102e308, v30
	v_sub_f32_e32 v30, v35, v34
	v_sub_f32_e32 v30, v31, v30
	v_add_f32_e32 v31, v37, v39
	v_sub_f32_e32 v34, v31, v37
	v_ldexp_f32 v37, v35, 1
	v_mul_f32_e32 v35, v35, v36
	v_mul_f32_e32 v35, v35, v38
	v_add_f32_e32 v36, v37, v35
	v_sub_f32_e32 v37, v36, v37
	v_ldexp_f32 v30, v30, 1
	v_sub_f32_e32 v35, v35, v37
	v_add_f32_e32 v30, v30, v35
	v_add_f32_e32 v35, v36, v30
	v_sub_f32_e32 v36, v35, v36
	v_sub_f32_e32 v30, v30, v36
	v_add_f32_e32 v36, v31, v35
	v_sub_f32_e32 v37, v36, v31
	v_sub_f32_e32 v38, v36, v37
	;; [unrolled: 1-line block ×5, first 2 shown]
	v_add_f32_e32 v31, v35, v31
	v_add_f32_e32 v35, v34, v30
	v_sub_f32_e32 v37, v35, v34
	v_sub_f32_e32 v38, v35, v37
	;; [unrolled: 1-line block ×4, first 2 shown]
	v_add_f32_e32 v31, v35, v31
	v_add_f32_e32 v30, v30, v34
	;; [unrolled: 1-line block ×3, first 2 shown]
	v_sub_f32_e32 v35, v34, v36
	v_sub_f32_e32 v31, v31, v35
	v_add_f32_e32 v30, v30, v31
	v_add_f32_e32 v30, v34, v30
	v_cmp_neq_f32_e32 vcc, s2, v33
	s_mov_b32 s2, 0x33800000
	v_cndmask_b32_e32 v30, v32, v30, vcc
	v_cmp_lt_f32_e64 vcc, |v33|, s2
	v_cndmask_b32_e32 v30, v30, v33, vcc
	v_add_f32_e32 v30, v29, v30
.LBB442_245:
	s_or_b64 exec, exec, s[0:1]
	v_bfe_u32 v29, v30, 16, 1
	v_add3_u32 v29, v30, v29, s3
	v_cmp_o_f32_e32 vcc, v30, v30
	v_cndmask_b32_sdwa v28, v28, v29, vcc dst_sel:DWORD dst_unused:UNUSED_PAD src0_sel:DWORD src1_sel:WORD_1
	v_lshlrev_b32_e32 v30, 16, v28
	v_max_f32_e32 v29, v30, v30
	v_min_f32_e32 v31, v29, v49
	v_cmp_u_f32_e32 vcc, v30, v30
	v_max_f32_e32 v29, v29, v49
	v_cndmask_b32_e32 v31, v31, v30, vcc
	v_cndmask_b32_e32 v29, v29, v30, vcc
	v_cndmask_b32_e64 v31, v31, v47, s[28:29]
	v_cndmask_b32_e64 v29, v29, v47, s[28:29]
	s_movk_i32 s2, 0x1f8
	v_cmp_neq_f32_e32 vcc, v31, v29
	v_cmp_class_f32_e64 s[0:1], v31, s2
	s_or_b64 s[6:7], vcc, s[0:1]
	s_and_saveexec_b64 s[0:1], s[6:7]
	s_cbranch_execz .LBB442_247
; %bb.246:
	v_sub_f32_e32 v30, v31, v29
	s_mov_b32 s3, 0x3fb8aa3b
	v_mul_f32_e32 v31, 0x3fb8aa3b, v30
	v_fma_f32 v32, v30, s3, -v31
	v_rndne_f32_e32 v33, v31
	v_fmac_f32_e32 v32, 0x32a5705f, v30
	v_sub_f32_e32 v31, v31, v33
	v_add_f32_e32 v31, v31, v32
	v_exp_f32_e32 v31, v31
	v_cvt_i32_f32_e32 v32, v33
	s_mov_b32 s3, 0xc2ce8ed0
	v_cmp_ngt_f32_e32 vcc, s3, v30
	s_mov_b32 s3, 0x42b17218
	v_ldexp_f32 v31, v31, v32
	v_cndmask_b32_e32 v31, 0, v31, vcc
	v_mov_b32_e32 v32, 0x7f800000
	v_cmp_nlt_f32_e32 vcc, s3, v30
	v_cndmask_b32_e32 v33, v32, v31, vcc
	v_add_f32_e32 v34, 1.0, v33
	v_cvt_f64_f32_e32 v[30:31], v34
	v_add_f32_e32 v35, -1.0, v34
	v_sub_f32_e32 v36, v35, v34
	v_sub_f32_e32 v35, v33, v35
	v_frexp_exp_i32_f64_e32 v30, v[30:31]
	v_add_f32_e32 v31, 1.0, v36
	v_add_f32_e32 v31, v35, v31
	v_frexp_mant_f32_e32 v35, v34
	s_mov_b32 s6, 0x3f2aaaab
	v_cmp_gt_f32_e32 vcc, s6, v35
	s_mov_b32 s6, 0x3f317218
	s_mov_b32 s3, 0x7f800000
	v_subbrev_co_u32_e32 v30, vcc, 0, v30, vcc
	v_sub_u32_e32 v35, 0, v30
	v_ldexp_f32 v34, v34, v35
	v_ldexp_f32 v31, v31, v35
	v_add_f32_e32 v35, -1.0, v34
	v_add_f32_e32 v38, 1.0, v34
	v_add_f32_e32 v36, 1.0, v35
	v_add_f32_e32 v39, -1.0, v38
	v_sub_f32_e32 v36, v34, v36
	v_sub_f32_e32 v34, v34, v39
	v_add_f32_e32 v36, v31, v36
	v_add_f32_e32 v31, v31, v34
	v_add_f32_e32 v34, v38, v31
	v_rcp_f32_e32 v39, v34
	v_add_f32_e32 v37, v35, v36
	v_sub_f32_e32 v35, v35, v37
	v_add_f32_e32 v35, v36, v35
	v_sub_f32_e32 v36, v38, v34
	v_add_f32_e32 v31, v31, v36
	v_mul_f32_e32 v36, v37, v39
	v_mul_f32_e32 v38, v34, v36
	v_fma_f32 v40, v36, v34, -v38
	v_fmac_f32_e32 v40, v36, v31
	v_add_f32_e32 v41, v38, v40
	v_sub_f32_e32 v42, v37, v41
	v_sub_f32_e32 v37, v37, v42
	;; [unrolled: 1-line block ×4, first 2 shown]
	v_add_f32_e32 v35, v35, v37
	v_sub_f32_e32 v37, v38, v40
	v_add_f32_e32 v35, v37, v35
	v_add_f32_e32 v37, v42, v35
	v_mul_f32_e32 v38, v39, v37
	v_mul_f32_e32 v40, v34, v38
	v_fma_f32 v34, v38, v34, -v40
	v_fmac_f32_e32 v34, v38, v31
	v_sub_f32_e32 v31, v42, v37
	v_add_f32_e32 v31, v35, v31
	v_add_f32_e32 v35, v40, v34
	v_sub_f32_e32 v41, v37, v35
	v_sub_f32_e32 v37, v37, v41
	;; [unrolled: 1-line block ×4, first 2 shown]
	v_add_f32_e32 v31, v31, v35
	v_sub_f32_e32 v34, v40, v34
	v_add_f32_e32 v31, v34, v31
	v_add_f32_e32 v34, v36, v38
	;; [unrolled: 1-line block ×3, first 2 shown]
	v_sub_f32_e32 v35, v34, v36
	v_mul_f32_e32 v31, v39, v31
	v_sub_f32_e32 v35, v38, v35
	v_add_f32_e32 v31, v35, v31
	v_cvt_f32_i32_e32 v30, v30
	v_add_f32_e32 v35, v34, v31
	v_mul_f32_e32 v36, v35, v35
	v_mov_b32_e32 v37, 0x3ecc95a3
	v_fmac_f32_e32 v37, 0x3e9b6dac, v36
	v_mov_b32_e32 v38, 0x3f2aaada
	v_fmac_f32_e32 v38, v36, v37
	v_mul_f32_e32 v37, 0x3f317218, v30
	v_fma_f32 v39, v30, s6, -v37
	v_fmac_f32_e32 v39, 0xb102e308, v30
	v_sub_f32_e32 v30, v35, v34
	v_sub_f32_e32 v30, v31, v30
	v_add_f32_e32 v31, v37, v39
	v_sub_f32_e32 v34, v31, v37
	v_ldexp_f32 v37, v35, 1
	v_mul_f32_e32 v35, v35, v36
	v_mul_f32_e32 v35, v35, v38
	v_add_f32_e32 v36, v37, v35
	v_sub_f32_e32 v37, v36, v37
	v_ldexp_f32 v30, v30, 1
	v_sub_f32_e32 v35, v35, v37
	v_add_f32_e32 v30, v30, v35
	v_add_f32_e32 v35, v36, v30
	v_sub_f32_e32 v36, v35, v36
	v_sub_f32_e32 v30, v30, v36
	v_add_f32_e32 v36, v31, v35
	v_sub_f32_e32 v37, v36, v31
	v_sub_f32_e32 v38, v36, v37
	;; [unrolled: 1-line block ×5, first 2 shown]
	v_add_f32_e32 v31, v35, v31
	v_add_f32_e32 v35, v34, v30
	v_sub_f32_e32 v37, v35, v34
	v_sub_f32_e32 v38, v35, v37
	;; [unrolled: 1-line block ×4, first 2 shown]
	v_add_f32_e32 v31, v35, v31
	v_add_f32_e32 v30, v30, v34
	v_add_f32_e32 v34, v36, v31
	v_sub_f32_e32 v35, v34, v36
	v_sub_f32_e32 v31, v31, v35
	v_add_f32_e32 v30, v30, v31
	v_add_f32_e32 v30, v34, v30
	v_cmp_neq_f32_e32 vcc, s3, v33
	s_mov_b32 s3, 0x33800000
	v_cndmask_b32_e32 v30, v32, v30, vcc
	v_cmp_lt_f32_e64 vcc, |v33|, s3
	v_cndmask_b32_e32 v30, v30, v33, vcc
	v_add_f32_e32 v30, v29, v30
.LBB442_247:
	s_or_b64 exec, exec, s[0:1]
	v_bfe_u32 v29, v30, 16, 1
	s_movk_i32 s3, 0x7fff
	v_add3_u32 v29, v30, v29, s3
	v_cmp_o_f32_e32 vcc, v30, v30
	v_mov_b32_e32 v30, 0x7fc0
	v_cndmask_b32_sdwa v29, v30, v29, vcc dst_sel:DWORD dst_unused:UNUSED_PAD src0_sel:DWORD src1_sel:WORD_1
	v_lshlrev_b32_e32 v32, 16, v29
	v_max_f32_e32 v31, v32, v32
	v_min_f32_e32 v33, v31, v50
	v_cmp_u_f32_e32 vcc, v32, v32
	v_max_f32_e32 v31, v31, v50
	v_cndmask_b32_e32 v33, v33, v32, vcc
	v_cndmask_b32_e32 v31, v31, v32, vcc
	v_cndmask_b32_e64 v33, v33, v48, s[30:31]
	v_cndmask_b32_e64 v31, v31, v48, s[30:31]
	v_cmp_neq_f32_e32 vcc, v33, v31
	v_cmp_class_f32_e64 s[0:1], v33, s2
	s_or_b64 s[6:7], vcc, s[0:1]
	s_and_saveexec_b64 s[0:1], s[6:7]
	s_cbranch_execz .LBB442_249
; %bb.248:
	v_sub_f32_e32 v32, v33, v31
	s_mov_b32 s2, 0x3fb8aa3b
	v_mul_f32_e32 v33, 0x3fb8aa3b, v32
	v_fma_f32 v34, v32, s2, -v33
	v_rndne_f32_e32 v35, v33
	v_fmac_f32_e32 v34, 0x32a5705f, v32
	v_sub_f32_e32 v33, v33, v35
	v_add_f32_e32 v33, v33, v34
	v_exp_f32_e32 v33, v33
	v_cvt_i32_f32_e32 v34, v35
	s_mov_b32 s2, 0xc2ce8ed0
	v_cmp_ngt_f32_e32 vcc, s2, v32
	s_mov_b32 s2, 0x42b17218
	v_ldexp_f32 v33, v33, v34
	v_cndmask_b32_e32 v33, 0, v33, vcc
	v_mov_b32_e32 v34, 0x7f800000
	v_cmp_nlt_f32_e32 vcc, s2, v32
	v_cndmask_b32_e32 v35, v34, v33, vcc
	v_add_f32_e32 v36, 1.0, v35
	v_cvt_f64_f32_e32 v[32:33], v36
	v_add_f32_e32 v37, -1.0, v36
	v_sub_f32_e32 v38, v37, v36
	v_sub_f32_e32 v37, v35, v37
	v_frexp_exp_i32_f64_e32 v32, v[32:33]
	v_add_f32_e32 v33, 1.0, v38
	v_add_f32_e32 v33, v37, v33
	v_frexp_mant_f32_e32 v37, v36
	s_mov_b32 s6, 0x3f2aaaab
	v_cmp_gt_f32_e32 vcc, s6, v37
	s_mov_b32 s6, 0x3f317218
	s_mov_b32 s2, 0x7f800000
	v_subbrev_co_u32_e32 v32, vcc, 0, v32, vcc
	v_sub_u32_e32 v37, 0, v32
	v_ldexp_f32 v36, v36, v37
	v_ldexp_f32 v33, v33, v37
	v_add_f32_e32 v37, -1.0, v36
	v_add_f32_e32 v40, 1.0, v36
	v_add_f32_e32 v38, 1.0, v37
	v_add_f32_e32 v41, -1.0, v40
	v_sub_f32_e32 v38, v36, v38
	v_sub_f32_e32 v36, v36, v41
	v_add_f32_e32 v38, v33, v38
	v_add_f32_e32 v33, v33, v36
	;; [unrolled: 1-line block ×3, first 2 shown]
	v_rcp_f32_e32 v41, v36
	v_add_f32_e32 v39, v37, v38
	v_sub_f32_e32 v37, v37, v39
	v_add_f32_e32 v37, v38, v37
	v_sub_f32_e32 v38, v40, v36
	v_add_f32_e32 v33, v33, v38
	v_mul_f32_e32 v38, v39, v41
	v_mul_f32_e32 v40, v36, v38
	v_fma_f32 v42, v38, v36, -v40
	v_fmac_f32_e32 v42, v38, v33
	v_add_f32_e32 v43, v40, v42
	v_sub_f32_e32 v44, v39, v43
	v_sub_f32_e32 v39, v39, v44
	;; [unrolled: 1-line block ×4, first 2 shown]
	v_add_f32_e32 v37, v37, v39
	v_sub_f32_e32 v39, v40, v42
	v_add_f32_e32 v37, v39, v37
	v_add_f32_e32 v39, v44, v37
	v_mul_f32_e32 v40, v41, v39
	v_mul_f32_e32 v42, v36, v40
	v_fma_f32 v36, v40, v36, -v42
	v_fmac_f32_e32 v36, v40, v33
	v_sub_f32_e32 v33, v44, v39
	v_add_f32_e32 v33, v37, v33
	v_add_f32_e32 v37, v42, v36
	v_sub_f32_e32 v43, v39, v37
	v_sub_f32_e32 v39, v39, v43
	;; [unrolled: 1-line block ×4, first 2 shown]
	v_add_f32_e32 v33, v33, v37
	v_sub_f32_e32 v36, v42, v36
	v_add_f32_e32 v33, v36, v33
	v_add_f32_e32 v36, v38, v40
	;; [unrolled: 1-line block ×3, first 2 shown]
	v_sub_f32_e32 v37, v36, v38
	v_mul_f32_e32 v33, v41, v33
	v_sub_f32_e32 v37, v40, v37
	v_add_f32_e32 v33, v37, v33
	v_cvt_f32_i32_e32 v32, v32
	v_add_f32_e32 v37, v36, v33
	v_mul_f32_e32 v38, v37, v37
	v_mov_b32_e32 v39, 0x3ecc95a3
	v_fmac_f32_e32 v39, 0x3e9b6dac, v38
	v_mov_b32_e32 v40, 0x3f2aaada
	v_fmac_f32_e32 v40, v38, v39
	v_mul_f32_e32 v39, 0x3f317218, v32
	v_fma_f32 v41, v32, s6, -v39
	v_fmac_f32_e32 v41, 0xb102e308, v32
	v_sub_f32_e32 v32, v37, v36
	v_sub_f32_e32 v32, v33, v32
	v_add_f32_e32 v33, v39, v41
	v_sub_f32_e32 v36, v33, v39
	v_ldexp_f32 v39, v37, 1
	v_mul_f32_e32 v37, v37, v38
	v_mul_f32_e32 v37, v37, v40
	v_add_f32_e32 v38, v39, v37
	v_sub_f32_e32 v39, v38, v39
	v_ldexp_f32 v32, v32, 1
	v_sub_f32_e32 v37, v37, v39
	v_add_f32_e32 v32, v32, v37
	v_add_f32_e32 v37, v38, v32
	v_sub_f32_e32 v38, v37, v38
	v_sub_f32_e32 v32, v32, v38
	v_add_f32_e32 v38, v33, v37
	v_sub_f32_e32 v39, v38, v33
	v_sub_f32_e32 v40, v38, v39
	;; [unrolled: 1-line block ×5, first 2 shown]
	v_add_f32_e32 v33, v37, v33
	v_add_f32_e32 v37, v36, v32
	v_sub_f32_e32 v39, v37, v36
	v_sub_f32_e32 v40, v37, v39
	;; [unrolled: 1-line block ×4, first 2 shown]
	v_add_f32_e32 v33, v37, v33
	v_add_f32_e32 v32, v32, v36
	v_add_f32_e32 v36, v38, v33
	v_sub_f32_e32 v37, v36, v38
	v_sub_f32_e32 v33, v33, v37
	v_add_f32_e32 v32, v32, v33
	v_add_f32_e32 v32, v36, v32
	v_cmp_neq_f32_e32 vcc, s2, v35
	s_mov_b32 s2, 0x33800000
	v_cndmask_b32_e32 v32, v34, v32, vcc
	v_cmp_lt_f32_e64 vcc, |v35|, s2
	v_cndmask_b32_e32 v32, v32, v35, vcc
	v_add_f32_e32 v32, v31, v32
.LBB442_249:
	s_or_b64 exec, exec, s[0:1]
	v_bfe_u32 v31, v32, 16, 1
	v_add3_u32 v31, v32, v31, s3
	v_cmp_o_f32_e32 vcc, v32, v32
	v_cndmask_b32_sdwa v30, v30, v31, vcc dst_sel:DWORD dst_unused:UNUSED_PAD src0_sel:DWORD src1_sel:WORD_1
	v_lshlrev_b32_e32 v32, 16, v30
	v_max_f32_e32 v31, v32, v32
	v_min_f32_e32 v33, v31, v53
	v_cmp_u_f32_e32 vcc, v32, v32
	v_max_f32_e32 v31, v31, v53
	v_cndmask_b32_e32 v33, v33, v32, vcc
	v_cndmask_b32_e32 v31, v31, v32, vcc
	v_cndmask_b32_e64 v33, v33, v51, s[34:35]
	v_cndmask_b32_e64 v31, v31, v51, s[34:35]
	s_movk_i32 s2, 0x1f8
	v_cmp_neq_f32_e32 vcc, v33, v31
	v_cmp_class_f32_e64 s[0:1], v33, s2
	s_or_b64 s[6:7], vcc, s[0:1]
	s_and_saveexec_b64 s[0:1], s[6:7]
	s_cbranch_execz .LBB442_251
; %bb.250:
	v_sub_f32_e32 v32, v33, v31
	s_mov_b32 s3, 0x3fb8aa3b
	v_mul_f32_e32 v33, 0x3fb8aa3b, v32
	v_fma_f32 v34, v32, s3, -v33
	v_rndne_f32_e32 v35, v33
	v_fmac_f32_e32 v34, 0x32a5705f, v32
	v_sub_f32_e32 v33, v33, v35
	v_add_f32_e32 v33, v33, v34
	v_exp_f32_e32 v33, v33
	v_cvt_i32_f32_e32 v34, v35
	s_mov_b32 s3, 0xc2ce8ed0
	v_cmp_ngt_f32_e32 vcc, s3, v32
	s_mov_b32 s3, 0x42b17218
	v_ldexp_f32 v33, v33, v34
	v_cndmask_b32_e32 v33, 0, v33, vcc
	v_mov_b32_e32 v34, 0x7f800000
	v_cmp_nlt_f32_e32 vcc, s3, v32
	v_cndmask_b32_e32 v35, v34, v33, vcc
	v_add_f32_e32 v36, 1.0, v35
	v_cvt_f64_f32_e32 v[32:33], v36
	v_add_f32_e32 v37, -1.0, v36
	v_sub_f32_e32 v38, v37, v36
	v_sub_f32_e32 v37, v35, v37
	v_frexp_exp_i32_f64_e32 v32, v[32:33]
	v_add_f32_e32 v33, 1.0, v38
	v_add_f32_e32 v33, v37, v33
	v_frexp_mant_f32_e32 v37, v36
	s_mov_b32 s6, 0x3f2aaaab
	v_cmp_gt_f32_e32 vcc, s6, v37
	s_mov_b32 s6, 0x3f317218
	s_mov_b32 s3, 0x7f800000
	v_subbrev_co_u32_e32 v32, vcc, 0, v32, vcc
	v_sub_u32_e32 v37, 0, v32
	v_ldexp_f32 v36, v36, v37
	v_ldexp_f32 v33, v33, v37
	v_add_f32_e32 v37, -1.0, v36
	v_add_f32_e32 v40, 1.0, v36
	v_add_f32_e32 v38, 1.0, v37
	v_add_f32_e32 v41, -1.0, v40
	v_sub_f32_e32 v38, v36, v38
	v_sub_f32_e32 v36, v36, v41
	v_add_f32_e32 v38, v33, v38
	v_add_f32_e32 v33, v33, v36
	;; [unrolled: 1-line block ×3, first 2 shown]
	v_rcp_f32_e32 v41, v36
	v_add_f32_e32 v39, v37, v38
	v_sub_f32_e32 v37, v37, v39
	v_add_f32_e32 v37, v38, v37
	v_sub_f32_e32 v38, v40, v36
	v_add_f32_e32 v33, v33, v38
	v_mul_f32_e32 v38, v39, v41
	v_mul_f32_e32 v40, v36, v38
	v_fma_f32 v42, v38, v36, -v40
	v_fmac_f32_e32 v42, v38, v33
	v_add_f32_e32 v43, v40, v42
	v_sub_f32_e32 v44, v39, v43
	v_sub_f32_e32 v39, v39, v44
	;; [unrolled: 1-line block ×4, first 2 shown]
	v_add_f32_e32 v37, v37, v39
	v_sub_f32_e32 v39, v40, v42
	v_add_f32_e32 v37, v39, v37
	v_add_f32_e32 v39, v44, v37
	v_mul_f32_e32 v40, v41, v39
	v_mul_f32_e32 v42, v36, v40
	v_fma_f32 v36, v40, v36, -v42
	v_fmac_f32_e32 v36, v40, v33
	v_sub_f32_e32 v33, v44, v39
	v_add_f32_e32 v33, v37, v33
	v_add_f32_e32 v37, v42, v36
	v_sub_f32_e32 v43, v39, v37
	v_sub_f32_e32 v39, v39, v43
	;; [unrolled: 1-line block ×4, first 2 shown]
	v_add_f32_e32 v33, v33, v37
	v_sub_f32_e32 v36, v42, v36
	v_add_f32_e32 v33, v36, v33
	v_add_f32_e32 v36, v38, v40
	;; [unrolled: 1-line block ×3, first 2 shown]
	v_sub_f32_e32 v37, v36, v38
	v_mul_f32_e32 v33, v41, v33
	v_sub_f32_e32 v37, v40, v37
	v_add_f32_e32 v33, v37, v33
	v_cvt_f32_i32_e32 v32, v32
	v_add_f32_e32 v37, v36, v33
	v_mul_f32_e32 v38, v37, v37
	v_mov_b32_e32 v39, 0x3ecc95a3
	v_fmac_f32_e32 v39, 0x3e9b6dac, v38
	v_mov_b32_e32 v40, 0x3f2aaada
	v_fmac_f32_e32 v40, v38, v39
	v_mul_f32_e32 v39, 0x3f317218, v32
	v_fma_f32 v41, v32, s6, -v39
	v_fmac_f32_e32 v41, 0xb102e308, v32
	v_sub_f32_e32 v32, v37, v36
	v_sub_f32_e32 v32, v33, v32
	v_add_f32_e32 v33, v39, v41
	v_sub_f32_e32 v36, v33, v39
	v_ldexp_f32 v39, v37, 1
	v_mul_f32_e32 v37, v37, v38
	v_mul_f32_e32 v37, v37, v40
	v_add_f32_e32 v38, v39, v37
	v_sub_f32_e32 v39, v38, v39
	v_ldexp_f32 v32, v32, 1
	v_sub_f32_e32 v37, v37, v39
	v_add_f32_e32 v32, v32, v37
	v_add_f32_e32 v37, v38, v32
	v_sub_f32_e32 v38, v37, v38
	v_sub_f32_e32 v32, v32, v38
	v_add_f32_e32 v38, v33, v37
	v_sub_f32_e32 v39, v38, v33
	v_sub_f32_e32 v40, v38, v39
	;; [unrolled: 1-line block ×5, first 2 shown]
	v_add_f32_e32 v33, v37, v33
	v_add_f32_e32 v37, v36, v32
	v_sub_f32_e32 v39, v37, v36
	v_sub_f32_e32 v40, v37, v39
	v_sub_f32_e32 v36, v36, v40
	v_sub_f32_e32 v32, v32, v39
	v_add_f32_e32 v33, v37, v33
	v_add_f32_e32 v32, v32, v36
	;; [unrolled: 1-line block ×3, first 2 shown]
	v_sub_f32_e32 v37, v36, v38
	v_sub_f32_e32 v33, v33, v37
	v_add_f32_e32 v32, v32, v33
	v_add_f32_e32 v32, v36, v32
	v_cmp_neq_f32_e32 vcc, s3, v35
	s_mov_b32 s3, 0x33800000
	v_cndmask_b32_e32 v32, v34, v32, vcc
	v_cmp_lt_f32_e64 vcc, |v35|, s3
	v_cndmask_b32_e32 v32, v32, v35, vcc
	v_add_f32_e32 v32, v31, v32
.LBB442_251:
	s_or_b64 exec, exec, s[0:1]
	v_bfe_u32 v31, v32, 16, 1
	s_movk_i32 s3, 0x7fff
	v_add3_u32 v31, v32, v31, s3
	v_cmp_o_f32_e32 vcc, v32, v32
	v_mov_b32_e32 v32, 0x7fc0
	v_cndmask_b32_sdwa v31, v32, v31, vcc dst_sel:DWORD dst_unused:UNUSED_PAD src0_sel:DWORD src1_sel:WORD_1
	v_lshlrev_b32_e32 v34, 16, v31
	v_max_f32_e32 v33, v34, v34
	v_min_f32_e32 v35, v33, v54
	v_cmp_u_f32_e32 vcc, v34, v34
	v_max_f32_e32 v33, v33, v54
	v_cndmask_b32_e32 v35, v35, v34, vcc
	v_cndmask_b32_e32 v33, v33, v34, vcc
	v_cndmask_b32_e64 v35, v35, v52, s[36:37]
	v_cndmask_b32_e64 v33, v33, v52, s[36:37]
	v_cmp_neq_f32_e32 vcc, v35, v33
	v_cmp_class_f32_e64 s[0:1], v35, s2
	s_or_b64 s[6:7], vcc, s[0:1]
	s_and_saveexec_b64 s[0:1], s[6:7]
	s_cbranch_execz .LBB442_253
; %bb.252:
	v_sub_f32_e32 v34, v35, v33
	s_mov_b32 s2, 0x3fb8aa3b
	v_mul_f32_e32 v35, 0x3fb8aa3b, v34
	v_fma_f32 v36, v34, s2, -v35
	v_rndne_f32_e32 v37, v35
	v_fmac_f32_e32 v36, 0x32a5705f, v34
	v_sub_f32_e32 v35, v35, v37
	v_add_f32_e32 v35, v35, v36
	v_exp_f32_e32 v35, v35
	v_cvt_i32_f32_e32 v36, v37
	s_mov_b32 s2, 0xc2ce8ed0
	v_cmp_ngt_f32_e32 vcc, s2, v34
	s_mov_b32 s2, 0x42b17218
	v_ldexp_f32 v35, v35, v36
	v_cndmask_b32_e32 v35, 0, v35, vcc
	v_mov_b32_e32 v36, 0x7f800000
	v_cmp_nlt_f32_e32 vcc, s2, v34
	v_cndmask_b32_e32 v37, v36, v35, vcc
	v_add_f32_e32 v38, 1.0, v37
	v_cvt_f64_f32_e32 v[34:35], v38
	v_add_f32_e32 v39, -1.0, v38
	v_sub_f32_e32 v40, v39, v38
	v_sub_f32_e32 v39, v37, v39
	v_frexp_exp_i32_f64_e32 v34, v[34:35]
	v_add_f32_e32 v35, 1.0, v40
	v_add_f32_e32 v35, v39, v35
	v_frexp_mant_f32_e32 v39, v38
	s_mov_b32 s6, 0x3f2aaaab
	v_cmp_gt_f32_e32 vcc, s6, v39
	s_mov_b32 s6, 0x3f317218
	s_mov_b32 s2, 0x7f800000
	v_subbrev_co_u32_e32 v34, vcc, 0, v34, vcc
	v_sub_u32_e32 v39, 0, v34
	v_ldexp_f32 v38, v38, v39
	v_ldexp_f32 v35, v35, v39
	v_add_f32_e32 v39, -1.0, v38
	v_add_f32_e32 v42, 1.0, v38
	v_add_f32_e32 v40, 1.0, v39
	v_add_f32_e32 v43, -1.0, v42
	v_sub_f32_e32 v40, v38, v40
	v_sub_f32_e32 v38, v38, v43
	v_add_f32_e32 v40, v35, v40
	v_add_f32_e32 v35, v35, v38
	v_add_f32_e32 v38, v42, v35
	v_rcp_f32_e32 v43, v38
	v_add_f32_e32 v41, v39, v40
	v_sub_f32_e32 v39, v39, v41
	v_add_f32_e32 v39, v40, v39
	v_sub_f32_e32 v40, v42, v38
	v_add_f32_e32 v35, v35, v40
	v_mul_f32_e32 v40, v41, v43
	v_mul_f32_e32 v42, v38, v40
	v_fma_f32 v44, v40, v38, -v42
	v_fmac_f32_e32 v44, v40, v35
	v_add_f32_e32 v45, v42, v44
	v_sub_f32_e32 v46, v41, v45
	v_sub_f32_e32 v41, v41, v46
	;; [unrolled: 1-line block ×4, first 2 shown]
	v_add_f32_e32 v39, v39, v41
	v_sub_f32_e32 v41, v42, v44
	v_add_f32_e32 v39, v41, v39
	v_add_f32_e32 v41, v46, v39
	v_mul_f32_e32 v42, v43, v41
	v_mul_f32_e32 v44, v38, v42
	v_fma_f32 v38, v42, v38, -v44
	v_fmac_f32_e32 v38, v42, v35
	v_sub_f32_e32 v35, v46, v41
	v_add_f32_e32 v35, v39, v35
	v_add_f32_e32 v39, v44, v38
	v_sub_f32_e32 v45, v41, v39
	v_sub_f32_e32 v41, v41, v45
	;; [unrolled: 1-line block ×4, first 2 shown]
	v_add_f32_e32 v35, v35, v39
	v_sub_f32_e32 v38, v44, v38
	v_add_f32_e32 v35, v38, v35
	v_add_f32_e32 v38, v40, v42
	;; [unrolled: 1-line block ×3, first 2 shown]
	v_sub_f32_e32 v39, v38, v40
	v_mul_f32_e32 v35, v43, v35
	v_sub_f32_e32 v39, v42, v39
	v_add_f32_e32 v35, v39, v35
	v_cvt_f32_i32_e32 v34, v34
	v_add_f32_e32 v39, v38, v35
	v_mul_f32_e32 v40, v39, v39
	v_mov_b32_e32 v41, 0x3ecc95a3
	v_fmac_f32_e32 v41, 0x3e9b6dac, v40
	v_mov_b32_e32 v42, 0x3f2aaada
	v_fmac_f32_e32 v42, v40, v41
	v_mul_f32_e32 v41, 0x3f317218, v34
	v_fma_f32 v43, v34, s6, -v41
	v_fmac_f32_e32 v43, 0xb102e308, v34
	v_sub_f32_e32 v34, v39, v38
	v_sub_f32_e32 v34, v35, v34
	v_add_f32_e32 v35, v41, v43
	v_sub_f32_e32 v38, v35, v41
	v_ldexp_f32 v41, v39, 1
	v_mul_f32_e32 v39, v39, v40
	v_mul_f32_e32 v39, v39, v42
	v_add_f32_e32 v40, v41, v39
	v_sub_f32_e32 v41, v40, v41
	v_ldexp_f32 v34, v34, 1
	v_sub_f32_e32 v39, v39, v41
	v_add_f32_e32 v34, v34, v39
	v_add_f32_e32 v39, v40, v34
	v_sub_f32_e32 v40, v39, v40
	v_sub_f32_e32 v34, v34, v40
	v_add_f32_e32 v40, v35, v39
	v_sub_f32_e32 v41, v40, v35
	v_sub_f32_e32 v42, v40, v41
	;; [unrolled: 1-line block ×5, first 2 shown]
	v_add_f32_e32 v35, v39, v35
	v_add_f32_e32 v39, v38, v34
	v_sub_f32_e32 v41, v39, v38
	v_sub_f32_e32 v42, v39, v41
	;; [unrolled: 1-line block ×4, first 2 shown]
	v_add_f32_e32 v35, v39, v35
	v_add_f32_e32 v34, v34, v38
	;; [unrolled: 1-line block ×3, first 2 shown]
	v_sub_f32_e32 v39, v38, v40
	v_sub_f32_e32 v35, v35, v39
	v_add_f32_e32 v34, v34, v35
	v_add_f32_e32 v34, v38, v34
	v_cmp_neq_f32_e32 vcc, s2, v37
	s_mov_b32 s2, 0x33800000
	v_cndmask_b32_e32 v34, v36, v34, vcc
	v_cmp_lt_f32_e64 vcc, |v37|, s2
	v_cndmask_b32_e32 v34, v34, v37, vcc
	v_add_f32_e32 v34, v33, v34
.LBB442_253:
	s_or_b64 exec, exec, s[0:1]
	v_bfe_u32 v33, v34, 16, 1
	v_add3_u32 v33, v34, v33, s3
	v_cmp_o_f32_e32 vcc, v34, v34
	v_cndmask_b32_sdwa v32, v32, v33, vcc dst_sel:DWORD dst_unused:UNUSED_PAD src0_sel:DWORD src1_sel:WORD_1
	v_lshlrev_b32_e32 v34, 16, v32
	v_max_f32_e32 v33, v34, v34
	v_min_f32_e32 v35, v33, v57
	v_cmp_u_f32_e32 vcc, v34, v34
	v_max_f32_e32 v33, v33, v57
	v_cndmask_b32_e32 v35, v35, v34, vcc
	v_cndmask_b32_e32 v33, v33, v34, vcc
	v_cndmask_b32_e64 v35, v35, v55, s[38:39]
	v_cndmask_b32_e64 v33, v33, v55, s[38:39]
	s_movk_i32 s2, 0x1f8
	v_cmp_neq_f32_e32 vcc, v35, v33
	v_cmp_class_f32_e64 s[0:1], v35, s2
	s_or_b64 s[6:7], vcc, s[0:1]
	s_and_saveexec_b64 s[0:1], s[6:7]
	s_cbranch_execz .LBB442_255
; %bb.254:
	v_sub_f32_e32 v34, v35, v33
	s_mov_b32 s3, 0x3fb8aa3b
	v_mul_f32_e32 v35, 0x3fb8aa3b, v34
	v_fma_f32 v36, v34, s3, -v35
	v_rndne_f32_e32 v37, v35
	v_fmac_f32_e32 v36, 0x32a5705f, v34
	v_sub_f32_e32 v35, v35, v37
	v_add_f32_e32 v35, v35, v36
	v_exp_f32_e32 v35, v35
	v_cvt_i32_f32_e32 v36, v37
	s_mov_b32 s3, 0xc2ce8ed0
	v_cmp_ngt_f32_e32 vcc, s3, v34
	s_mov_b32 s3, 0x42b17218
	v_ldexp_f32 v35, v35, v36
	v_cndmask_b32_e32 v35, 0, v35, vcc
	v_mov_b32_e32 v36, 0x7f800000
	v_cmp_nlt_f32_e32 vcc, s3, v34
	v_cndmask_b32_e32 v37, v36, v35, vcc
	v_add_f32_e32 v38, 1.0, v37
	v_cvt_f64_f32_e32 v[34:35], v38
	v_add_f32_e32 v39, -1.0, v38
	v_sub_f32_e32 v40, v39, v38
	v_sub_f32_e32 v39, v37, v39
	v_frexp_exp_i32_f64_e32 v34, v[34:35]
	v_add_f32_e32 v35, 1.0, v40
	v_add_f32_e32 v35, v39, v35
	v_frexp_mant_f32_e32 v39, v38
	s_mov_b32 s6, 0x3f2aaaab
	v_cmp_gt_f32_e32 vcc, s6, v39
	s_mov_b32 s6, 0x3f317218
	s_mov_b32 s3, 0x7f800000
	v_subbrev_co_u32_e32 v34, vcc, 0, v34, vcc
	v_sub_u32_e32 v39, 0, v34
	v_ldexp_f32 v38, v38, v39
	v_ldexp_f32 v35, v35, v39
	v_add_f32_e32 v39, -1.0, v38
	v_add_f32_e32 v42, 1.0, v38
	v_add_f32_e32 v40, 1.0, v39
	v_add_f32_e32 v43, -1.0, v42
	v_sub_f32_e32 v40, v38, v40
	v_sub_f32_e32 v38, v38, v43
	v_add_f32_e32 v40, v35, v40
	v_add_f32_e32 v35, v35, v38
	;; [unrolled: 1-line block ×3, first 2 shown]
	v_rcp_f32_e32 v43, v38
	v_add_f32_e32 v41, v39, v40
	v_sub_f32_e32 v39, v39, v41
	v_add_f32_e32 v39, v40, v39
	v_sub_f32_e32 v40, v42, v38
	v_add_f32_e32 v35, v35, v40
	v_mul_f32_e32 v40, v41, v43
	v_mul_f32_e32 v42, v38, v40
	v_fma_f32 v44, v40, v38, -v42
	v_fmac_f32_e32 v44, v40, v35
	v_add_f32_e32 v45, v42, v44
	v_sub_f32_e32 v46, v41, v45
	v_sub_f32_e32 v41, v41, v46
	;; [unrolled: 1-line block ×4, first 2 shown]
	v_add_f32_e32 v39, v39, v41
	v_sub_f32_e32 v41, v42, v44
	v_add_f32_e32 v39, v41, v39
	v_add_f32_e32 v41, v46, v39
	v_mul_f32_e32 v42, v43, v41
	v_mul_f32_e32 v44, v38, v42
	v_fma_f32 v38, v42, v38, -v44
	v_fmac_f32_e32 v38, v42, v35
	v_sub_f32_e32 v35, v46, v41
	v_add_f32_e32 v35, v39, v35
	v_add_f32_e32 v39, v44, v38
	v_sub_f32_e32 v45, v41, v39
	v_sub_f32_e32 v41, v41, v45
	;; [unrolled: 1-line block ×4, first 2 shown]
	v_add_f32_e32 v35, v35, v39
	v_sub_f32_e32 v38, v44, v38
	v_add_f32_e32 v35, v38, v35
	v_add_f32_e32 v38, v40, v42
	;; [unrolled: 1-line block ×3, first 2 shown]
	v_sub_f32_e32 v39, v38, v40
	v_mul_f32_e32 v35, v43, v35
	v_sub_f32_e32 v39, v42, v39
	v_add_f32_e32 v35, v39, v35
	v_cvt_f32_i32_e32 v34, v34
	v_add_f32_e32 v39, v38, v35
	v_mul_f32_e32 v40, v39, v39
	v_mov_b32_e32 v41, 0x3ecc95a3
	v_fmac_f32_e32 v41, 0x3e9b6dac, v40
	v_mov_b32_e32 v42, 0x3f2aaada
	v_fmac_f32_e32 v42, v40, v41
	v_mul_f32_e32 v41, 0x3f317218, v34
	v_fma_f32 v43, v34, s6, -v41
	v_fmac_f32_e32 v43, 0xb102e308, v34
	v_sub_f32_e32 v34, v39, v38
	v_sub_f32_e32 v34, v35, v34
	v_add_f32_e32 v35, v41, v43
	v_sub_f32_e32 v38, v35, v41
	v_ldexp_f32 v41, v39, 1
	v_mul_f32_e32 v39, v39, v40
	v_mul_f32_e32 v39, v39, v42
	v_add_f32_e32 v40, v41, v39
	v_sub_f32_e32 v41, v40, v41
	v_ldexp_f32 v34, v34, 1
	v_sub_f32_e32 v39, v39, v41
	v_add_f32_e32 v34, v34, v39
	v_add_f32_e32 v39, v40, v34
	v_sub_f32_e32 v40, v39, v40
	v_sub_f32_e32 v34, v34, v40
	v_add_f32_e32 v40, v35, v39
	v_sub_f32_e32 v41, v40, v35
	v_sub_f32_e32 v42, v40, v41
	;; [unrolled: 1-line block ×5, first 2 shown]
	v_add_f32_e32 v35, v39, v35
	v_add_f32_e32 v39, v38, v34
	v_sub_f32_e32 v41, v39, v38
	v_sub_f32_e32 v42, v39, v41
	;; [unrolled: 1-line block ×4, first 2 shown]
	v_add_f32_e32 v35, v39, v35
	v_add_f32_e32 v34, v34, v38
	;; [unrolled: 1-line block ×3, first 2 shown]
	v_sub_f32_e32 v39, v38, v40
	v_sub_f32_e32 v35, v35, v39
	v_add_f32_e32 v34, v34, v35
	v_add_f32_e32 v34, v38, v34
	v_cmp_neq_f32_e32 vcc, s3, v37
	s_mov_b32 s3, 0x33800000
	v_cndmask_b32_e32 v34, v36, v34, vcc
	v_cmp_lt_f32_e64 vcc, |v37|, s3
	v_cndmask_b32_e32 v34, v34, v37, vcc
	v_add_f32_e32 v34, v33, v34
.LBB442_255:
	s_or_b64 exec, exec, s[0:1]
	v_bfe_u32 v33, v34, 16, 1
	s_movk_i32 s3, 0x7fff
	v_add3_u32 v33, v34, v33, s3
	v_cmp_o_f32_e32 vcc, v34, v34
	v_mov_b32_e32 v34, 0x7fc0
	v_cndmask_b32_sdwa v33, v34, v33, vcc dst_sel:DWORD dst_unused:UNUSED_PAD src0_sel:DWORD src1_sel:WORD_1
	v_lshlrev_b32_e32 v36, 16, v33
	v_max_f32_e32 v35, v36, v36
	v_min_f32_e32 v37, v35, v58
	v_cmp_u_f32_e32 vcc, v36, v36
	v_max_f32_e32 v35, v35, v58
	v_cndmask_b32_e32 v37, v37, v36, vcc
	v_cndmask_b32_e32 v35, v35, v36, vcc
	v_cndmask_b32_e64 v37, v37, v56, s[40:41]
	v_cndmask_b32_e64 v35, v35, v56, s[40:41]
	v_cmp_neq_f32_e32 vcc, v37, v35
	v_cmp_class_f32_e64 s[0:1], v37, s2
	s_or_b64 s[6:7], vcc, s[0:1]
	s_and_saveexec_b64 s[0:1], s[6:7]
	s_cbranch_execz .LBB442_257
; %bb.256:
	v_sub_f32_e32 v36, v37, v35
	s_mov_b32 s2, 0x3fb8aa3b
	v_mul_f32_e32 v37, 0x3fb8aa3b, v36
	v_fma_f32 v38, v36, s2, -v37
	v_rndne_f32_e32 v39, v37
	v_fmac_f32_e32 v38, 0x32a5705f, v36
	v_sub_f32_e32 v37, v37, v39
	v_add_f32_e32 v37, v37, v38
	v_exp_f32_e32 v37, v37
	v_cvt_i32_f32_e32 v38, v39
	s_mov_b32 s2, 0xc2ce8ed0
	v_cmp_ngt_f32_e32 vcc, s2, v36
	s_mov_b32 s2, 0x42b17218
	v_ldexp_f32 v37, v37, v38
	v_cndmask_b32_e32 v37, 0, v37, vcc
	v_mov_b32_e32 v38, 0x7f800000
	v_cmp_nlt_f32_e32 vcc, s2, v36
	v_cndmask_b32_e32 v39, v38, v37, vcc
	v_add_f32_e32 v40, 1.0, v39
	v_cvt_f64_f32_e32 v[36:37], v40
	v_add_f32_e32 v41, -1.0, v40
	v_sub_f32_e32 v42, v41, v40
	v_sub_f32_e32 v41, v39, v41
	v_frexp_exp_i32_f64_e32 v36, v[36:37]
	v_add_f32_e32 v37, 1.0, v42
	v_add_f32_e32 v37, v41, v37
	v_frexp_mant_f32_e32 v41, v40
	s_mov_b32 s6, 0x3f2aaaab
	v_cmp_gt_f32_e32 vcc, s6, v41
	s_mov_b32 s6, 0x3f317218
	s_mov_b32 s2, 0x7f800000
	v_subbrev_co_u32_e32 v36, vcc, 0, v36, vcc
	v_sub_u32_e32 v41, 0, v36
	v_ldexp_f32 v40, v40, v41
	v_ldexp_f32 v37, v37, v41
	v_add_f32_e32 v41, -1.0, v40
	v_add_f32_e32 v44, 1.0, v40
	v_add_f32_e32 v42, 1.0, v41
	v_add_f32_e32 v45, -1.0, v44
	v_sub_f32_e32 v42, v40, v42
	v_sub_f32_e32 v40, v40, v45
	v_add_f32_e32 v42, v37, v42
	v_add_f32_e32 v37, v37, v40
	v_add_f32_e32 v40, v44, v37
	v_rcp_f32_e32 v45, v40
	v_add_f32_e32 v43, v41, v42
	v_sub_f32_e32 v41, v41, v43
	v_add_f32_e32 v41, v42, v41
	v_sub_f32_e32 v42, v44, v40
	v_add_f32_e32 v37, v37, v42
	v_mul_f32_e32 v42, v43, v45
	v_mul_f32_e32 v44, v40, v42
	v_fma_f32 v46, v42, v40, -v44
	v_fmac_f32_e32 v46, v42, v37
	v_add_f32_e32 v47, v44, v46
	v_sub_f32_e32 v48, v43, v47
	v_sub_f32_e32 v43, v43, v48
	;; [unrolled: 1-line block ×4, first 2 shown]
	v_add_f32_e32 v41, v41, v43
	v_sub_f32_e32 v43, v44, v46
	v_add_f32_e32 v41, v43, v41
	v_add_f32_e32 v43, v48, v41
	v_mul_f32_e32 v44, v45, v43
	v_mul_f32_e32 v46, v40, v44
	v_fma_f32 v40, v44, v40, -v46
	v_fmac_f32_e32 v40, v44, v37
	v_sub_f32_e32 v37, v48, v43
	v_add_f32_e32 v37, v41, v37
	v_add_f32_e32 v41, v46, v40
	v_sub_f32_e32 v47, v43, v41
	v_sub_f32_e32 v43, v43, v47
	;; [unrolled: 1-line block ×4, first 2 shown]
	v_add_f32_e32 v37, v37, v41
	v_sub_f32_e32 v40, v46, v40
	v_add_f32_e32 v37, v40, v37
	v_add_f32_e32 v40, v42, v44
	;; [unrolled: 1-line block ×3, first 2 shown]
	v_sub_f32_e32 v41, v40, v42
	v_mul_f32_e32 v37, v45, v37
	v_sub_f32_e32 v41, v44, v41
	v_add_f32_e32 v37, v41, v37
	v_cvt_f32_i32_e32 v36, v36
	v_add_f32_e32 v41, v40, v37
	v_mul_f32_e32 v42, v41, v41
	v_mov_b32_e32 v43, 0x3ecc95a3
	v_fmac_f32_e32 v43, 0x3e9b6dac, v42
	v_mov_b32_e32 v44, 0x3f2aaada
	v_fmac_f32_e32 v44, v42, v43
	v_mul_f32_e32 v43, 0x3f317218, v36
	v_fma_f32 v45, v36, s6, -v43
	v_fmac_f32_e32 v45, 0xb102e308, v36
	v_sub_f32_e32 v36, v41, v40
	v_sub_f32_e32 v36, v37, v36
	v_add_f32_e32 v37, v43, v45
	v_sub_f32_e32 v40, v37, v43
	v_ldexp_f32 v43, v41, 1
	v_mul_f32_e32 v41, v41, v42
	v_mul_f32_e32 v41, v41, v44
	v_add_f32_e32 v42, v43, v41
	v_sub_f32_e32 v43, v42, v43
	v_ldexp_f32 v36, v36, 1
	v_sub_f32_e32 v41, v41, v43
	v_add_f32_e32 v36, v36, v41
	v_add_f32_e32 v41, v42, v36
	v_sub_f32_e32 v42, v41, v42
	v_sub_f32_e32 v36, v36, v42
	v_add_f32_e32 v42, v37, v41
	v_sub_f32_e32 v43, v42, v37
	v_sub_f32_e32 v44, v42, v43
	;; [unrolled: 1-line block ×5, first 2 shown]
	v_add_f32_e32 v37, v41, v37
	v_add_f32_e32 v41, v40, v36
	v_sub_f32_e32 v43, v41, v40
	v_sub_f32_e32 v44, v41, v43
	;; [unrolled: 1-line block ×4, first 2 shown]
	v_add_f32_e32 v37, v41, v37
	v_add_f32_e32 v36, v36, v40
	;; [unrolled: 1-line block ×3, first 2 shown]
	v_sub_f32_e32 v41, v40, v42
	v_sub_f32_e32 v37, v37, v41
	v_add_f32_e32 v36, v36, v37
	v_add_f32_e32 v36, v40, v36
	v_cmp_neq_f32_e32 vcc, s2, v39
	s_mov_b32 s2, 0x33800000
	v_cndmask_b32_e32 v36, v38, v36, vcc
	v_cmp_lt_f32_e64 vcc, |v39|, s2
	v_cndmask_b32_e32 v36, v36, v39, vcc
	v_add_f32_e32 v36, v35, v36
.LBB442_257:
	s_or_b64 exec, exec, s[0:1]
	v_bfe_u32 v35, v36, 16, 1
	v_add3_u32 v35, v36, v35, s3
	v_cmp_o_f32_e32 vcc, v36, v36
	v_cndmask_b32_sdwa v34, v34, v35, vcc dst_sel:DWORD dst_unused:UNUSED_PAD src0_sel:DWORD src1_sel:WORD_1
	v_lshlrev_b32_e32 v36, 16, v34
	v_max_f32_e32 v35, v36, v36
	v_min_f32_e32 v37, v35, v61
	v_cmp_u_f32_e32 vcc, v36, v36
	v_max_f32_e32 v35, v35, v61
	v_cndmask_b32_e32 v37, v37, v36, vcc
	v_cndmask_b32_e32 v35, v35, v36, vcc
	v_cndmask_b32_e64 v37, v37, v59, s[42:43]
	v_cndmask_b32_e64 v35, v35, v59, s[42:43]
	s_movk_i32 s2, 0x1f8
	v_cmp_neq_f32_e32 vcc, v37, v35
	v_cmp_class_f32_e64 s[0:1], v37, s2
	s_or_b64 s[6:7], vcc, s[0:1]
	s_and_saveexec_b64 s[0:1], s[6:7]
	s_cbranch_execz .LBB442_259
; %bb.258:
	v_sub_f32_e32 v36, v37, v35
	s_mov_b32 s3, 0x3fb8aa3b
	v_mul_f32_e32 v37, 0x3fb8aa3b, v36
	v_fma_f32 v38, v36, s3, -v37
	v_rndne_f32_e32 v39, v37
	v_fmac_f32_e32 v38, 0x32a5705f, v36
	v_sub_f32_e32 v37, v37, v39
	v_add_f32_e32 v37, v37, v38
	v_exp_f32_e32 v37, v37
	v_cvt_i32_f32_e32 v38, v39
	s_mov_b32 s3, 0xc2ce8ed0
	v_cmp_ngt_f32_e32 vcc, s3, v36
	s_mov_b32 s3, 0x42b17218
	v_ldexp_f32 v37, v37, v38
	v_cndmask_b32_e32 v37, 0, v37, vcc
	v_mov_b32_e32 v38, 0x7f800000
	v_cmp_nlt_f32_e32 vcc, s3, v36
	v_cndmask_b32_e32 v39, v38, v37, vcc
	v_add_f32_e32 v40, 1.0, v39
	v_cvt_f64_f32_e32 v[36:37], v40
	v_add_f32_e32 v41, -1.0, v40
	v_sub_f32_e32 v42, v41, v40
	v_sub_f32_e32 v41, v39, v41
	v_frexp_exp_i32_f64_e32 v36, v[36:37]
	v_add_f32_e32 v37, 1.0, v42
	v_add_f32_e32 v37, v41, v37
	v_frexp_mant_f32_e32 v41, v40
	s_mov_b32 s6, 0x3f2aaaab
	v_cmp_gt_f32_e32 vcc, s6, v41
	s_mov_b32 s6, 0x3f317218
	s_mov_b32 s3, 0x7f800000
	v_subbrev_co_u32_e32 v36, vcc, 0, v36, vcc
	v_sub_u32_e32 v41, 0, v36
	v_ldexp_f32 v40, v40, v41
	v_ldexp_f32 v37, v37, v41
	v_add_f32_e32 v41, -1.0, v40
	v_add_f32_e32 v44, 1.0, v40
	v_add_f32_e32 v42, 1.0, v41
	v_add_f32_e32 v45, -1.0, v44
	v_sub_f32_e32 v42, v40, v42
	v_sub_f32_e32 v40, v40, v45
	v_add_f32_e32 v42, v37, v42
	v_add_f32_e32 v37, v37, v40
	;; [unrolled: 1-line block ×3, first 2 shown]
	v_rcp_f32_e32 v45, v40
	v_add_f32_e32 v43, v41, v42
	v_sub_f32_e32 v41, v41, v43
	v_add_f32_e32 v41, v42, v41
	v_sub_f32_e32 v42, v44, v40
	v_add_f32_e32 v37, v37, v42
	v_mul_f32_e32 v42, v43, v45
	v_mul_f32_e32 v44, v40, v42
	v_fma_f32 v46, v42, v40, -v44
	v_fmac_f32_e32 v46, v42, v37
	v_add_f32_e32 v47, v44, v46
	v_sub_f32_e32 v48, v43, v47
	v_sub_f32_e32 v43, v43, v48
	;; [unrolled: 1-line block ×4, first 2 shown]
	v_add_f32_e32 v41, v41, v43
	v_sub_f32_e32 v43, v44, v46
	v_add_f32_e32 v41, v43, v41
	v_add_f32_e32 v43, v48, v41
	v_mul_f32_e32 v44, v45, v43
	v_mul_f32_e32 v46, v40, v44
	v_fma_f32 v40, v44, v40, -v46
	v_fmac_f32_e32 v40, v44, v37
	v_sub_f32_e32 v37, v48, v43
	v_add_f32_e32 v37, v41, v37
	v_add_f32_e32 v41, v46, v40
	v_sub_f32_e32 v47, v43, v41
	v_sub_f32_e32 v43, v43, v47
	;; [unrolled: 1-line block ×4, first 2 shown]
	v_add_f32_e32 v37, v37, v41
	v_sub_f32_e32 v40, v46, v40
	v_add_f32_e32 v37, v40, v37
	v_add_f32_e32 v40, v42, v44
	;; [unrolled: 1-line block ×3, first 2 shown]
	v_sub_f32_e32 v41, v40, v42
	v_mul_f32_e32 v37, v45, v37
	v_sub_f32_e32 v41, v44, v41
	v_add_f32_e32 v37, v41, v37
	v_cvt_f32_i32_e32 v36, v36
	v_add_f32_e32 v41, v40, v37
	v_mul_f32_e32 v42, v41, v41
	v_mov_b32_e32 v43, 0x3ecc95a3
	v_fmac_f32_e32 v43, 0x3e9b6dac, v42
	v_mov_b32_e32 v44, 0x3f2aaada
	v_fmac_f32_e32 v44, v42, v43
	v_mul_f32_e32 v43, 0x3f317218, v36
	v_fma_f32 v45, v36, s6, -v43
	v_fmac_f32_e32 v45, 0xb102e308, v36
	v_sub_f32_e32 v36, v41, v40
	v_sub_f32_e32 v36, v37, v36
	v_add_f32_e32 v37, v43, v45
	v_sub_f32_e32 v40, v37, v43
	v_ldexp_f32 v43, v41, 1
	v_mul_f32_e32 v41, v41, v42
	v_mul_f32_e32 v41, v41, v44
	v_add_f32_e32 v42, v43, v41
	v_sub_f32_e32 v43, v42, v43
	v_ldexp_f32 v36, v36, 1
	v_sub_f32_e32 v41, v41, v43
	v_add_f32_e32 v36, v36, v41
	v_add_f32_e32 v41, v42, v36
	v_sub_f32_e32 v42, v41, v42
	v_sub_f32_e32 v36, v36, v42
	v_add_f32_e32 v42, v37, v41
	v_sub_f32_e32 v43, v42, v37
	v_sub_f32_e32 v44, v42, v43
	;; [unrolled: 1-line block ×5, first 2 shown]
	v_add_f32_e32 v37, v41, v37
	v_add_f32_e32 v41, v40, v36
	v_sub_f32_e32 v43, v41, v40
	v_sub_f32_e32 v44, v41, v43
	;; [unrolled: 1-line block ×4, first 2 shown]
	v_add_f32_e32 v37, v41, v37
	v_add_f32_e32 v36, v36, v40
	;; [unrolled: 1-line block ×3, first 2 shown]
	v_sub_f32_e32 v41, v40, v42
	v_sub_f32_e32 v37, v37, v41
	v_add_f32_e32 v36, v36, v37
	v_add_f32_e32 v36, v40, v36
	v_cmp_neq_f32_e32 vcc, s3, v39
	s_mov_b32 s3, 0x33800000
	v_cndmask_b32_e32 v36, v38, v36, vcc
	v_cmp_lt_f32_e64 vcc, |v39|, s3
	v_cndmask_b32_e32 v36, v36, v39, vcc
	v_add_f32_e32 v36, v35, v36
.LBB442_259:
	s_or_b64 exec, exec, s[0:1]
	v_bfe_u32 v35, v36, 16, 1
	s_movk_i32 s3, 0x7fff
	v_add3_u32 v35, v36, v35, s3
	v_cmp_o_f32_e32 vcc, v36, v36
	v_mov_b32_e32 v36, 0x7fc0
	v_cndmask_b32_sdwa v35, v36, v35, vcc dst_sel:DWORD dst_unused:UNUSED_PAD src0_sel:DWORD src1_sel:WORD_1
	v_lshlrev_b32_e32 v38, 16, v35
	v_max_f32_e32 v37, v38, v38
	v_min_f32_e32 v39, v37, v62
	v_cmp_u_f32_e32 vcc, v38, v38
	v_max_f32_e32 v37, v37, v62
	v_cndmask_b32_e32 v39, v39, v38, vcc
	v_cndmask_b32_e32 v37, v37, v38, vcc
	v_cndmask_b32_e64 v39, v39, v60, s[44:45]
	v_cndmask_b32_e64 v37, v37, v60, s[44:45]
	v_cmp_neq_f32_e32 vcc, v39, v37
	v_cmp_class_f32_e64 s[0:1], v39, s2
	s_or_b64 s[6:7], vcc, s[0:1]
	s_and_saveexec_b64 s[0:1], s[6:7]
	s_cbranch_execz .LBB442_261
; %bb.260:
	v_sub_f32_e32 v38, v39, v37
	s_mov_b32 s2, 0x3fb8aa3b
	v_mul_f32_e32 v39, 0x3fb8aa3b, v38
	v_fma_f32 v40, v38, s2, -v39
	v_rndne_f32_e32 v41, v39
	v_fmac_f32_e32 v40, 0x32a5705f, v38
	v_sub_f32_e32 v39, v39, v41
	v_add_f32_e32 v39, v39, v40
	v_exp_f32_e32 v39, v39
	v_cvt_i32_f32_e32 v40, v41
	s_mov_b32 s2, 0xc2ce8ed0
	v_cmp_ngt_f32_e32 vcc, s2, v38
	s_mov_b32 s2, 0x42b17218
	v_ldexp_f32 v39, v39, v40
	v_cndmask_b32_e32 v39, 0, v39, vcc
	v_mov_b32_e32 v40, 0x7f800000
	v_cmp_nlt_f32_e32 vcc, s2, v38
	v_cndmask_b32_e32 v41, v40, v39, vcc
	v_add_f32_e32 v42, 1.0, v41
	v_cvt_f64_f32_e32 v[38:39], v42
	v_add_f32_e32 v43, -1.0, v42
	v_sub_f32_e32 v44, v43, v42
	v_sub_f32_e32 v43, v41, v43
	v_frexp_exp_i32_f64_e32 v38, v[38:39]
	v_add_f32_e32 v39, 1.0, v44
	v_add_f32_e32 v39, v43, v39
	v_frexp_mant_f32_e32 v43, v42
	s_mov_b32 s6, 0x3f2aaaab
	v_cmp_gt_f32_e32 vcc, s6, v43
	s_mov_b32 s6, 0x3f317218
	s_mov_b32 s2, 0x7f800000
	v_subbrev_co_u32_e32 v38, vcc, 0, v38, vcc
	v_sub_u32_e32 v43, 0, v38
	v_ldexp_f32 v42, v42, v43
	v_ldexp_f32 v39, v39, v43
	v_add_f32_e32 v43, -1.0, v42
	v_add_f32_e32 v46, 1.0, v42
	v_add_f32_e32 v44, 1.0, v43
	v_add_f32_e32 v47, -1.0, v46
	v_sub_f32_e32 v44, v42, v44
	v_sub_f32_e32 v42, v42, v47
	v_add_f32_e32 v44, v39, v44
	v_add_f32_e32 v39, v39, v42
	;; [unrolled: 1-line block ×3, first 2 shown]
	v_rcp_f32_e32 v47, v42
	v_add_f32_e32 v45, v43, v44
	v_sub_f32_e32 v43, v43, v45
	v_add_f32_e32 v43, v44, v43
	v_sub_f32_e32 v44, v46, v42
	v_add_f32_e32 v39, v39, v44
	v_mul_f32_e32 v44, v45, v47
	v_mul_f32_e32 v46, v42, v44
	v_fma_f32 v48, v44, v42, -v46
	v_fmac_f32_e32 v48, v44, v39
	v_add_f32_e32 v49, v46, v48
	v_sub_f32_e32 v50, v45, v49
	v_sub_f32_e32 v45, v45, v50
	;; [unrolled: 1-line block ×4, first 2 shown]
	v_add_f32_e32 v43, v43, v45
	v_sub_f32_e32 v45, v46, v48
	v_add_f32_e32 v43, v45, v43
	v_add_f32_e32 v45, v50, v43
	v_mul_f32_e32 v46, v47, v45
	v_mul_f32_e32 v48, v42, v46
	v_fma_f32 v42, v46, v42, -v48
	v_fmac_f32_e32 v42, v46, v39
	v_sub_f32_e32 v39, v50, v45
	v_add_f32_e32 v39, v43, v39
	v_add_f32_e32 v43, v48, v42
	v_sub_f32_e32 v49, v45, v43
	v_sub_f32_e32 v45, v45, v49
	;; [unrolled: 1-line block ×4, first 2 shown]
	v_add_f32_e32 v39, v39, v43
	v_sub_f32_e32 v42, v48, v42
	v_add_f32_e32 v39, v42, v39
	v_add_f32_e32 v42, v44, v46
	;; [unrolled: 1-line block ×3, first 2 shown]
	v_sub_f32_e32 v43, v42, v44
	v_mul_f32_e32 v39, v47, v39
	v_sub_f32_e32 v43, v46, v43
	v_add_f32_e32 v39, v43, v39
	v_cvt_f32_i32_e32 v38, v38
	v_add_f32_e32 v43, v42, v39
	v_mul_f32_e32 v44, v43, v43
	v_mov_b32_e32 v45, 0x3ecc95a3
	v_fmac_f32_e32 v45, 0x3e9b6dac, v44
	v_mov_b32_e32 v46, 0x3f2aaada
	v_fmac_f32_e32 v46, v44, v45
	v_mul_f32_e32 v45, 0x3f317218, v38
	v_fma_f32 v47, v38, s6, -v45
	v_fmac_f32_e32 v47, 0xb102e308, v38
	v_sub_f32_e32 v38, v43, v42
	v_sub_f32_e32 v38, v39, v38
	v_add_f32_e32 v39, v45, v47
	v_sub_f32_e32 v42, v39, v45
	v_ldexp_f32 v45, v43, 1
	v_mul_f32_e32 v43, v43, v44
	v_mul_f32_e32 v43, v43, v46
	v_add_f32_e32 v44, v45, v43
	v_sub_f32_e32 v45, v44, v45
	v_ldexp_f32 v38, v38, 1
	v_sub_f32_e32 v43, v43, v45
	v_add_f32_e32 v38, v38, v43
	v_add_f32_e32 v43, v44, v38
	v_sub_f32_e32 v44, v43, v44
	v_sub_f32_e32 v38, v38, v44
	v_add_f32_e32 v44, v39, v43
	v_sub_f32_e32 v45, v44, v39
	v_sub_f32_e32 v46, v44, v45
	;; [unrolled: 1-line block ×5, first 2 shown]
	v_add_f32_e32 v39, v43, v39
	v_add_f32_e32 v43, v42, v38
	v_sub_f32_e32 v45, v43, v42
	v_sub_f32_e32 v46, v43, v45
	;; [unrolled: 1-line block ×4, first 2 shown]
	v_add_f32_e32 v39, v43, v39
	v_add_f32_e32 v38, v38, v42
	;; [unrolled: 1-line block ×3, first 2 shown]
	v_sub_f32_e32 v43, v42, v44
	v_sub_f32_e32 v39, v39, v43
	v_add_f32_e32 v38, v38, v39
	v_add_f32_e32 v38, v42, v38
	v_cmp_neq_f32_e32 vcc, s2, v41
	s_mov_b32 s2, 0x33800000
	v_cndmask_b32_e32 v38, v40, v38, vcc
	v_cmp_lt_f32_e64 vcc, |v41|, s2
	v_cndmask_b32_e32 v38, v38, v41, vcc
	v_add_f32_e32 v38, v37, v38
.LBB442_261:
	s_or_b64 exec, exec, s[0:1]
	v_bfe_u32 v37, v38, 16, 1
	v_add3_u32 v37, v38, v37, s3
	v_cmp_o_f32_e32 vcc, v38, v38
	v_cndmask_b32_sdwa v36, v36, v37, vcc dst_sel:DWORD dst_unused:UNUSED_PAD src0_sel:DWORD src1_sel:WORD_1
	v_lshlrev_b32_e32 v38, 16, v36
	v_max_f32_e32 v37, v38, v38
	v_min_f32_e32 v39, v37, v65
	v_cmp_u_f32_e32 vcc, v38, v38
	v_max_f32_e32 v37, v37, v65
	v_cndmask_b32_e32 v39, v39, v38, vcc
	v_cndmask_b32_e32 v37, v37, v38, vcc
	v_cndmask_b32_e64 v39, v39, v63, s[46:47]
	v_cndmask_b32_e64 v37, v37, v63, s[46:47]
	s_movk_i32 s2, 0x1f8
	v_cmp_neq_f32_e32 vcc, v39, v37
	v_cmp_class_f32_e64 s[0:1], v39, s2
	s_or_b64 s[6:7], vcc, s[0:1]
	s_and_saveexec_b64 s[0:1], s[6:7]
	s_cbranch_execz .LBB442_263
; %bb.262:
	v_sub_f32_e32 v38, v39, v37
	s_mov_b32 s3, 0x3fb8aa3b
	v_mul_f32_e32 v39, 0x3fb8aa3b, v38
	v_fma_f32 v40, v38, s3, -v39
	v_rndne_f32_e32 v41, v39
	v_fmac_f32_e32 v40, 0x32a5705f, v38
	v_sub_f32_e32 v39, v39, v41
	v_add_f32_e32 v39, v39, v40
	v_exp_f32_e32 v39, v39
	v_cvt_i32_f32_e32 v40, v41
	s_mov_b32 s3, 0xc2ce8ed0
	v_cmp_ngt_f32_e32 vcc, s3, v38
	s_mov_b32 s3, 0x42b17218
	v_ldexp_f32 v39, v39, v40
	v_cndmask_b32_e32 v39, 0, v39, vcc
	v_mov_b32_e32 v40, 0x7f800000
	v_cmp_nlt_f32_e32 vcc, s3, v38
	v_cndmask_b32_e32 v41, v40, v39, vcc
	v_add_f32_e32 v42, 1.0, v41
	v_cvt_f64_f32_e32 v[38:39], v42
	v_add_f32_e32 v43, -1.0, v42
	v_sub_f32_e32 v44, v43, v42
	v_sub_f32_e32 v43, v41, v43
	v_frexp_exp_i32_f64_e32 v38, v[38:39]
	v_add_f32_e32 v39, 1.0, v44
	v_add_f32_e32 v39, v43, v39
	v_frexp_mant_f32_e32 v43, v42
	s_mov_b32 s6, 0x3f2aaaab
	v_cmp_gt_f32_e32 vcc, s6, v43
	s_mov_b32 s6, 0x3f317218
	s_mov_b32 s3, 0x7f800000
	v_subbrev_co_u32_e32 v38, vcc, 0, v38, vcc
	v_sub_u32_e32 v43, 0, v38
	v_ldexp_f32 v42, v42, v43
	v_ldexp_f32 v39, v39, v43
	v_add_f32_e32 v43, -1.0, v42
	v_add_f32_e32 v46, 1.0, v42
	v_add_f32_e32 v44, 1.0, v43
	v_add_f32_e32 v47, -1.0, v46
	v_sub_f32_e32 v44, v42, v44
	v_sub_f32_e32 v42, v42, v47
	v_add_f32_e32 v44, v39, v44
	v_add_f32_e32 v39, v39, v42
	;; [unrolled: 1-line block ×3, first 2 shown]
	v_rcp_f32_e32 v47, v42
	v_add_f32_e32 v45, v43, v44
	v_sub_f32_e32 v43, v43, v45
	v_add_f32_e32 v43, v44, v43
	v_sub_f32_e32 v44, v46, v42
	v_add_f32_e32 v39, v39, v44
	v_mul_f32_e32 v44, v45, v47
	v_mul_f32_e32 v46, v42, v44
	v_fma_f32 v48, v44, v42, -v46
	v_fmac_f32_e32 v48, v44, v39
	v_add_f32_e32 v49, v46, v48
	v_sub_f32_e32 v50, v45, v49
	v_sub_f32_e32 v45, v45, v50
	;; [unrolled: 1-line block ×4, first 2 shown]
	v_add_f32_e32 v43, v43, v45
	v_sub_f32_e32 v45, v46, v48
	v_add_f32_e32 v43, v45, v43
	v_add_f32_e32 v45, v50, v43
	v_mul_f32_e32 v46, v47, v45
	v_mul_f32_e32 v48, v42, v46
	v_fma_f32 v42, v46, v42, -v48
	v_fmac_f32_e32 v42, v46, v39
	v_sub_f32_e32 v39, v50, v45
	v_add_f32_e32 v39, v43, v39
	v_add_f32_e32 v43, v48, v42
	v_sub_f32_e32 v49, v45, v43
	v_sub_f32_e32 v45, v45, v49
	;; [unrolled: 1-line block ×4, first 2 shown]
	v_add_f32_e32 v39, v39, v43
	v_sub_f32_e32 v42, v48, v42
	v_add_f32_e32 v39, v42, v39
	v_add_f32_e32 v42, v44, v46
	;; [unrolled: 1-line block ×3, first 2 shown]
	v_sub_f32_e32 v43, v42, v44
	v_mul_f32_e32 v39, v47, v39
	v_sub_f32_e32 v43, v46, v43
	v_add_f32_e32 v39, v43, v39
	v_cvt_f32_i32_e32 v38, v38
	v_add_f32_e32 v43, v42, v39
	v_mul_f32_e32 v44, v43, v43
	v_mov_b32_e32 v45, 0x3ecc95a3
	v_fmac_f32_e32 v45, 0x3e9b6dac, v44
	v_mov_b32_e32 v46, 0x3f2aaada
	v_fmac_f32_e32 v46, v44, v45
	v_mul_f32_e32 v45, 0x3f317218, v38
	v_fma_f32 v47, v38, s6, -v45
	v_fmac_f32_e32 v47, 0xb102e308, v38
	v_sub_f32_e32 v38, v43, v42
	v_sub_f32_e32 v38, v39, v38
	v_add_f32_e32 v39, v45, v47
	v_sub_f32_e32 v42, v39, v45
	v_ldexp_f32 v45, v43, 1
	v_mul_f32_e32 v43, v43, v44
	v_mul_f32_e32 v43, v43, v46
	v_add_f32_e32 v44, v45, v43
	v_sub_f32_e32 v45, v44, v45
	v_ldexp_f32 v38, v38, 1
	v_sub_f32_e32 v43, v43, v45
	v_add_f32_e32 v38, v38, v43
	v_add_f32_e32 v43, v44, v38
	v_sub_f32_e32 v44, v43, v44
	v_sub_f32_e32 v38, v38, v44
	v_add_f32_e32 v44, v39, v43
	v_sub_f32_e32 v45, v44, v39
	v_sub_f32_e32 v46, v44, v45
	;; [unrolled: 1-line block ×5, first 2 shown]
	v_add_f32_e32 v39, v43, v39
	v_add_f32_e32 v43, v42, v38
	v_sub_f32_e32 v45, v43, v42
	v_sub_f32_e32 v46, v43, v45
	;; [unrolled: 1-line block ×4, first 2 shown]
	v_add_f32_e32 v39, v43, v39
	v_add_f32_e32 v38, v38, v42
	;; [unrolled: 1-line block ×3, first 2 shown]
	v_sub_f32_e32 v43, v42, v44
	v_sub_f32_e32 v39, v39, v43
	v_add_f32_e32 v38, v38, v39
	v_add_f32_e32 v38, v42, v38
	v_cmp_neq_f32_e32 vcc, s3, v41
	s_mov_b32 s3, 0x33800000
	v_cndmask_b32_e32 v38, v40, v38, vcc
	v_cmp_lt_f32_e64 vcc, |v41|, s3
	v_cndmask_b32_e32 v38, v38, v41, vcc
	v_add_f32_e32 v38, v37, v38
.LBB442_263:
	s_or_b64 exec, exec, s[0:1]
	v_bfe_u32 v37, v38, 16, 1
	s_movk_i32 s3, 0x7fff
	v_add3_u32 v37, v38, v37, s3
	v_cmp_o_f32_e32 vcc, v38, v38
	v_mov_b32_e32 v38, 0x7fc0
	v_cndmask_b32_sdwa v37, v38, v37, vcc dst_sel:DWORD dst_unused:UNUSED_PAD src0_sel:DWORD src1_sel:WORD_1
	v_lshlrev_b32_e32 v40, 16, v37
	v_max_f32_e32 v39, v40, v40
	v_min_f32_e32 v41, v39, v66
	v_cmp_u_f32_e32 vcc, v40, v40
	v_max_f32_e32 v39, v39, v66
	v_cndmask_b32_e32 v41, v41, v40, vcc
	v_cndmask_b32_e32 v39, v39, v40, vcc
	v_cndmask_b32_e64 v41, v41, v64, s[48:49]
	v_cndmask_b32_e64 v39, v39, v64, s[48:49]
	v_cmp_neq_f32_e32 vcc, v41, v39
	v_cmp_class_f32_e64 s[0:1], v41, s2
	s_or_b64 s[6:7], vcc, s[0:1]
	s_and_saveexec_b64 s[0:1], s[6:7]
	s_cbranch_execz .LBB442_265
; %bb.264:
	v_sub_f32_e32 v40, v41, v39
	s_mov_b32 s2, 0x3fb8aa3b
	v_mul_f32_e32 v41, 0x3fb8aa3b, v40
	v_fma_f32 v42, v40, s2, -v41
	v_rndne_f32_e32 v43, v41
	v_fmac_f32_e32 v42, 0x32a5705f, v40
	v_sub_f32_e32 v41, v41, v43
	v_add_f32_e32 v41, v41, v42
	v_exp_f32_e32 v41, v41
	v_cvt_i32_f32_e32 v42, v43
	s_mov_b32 s2, 0xc2ce8ed0
	v_cmp_ngt_f32_e32 vcc, s2, v40
	s_mov_b32 s2, 0x42b17218
	v_ldexp_f32 v41, v41, v42
	v_cndmask_b32_e32 v41, 0, v41, vcc
	v_mov_b32_e32 v42, 0x7f800000
	v_cmp_nlt_f32_e32 vcc, s2, v40
	v_cndmask_b32_e32 v43, v42, v41, vcc
	v_add_f32_e32 v44, 1.0, v43
	v_cvt_f64_f32_e32 v[40:41], v44
	v_add_f32_e32 v45, -1.0, v44
	v_sub_f32_e32 v46, v45, v44
	v_sub_f32_e32 v45, v43, v45
	v_frexp_exp_i32_f64_e32 v40, v[40:41]
	v_add_f32_e32 v41, 1.0, v46
	v_add_f32_e32 v41, v45, v41
	v_frexp_mant_f32_e32 v45, v44
	s_mov_b32 s6, 0x3f2aaaab
	v_cmp_gt_f32_e32 vcc, s6, v45
	s_mov_b32 s6, 0x3f317218
	s_mov_b32 s2, 0x7f800000
	v_subbrev_co_u32_e32 v40, vcc, 0, v40, vcc
	v_sub_u32_e32 v45, 0, v40
	v_ldexp_f32 v44, v44, v45
	v_ldexp_f32 v41, v41, v45
	v_add_f32_e32 v45, -1.0, v44
	v_add_f32_e32 v48, 1.0, v44
	v_add_f32_e32 v46, 1.0, v45
	v_add_f32_e32 v49, -1.0, v48
	v_sub_f32_e32 v46, v44, v46
	v_sub_f32_e32 v44, v44, v49
	v_add_f32_e32 v46, v41, v46
	v_add_f32_e32 v41, v41, v44
	;; [unrolled: 1-line block ×3, first 2 shown]
	v_rcp_f32_e32 v49, v44
	v_add_f32_e32 v47, v45, v46
	v_sub_f32_e32 v45, v45, v47
	v_add_f32_e32 v45, v46, v45
	v_sub_f32_e32 v46, v48, v44
	v_add_f32_e32 v41, v41, v46
	v_mul_f32_e32 v46, v47, v49
	v_mul_f32_e32 v48, v44, v46
	v_fma_f32 v50, v46, v44, -v48
	v_fmac_f32_e32 v50, v46, v41
	v_add_f32_e32 v51, v48, v50
	v_sub_f32_e32 v52, v47, v51
	v_sub_f32_e32 v47, v47, v52
	v_sub_f32_e32 v48, v51, v48
	v_sub_f32_e32 v47, v47, v51
	v_add_f32_e32 v45, v45, v47
	v_sub_f32_e32 v47, v48, v50
	v_add_f32_e32 v45, v47, v45
	v_add_f32_e32 v47, v52, v45
	v_mul_f32_e32 v48, v49, v47
	v_mul_f32_e32 v50, v44, v48
	v_fma_f32 v44, v48, v44, -v50
	v_fmac_f32_e32 v44, v48, v41
	v_sub_f32_e32 v41, v52, v47
	v_add_f32_e32 v41, v45, v41
	v_add_f32_e32 v45, v50, v44
	v_sub_f32_e32 v51, v47, v45
	v_sub_f32_e32 v47, v47, v51
	;; [unrolled: 1-line block ×4, first 2 shown]
	v_add_f32_e32 v41, v41, v45
	v_sub_f32_e32 v44, v50, v44
	v_add_f32_e32 v41, v44, v41
	v_add_f32_e32 v44, v46, v48
	;; [unrolled: 1-line block ×3, first 2 shown]
	v_sub_f32_e32 v45, v44, v46
	v_mul_f32_e32 v41, v49, v41
	v_sub_f32_e32 v45, v48, v45
	v_add_f32_e32 v41, v45, v41
	v_cvt_f32_i32_e32 v40, v40
	v_add_f32_e32 v45, v44, v41
	v_mul_f32_e32 v46, v45, v45
	v_mov_b32_e32 v47, 0x3ecc95a3
	v_fmac_f32_e32 v47, 0x3e9b6dac, v46
	v_mov_b32_e32 v48, 0x3f2aaada
	v_fmac_f32_e32 v48, v46, v47
	v_mul_f32_e32 v47, 0x3f317218, v40
	v_fma_f32 v49, v40, s6, -v47
	v_fmac_f32_e32 v49, 0xb102e308, v40
	v_sub_f32_e32 v40, v45, v44
	v_sub_f32_e32 v40, v41, v40
	v_add_f32_e32 v41, v47, v49
	v_sub_f32_e32 v44, v41, v47
	v_ldexp_f32 v47, v45, 1
	v_mul_f32_e32 v45, v45, v46
	v_mul_f32_e32 v45, v45, v48
	v_add_f32_e32 v46, v47, v45
	v_sub_f32_e32 v47, v46, v47
	v_ldexp_f32 v40, v40, 1
	v_sub_f32_e32 v45, v45, v47
	v_add_f32_e32 v40, v40, v45
	v_add_f32_e32 v45, v46, v40
	v_sub_f32_e32 v46, v45, v46
	v_sub_f32_e32 v40, v40, v46
	v_add_f32_e32 v46, v41, v45
	v_sub_f32_e32 v47, v46, v41
	v_sub_f32_e32 v48, v46, v47
	;; [unrolled: 1-line block ×5, first 2 shown]
	v_add_f32_e32 v41, v45, v41
	v_add_f32_e32 v45, v44, v40
	v_sub_f32_e32 v47, v45, v44
	v_sub_f32_e32 v48, v45, v47
	v_sub_f32_e32 v44, v44, v48
	v_sub_f32_e32 v40, v40, v47
	v_add_f32_e32 v41, v45, v41
	v_add_f32_e32 v40, v40, v44
	;; [unrolled: 1-line block ×3, first 2 shown]
	v_sub_f32_e32 v45, v44, v46
	v_sub_f32_e32 v41, v41, v45
	v_add_f32_e32 v40, v40, v41
	v_add_f32_e32 v40, v44, v40
	v_cmp_neq_f32_e32 vcc, s2, v43
	s_mov_b32 s2, 0x33800000
	v_cndmask_b32_e32 v40, v42, v40, vcc
	v_cmp_lt_f32_e64 vcc, |v43|, s2
	v_cndmask_b32_e32 v40, v40, v43, vcc
	v_add_f32_e32 v40, v39, v40
.LBB442_265:
	s_or_b64 exec, exec, s[0:1]
	v_bfe_u32 v39, v40, 16, 1
	v_add3_u32 v39, v40, v39, s3
	v_cmp_o_f32_e32 vcc, v40, v40
	v_cndmask_b32_sdwa v38, v38, v39, vcc dst_sel:DWORD dst_unused:UNUSED_PAD src0_sel:DWORD src1_sel:WORD_1
	s_load_dwordx8 s[56:63], s[4:5], 0x38
	s_branch .LBB442_409
.LBB442_266:
	s_waitcnt lgkmcnt(0)
	s_cmp_lg_u64 s[60:61], 0
	s_cselect_b64 s[2:3], -1, 0
	v_cmp_eq_u32_e64 s[52:53], 0, v0
	v_cmp_ne_u32_e64 s[0:1], 0, v0
	s_and_b64 s[4:5], s[52:53], s[2:3]
	v_mov_b32_e32 v13, v9
	s_and_saveexec_b64 s[2:3], s[4:5]
	s_cbranch_execz .LBB442_270
; %bb.267:
	v_mov_b32_e32 v13, 0
	global_load_ushort v13, v13, s[56:57]
	v_lshlrev_b32_e32 v16, 16, v9
	v_max_f32_e32 v15, v16, v16
	s_movk_i32 s4, 0x1f8
	s_waitcnt vmcnt(0)
	v_lshlrev_b32_e32 v14, 16, v13
	v_max_f32_e32 v13, v14, v14
	v_min_f32_e32 v17, v13, v15
	v_max_f32_e32 v13, v13, v15
	v_cmp_u_f32_e32 vcc, v14, v14
	v_cndmask_b32_e32 v15, v17, v14, vcc
	v_cndmask_b32_e32 v13, v13, v14, vcc
	v_cmp_u_f32_e32 vcc, v16, v16
	v_cndmask_b32_e32 v15, v15, v16, vcc
	v_cndmask_b32_e32 v13, v13, v16, vcc
	v_cmp_neq_f32_e32 vcc, v15, v13
	v_cmp_class_f32_e64 s[4:5], v15, s4
	s_or_b64 s[6:7], vcc, s[4:5]
	s_and_saveexec_b64 s[4:5], s[6:7]
	s_cbranch_execz .LBB442_269
; %bb.268:
	v_sub_f32_e32 v14, v15, v13
	s_mov_b32 s6, 0x3fb8aa3b
	v_mul_f32_e32 v15, 0x3fb8aa3b, v14
	v_fma_f32 v16, v14, s6, -v15
	v_rndne_f32_e32 v17, v15
	v_fmac_f32_e32 v16, 0x32a5705f, v14
	v_sub_f32_e32 v15, v15, v17
	v_add_f32_e32 v15, v15, v16
	v_exp_f32_e32 v15, v15
	v_cvt_i32_f32_e32 v16, v17
	s_mov_b32 s6, 0xc2ce8ed0
	v_cmp_ngt_f32_e32 vcc, s6, v14
	s_mov_b32 s6, 0x42b17218
	v_ldexp_f32 v15, v15, v16
	v_cndmask_b32_e32 v15, 0, v15, vcc
	v_mov_b32_e32 v16, 0x7f800000
	v_cmp_nlt_f32_e32 vcc, s6, v14
	v_cndmask_b32_e32 v17, v16, v15, vcc
	v_add_f32_e32 v18, 1.0, v17
	v_cvt_f64_f32_e32 v[14:15], v18
	v_add_f32_e32 v21, -1.0, v18
	v_sub_f32_e32 v22, v21, v18
	v_sub_f32_e32 v21, v17, v21
	v_frexp_exp_i32_f64_e32 v14, v[14:15]
	v_add_f32_e32 v15, 1.0, v22
	v_add_f32_e32 v15, v21, v15
	v_frexp_mant_f32_e32 v21, v18
	s_mov_b32 s7, 0x3f2aaaab
	v_cmp_gt_f32_e32 vcc, s7, v21
	s_mov_b32 s7, 0x3f317218
	s_mov_b32 s6, 0x7f800000
	v_subbrev_co_u32_e32 v14, vcc, 0, v14, vcc
	v_sub_u32_e32 v21, 0, v14
	v_ldexp_f32 v18, v18, v21
	v_ldexp_f32 v15, v15, v21
	v_add_f32_e32 v21, -1.0, v18
	v_add_f32_e32 v24, 1.0, v18
	v_add_f32_e32 v22, 1.0, v21
	v_add_f32_e32 v25, -1.0, v24
	v_sub_f32_e32 v22, v18, v22
	v_sub_f32_e32 v18, v18, v25
	v_add_f32_e32 v22, v15, v22
	v_add_f32_e32 v15, v15, v18
	;; [unrolled: 1-line block ×3, first 2 shown]
	v_rcp_f32_e32 v25, v18
	v_add_f32_e32 v23, v21, v22
	v_sub_f32_e32 v21, v21, v23
	v_add_f32_e32 v21, v22, v21
	v_sub_f32_e32 v22, v24, v18
	v_add_f32_e32 v15, v15, v22
	v_mul_f32_e32 v22, v23, v25
	v_mul_f32_e32 v24, v18, v22
	v_fma_f32 v26, v22, v18, -v24
	v_fmac_f32_e32 v26, v22, v15
	v_add_f32_e32 v27, v24, v26
	v_sub_f32_e32 v28, v23, v27
	v_sub_f32_e32 v23, v23, v28
	;; [unrolled: 1-line block ×4, first 2 shown]
	v_add_f32_e32 v21, v21, v23
	v_sub_f32_e32 v23, v24, v26
	v_add_f32_e32 v21, v23, v21
	v_add_f32_e32 v23, v28, v21
	v_mul_f32_e32 v24, v25, v23
	v_mul_f32_e32 v26, v18, v24
	v_fma_f32 v18, v24, v18, -v26
	v_fmac_f32_e32 v18, v24, v15
	v_sub_f32_e32 v15, v28, v23
	v_add_f32_e32 v15, v21, v15
	v_add_f32_e32 v21, v26, v18
	v_sub_f32_e32 v27, v23, v21
	v_sub_f32_e32 v23, v23, v27
	;; [unrolled: 1-line block ×4, first 2 shown]
	v_add_f32_e32 v15, v15, v21
	v_sub_f32_e32 v18, v26, v18
	v_add_f32_e32 v15, v18, v15
	v_add_f32_e32 v18, v22, v24
	v_add_f32_e32 v15, v27, v15
	v_sub_f32_e32 v21, v18, v22
	v_mul_f32_e32 v15, v25, v15
	v_sub_f32_e32 v21, v24, v21
	v_add_f32_e32 v15, v21, v15
	v_cvt_f32_i32_e32 v14, v14
	v_add_f32_e32 v21, v18, v15
	v_mul_f32_e32 v22, v21, v21
	v_mov_b32_e32 v23, 0x3ecc95a3
	v_fmac_f32_e32 v23, 0x3e9b6dac, v22
	v_mov_b32_e32 v24, 0x3f2aaada
	v_fmac_f32_e32 v24, v22, v23
	v_mul_f32_e32 v23, 0x3f317218, v14
	v_fma_f32 v25, v14, s7, -v23
	v_fmac_f32_e32 v25, 0xb102e308, v14
	v_sub_f32_e32 v14, v21, v18
	v_sub_f32_e32 v14, v15, v14
	v_add_f32_e32 v15, v23, v25
	v_sub_f32_e32 v18, v15, v23
	v_ldexp_f32 v23, v21, 1
	v_mul_f32_e32 v21, v21, v22
	v_mul_f32_e32 v21, v21, v24
	v_add_f32_e32 v22, v23, v21
	v_sub_f32_e32 v23, v22, v23
	v_ldexp_f32 v14, v14, 1
	v_sub_f32_e32 v21, v21, v23
	v_add_f32_e32 v14, v14, v21
	v_add_f32_e32 v21, v22, v14
	v_sub_f32_e32 v22, v21, v22
	v_sub_f32_e32 v14, v14, v22
	v_add_f32_e32 v22, v15, v21
	v_sub_f32_e32 v23, v22, v15
	v_sub_f32_e32 v24, v22, v23
	;; [unrolled: 1-line block ×5, first 2 shown]
	v_add_f32_e32 v15, v21, v15
	v_add_f32_e32 v21, v18, v14
	v_sub_f32_e32 v23, v21, v18
	v_sub_f32_e32 v24, v21, v23
	;; [unrolled: 1-line block ×4, first 2 shown]
	v_add_f32_e32 v15, v21, v15
	v_add_f32_e32 v14, v14, v18
	;; [unrolled: 1-line block ×3, first 2 shown]
	v_sub_f32_e32 v21, v18, v22
	v_sub_f32_e32 v15, v15, v21
	v_add_f32_e32 v14, v14, v15
	v_add_f32_e32 v14, v18, v14
	v_cmp_neq_f32_e32 vcc, s6, v17
	s_mov_b32 s6, 0x33800000
	v_cndmask_b32_e32 v14, v16, v14, vcc
	v_cmp_lt_f32_e64 vcc, |v17|, s6
	v_cndmask_b32_e32 v14, v14, v17, vcc
	v_add_f32_e32 v14, v13, v14
.LBB442_269:
	s_or_b64 exec, exec, s[4:5]
	v_bfe_u32 v13, v14, 16, 1
	s_movk_i32 s4, 0x7fff
	v_add3_u32 v13, v14, v13, s4
	v_cmp_o_f32_e32 vcc, v14, v14
	v_mov_b32_e32 v14, 0x7fc0
	v_cndmask_b32_sdwa v13, v14, v13, vcc dst_sel:DWORD dst_unused:UNUSED_PAD src0_sel:DWORD src1_sel:WORD_1
.LBB442_270:
	s_or_b64 exec, exec, s[2:3]
	v_mov_b32_e32 v15, 16
	v_lshlrev_b32_e32 v50, 16, v13
	v_lshlrev_b32_sdwa v9, v15, v9 dst_sel:DWORD dst_unused:UNUSED_PAD src0_sel:DWORD src1_sel:WORD_1
	v_max_f32_e32 v14, v9, v9
	v_max_f32_e32 v52, v50, v50
	v_min_f32_e32 v51, v52, v14
	v_cmp_u_f32_e64 s[50:51], v50, v50
	v_cndmask_b32_e64 v16, v51, v50, s[50:51]
	v_cmp_u_f32_e64 s[2:3], v9, v9
	v_max_f32_e32 v53, v52, v14
	v_cndmask_b32_e64 v17, v16, v9, s[2:3]
	v_cndmask_b32_e64 v16, v53, v50, s[50:51]
	;; [unrolled: 1-line block ×3, first 2 shown]
	s_movk_i32 s6, 0x1f8
	v_cmp_neq_f32_e32 vcc, v17, v16
	v_cmp_class_f32_e64 s[4:5], v17, s6
	s_or_b64 s[8:9], vcc, s[4:5]
	v_mov_b32_e32 v18, v50
	s_and_saveexec_b64 s[4:5], s[8:9]
	s_cbranch_execz .LBB442_272
; %bb.271:
	v_sub_f32_e32 v17, v17, v16
	s_mov_b32 s7, 0x3fb8aa3b
	v_mul_f32_e32 v18, 0x3fb8aa3b, v17
	v_fma_f32 v21, v17, s7, -v18
	v_rndne_f32_e32 v22, v18
	v_fmac_f32_e32 v21, 0x32a5705f, v17
	v_sub_f32_e32 v18, v18, v22
	v_add_f32_e32 v18, v18, v21
	v_exp_f32_e32 v18, v18
	v_cvt_i32_f32_e32 v21, v22
	s_mov_b32 s7, 0xc2ce8ed0
	v_cmp_ngt_f32_e32 vcc, s7, v17
	s_mov_b32 s7, 0x42b17218
	v_ldexp_f32 v18, v18, v21
	v_cndmask_b32_e32 v18, 0, v18, vcc
	v_mov_b32_e32 v21, 0x7f800000
	v_cmp_nlt_f32_e32 vcc, s7, v17
	v_cndmask_b32_e32 v22, v21, v18, vcc
	v_add_f32_e32 v23, 1.0, v22
	v_cvt_f64_f32_e32 v[17:18], v23
	v_add_f32_e32 v24, -1.0, v23
	v_sub_f32_e32 v25, v24, v23
	v_sub_f32_e32 v24, v22, v24
	v_frexp_exp_i32_f64_e32 v17, v[17:18]
	v_add_f32_e32 v18, 1.0, v25
	v_add_f32_e32 v18, v24, v18
	v_frexp_mant_f32_e32 v24, v23
	s_mov_b32 s8, 0x3f2aaaab
	v_cmp_gt_f32_e32 vcc, s8, v24
	s_mov_b32 s8, 0x3f317218
	s_mov_b32 s7, 0x7f800000
	v_subbrev_co_u32_e32 v17, vcc, 0, v17, vcc
	v_sub_u32_e32 v24, 0, v17
	v_ldexp_f32 v23, v23, v24
	v_ldexp_f32 v18, v18, v24
	v_add_f32_e32 v24, -1.0, v23
	v_add_f32_e32 v27, 1.0, v23
	v_add_f32_e32 v25, 1.0, v24
	v_add_f32_e32 v28, -1.0, v27
	v_sub_f32_e32 v25, v23, v25
	v_sub_f32_e32 v23, v23, v28
	v_add_f32_e32 v25, v18, v25
	v_add_f32_e32 v18, v18, v23
	;; [unrolled: 1-line block ×3, first 2 shown]
	v_rcp_f32_e32 v28, v23
	v_add_f32_e32 v26, v24, v25
	v_sub_f32_e32 v24, v24, v26
	v_add_f32_e32 v24, v25, v24
	v_sub_f32_e32 v25, v27, v23
	v_add_f32_e32 v18, v18, v25
	v_mul_f32_e32 v25, v26, v28
	v_mul_f32_e32 v27, v23, v25
	v_fma_f32 v29, v25, v23, -v27
	v_fmac_f32_e32 v29, v25, v18
	v_add_f32_e32 v30, v27, v29
	v_sub_f32_e32 v31, v26, v30
	v_sub_f32_e32 v26, v26, v31
	;; [unrolled: 1-line block ×4, first 2 shown]
	v_add_f32_e32 v24, v24, v26
	v_sub_f32_e32 v26, v27, v29
	v_add_f32_e32 v24, v26, v24
	v_add_f32_e32 v26, v31, v24
	v_mul_f32_e32 v27, v28, v26
	v_mul_f32_e32 v29, v23, v27
	v_fma_f32 v23, v27, v23, -v29
	v_fmac_f32_e32 v23, v27, v18
	v_sub_f32_e32 v18, v31, v26
	v_add_f32_e32 v18, v24, v18
	v_add_f32_e32 v24, v29, v23
	v_sub_f32_e32 v30, v26, v24
	v_sub_f32_e32 v26, v26, v30
	;; [unrolled: 1-line block ×4, first 2 shown]
	v_add_f32_e32 v18, v18, v24
	v_sub_f32_e32 v23, v29, v23
	v_add_f32_e32 v18, v23, v18
	v_add_f32_e32 v23, v25, v27
	v_add_f32_e32 v18, v30, v18
	v_sub_f32_e32 v24, v23, v25
	v_mul_f32_e32 v18, v28, v18
	v_sub_f32_e32 v24, v27, v24
	v_add_f32_e32 v18, v24, v18
	v_cvt_f32_i32_e32 v17, v17
	v_add_f32_e32 v24, v23, v18
	v_mul_f32_e32 v25, v24, v24
	v_mov_b32_e32 v26, 0x3ecc95a3
	v_fmac_f32_e32 v26, 0x3e9b6dac, v25
	v_mov_b32_e32 v27, 0x3f2aaada
	v_fmac_f32_e32 v27, v25, v26
	v_mul_f32_e32 v26, 0x3f317218, v17
	v_fma_f32 v28, v17, s8, -v26
	v_fmac_f32_e32 v28, 0xb102e308, v17
	v_sub_f32_e32 v17, v24, v23
	v_sub_f32_e32 v17, v18, v17
	v_add_f32_e32 v18, v26, v28
	v_sub_f32_e32 v23, v18, v26
	v_ldexp_f32 v26, v24, 1
	v_mul_f32_e32 v24, v24, v25
	v_mul_f32_e32 v24, v24, v27
	v_add_f32_e32 v25, v26, v24
	v_sub_f32_e32 v26, v25, v26
	v_ldexp_f32 v17, v17, 1
	v_sub_f32_e32 v24, v24, v26
	v_add_f32_e32 v17, v17, v24
	v_add_f32_e32 v24, v25, v17
	v_sub_f32_e32 v25, v24, v25
	v_sub_f32_e32 v17, v17, v25
	v_add_f32_e32 v25, v18, v24
	v_sub_f32_e32 v26, v25, v18
	v_sub_f32_e32 v27, v25, v26
	;; [unrolled: 1-line block ×5, first 2 shown]
	v_add_f32_e32 v18, v24, v18
	v_add_f32_e32 v24, v23, v17
	v_sub_f32_e32 v26, v24, v23
	v_sub_f32_e32 v27, v24, v26
	v_sub_f32_e32 v23, v23, v27
	v_sub_f32_e32 v17, v17, v26
	v_add_f32_e32 v18, v24, v18
	v_add_f32_e32 v17, v17, v23
	v_add_f32_e32 v23, v25, v18
	v_sub_f32_e32 v24, v23, v25
	v_sub_f32_e32 v18, v18, v24
	v_add_f32_e32 v17, v17, v18
	v_add_f32_e32 v17, v23, v17
	v_cmp_neq_f32_e32 vcc, s7, v22
	s_mov_b32 s7, 0x33800000
	v_cndmask_b32_e32 v17, v21, v17, vcc
	v_cmp_lt_f32_e64 vcc, |v22|, s7
	v_cndmask_b32_e32 v17, v17, v22, vcc
	v_add_f32_e32 v18, v16, v17
.LBB442_272:
	s_or_b64 exec, exec, s[4:5]
	v_bfe_u32 v16, v18, 16, 1
	s_movk_i32 s8, 0x7fff
	v_add3_u32 v16, v18, v16, s8
	v_and_b32_e32 v16, 0xffff0000, v16
	v_mov_b32_e32 v17, 0x7fc00000
	v_cmp_o_f32_e32 vcc, v18, v18
	v_cndmask_b32_e32 v21, v17, v16, vcc
	v_lshlrev_b32_sdwa v15, v15, v10 dst_sel:DWORD dst_unused:UNUSED_PAD src0_sel:DWORD src1_sel:WORD_0
	v_max_f32_e32 v18, v21, v21
	v_max_f32_e32 v16, v15, v15
	v_min_f32_e32 v22, v18, v16
	v_cmp_u_f32_e32 vcc, v21, v21
	v_max_f32_e32 v18, v18, v16
	v_cndmask_b32_e32 v22, v22, v21, vcc
	v_cmp_u_f32_e64 s[4:5], v15, v15
	v_cndmask_b32_e32 v18, v18, v21, vcc
	v_cndmask_b32_e64 v22, v22, v15, s[4:5]
	v_cndmask_b32_e64 v18, v18, v15, s[4:5]
	v_cmp_neq_f32_e32 vcc, v22, v18
	v_cmp_class_f32_e64 s[6:7], v22, s6
	s_or_b64 s[10:11], vcc, s[6:7]
	s_and_saveexec_b64 s[6:7], s[10:11]
	s_cbranch_execz .LBB442_274
; %bb.273:
	v_sub_f32_e32 v21, v22, v18
	s_mov_b32 s9, 0x3fb8aa3b
	v_mul_f32_e32 v22, 0x3fb8aa3b, v21
	v_fma_f32 v23, v21, s9, -v22
	v_rndne_f32_e32 v24, v22
	v_fmac_f32_e32 v23, 0x32a5705f, v21
	v_sub_f32_e32 v22, v22, v24
	v_add_f32_e32 v22, v22, v23
	v_exp_f32_e32 v22, v22
	v_cvt_i32_f32_e32 v23, v24
	s_mov_b32 s9, 0xc2ce8ed0
	v_cmp_ngt_f32_e32 vcc, s9, v21
	s_mov_b32 s9, 0x42b17218
	v_ldexp_f32 v22, v22, v23
	v_cndmask_b32_e32 v22, 0, v22, vcc
	v_mov_b32_e32 v23, 0x7f800000
	v_cmp_nlt_f32_e32 vcc, s9, v21
	v_cndmask_b32_e32 v24, v23, v22, vcc
	v_add_f32_e32 v25, 1.0, v24
	v_cvt_f64_f32_e32 v[21:22], v25
	v_add_f32_e32 v26, -1.0, v25
	v_sub_f32_e32 v27, v26, v25
	v_sub_f32_e32 v26, v24, v26
	v_frexp_exp_i32_f64_e32 v21, v[21:22]
	v_add_f32_e32 v22, 1.0, v27
	v_add_f32_e32 v22, v26, v22
	v_frexp_mant_f32_e32 v26, v25
	s_mov_b32 s10, 0x3f2aaaab
	v_cmp_gt_f32_e32 vcc, s10, v26
	s_mov_b32 s10, 0x3f317218
	s_mov_b32 s9, 0x7f800000
	v_subbrev_co_u32_e32 v21, vcc, 0, v21, vcc
	v_sub_u32_e32 v26, 0, v21
	v_ldexp_f32 v25, v25, v26
	v_ldexp_f32 v22, v22, v26
	v_add_f32_e32 v26, -1.0, v25
	v_add_f32_e32 v29, 1.0, v25
	v_add_f32_e32 v27, 1.0, v26
	v_add_f32_e32 v30, -1.0, v29
	v_sub_f32_e32 v27, v25, v27
	v_sub_f32_e32 v25, v25, v30
	v_add_f32_e32 v27, v22, v27
	v_add_f32_e32 v22, v22, v25
	;; [unrolled: 1-line block ×3, first 2 shown]
	v_rcp_f32_e32 v30, v25
	v_add_f32_e32 v28, v26, v27
	v_sub_f32_e32 v26, v26, v28
	v_add_f32_e32 v26, v27, v26
	v_sub_f32_e32 v27, v29, v25
	v_add_f32_e32 v22, v22, v27
	v_mul_f32_e32 v27, v28, v30
	v_mul_f32_e32 v29, v25, v27
	v_fma_f32 v31, v27, v25, -v29
	v_fmac_f32_e32 v31, v27, v22
	v_add_f32_e32 v32, v29, v31
	v_sub_f32_e32 v33, v28, v32
	v_sub_f32_e32 v28, v28, v33
	;; [unrolled: 1-line block ×4, first 2 shown]
	v_add_f32_e32 v26, v26, v28
	v_sub_f32_e32 v28, v29, v31
	v_add_f32_e32 v26, v28, v26
	v_add_f32_e32 v28, v33, v26
	v_mul_f32_e32 v29, v30, v28
	v_mul_f32_e32 v31, v25, v29
	v_fma_f32 v25, v29, v25, -v31
	v_fmac_f32_e32 v25, v29, v22
	v_sub_f32_e32 v22, v33, v28
	v_add_f32_e32 v22, v26, v22
	v_add_f32_e32 v26, v31, v25
	v_sub_f32_e32 v32, v28, v26
	v_sub_f32_e32 v28, v28, v32
	;; [unrolled: 1-line block ×4, first 2 shown]
	v_add_f32_e32 v22, v22, v26
	v_sub_f32_e32 v25, v31, v25
	v_add_f32_e32 v22, v25, v22
	v_add_f32_e32 v25, v27, v29
	;; [unrolled: 1-line block ×3, first 2 shown]
	v_sub_f32_e32 v26, v25, v27
	v_mul_f32_e32 v22, v30, v22
	v_sub_f32_e32 v26, v29, v26
	v_add_f32_e32 v22, v26, v22
	v_cvt_f32_i32_e32 v21, v21
	v_add_f32_e32 v26, v25, v22
	v_mul_f32_e32 v27, v26, v26
	v_mov_b32_e32 v28, 0x3ecc95a3
	v_fmac_f32_e32 v28, 0x3e9b6dac, v27
	v_mov_b32_e32 v29, 0x3f2aaada
	v_fmac_f32_e32 v29, v27, v28
	v_mul_f32_e32 v28, 0x3f317218, v21
	v_fma_f32 v30, v21, s10, -v28
	v_fmac_f32_e32 v30, 0xb102e308, v21
	v_sub_f32_e32 v21, v26, v25
	v_sub_f32_e32 v21, v22, v21
	v_add_f32_e32 v22, v28, v30
	v_sub_f32_e32 v25, v22, v28
	v_ldexp_f32 v28, v26, 1
	v_mul_f32_e32 v26, v26, v27
	v_mul_f32_e32 v26, v26, v29
	v_add_f32_e32 v27, v28, v26
	v_sub_f32_e32 v28, v27, v28
	v_ldexp_f32 v21, v21, 1
	v_sub_f32_e32 v26, v26, v28
	v_add_f32_e32 v21, v21, v26
	v_add_f32_e32 v26, v27, v21
	v_sub_f32_e32 v27, v26, v27
	v_sub_f32_e32 v21, v21, v27
	v_add_f32_e32 v27, v22, v26
	v_sub_f32_e32 v28, v27, v22
	v_sub_f32_e32 v29, v27, v28
	v_sub_f32_e32 v25, v30, v25
	v_sub_f32_e32 v22, v22, v29
	v_sub_f32_e32 v26, v26, v28
	v_add_f32_e32 v22, v26, v22
	v_add_f32_e32 v26, v25, v21
	v_sub_f32_e32 v28, v26, v25
	v_sub_f32_e32 v29, v26, v28
	;; [unrolled: 1-line block ×4, first 2 shown]
	v_add_f32_e32 v22, v26, v22
	v_add_f32_e32 v21, v21, v25
	;; [unrolled: 1-line block ×3, first 2 shown]
	v_sub_f32_e32 v26, v25, v27
	v_sub_f32_e32 v22, v22, v26
	v_add_f32_e32 v21, v21, v22
	v_add_f32_e32 v21, v25, v21
	v_cmp_neq_f32_e32 vcc, s9, v24
	s_mov_b32 s9, 0x33800000
	v_cndmask_b32_e32 v21, v23, v21, vcc
	v_cmp_lt_f32_e64 vcc, |v24|, s9
	v_cndmask_b32_e32 v21, v21, v24, vcc
	v_add_f32_e32 v21, v18, v21
.LBB442_274:
	s_or_b64 exec, exec, s[6:7]
	v_bfe_u32 v18, v21, 16, 1
	v_add3_u32 v18, v21, v18, s8
	v_and_b32_e32 v18, 0xffff0000, v18
	v_cmp_o_f32_e32 vcc, v21, v21
	v_cndmask_b32_e32 v23, v17, v18, vcc
	v_mov_b32_e32 v17, 16
	v_lshlrev_b32_sdwa v10, v17, v10 dst_sel:DWORD dst_unused:UNUSED_PAD src0_sel:DWORD src1_sel:WORD_1
	v_max_f32_e32 v21, v23, v23
	v_max_f32_e32 v18, v10, v10
	v_min_f32_e32 v22, v21, v18
	v_cmp_u_f32_e32 vcc, v23, v23
	v_max_f32_e32 v21, v21, v18
	v_cndmask_b32_e32 v22, v22, v23, vcc
	v_cmp_u_f32_e64 s[6:7], v10, v10
	v_cndmask_b32_e32 v21, v21, v23, vcc
	v_cndmask_b32_e64 v22, v22, v10, s[6:7]
	v_cndmask_b32_e64 v21, v21, v10, s[6:7]
	s_movk_i32 s10, 0x1f8
	v_cmp_neq_f32_e32 vcc, v22, v21
	v_cmp_class_f32_e64 s[8:9], v22, s10
	s_or_b64 s[12:13], vcc, s[8:9]
	s_and_saveexec_b64 s[8:9], s[12:13]
	s_cbranch_execz .LBB442_276
; %bb.275:
	v_sub_f32_e32 v22, v22, v21
	s_mov_b32 s11, 0x3fb8aa3b
	v_mul_f32_e32 v23, 0x3fb8aa3b, v22
	v_fma_f32 v24, v22, s11, -v23
	v_rndne_f32_e32 v25, v23
	v_fmac_f32_e32 v24, 0x32a5705f, v22
	v_sub_f32_e32 v23, v23, v25
	v_add_f32_e32 v23, v23, v24
	v_exp_f32_e32 v23, v23
	v_cvt_i32_f32_e32 v24, v25
	s_mov_b32 s11, 0xc2ce8ed0
	v_cmp_ngt_f32_e32 vcc, s11, v22
	s_mov_b32 s11, 0x42b17218
	v_ldexp_f32 v23, v23, v24
	v_cndmask_b32_e32 v23, 0, v23, vcc
	v_mov_b32_e32 v24, 0x7f800000
	v_cmp_nlt_f32_e32 vcc, s11, v22
	v_cndmask_b32_e32 v25, v24, v23, vcc
	v_add_f32_e32 v26, 1.0, v25
	v_cvt_f64_f32_e32 v[22:23], v26
	v_add_f32_e32 v27, -1.0, v26
	v_sub_f32_e32 v28, v27, v26
	v_sub_f32_e32 v27, v25, v27
	v_frexp_exp_i32_f64_e32 v22, v[22:23]
	v_add_f32_e32 v23, 1.0, v28
	v_add_f32_e32 v23, v27, v23
	v_frexp_mant_f32_e32 v27, v26
	s_mov_b32 s12, 0x3f2aaaab
	v_cmp_gt_f32_e32 vcc, s12, v27
	s_mov_b32 s12, 0x3f317218
	s_mov_b32 s11, 0x7f800000
	v_subbrev_co_u32_e32 v22, vcc, 0, v22, vcc
	v_sub_u32_e32 v27, 0, v22
	v_ldexp_f32 v26, v26, v27
	v_ldexp_f32 v23, v23, v27
	v_add_f32_e32 v27, -1.0, v26
	v_add_f32_e32 v30, 1.0, v26
	v_add_f32_e32 v28, 1.0, v27
	v_add_f32_e32 v31, -1.0, v30
	v_sub_f32_e32 v28, v26, v28
	v_sub_f32_e32 v26, v26, v31
	v_add_f32_e32 v28, v23, v28
	v_add_f32_e32 v23, v23, v26
	v_add_f32_e32 v26, v30, v23
	v_rcp_f32_e32 v31, v26
	v_add_f32_e32 v29, v27, v28
	v_sub_f32_e32 v27, v27, v29
	v_add_f32_e32 v27, v28, v27
	v_sub_f32_e32 v28, v30, v26
	v_add_f32_e32 v23, v23, v28
	v_mul_f32_e32 v28, v29, v31
	v_mul_f32_e32 v30, v26, v28
	v_fma_f32 v32, v28, v26, -v30
	v_fmac_f32_e32 v32, v28, v23
	v_add_f32_e32 v33, v30, v32
	v_sub_f32_e32 v34, v29, v33
	v_sub_f32_e32 v29, v29, v34
	;; [unrolled: 1-line block ×4, first 2 shown]
	v_add_f32_e32 v27, v27, v29
	v_sub_f32_e32 v29, v30, v32
	v_add_f32_e32 v27, v29, v27
	v_add_f32_e32 v29, v34, v27
	v_mul_f32_e32 v30, v31, v29
	v_mul_f32_e32 v32, v26, v30
	v_fma_f32 v26, v30, v26, -v32
	v_fmac_f32_e32 v26, v30, v23
	v_sub_f32_e32 v23, v34, v29
	v_add_f32_e32 v23, v27, v23
	v_add_f32_e32 v27, v32, v26
	v_sub_f32_e32 v33, v29, v27
	v_sub_f32_e32 v29, v29, v33
	;; [unrolled: 1-line block ×4, first 2 shown]
	v_add_f32_e32 v23, v23, v27
	v_sub_f32_e32 v26, v32, v26
	v_add_f32_e32 v23, v26, v23
	v_add_f32_e32 v26, v28, v30
	;; [unrolled: 1-line block ×3, first 2 shown]
	v_sub_f32_e32 v27, v26, v28
	v_mul_f32_e32 v23, v31, v23
	v_sub_f32_e32 v27, v30, v27
	v_add_f32_e32 v23, v27, v23
	v_cvt_f32_i32_e32 v22, v22
	v_add_f32_e32 v27, v26, v23
	v_mul_f32_e32 v28, v27, v27
	v_mov_b32_e32 v29, 0x3ecc95a3
	v_fmac_f32_e32 v29, 0x3e9b6dac, v28
	v_mov_b32_e32 v30, 0x3f2aaada
	v_fmac_f32_e32 v30, v28, v29
	v_mul_f32_e32 v29, 0x3f317218, v22
	v_fma_f32 v31, v22, s12, -v29
	v_fmac_f32_e32 v31, 0xb102e308, v22
	v_sub_f32_e32 v22, v27, v26
	v_sub_f32_e32 v22, v23, v22
	v_add_f32_e32 v23, v29, v31
	v_sub_f32_e32 v26, v23, v29
	v_ldexp_f32 v29, v27, 1
	v_mul_f32_e32 v27, v27, v28
	v_mul_f32_e32 v27, v27, v30
	v_add_f32_e32 v28, v29, v27
	v_sub_f32_e32 v29, v28, v29
	v_ldexp_f32 v22, v22, 1
	v_sub_f32_e32 v27, v27, v29
	v_add_f32_e32 v22, v22, v27
	v_add_f32_e32 v27, v28, v22
	v_sub_f32_e32 v28, v27, v28
	v_sub_f32_e32 v22, v22, v28
	v_add_f32_e32 v28, v23, v27
	v_sub_f32_e32 v29, v28, v23
	v_sub_f32_e32 v30, v28, v29
	;; [unrolled: 1-line block ×5, first 2 shown]
	v_add_f32_e32 v23, v27, v23
	v_add_f32_e32 v27, v26, v22
	v_sub_f32_e32 v29, v27, v26
	v_sub_f32_e32 v30, v27, v29
	;; [unrolled: 1-line block ×4, first 2 shown]
	v_add_f32_e32 v23, v27, v23
	v_add_f32_e32 v22, v22, v26
	;; [unrolled: 1-line block ×3, first 2 shown]
	v_sub_f32_e32 v27, v26, v28
	v_sub_f32_e32 v23, v23, v27
	v_add_f32_e32 v22, v22, v23
	v_add_f32_e32 v22, v26, v22
	v_cmp_neq_f32_e32 vcc, s11, v25
	s_mov_b32 s11, 0x33800000
	v_cndmask_b32_e32 v22, v24, v22, vcc
	v_cmp_lt_f32_e64 vcc, |v25|, s11
	v_cndmask_b32_e32 v22, v22, v25, vcc
	v_add_f32_e32 v23, v21, v22
.LBB442_276:
	s_or_b64 exec, exec, s[8:9]
	v_bfe_u32 v21, v23, 16, 1
	s_movk_i32 s12, 0x7fff
	v_add3_u32 v21, v23, v21, s12
	v_and_b32_e32 v21, 0xffff0000, v21
	v_mov_b32_e32 v22, 0x7fc00000
	v_cmp_o_f32_e32 vcc, v23, v23
	v_cndmask_b32_e32 v24, v22, v21, vcc
	v_lshlrev_b32_sdwa v17, v17, v11 dst_sel:DWORD dst_unused:UNUSED_PAD src0_sel:DWORD src1_sel:WORD_0
	v_max_f32_e32 v23, v24, v24
	v_max_f32_e32 v21, v17, v17
	v_min_f32_e32 v25, v23, v21
	v_cmp_u_f32_e32 vcc, v24, v24
	v_max_f32_e32 v23, v23, v21
	v_cndmask_b32_e32 v25, v25, v24, vcc
	v_cmp_u_f32_e64 s[8:9], v17, v17
	v_cndmask_b32_e32 v23, v23, v24, vcc
	v_cndmask_b32_e64 v25, v25, v17, s[8:9]
	v_cndmask_b32_e64 v23, v23, v17, s[8:9]
	v_cmp_neq_f32_e32 vcc, v25, v23
	v_cmp_class_f32_e64 s[10:11], v25, s10
	s_or_b64 s[14:15], vcc, s[10:11]
	s_and_saveexec_b64 s[10:11], s[14:15]
	s_cbranch_execz .LBB442_278
; %bb.277:
	v_sub_f32_e32 v24, v25, v23
	s_mov_b32 s13, 0x3fb8aa3b
	v_mul_f32_e32 v25, 0x3fb8aa3b, v24
	v_fma_f32 v26, v24, s13, -v25
	v_rndne_f32_e32 v27, v25
	v_fmac_f32_e32 v26, 0x32a5705f, v24
	v_sub_f32_e32 v25, v25, v27
	v_add_f32_e32 v25, v25, v26
	v_exp_f32_e32 v25, v25
	v_cvt_i32_f32_e32 v26, v27
	s_mov_b32 s13, 0xc2ce8ed0
	v_cmp_ngt_f32_e32 vcc, s13, v24
	s_mov_b32 s13, 0x42b17218
	v_ldexp_f32 v25, v25, v26
	v_cndmask_b32_e32 v25, 0, v25, vcc
	v_mov_b32_e32 v26, 0x7f800000
	v_cmp_nlt_f32_e32 vcc, s13, v24
	v_cndmask_b32_e32 v27, v26, v25, vcc
	v_add_f32_e32 v28, 1.0, v27
	v_cvt_f64_f32_e32 v[24:25], v28
	v_add_f32_e32 v29, -1.0, v28
	v_sub_f32_e32 v30, v29, v28
	v_sub_f32_e32 v29, v27, v29
	v_frexp_exp_i32_f64_e32 v24, v[24:25]
	v_add_f32_e32 v25, 1.0, v30
	v_add_f32_e32 v25, v29, v25
	v_frexp_mant_f32_e32 v29, v28
	s_mov_b32 s14, 0x3f2aaaab
	v_cmp_gt_f32_e32 vcc, s14, v29
	s_mov_b32 s14, 0x3f317218
	s_mov_b32 s13, 0x7f800000
	v_subbrev_co_u32_e32 v24, vcc, 0, v24, vcc
	v_sub_u32_e32 v29, 0, v24
	v_ldexp_f32 v28, v28, v29
	v_ldexp_f32 v25, v25, v29
	v_add_f32_e32 v29, -1.0, v28
	v_add_f32_e32 v32, 1.0, v28
	v_add_f32_e32 v30, 1.0, v29
	v_add_f32_e32 v33, -1.0, v32
	v_sub_f32_e32 v30, v28, v30
	v_sub_f32_e32 v28, v28, v33
	v_add_f32_e32 v30, v25, v30
	v_add_f32_e32 v25, v25, v28
	;; [unrolled: 1-line block ×3, first 2 shown]
	v_rcp_f32_e32 v33, v28
	v_add_f32_e32 v31, v29, v30
	v_sub_f32_e32 v29, v29, v31
	v_add_f32_e32 v29, v30, v29
	v_sub_f32_e32 v30, v32, v28
	v_add_f32_e32 v25, v25, v30
	v_mul_f32_e32 v30, v31, v33
	v_mul_f32_e32 v32, v28, v30
	v_fma_f32 v34, v30, v28, -v32
	v_fmac_f32_e32 v34, v30, v25
	v_add_f32_e32 v35, v32, v34
	v_sub_f32_e32 v36, v31, v35
	v_sub_f32_e32 v31, v31, v36
	v_sub_f32_e32 v32, v35, v32
	v_sub_f32_e32 v31, v31, v35
	v_add_f32_e32 v29, v29, v31
	v_sub_f32_e32 v31, v32, v34
	v_add_f32_e32 v29, v31, v29
	v_add_f32_e32 v31, v36, v29
	v_mul_f32_e32 v32, v33, v31
	v_mul_f32_e32 v34, v28, v32
	v_fma_f32 v28, v32, v28, -v34
	v_fmac_f32_e32 v28, v32, v25
	v_sub_f32_e32 v25, v36, v31
	v_add_f32_e32 v25, v29, v25
	v_add_f32_e32 v29, v34, v28
	v_sub_f32_e32 v35, v31, v29
	v_sub_f32_e32 v31, v31, v35
	;; [unrolled: 1-line block ×4, first 2 shown]
	v_add_f32_e32 v25, v25, v29
	v_sub_f32_e32 v28, v34, v28
	v_add_f32_e32 v25, v28, v25
	v_add_f32_e32 v28, v30, v32
	v_add_f32_e32 v25, v35, v25
	v_sub_f32_e32 v29, v28, v30
	v_mul_f32_e32 v25, v33, v25
	v_sub_f32_e32 v29, v32, v29
	v_add_f32_e32 v25, v29, v25
	v_cvt_f32_i32_e32 v24, v24
	v_add_f32_e32 v29, v28, v25
	v_mul_f32_e32 v30, v29, v29
	v_mov_b32_e32 v31, 0x3ecc95a3
	v_fmac_f32_e32 v31, 0x3e9b6dac, v30
	v_mov_b32_e32 v32, 0x3f2aaada
	v_fmac_f32_e32 v32, v30, v31
	v_mul_f32_e32 v31, 0x3f317218, v24
	v_fma_f32 v33, v24, s14, -v31
	v_fmac_f32_e32 v33, 0xb102e308, v24
	v_sub_f32_e32 v24, v29, v28
	v_sub_f32_e32 v24, v25, v24
	v_add_f32_e32 v25, v31, v33
	v_sub_f32_e32 v28, v25, v31
	v_ldexp_f32 v31, v29, 1
	v_mul_f32_e32 v29, v29, v30
	v_mul_f32_e32 v29, v29, v32
	v_add_f32_e32 v30, v31, v29
	v_sub_f32_e32 v31, v30, v31
	v_ldexp_f32 v24, v24, 1
	v_sub_f32_e32 v29, v29, v31
	v_add_f32_e32 v24, v24, v29
	v_add_f32_e32 v29, v30, v24
	v_sub_f32_e32 v30, v29, v30
	v_sub_f32_e32 v24, v24, v30
	v_add_f32_e32 v30, v25, v29
	v_sub_f32_e32 v31, v30, v25
	v_sub_f32_e32 v32, v30, v31
	;; [unrolled: 1-line block ×5, first 2 shown]
	v_add_f32_e32 v25, v29, v25
	v_add_f32_e32 v29, v28, v24
	v_sub_f32_e32 v31, v29, v28
	v_sub_f32_e32 v32, v29, v31
	;; [unrolled: 1-line block ×4, first 2 shown]
	v_add_f32_e32 v25, v29, v25
	v_add_f32_e32 v24, v24, v28
	;; [unrolled: 1-line block ×3, first 2 shown]
	v_sub_f32_e32 v29, v28, v30
	v_sub_f32_e32 v25, v25, v29
	v_add_f32_e32 v24, v24, v25
	v_add_f32_e32 v24, v28, v24
	v_cmp_neq_f32_e32 vcc, s13, v27
	s_mov_b32 s13, 0x33800000
	v_cndmask_b32_e32 v24, v26, v24, vcc
	v_cmp_lt_f32_e64 vcc, |v27|, s13
	v_cndmask_b32_e32 v24, v24, v27, vcc
	v_add_f32_e32 v24, v23, v24
.LBB442_278:
	s_or_b64 exec, exec, s[10:11]
	v_bfe_u32 v23, v24, 16, 1
	v_add3_u32 v23, v24, v23, s12
	v_and_b32_e32 v23, 0xffff0000, v23
	v_cmp_o_f32_e32 vcc, v24, v24
	v_cndmask_b32_e32 v26, v22, v23, vcc
	v_mov_b32_e32 v22, 16
	v_lshlrev_b32_sdwa v11, v22, v11 dst_sel:DWORD dst_unused:UNUSED_PAD src0_sel:DWORD src1_sel:WORD_1
	v_max_f32_e32 v24, v26, v26
	v_max_f32_e32 v23, v11, v11
	v_min_f32_e32 v25, v24, v23
	v_cmp_u_f32_e32 vcc, v26, v26
	v_max_f32_e32 v24, v24, v23
	v_cndmask_b32_e32 v25, v25, v26, vcc
	v_cmp_u_f32_e64 s[10:11], v11, v11
	v_cndmask_b32_e32 v24, v24, v26, vcc
	v_cndmask_b32_e64 v25, v25, v11, s[10:11]
	v_cndmask_b32_e64 v24, v24, v11, s[10:11]
	s_movk_i32 s14, 0x1f8
	v_cmp_neq_f32_e32 vcc, v25, v24
	v_cmp_class_f32_e64 s[12:13], v25, s14
	s_or_b64 s[16:17], vcc, s[12:13]
	s_and_saveexec_b64 s[12:13], s[16:17]
	s_cbranch_execz .LBB442_280
; %bb.279:
	v_sub_f32_e32 v25, v25, v24
	s_mov_b32 s15, 0x3fb8aa3b
	v_mul_f32_e32 v26, 0x3fb8aa3b, v25
	v_fma_f32 v27, v25, s15, -v26
	v_rndne_f32_e32 v28, v26
	v_fmac_f32_e32 v27, 0x32a5705f, v25
	v_sub_f32_e32 v26, v26, v28
	v_add_f32_e32 v26, v26, v27
	v_exp_f32_e32 v26, v26
	v_cvt_i32_f32_e32 v27, v28
	s_mov_b32 s15, 0xc2ce8ed0
	v_cmp_ngt_f32_e32 vcc, s15, v25
	s_mov_b32 s15, 0x42b17218
	v_ldexp_f32 v26, v26, v27
	v_cndmask_b32_e32 v26, 0, v26, vcc
	v_mov_b32_e32 v27, 0x7f800000
	v_cmp_nlt_f32_e32 vcc, s15, v25
	v_cndmask_b32_e32 v28, v27, v26, vcc
	v_add_f32_e32 v29, 1.0, v28
	v_cvt_f64_f32_e32 v[25:26], v29
	v_add_f32_e32 v30, -1.0, v29
	v_sub_f32_e32 v31, v30, v29
	v_sub_f32_e32 v30, v28, v30
	v_frexp_exp_i32_f64_e32 v25, v[25:26]
	v_add_f32_e32 v26, 1.0, v31
	v_add_f32_e32 v26, v30, v26
	v_frexp_mant_f32_e32 v30, v29
	s_mov_b32 s16, 0x3f2aaaab
	v_cmp_gt_f32_e32 vcc, s16, v30
	s_mov_b32 s16, 0x3f317218
	s_mov_b32 s15, 0x7f800000
	v_subbrev_co_u32_e32 v25, vcc, 0, v25, vcc
	v_sub_u32_e32 v30, 0, v25
	v_ldexp_f32 v29, v29, v30
	v_ldexp_f32 v26, v26, v30
	v_add_f32_e32 v30, -1.0, v29
	v_add_f32_e32 v33, 1.0, v29
	v_add_f32_e32 v31, 1.0, v30
	v_add_f32_e32 v34, -1.0, v33
	v_sub_f32_e32 v31, v29, v31
	v_sub_f32_e32 v29, v29, v34
	v_add_f32_e32 v31, v26, v31
	v_add_f32_e32 v26, v26, v29
	;; [unrolled: 1-line block ×3, first 2 shown]
	v_rcp_f32_e32 v34, v29
	v_add_f32_e32 v32, v30, v31
	v_sub_f32_e32 v30, v30, v32
	v_add_f32_e32 v30, v31, v30
	v_sub_f32_e32 v31, v33, v29
	v_add_f32_e32 v26, v26, v31
	v_mul_f32_e32 v31, v32, v34
	v_mul_f32_e32 v33, v29, v31
	v_fma_f32 v35, v31, v29, -v33
	v_fmac_f32_e32 v35, v31, v26
	v_add_f32_e32 v36, v33, v35
	v_sub_f32_e32 v37, v32, v36
	v_sub_f32_e32 v32, v32, v37
	;; [unrolled: 1-line block ×4, first 2 shown]
	v_add_f32_e32 v30, v30, v32
	v_sub_f32_e32 v32, v33, v35
	v_add_f32_e32 v30, v32, v30
	v_add_f32_e32 v32, v37, v30
	v_mul_f32_e32 v33, v34, v32
	v_mul_f32_e32 v35, v29, v33
	v_fma_f32 v29, v33, v29, -v35
	v_fmac_f32_e32 v29, v33, v26
	v_sub_f32_e32 v26, v37, v32
	v_add_f32_e32 v26, v30, v26
	v_add_f32_e32 v30, v35, v29
	v_sub_f32_e32 v36, v32, v30
	v_sub_f32_e32 v32, v32, v36
	;; [unrolled: 1-line block ×4, first 2 shown]
	v_add_f32_e32 v26, v26, v30
	v_sub_f32_e32 v29, v35, v29
	v_add_f32_e32 v26, v29, v26
	v_add_f32_e32 v29, v31, v33
	v_add_f32_e32 v26, v36, v26
	v_sub_f32_e32 v30, v29, v31
	v_mul_f32_e32 v26, v34, v26
	v_sub_f32_e32 v30, v33, v30
	v_add_f32_e32 v26, v30, v26
	v_cvt_f32_i32_e32 v25, v25
	v_add_f32_e32 v30, v29, v26
	v_mul_f32_e32 v31, v30, v30
	v_mov_b32_e32 v32, 0x3ecc95a3
	v_fmac_f32_e32 v32, 0x3e9b6dac, v31
	v_mov_b32_e32 v33, 0x3f2aaada
	v_fmac_f32_e32 v33, v31, v32
	v_mul_f32_e32 v32, 0x3f317218, v25
	v_fma_f32 v34, v25, s16, -v32
	v_fmac_f32_e32 v34, 0xb102e308, v25
	v_sub_f32_e32 v25, v30, v29
	v_sub_f32_e32 v25, v26, v25
	v_add_f32_e32 v26, v32, v34
	v_sub_f32_e32 v29, v26, v32
	v_ldexp_f32 v32, v30, 1
	v_mul_f32_e32 v30, v30, v31
	v_mul_f32_e32 v30, v30, v33
	v_add_f32_e32 v31, v32, v30
	v_sub_f32_e32 v32, v31, v32
	v_ldexp_f32 v25, v25, 1
	v_sub_f32_e32 v30, v30, v32
	v_add_f32_e32 v25, v25, v30
	v_add_f32_e32 v30, v31, v25
	v_sub_f32_e32 v31, v30, v31
	v_sub_f32_e32 v25, v25, v31
	v_add_f32_e32 v31, v26, v30
	v_sub_f32_e32 v32, v31, v26
	v_sub_f32_e32 v33, v31, v32
	;; [unrolled: 1-line block ×5, first 2 shown]
	v_add_f32_e32 v26, v30, v26
	v_add_f32_e32 v30, v29, v25
	v_sub_f32_e32 v32, v30, v29
	v_sub_f32_e32 v33, v30, v32
	;; [unrolled: 1-line block ×4, first 2 shown]
	v_add_f32_e32 v26, v30, v26
	v_add_f32_e32 v25, v25, v29
	;; [unrolled: 1-line block ×3, first 2 shown]
	v_sub_f32_e32 v30, v29, v31
	v_sub_f32_e32 v26, v26, v30
	v_add_f32_e32 v25, v25, v26
	v_add_f32_e32 v25, v29, v25
	v_cmp_neq_f32_e32 vcc, s15, v28
	s_mov_b32 s15, 0x33800000
	v_cndmask_b32_e32 v25, v27, v25, vcc
	v_cmp_lt_f32_e64 vcc, |v28|, s15
	v_cndmask_b32_e32 v25, v25, v28, vcc
	v_add_f32_e32 v26, v24, v25
.LBB442_280:
	s_or_b64 exec, exec, s[12:13]
	v_bfe_u32 v24, v26, 16, 1
	s_movk_i32 s16, 0x7fff
	v_add3_u32 v24, v26, v24, s16
	v_and_b32_e32 v24, 0xffff0000, v24
	v_mov_b32_e32 v25, 0x7fc00000
	v_cmp_o_f32_e32 vcc, v26, v26
	v_cndmask_b32_e32 v27, v25, v24, vcc
	v_lshlrev_b32_sdwa v22, v22, v12 dst_sel:DWORD dst_unused:UNUSED_PAD src0_sel:DWORD src1_sel:WORD_0
	v_max_f32_e32 v26, v27, v27
	v_max_f32_e32 v24, v22, v22
	v_min_f32_e32 v28, v26, v24
	v_cmp_u_f32_e32 vcc, v27, v27
	v_max_f32_e32 v26, v26, v24
	v_cndmask_b32_e32 v28, v28, v27, vcc
	v_cmp_u_f32_e64 s[12:13], v22, v22
	v_cndmask_b32_e32 v26, v26, v27, vcc
	v_cndmask_b32_e64 v28, v28, v22, s[12:13]
	v_cndmask_b32_e64 v26, v26, v22, s[12:13]
	v_cmp_neq_f32_e32 vcc, v28, v26
	v_cmp_class_f32_e64 s[14:15], v28, s14
	s_or_b64 s[18:19], vcc, s[14:15]
	s_and_saveexec_b64 s[14:15], s[18:19]
	s_cbranch_execz .LBB442_282
; %bb.281:
	v_sub_f32_e32 v27, v28, v26
	s_mov_b32 s17, 0x3fb8aa3b
	v_mul_f32_e32 v28, 0x3fb8aa3b, v27
	v_fma_f32 v29, v27, s17, -v28
	v_rndne_f32_e32 v30, v28
	v_fmac_f32_e32 v29, 0x32a5705f, v27
	v_sub_f32_e32 v28, v28, v30
	v_add_f32_e32 v28, v28, v29
	v_exp_f32_e32 v28, v28
	v_cvt_i32_f32_e32 v29, v30
	s_mov_b32 s17, 0xc2ce8ed0
	v_cmp_ngt_f32_e32 vcc, s17, v27
	s_mov_b32 s17, 0x42b17218
	v_ldexp_f32 v28, v28, v29
	v_cndmask_b32_e32 v28, 0, v28, vcc
	v_mov_b32_e32 v29, 0x7f800000
	v_cmp_nlt_f32_e32 vcc, s17, v27
	v_cndmask_b32_e32 v30, v29, v28, vcc
	v_add_f32_e32 v31, 1.0, v30
	v_cvt_f64_f32_e32 v[27:28], v31
	v_add_f32_e32 v32, -1.0, v31
	v_sub_f32_e32 v33, v32, v31
	v_sub_f32_e32 v32, v30, v32
	v_frexp_exp_i32_f64_e32 v27, v[27:28]
	v_add_f32_e32 v28, 1.0, v33
	v_add_f32_e32 v28, v32, v28
	v_frexp_mant_f32_e32 v32, v31
	s_mov_b32 s18, 0x3f2aaaab
	v_cmp_gt_f32_e32 vcc, s18, v32
	s_mov_b32 s18, 0x3f317218
	s_mov_b32 s17, 0x7f800000
	v_subbrev_co_u32_e32 v27, vcc, 0, v27, vcc
	v_sub_u32_e32 v32, 0, v27
	v_ldexp_f32 v31, v31, v32
	v_ldexp_f32 v28, v28, v32
	v_add_f32_e32 v32, -1.0, v31
	v_add_f32_e32 v35, 1.0, v31
	v_add_f32_e32 v33, 1.0, v32
	v_add_f32_e32 v36, -1.0, v35
	v_sub_f32_e32 v33, v31, v33
	v_sub_f32_e32 v31, v31, v36
	v_add_f32_e32 v33, v28, v33
	v_add_f32_e32 v28, v28, v31
	;; [unrolled: 1-line block ×3, first 2 shown]
	v_rcp_f32_e32 v36, v31
	v_add_f32_e32 v34, v32, v33
	v_sub_f32_e32 v32, v32, v34
	v_add_f32_e32 v32, v33, v32
	v_sub_f32_e32 v33, v35, v31
	v_add_f32_e32 v28, v28, v33
	v_mul_f32_e32 v33, v34, v36
	v_mul_f32_e32 v35, v31, v33
	v_fma_f32 v37, v33, v31, -v35
	v_fmac_f32_e32 v37, v33, v28
	v_add_f32_e32 v38, v35, v37
	v_sub_f32_e32 v39, v34, v38
	v_sub_f32_e32 v34, v34, v39
	;; [unrolled: 1-line block ×4, first 2 shown]
	v_add_f32_e32 v32, v32, v34
	v_sub_f32_e32 v34, v35, v37
	v_add_f32_e32 v32, v34, v32
	v_add_f32_e32 v34, v39, v32
	v_mul_f32_e32 v35, v36, v34
	v_mul_f32_e32 v37, v31, v35
	v_fma_f32 v31, v35, v31, -v37
	v_fmac_f32_e32 v31, v35, v28
	v_sub_f32_e32 v28, v39, v34
	v_add_f32_e32 v28, v32, v28
	v_add_f32_e32 v32, v37, v31
	v_sub_f32_e32 v38, v34, v32
	v_sub_f32_e32 v34, v34, v38
	;; [unrolled: 1-line block ×4, first 2 shown]
	v_add_f32_e32 v28, v28, v32
	v_sub_f32_e32 v31, v37, v31
	v_add_f32_e32 v28, v31, v28
	v_add_f32_e32 v31, v33, v35
	;; [unrolled: 1-line block ×3, first 2 shown]
	v_sub_f32_e32 v32, v31, v33
	v_mul_f32_e32 v28, v36, v28
	v_sub_f32_e32 v32, v35, v32
	v_add_f32_e32 v28, v32, v28
	v_cvt_f32_i32_e32 v27, v27
	v_add_f32_e32 v32, v31, v28
	v_mul_f32_e32 v33, v32, v32
	v_mov_b32_e32 v34, 0x3ecc95a3
	v_fmac_f32_e32 v34, 0x3e9b6dac, v33
	v_mov_b32_e32 v35, 0x3f2aaada
	v_fmac_f32_e32 v35, v33, v34
	v_mul_f32_e32 v34, 0x3f317218, v27
	v_fma_f32 v36, v27, s18, -v34
	v_fmac_f32_e32 v36, 0xb102e308, v27
	v_sub_f32_e32 v27, v32, v31
	v_sub_f32_e32 v27, v28, v27
	v_add_f32_e32 v28, v34, v36
	v_sub_f32_e32 v31, v28, v34
	v_ldexp_f32 v34, v32, 1
	v_mul_f32_e32 v32, v32, v33
	v_mul_f32_e32 v32, v32, v35
	v_add_f32_e32 v33, v34, v32
	v_sub_f32_e32 v34, v33, v34
	v_ldexp_f32 v27, v27, 1
	v_sub_f32_e32 v32, v32, v34
	v_add_f32_e32 v27, v27, v32
	v_add_f32_e32 v32, v33, v27
	v_sub_f32_e32 v33, v32, v33
	v_sub_f32_e32 v27, v27, v33
	v_add_f32_e32 v33, v28, v32
	v_sub_f32_e32 v34, v33, v28
	v_sub_f32_e32 v35, v33, v34
	;; [unrolled: 1-line block ×5, first 2 shown]
	v_add_f32_e32 v28, v32, v28
	v_add_f32_e32 v32, v31, v27
	v_sub_f32_e32 v34, v32, v31
	v_sub_f32_e32 v35, v32, v34
	;; [unrolled: 1-line block ×4, first 2 shown]
	v_add_f32_e32 v28, v32, v28
	v_add_f32_e32 v27, v27, v31
	;; [unrolled: 1-line block ×3, first 2 shown]
	v_sub_f32_e32 v32, v31, v33
	v_sub_f32_e32 v28, v28, v32
	v_add_f32_e32 v27, v27, v28
	v_add_f32_e32 v27, v31, v27
	v_cmp_neq_f32_e32 vcc, s17, v30
	s_mov_b32 s17, 0x33800000
	v_cndmask_b32_e32 v27, v29, v27, vcc
	v_cmp_lt_f32_e64 vcc, |v30|, s17
	v_cndmask_b32_e32 v27, v27, v30, vcc
	v_add_f32_e32 v27, v26, v27
.LBB442_282:
	s_or_b64 exec, exec, s[14:15]
	v_bfe_u32 v26, v27, 16, 1
	v_add3_u32 v26, v27, v26, s16
	v_and_b32_e32 v26, 0xffff0000, v26
	v_cmp_o_f32_e32 vcc, v27, v27
	v_cndmask_b32_e32 v29, v25, v26, vcc
	v_mov_b32_e32 v25, 16
	v_lshlrev_b32_sdwa v12, v25, v12 dst_sel:DWORD dst_unused:UNUSED_PAD src0_sel:DWORD src1_sel:WORD_1
	v_max_f32_e32 v27, v29, v29
	v_max_f32_e32 v26, v12, v12
	v_min_f32_e32 v28, v27, v26
	v_cmp_u_f32_e32 vcc, v29, v29
	v_max_f32_e32 v27, v27, v26
	v_cndmask_b32_e32 v28, v28, v29, vcc
	v_cmp_u_f32_e64 s[14:15], v12, v12
	v_cndmask_b32_e32 v27, v27, v29, vcc
	v_cndmask_b32_e64 v28, v28, v12, s[14:15]
	v_cndmask_b32_e64 v27, v27, v12, s[14:15]
	s_movk_i32 s18, 0x1f8
	v_cmp_neq_f32_e32 vcc, v28, v27
	v_cmp_class_f32_e64 s[16:17], v28, s18
	s_or_b64 s[20:21], vcc, s[16:17]
	s_and_saveexec_b64 s[16:17], s[20:21]
	s_cbranch_execz .LBB442_284
; %bb.283:
	v_sub_f32_e32 v28, v28, v27
	s_mov_b32 s19, 0x3fb8aa3b
	v_mul_f32_e32 v29, 0x3fb8aa3b, v28
	v_fma_f32 v30, v28, s19, -v29
	v_rndne_f32_e32 v31, v29
	v_fmac_f32_e32 v30, 0x32a5705f, v28
	v_sub_f32_e32 v29, v29, v31
	v_add_f32_e32 v29, v29, v30
	v_exp_f32_e32 v29, v29
	v_cvt_i32_f32_e32 v30, v31
	s_mov_b32 s19, 0xc2ce8ed0
	v_cmp_ngt_f32_e32 vcc, s19, v28
	s_mov_b32 s19, 0x42b17218
	v_ldexp_f32 v29, v29, v30
	v_cndmask_b32_e32 v29, 0, v29, vcc
	v_mov_b32_e32 v30, 0x7f800000
	v_cmp_nlt_f32_e32 vcc, s19, v28
	v_cndmask_b32_e32 v31, v30, v29, vcc
	v_add_f32_e32 v32, 1.0, v31
	v_cvt_f64_f32_e32 v[28:29], v32
	v_add_f32_e32 v33, -1.0, v32
	v_sub_f32_e32 v34, v33, v32
	v_sub_f32_e32 v33, v31, v33
	v_frexp_exp_i32_f64_e32 v28, v[28:29]
	v_add_f32_e32 v29, 1.0, v34
	v_add_f32_e32 v29, v33, v29
	v_frexp_mant_f32_e32 v33, v32
	s_mov_b32 s20, 0x3f2aaaab
	v_cmp_gt_f32_e32 vcc, s20, v33
	s_mov_b32 s20, 0x3f317218
	s_mov_b32 s19, 0x7f800000
	v_subbrev_co_u32_e32 v28, vcc, 0, v28, vcc
	v_sub_u32_e32 v33, 0, v28
	v_ldexp_f32 v32, v32, v33
	v_ldexp_f32 v29, v29, v33
	v_add_f32_e32 v33, -1.0, v32
	v_add_f32_e32 v36, 1.0, v32
	v_add_f32_e32 v34, 1.0, v33
	v_add_f32_e32 v37, -1.0, v36
	v_sub_f32_e32 v34, v32, v34
	v_sub_f32_e32 v32, v32, v37
	v_add_f32_e32 v34, v29, v34
	v_add_f32_e32 v29, v29, v32
	;; [unrolled: 1-line block ×3, first 2 shown]
	v_rcp_f32_e32 v37, v32
	v_add_f32_e32 v35, v33, v34
	v_sub_f32_e32 v33, v33, v35
	v_add_f32_e32 v33, v34, v33
	v_sub_f32_e32 v34, v36, v32
	v_add_f32_e32 v29, v29, v34
	v_mul_f32_e32 v34, v35, v37
	v_mul_f32_e32 v36, v32, v34
	v_fma_f32 v38, v34, v32, -v36
	v_fmac_f32_e32 v38, v34, v29
	v_add_f32_e32 v39, v36, v38
	v_sub_f32_e32 v40, v35, v39
	v_sub_f32_e32 v35, v35, v40
	;; [unrolled: 1-line block ×4, first 2 shown]
	v_add_f32_e32 v33, v33, v35
	v_sub_f32_e32 v35, v36, v38
	v_add_f32_e32 v33, v35, v33
	v_add_f32_e32 v35, v40, v33
	v_mul_f32_e32 v36, v37, v35
	v_mul_f32_e32 v38, v32, v36
	v_fma_f32 v32, v36, v32, -v38
	v_fmac_f32_e32 v32, v36, v29
	v_sub_f32_e32 v29, v40, v35
	v_add_f32_e32 v29, v33, v29
	v_add_f32_e32 v33, v38, v32
	v_sub_f32_e32 v39, v35, v33
	v_sub_f32_e32 v35, v35, v39
	;; [unrolled: 1-line block ×4, first 2 shown]
	v_add_f32_e32 v29, v29, v33
	v_sub_f32_e32 v32, v38, v32
	v_add_f32_e32 v29, v32, v29
	v_add_f32_e32 v32, v34, v36
	;; [unrolled: 1-line block ×3, first 2 shown]
	v_sub_f32_e32 v33, v32, v34
	v_mul_f32_e32 v29, v37, v29
	v_sub_f32_e32 v33, v36, v33
	v_add_f32_e32 v29, v33, v29
	v_cvt_f32_i32_e32 v28, v28
	v_add_f32_e32 v33, v32, v29
	v_mul_f32_e32 v34, v33, v33
	v_mov_b32_e32 v35, 0x3ecc95a3
	v_fmac_f32_e32 v35, 0x3e9b6dac, v34
	v_mov_b32_e32 v36, 0x3f2aaada
	v_fmac_f32_e32 v36, v34, v35
	v_mul_f32_e32 v35, 0x3f317218, v28
	v_fma_f32 v37, v28, s20, -v35
	v_fmac_f32_e32 v37, 0xb102e308, v28
	v_sub_f32_e32 v28, v33, v32
	v_sub_f32_e32 v28, v29, v28
	v_add_f32_e32 v29, v35, v37
	v_sub_f32_e32 v32, v29, v35
	v_ldexp_f32 v35, v33, 1
	v_mul_f32_e32 v33, v33, v34
	v_mul_f32_e32 v33, v33, v36
	v_add_f32_e32 v34, v35, v33
	v_sub_f32_e32 v35, v34, v35
	v_ldexp_f32 v28, v28, 1
	v_sub_f32_e32 v33, v33, v35
	v_add_f32_e32 v28, v28, v33
	v_add_f32_e32 v33, v34, v28
	v_sub_f32_e32 v34, v33, v34
	v_sub_f32_e32 v28, v28, v34
	v_add_f32_e32 v34, v29, v33
	v_sub_f32_e32 v35, v34, v29
	v_sub_f32_e32 v36, v34, v35
	;; [unrolled: 1-line block ×5, first 2 shown]
	v_add_f32_e32 v29, v33, v29
	v_add_f32_e32 v33, v32, v28
	v_sub_f32_e32 v35, v33, v32
	v_sub_f32_e32 v36, v33, v35
	;; [unrolled: 1-line block ×4, first 2 shown]
	v_add_f32_e32 v29, v33, v29
	v_add_f32_e32 v28, v28, v32
	v_add_f32_e32 v32, v34, v29
	v_sub_f32_e32 v33, v32, v34
	v_sub_f32_e32 v29, v29, v33
	v_add_f32_e32 v28, v28, v29
	v_add_f32_e32 v28, v32, v28
	v_cmp_neq_f32_e32 vcc, s19, v31
	s_mov_b32 s19, 0x33800000
	v_cndmask_b32_e32 v28, v30, v28, vcc
	v_cmp_lt_f32_e64 vcc, |v31|, s19
	v_cndmask_b32_e32 v28, v28, v31, vcc
	v_add_f32_e32 v29, v27, v28
.LBB442_284:
	s_or_b64 exec, exec, s[16:17]
	v_bfe_u32 v27, v29, 16, 1
	s_movk_i32 s20, 0x7fff
	v_add3_u32 v27, v29, v27, s20
	v_and_b32_e32 v27, 0xffff0000, v27
	v_mov_b32_e32 v28, 0x7fc00000
	v_cmp_o_f32_e32 vcc, v29, v29
	v_cndmask_b32_e32 v30, v28, v27, vcc
	v_lshlrev_b32_sdwa v25, v25, v5 dst_sel:DWORD dst_unused:UNUSED_PAD src0_sel:DWORD src1_sel:WORD_0
	v_max_f32_e32 v29, v30, v30
	v_max_f32_e32 v27, v25, v25
	v_min_f32_e32 v31, v29, v27
	v_cmp_u_f32_e32 vcc, v30, v30
	v_max_f32_e32 v29, v29, v27
	v_cndmask_b32_e32 v31, v31, v30, vcc
	v_cmp_u_f32_e64 s[16:17], v25, v25
	v_cndmask_b32_e32 v29, v29, v30, vcc
	v_cndmask_b32_e64 v31, v31, v25, s[16:17]
	v_cndmask_b32_e64 v29, v29, v25, s[16:17]
	v_cmp_neq_f32_e32 vcc, v31, v29
	v_cmp_class_f32_e64 s[18:19], v31, s18
	s_or_b64 s[22:23], vcc, s[18:19]
	s_and_saveexec_b64 s[18:19], s[22:23]
	s_cbranch_execz .LBB442_286
; %bb.285:
	v_sub_f32_e32 v30, v31, v29
	s_mov_b32 s21, 0x3fb8aa3b
	v_mul_f32_e32 v31, 0x3fb8aa3b, v30
	v_fma_f32 v32, v30, s21, -v31
	v_rndne_f32_e32 v33, v31
	v_fmac_f32_e32 v32, 0x32a5705f, v30
	v_sub_f32_e32 v31, v31, v33
	v_add_f32_e32 v31, v31, v32
	v_exp_f32_e32 v31, v31
	v_cvt_i32_f32_e32 v32, v33
	s_mov_b32 s21, 0xc2ce8ed0
	v_cmp_ngt_f32_e32 vcc, s21, v30
	s_mov_b32 s21, 0x42b17218
	v_ldexp_f32 v31, v31, v32
	v_cndmask_b32_e32 v31, 0, v31, vcc
	v_mov_b32_e32 v32, 0x7f800000
	v_cmp_nlt_f32_e32 vcc, s21, v30
	v_cndmask_b32_e32 v33, v32, v31, vcc
	v_add_f32_e32 v34, 1.0, v33
	v_cvt_f64_f32_e32 v[30:31], v34
	v_add_f32_e32 v35, -1.0, v34
	v_sub_f32_e32 v36, v35, v34
	v_sub_f32_e32 v35, v33, v35
	v_frexp_exp_i32_f64_e32 v30, v[30:31]
	v_add_f32_e32 v31, 1.0, v36
	v_add_f32_e32 v31, v35, v31
	v_frexp_mant_f32_e32 v35, v34
	s_mov_b32 s22, 0x3f2aaaab
	v_cmp_gt_f32_e32 vcc, s22, v35
	s_mov_b32 s22, 0x3f317218
	s_mov_b32 s21, 0x7f800000
	v_subbrev_co_u32_e32 v30, vcc, 0, v30, vcc
	v_sub_u32_e32 v35, 0, v30
	v_ldexp_f32 v34, v34, v35
	v_ldexp_f32 v31, v31, v35
	v_add_f32_e32 v35, -1.0, v34
	v_add_f32_e32 v38, 1.0, v34
	v_add_f32_e32 v36, 1.0, v35
	v_add_f32_e32 v39, -1.0, v38
	v_sub_f32_e32 v36, v34, v36
	v_sub_f32_e32 v34, v34, v39
	v_add_f32_e32 v36, v31, v36
	v_add_f32_e32 v31, v31, v34
	;; [unrolled: 1-line block ×3, first 2 shown]
	v_rcp_f32_e32 v39, v34
	v_add_f32_e32 v37, v35, v36
	v_sub_f32_e32 v35, v35, v37
	v_add_f32_e32 v35, v36, v35
	v_sub_f32_e32 v36, v38, v34
	v_add_f32_e32 v31, v31, v36
	v_mul_f32_e32 v36, v37, v39
	v_mul_f32_e32 v38, v34, v36
	v_fma_f32 v40, v36, v34, -v38
	v_fmac_f32_e32 v40, v36, v31
	v_add_f32_e32 v41, v38, v40
	v_sub_f32_e32 v42, v37, v41
	v_sub_f32_e32 v37, v37, v42
	;; [unrolled: 1-line block ×4, first 2 shown]
	v_add_f32_e32 v35, v35, v37
	v_sub_f32_e32 v37, v38, v40
	v_add_f32_e32 v35, v37, v35
	v_add_f32_e32 v37, v42, v35
	v_mul_f32_e32 v38, v39, v37
	v_mul_f32_e32 v40, v34, v38
	v_fma_f32 v34, v38, v34, -v40
	v_fmac_f32_e32 v34, v38, v31
	v_sub_f32_e32 v31, v42, v37
	v_add_f32_e32 v31, v35, v31
	v_add_f32_e32 v35, v40, v34
	v_sub_f32_e32 v41, v37, v35
	v_sub_f32_e32 v37, v37, v41
	;; [unrolled: 1-line block ×4, first 2 shown]
	v_add_f32_e32 v31, v31, v35
	v_sub_f32_e32 v34, v40, v34
	v_add_f32_e32 v31, v34, v31
	v_add_f32_e32 v34, v36, v38
	;; [unrolled: 1-line block ×3, first 2 shown]
	v_sub_f32_e32 v35, v34, v36
	v_mul_f32_e32 v31, v39, v31
	v_sub_f32_e32 v35, v38, v35
	v_add_f32_e32 v31, v35, v31
	v_cvt_f32_i32_e32 v30, v30
	v_add_f32_e32 v35, v34, v31
	v_mul_f32_e32 v36, v35, v35
	v_mov_b32_e32 v37, 0x3ecc95a3
	v_fmac_f32_e32 v37, 0x3e9b6dac, v36
	v_mov_b32_e32 v38, 0x3f2aaada
	v_fmac_f32_e32 v38, v36, v37
	v_mul_f32_e32 v37, 0x3f317218, v30
	v_fma_f32 v39, v30, s22, -v37
	v_fmac_f32_e32 v39, 0xb102e308, v30
	v_sub_f32_e32 v30, v35, v34
	v_sub_f32_e32 v30, v31, v30
	v_add_f32_e32 v31, v37, v39
	v_sub_f32_e32 v34, v31, v37
	v_ldexp_f32 v37, v35, 1
	v_mul_f32_e32 v35, v35, v36
	v_mul_f32_e32 v35, v35, v38
	v_add_f32_e32 v36, v37, v35
	v_sub_f32_e32 v37, v36, v37
	v_ldexp_f32 v30, v30, 1
	v_sub_f32_e32 v35, v35, v37
	v_add_f32_e32 v30, v30, v35
	v_add_f32_e32 v35, v36, v30
	v_sub_f32_e32 v36, v35, v36
	v_sub_f32_e32 v30, v30, v36
	v_add_f32_e32 v36, v31, v35
	v_sub_f32_e32 v37, v36, v31
	v_sub_f32_e32 v38, v36, v37
	;; [unrolled: 1-line block ×5, first 2 shown]
	v_add_f32_e32 v31, v35, v31
	v_add_f32_e32 v35, v34, v30
	v_sub_f32_e32 v37, v35, v34
	v_sub_f32_e32 v38, v35, v37
	;; [unrolled: 1-line block ×4, first 2 shown]
	v_add_f32_e32 v31, v35, v31
	v_add_f32_e32 v30, v30, v34
	;; [unrolled: 1-line block ×3, first 2 shown]
	v_sub_f32_e32 v35, v34, v36
	v_sub_f32_e32 v31, v31, v35
	v_add_f32_e32 v30, v30, v31
	v_add_f32_e32 v30, v34, v30
	v_cmp_neq_f32_e32 vcc, s21, v33
	s_mov_b32 s21, 0x33800000
	v_cndmask_b32_e32 v30, v32, v30, vcc
	v_cmp_lt_f32_e64 vcc, |v33|, s21
	v_cndmask_b32_e32 v30, v30, v33, vcc
	v_add_f32_e32 v30, v29, v30
.LBB442_286:
	s_or_b64 exec, exec, s[18:19]
	v_bfe_u32 v29, v30, 16, 1
	v_add3_u32 v29, v30, v29, s20
	v_and_b32_e32 v29, 0xffff0000, v29
	v_cmp_o_f32_e32 vcc, v30, v30
	v_cndmask_b32_e32 v32, v28, v29, vcc
	v_mov_b32_e32 v28, 16
	v_lshlrev_b32_sdwa v5, v28, v5 dst_sel:DWORD dst_unused:UNUSED_PAD src0_sel:DWORD src1_sel:WORD_1
	v_max_f32_e32 v30, v32, v32
	v_max_f32_e32 v29, v5, v5
	v_min_f32_e32 v31, v30, v29
	v_cmp_u_f32_e32 vcc, v32, v32
	v_max_f32_e32 v30, v30, v29
	v_cndmask_b32_e32 v31, v31, v32, vcc
	v_cmp_u_f32_e64 s[18:19], v5, v5
	v_cndmask_b32_e32 v30, v30, v32, vcc
	v_cndmask_b32_e64 v31, v31, v5, s[18:19]
	v_cndmask_b32_e64 v30, v30, v5, s[18:19]
	s_movk_i32 s22, 0x1f8
	v_cmp_neq_f32_e32 vcc, v31, v30
	v_cmp_class_f32_e64 s[20:21], v31, s22
	s_or_b64 s[24:25], vcc, s[20:21]
	s_and_saveexec_b64 s[20:21], s[24:25]
	s_cbranch_execz .LBB442_288
; %bb.287:
	v_sub_f32_e32 v31, v31, v30
	s_mov_b32 s23, 0x3fb8aa3b
	v_mul_f32_e32 v32, 0x3fb8aa3b, v31
	v_fma_f32 v33, v31, s23, -v32
	v_rndne_f32_e32 v34, v32
	v_fmac_f32_e32 v33, 0x32a5705f, v31
	v_sub_f32_e32 v32, v32, v34
	v_add_f32_e32 v32, v32, v33
	v_exp_f32_e32 v32, v32
	v_cvt_i32_f32_e32 v33, v34
	s_mov_b32 s23, 0xc2ce8ed0
	v_cmp_ngt_f32_e32 vcc, s23, v31
	s_mov_b32 s23, 0x42b17218
	v_ldexp_f32 v32, v32, v33
	v_cndmask_b32_e32 v32, 0, v32, vcc
	v_mov_b32_e32 v33, 0x7f800000
	v_cmp_nlt_f32_e32 vcc, s23, v31
	v_cndmask_b32_e32 v34, v33, v32, vcc
	v_add_f32_e32 v35, 1.0, v34
	v_cvt_f64_f32_e32 v[31:32], v35
	v_add_f32_e32 v36, -1.0, v35
	v_sub_f32_e32 v37, v36, v35
	v_sub_f32_e32 v36, v34, v36
	v_frexp_exp_i32_f64_e32 v31, v[31:32]
	v_add_f32_e32 v32, 1.0, v37
	v_add_f32_e32 v32, v36, v32
	v_frexp_mant_f32_e32 v36, v35
	s_mov_b32 s24, 0x3f2aaaab
	v_cmp_gt_f32_e32 vcc, s24, v36
	s_mov_b32 s24, 0x3f317218
	s_mov_b32 s23, 0x7f800000
	v_subbrev_co_u32_e32 v31, vcc, 0, v31, vcc
	v_sub_u32_e32 v36, 0, v31
	v_ldexp_f32 v35, v35, v36
	v_ldexp_f32 v32, v32, v36
	v_add_f32_e32 v36, -1.0, v35
	v_add_f32_e32 v39, 1.0, v35
	v_add_f32_e32 v37, 1.0, v36
	v_add_f32_e32 v40, -1.0, v39
	v_sub_f32_e32 v37, v35, v37
	v_sub_f32_e32 v35, v35, v40
	v_add_f32_e32 v37, v32, v37
	v_add_f32_e32 v32, v32, v35
	;; [unrolled: 1-line block ×3, first 2 shown]
	v_rcp_f32_e32 v40, v35
	v_add_f32_e32 v38, v36, v37
	v_sub_f32_e32 v36, v36, v38
	v_add_f32_e32 v36, v37, v36
	v_sub_f32_e32 v37, v39, v35
	v_add_f32_e32 v32, v32, v37
	v_mul_f32_e32 v37, v38, v40
	v_mul_f32_e32 v39, v35, v37
	v_fma_f32 v41, v37, v35, -v39
	v_fmac_f32_e32 v41, v37, v32
	v_add_f32_e32 v42, v39, v41
	v_sub_f32_e32 v43, v38, v42
	v_sub_f32_e32 v38, v38, v43
	;; [unrolled: 1-line block ×4, first 2 shown]
	v_add_f32_e32 v36, v36, v38
	v_sub_f32_e32 v38, v39, v41
	v_add_f32_e32 v36, v38, v36
	v_add_f32_e32 v38, v43, v36
	v_mul_f32_e32 v39, v40, v38
	v_mul_f32_e32 v41, v35, v39
	v_fma_f32 v35, v39, v35, -v41
	v_fmac_f32_e32 v35, v39, v32
	v_sub_f32_e32 v32, v43, v38
	v_add_f32_e32 v32, v36, v32
	v_add_f32_e32 v36, v41, v35
	v_sub_f32_e32 v42, v38, v36
	v_sub_f32_e32 v38, v38, v42
	;; [unrolled: 1-line block ×4, first 2 shown]
	v_add_f32_e32 v32, v32, v36
	v_sub_f32_e32 v35, v41, v35
	v_add_f32_e32 v32, v35, v32
	v_add_f32_e32 v35, v37, v39
	;; [unrolled: 1-line block ×3, first 2 shown]
	v_sub_f32_e32 v36, v35, v37
	v_mul_f32_e32 v32, v40, v32
	v_sub_f32_e32 v36, v39, v36
	v_add_f32_e32 v32, v36, v32
	v_cvt_f32_i32_e32 v31, v31
	v_add_f32_e32 v36, v35, v32
	v_mul_f32_e32 v37, v36, v36
	v_mov_b32_e32 v38, 0x3ecc95a3
	v_fmac_f32_e32 v38, 0x3e9b6dac, v37
	v_mov_b32_e32 v39, 0x3f2aaada
	v_fmac_f32_e32 v39, v37, v38
	v_mul_f32_e32 v38, 0x3f317218, v31
	v_fma_f32 v40, v31, s24, -v38
	v_fmac_f32_e32 v40, 0xb102e308, v31
	v_sub_f32_e32 v31, v36, v35
	v_sub_f32_e32 v31, v32, v31
	v_add_f32_e32 v32, v38, v40
	v_sub_f32_e32 v35, v32, v38
	v_ldexp_f32 v38, v36, 1
	v_mul_f32_e32 v36, v36, v37
	v_mul_f32_e32 v36, v36, v39
	v_add_f32_e32 v37, v38, v36
	v_sub_f32_e32 v38, v37, v38
	v_ldexp_f32 v31, v31, 1
	v_sub_f32_e32 v36, v36, v38
	v_add_f32_e32 v31, v31, v36
	v_add_f32_e32 v36, v37, v31
	v_sub_f32_e32 v37, v36, v37
	v_sub_f32_e32 v31, v31, v37
	v_add_f32_e32 v37, v32, v36
	v_sub_f32_e32 v38, v37, v32
	v_sub_f32_e32 v39, v37, v38
	;; [unrolled: 1-line block ×5, first 2 shown]
	v_add_f32_e32 v32, v36, v32
	v_add_f32_e32 v36, v35, v31
	v_sub_f32_e32 v38, v36, v35
	v_sub_f32_e32 v39, v36, v38
	;; [unrolled: 1-line block ×4, first 2 shown]
	v_add_f32_e32 v32, v36, v32
	v_add_f32_e32 v31, v31, v35
	;; [unrolled: 1-line block ×3, first 2 shown]
	v_sub_f32_e32 v36, v35, v37
	v_sub_f32_e32 v32, v32, v36
	v_add_f32_e32 v31, v31, v32
	v_add_f32_e32 v31, v35, v31
	v_cmp_neq_f32_e32 vcc, s23, v34
	s_mov_b32 s23, 0x33800000
	v_cndmask_b32_e32 v31, v33, v31, vcc
	v_cmp_lt_f32_e64 vcc, |v34|, s23
	v_cndmask_b32_e32 v31, v31, v34, vcc
	v_add_f32_e32 v32, v30, v31
.LBB442_288:
	s_or_b64 exec, exec, s[20:21]
	v_bfe_u32 v30, v32, 16, 1
	s_movk_i32 s24, 0x7fff
	v_add3_u32 v30, v32, v30, s24
	v_and_b32_e32 v30, 0xffff0000, v30
	v_mov_b32_e32 v31, 0x7fc00000
	v_cmp_o_f32_e32 vcc, v32, v32
	v_cndmask_b32_e32 v33, v31, v30, vcc
	v_lshlrev_b32_sdwa v28, v28, v6 dst_sel:DWORD dst_unused:UNUSED_PAD src0_sel:DWORD src1_sel:WORD_0
	v_max_f32_e32 v32, v33, v33
	v_max_f32_e32 v30, v28, v28
	v_min_f32_e32 v34, v32, v30
	v_cmp_u_f32_e32 vcc, v33, v33
	v_max_f32_e32 v32, v32, v30
	v_cndmask_b32_e32 v34, v34, v33, vcc
	v_cmp_u_f32_e64 s[20:21], v28, v28
	v_cndmask_b32_e32 v32, v32, v33, vcc
	v_cndmask_b32_e64 v34, v34, v28, s[20:21]
	v_cndmask_b32_e64 v32, v32, v28, s[20:21]
	v_cmp_neq_f32_e32 vcc, v34, v32
	v_cmp_class_f32_e64 s[22:23], v34, s22
	s_or_b64 s[26:27], vcc, s[22:23]
	s_and_saveexec_b64 s[22:23], s[26:27]
	s_cbranch_execz .LBB442_290
; %bb.289:
	v_sub_f32_e32 v33, v34, v32
	s_mov_b32 s25, 0x3fb8aa3b
	v_mul_f32_e32 v34, 0x3fb8aa3b, v33
	v_fma_f32 v35, v33, s25, -v34
	v_rndne_f32_e32 v36, v34
	v_fmac_f32_e32 v35, 0x32a5705f, v33
	v_sub_f32_e32 v34, v34, v36
	v_add_f32_e32 v34, v34, v35
	v_exp_f32_e32 v34, v34
	v_cvt_i32_f32_e32 v35, v36
	s_mov_b32 s25, 0xc2ce8ed0
	v_cmp_ngt_f32_e32 vcc, s25, v33
	s_mov_b32 s25, 0x42b17218
	v_ldexp_f32 v34, v34, v35
	v_cndmask_b32_e32 v34, 0, v34, vcc
	v_mov_b32_e32 v35, 0x7f800000
	v_cmp_nlt_f32_e32 vcc, s25, v33
	v_cndmask_b32_e32 v36, v35, v34, vcc
	v_add_f32_e32 v37, 1.0, v36
	v_cvt_f64_f32_e32 v[33:34], v37
	v_add_f32_e32 v38, -1.0, v37
	v_sub_f32_e32 v39, v38, v37
	v_sub_f32_e32 v38, v36, v38
	v_frexp_exp_i32_f64_e32 v33, v[33:34]
	v_add_f32_e32 v34, 1.0, v39
	v_add_f32_e32 v34, v38, v34
	v_frexp_mant_f32_e32 v38, v37
	s_mov_b32 s26, 0x3f2aaaab
	v_cmp_gt_f32_e32 vcc, s26, v38
	s_mov_b32 s26, 0x3f317218
	s_mov_b32 s25, 0x7f800000
	v_subbrev_co_u32_e32 v33, vcc, 0, v33, vcc
	v_sub_u32_e32 v38, 0, v33
	v_ldexp_f32 v37, v37, v38
	v_ldexp_f32 v34, v34, v38
	v_add_f32_e32 v38, -1.0, v37
	v_add_f32_e32 v41, 1.0, v37
	v_add_f32_e32 v39, 1.0, v38
	v_add_f32_e32 v42, -1.0, v41
	v_sub_f32_e32 v39, v37, v39
	v_sub_f32_e32 v37, v37, v42
	v_add_f32_e32 v39, v34, v39
	v_add_f32_e32 v34, v34, v37
	;; [unrolled: 1-line block ×3, first 2 shown]
	v_rcp_f32_e32 v42, v37
	v_add_f32_e32 v40, v38, v39
	v_sub_f32_e32 v38, v38, v40
	v_add_f32_e32 v38, v39, v38
	v_sub_f32_e32 v39, v41, v37
	v_add_f32_e32 v34, v34, v39
	v_mul_f32_e32 v39, v40, v42
	v_mul_f32_e32 v41, v37, v39
	v_fma_f32 v43, v39, v37, -v41
	v_fmac_f32_e32 v43, v39, v34
	v_add_f32_e32 v44, v41, v43
	v_sub_f32_e32 v45, v40, v44
	v_sub_f32_e32 v40, v40, v45
	;; [unrolled: 1-line block ×4, first 2 shown]
	v_add_f32_e32 v38, v38, v40
	v_sub_f32_e32 v40, v41, v43
	v_add_f32_e32 v38, v40, v38
	v_add_f32_e32 v40, v45, v38
	v_mul_f32_e32 v41, v42, v40
	v_mul_f32_e32 v43, v37, v41
	v_fma_f32 v37, v41, v37, -v43
	v_fmac_f32_e32 v37, v41, v34
	v_sub_f32_e32 v34, v45, v40
	v_add_f32_e32 v34, v38, v34
	v_add_f32_e32 v38, v43, v37
	v_sub_f32_e32 v44, v40, v38
	v_sub_f32_e32 v40, v40, v44
	v_sub_f32_e32 v43, v38, v43
	v_sub_f32_e32 v38, v40, v38
	v_add_f32_e32 v34, v34, v38
	v_sub_f32_e32 v37, v43, v37
	v_add_f32_e32 v34, v37, v34
	v_add_f32_e32 v37, v39, v41
	;; [unrolled: 1-line block ×3, first 2 shown]
	v_sub_f32_e32 v38, v37, v39
	v_mul_f32_e32 v34, v42, v34
	v_sub_f32_e32 v38, v41, v38
	v_add_f32_e32 v34, v38, v34
	v_cvt_f32_i32_e32 v33, v33
	v_add_f32_e32 v38, v37, v34
	v_mul_f32_e32 v39, v38, v38
	v_mov_b32_e32 v40, 0x3ecc95a3
	v_fmac_f32_e32 v40, 0x3e9b6dac, v39
	v_mov_b32_e32 v41, 0x3f2aaada
	v_fmac_f32_e32 v41, v39, v40
	v_mul_f32_e32 v40, 0x3f317218, v33
	v_fma_f32 v42, v33, s26, -v40
	v_fmac_f32_e32 v42, 0xb102e308, v33
	v_sub_f32_e32 v33, v38, v37
	v_sub_f32_e32 v33, v34, v33
	v_add_f32_e32 v34, v40, v42
	v_sub_f32_e32 v37, v34, v40
	v_ldexp_f32 v40, v38, 1
	v_mul_f32_e32 v38, v38, v39
	v_mul_f32_e32 v38, v38, v41
	v_add_f32_e32 v39, v40, v38
	v_sub_f32_e32 v40, v39, v40
	v_ldexp_f32 v33, v33, 1
	v_sub_f32_e32 v38, v38, v40
	v_add_f32_e32 v33, v33, v38
	v_add_f32_e32 v38, v39, v33
	v_sub_f32_e32 v39, v38, v39
	v_sub_f32_e32 v33, v33, v39
	v_add_f32_e32 v39, v34, v38
	v_sub_f32_e32 v40, v39, v34
	v_sub_f32_e32 v41, v39, v40
	;; [unrolled: 1-line block ×5, first 2 shown]
	v_add_f32_e32 v34, v38, v34
	v_add_f32_e32 v38, v37, v33
	v_sub_f32_e32 v40, v38, v37
	v_sub_f32_e32 v41, v38, v40
	;; [unrolled: 1-line block ×4, first 2 shown]
	v_add_f32_e32 v34, v38, v34
	v_add_f32_e32 v33, v33, v37
	;; [unrolled: 1-line block ×3, first 2 shown]
	v_sub_f32_e32 v38, v37, v39
	v_sub_f32_e32 v34, v34, v38
	v_add_f32_e32 v33, v33, v34
	v_add_f32_e32 v33, v37, v33
	v_cmp_neq_f32_e32 vcc, s25, v36
	s_mov_b32 s25, 0x33800000
	v_cndmask_b32_e32 v33, v35, v33, vcc
	v_cmp_lt_f32_e64 vcc, |v36|, s25
	v_cndmask_b32_e32 v33, v33, v36, vcc
	v_add_f32_e32 v33, v32, v33
.LBB442_290:
	s_or_b64 exec, exec, s[22:23]
	v_bfe_u32 v32, v33, 16, 1
	v_add3_u32 v32, v33, v32, s24
	v_and_b32_e32 v32, 0xffff0000, v32
	v_cmp_o_f32_e32 vcc, v33, v33
	v_cndmask_b32_e32 v35, v31, v32, vcc
	v_mov_b32_e32 v31, 16
	v_lshlrev_b32_sdwa v6, v31, v6 dst_sel:DWORD dst_unused:UNUSED_PAD src0_sel:DWORD src1_sel:WORD_1
	v_max_f32_e32 v33, v35, v35
	v_max_f32_e32 v32, v6, v6
	v_min_f32_e32 v34, v33, v32
	v_cmp_u_f32_e32 vcc, v35, v35
	v_max_f32_e32 v33, v33, v32
	v_cndmask_b32_e32 v34, v34, v35, vcc
	v_cmp_u_f32_e64 s[22:23], v6, v6
	v_cndmask_b32_e32 v33, v33, v35, vcc
	v_cndmask_b32_e64 v34, v34, v6, s[22:23]
	v_cndmask_b32_e64 v33, v33, v6, s[22:23]
	s_movk_i32 s26, 0x1f8
	v_cmp_neq_f32_e32 vcc, v34, v33
	v_cmp_class_f32_e64 s[24:25], v34, s26
	s_or_b64 s[28:29], vcc, s[24:25]
	s_and_saveexec_b64 s[24:25], s[28:29]
	s_cbranch_execz .LBB442_292
; %bb.291:
	v_sub_f32_e32 v34, v34, v33
	s_mov_b32 s27, 0x3fb8aa3b
	v_mul_f32_e32 v35, 0x3fb8aa3b, v34
	v_fma_f32 v36, v34, s27, -v35
	v_rndne_f32_e32 v37, v35
	v_fmac_f32_e32 v36, 0x32a5705f, v34
	v_sub_f32_e32 v35, v35, v37
	v_add_f32_e32 v35, v35, v36
	v_exp_f32_e32 v35, v35
	v_cvt_i32_f32_e32 v36, v37
	s_mov_b32 s27, 0xc2ce8ed0
	v_cmp_ngt_f32_e32 vcc, s27, v34
	s_mov_b32 s27, 0x42b17218
	v_ldexp_f32 v35, v35, v36
	v_cndmask_b32_e32 v35, 0, v35, vcc
	v_mov_b32_e32 v36, 0x7f800000
	v_cmp_nlt_f32_e32 vcc, s27, v34
	v_cndmask_b32_e32 v37, v36, v35, vcc
	v_add_f32_e32 v38, 1.0, v37
	v_cvt_f64_f32_e32 v[34:35], v38
	v_add_f32_e32 v39, -1.0, v38
	v_sub_f32_e32 v40, v39, v38
	v_sub_f32_e32 v39, v37, v39
	v_frexp_exp_i32_f64_e32 v34, v[34:35]
	v_add_f32_e32 v35, 1.0, v40
	v_add_f32_e32 v35, v39, v35
	v_frexp_mant_f32_e32 v39, v38
	s_mov_b32 s28, 0x3f2aaaab
	v_cmp_gt_f32_e32 vcc, s28, v39
	s_mov_b32 s28, 0x3f317218
	s_mov_b32 s27, 0x7f800000
	v_subbrev_co_u32_e32 v34, vcc, 0, v34, vcc
	v_sub_u32_e32 v39, 0, v34
	v_ldexp_f32 v38, v38, v39
	v_ldexp_f32 v35, v35, v39
	v_add_f32_e32 v39, -1.0, v38
	v_add_f32_e32 v42, 1.0, v38
	v_add_f32_e32 v40, 1.0, v39
	v_add_f32_e32 v43, -1.0, v42
	v_sub_f32_e32 v40, v38, v40
	v_sub_f32_e32 v38, v38, v43
	v_add_f32_e32 v40, v35, v40
	v_add_f32_e32 v35, v35, v38
	;; [unrolled: 1-line block ×3, first 2 shown]
	v_rcp_f32_e32 v43, v38
	v_add_f32_e32 v41, v39, v40
	v_sub_f32_e32 v39, v39, v41
	v_add_f32_e32 v39, v40, v39
	v_sub_f32_e32 v40, v42, v38
	v_add_f32_e32 v35, v35, v40
	v_mul_f32_e32 v40, v41, v43
	v_mul_f32_e32 v42, v38, v40
	v_fma_f32 v44, v40, v38, -v42
	v_fmac_f32_e32 v44, v40, v35
	v_add_f32_e32 v45, v42, v44
	v_sub_f32_e32 v46, v41, v45
	v_sub_f32_e32 v41, v41, v46
	;; [unrolled: 1-line block ×4, first 2 shown]
	v_add_f32_e32 v39, v39, v41
	v_sub_f32_e32 v41, v42, v44
	v_add_f32_e32 v39, v41, v39
	v_add_f32_e32 v41, v46, v39
	v_mul_f32_e32 v42, v43, v41
	v_mul_f32_e32 v44, v38, v42
	v_fma_f32 v38, v42, v38, -v44
	v_fmac_f32_e32 v38, v42, v35
	v_sub_f32_e32 v35, v46, v41
	v_add_f32_e32 v35, v39, v35
	v_add_f32_e32 v39, v44, v38
	v_sub_f32_e32 v45, v41, v39
	v_sub_f32_e32 v41, v41, v45
	;; [unrolled: 1-line block ×4, first 2 shown]
	v_add_f32_e32 v35, v35, v39
	v_sub_f32_e32 v38, v44, v38
	v_add_f32_e32 v35, v38, v35
	v_add_f32_e32 v38, v40, v42
	;; [unrolled: 1-line block ×3, first 2 shown]
	v_sub_f32_e32 v39, v38, v40
	v_mul_f32_e32 v35, v43, v35
	v_sub_f32_e32 v39, v42, v39
	v_add_f32_e32 v35, v39, v35
	v_cvt_f32_i32_e32 v34, v34
	v_add_f32_e32 v39, v38, v35
	v_mul_f32_e32 v40, v39, v39
	v_mov_b32_e32 v41, 0x3ecc95a3
	v_fmac_f32_e32 v41, 0x3e9b6dac, v40
	v_mov_b32_e32 v42, 0x3f2aaada
	v_fmac_f32_e32 v42, v40, v41
	v_mul_f32_e32 v41, 0x3f317218, v34
	v_fma_f32 v43, v34, s28, -v41
	v_fmac_f32_e32 v43, 0xb102e308, v34
	v_sub_f32_e32 v34, v39, v38
	v_sub_f32_e32 v34, v35, v34
	v_add_f32_e32 v35, v41, v43
	v_sub_f32_e32 v38, v35, v41
	v_ldexp_f32 v41, v39, 1
	v_mul_f32_e32 v39, v39, v40
	v_mul_f32_e32 v39, v39, v42
	v_add_f32_e32 v40, v41, v39
	v_sub_f32_e32 v41, v40, v41
	v_ldexp_f32 v34, v34, 1
	v_sub_f32_e32 v39, v39, v41
	v_add_f32_e32 v34, v34, v39
	v_add_f32_e32 v39, v40, v34
	v_sub_f32_e32 v40, v39, v40
	v_sub_f32_e32 v34, v34, v40
	v_add_f32_e32 v40, v35, v39
	v_sub_f32_e32 v41, v40, v35
	v_sub_f32_e32 v42, v40, v41
	;; [unrolled: 1-line block ×5, first 2 shown]
	v_add_f32_e32 v35, v39, v35
	v_add_f32_e32 v39, v38, v34
	v_sub_f32_e32 v41, v39, v38
	v_sub_f32_e32 v42, v39, v41
	;; [unrolled: 1-line block ×4, first 2 shown]
	v_add_f32_e32 v35, v39, v35
	v_add_f32_e32 v34, v34, v38
	;; [unrolled: 1-line block ×3, first 2 shown]
	v_sub_f32_e32 v39, v38, v40
	v_sub_f32_e32 v35, v35, v39
	v_add_f32_e32 v34, v34, v35
	v_add_f32_e32 v34, v38, v34
	v_cmp_neq_f32_e32 vcc, s27, v37
	s_mov_b32 s27, 0x33800000
	v_cndmask_b32_e32 v34, v36, v34, vcc
	v_cmp_lt_f32_e64 vcc, |v37|, s27
	v_cndmask_b32_e32 v34, v34, v37, vcc
	v_add_f32_e32 v35, v33, v34
.LBB442_292:
	s_or_b64 exec, exec, s[24:25]
	v_bfe_u32 v33, v35, 16, 1
	s_movk_i32 s28, 0x7fff
	v_add3_u32 v33, v35, v33, s28
	v_and_b32_e32 v33, 0xffff0000, v33
	v_mov_b32_e32 v34, 0x7fc00000
	v_cmp_o_f32_e32 vcc, v35, v35
	v_cndmask_b32_e32 v36, v34, v33, vcc
	v_lshlrev_b32_sdwa v31, v31, v7 dst_sel:DWORD dst_unused:UNUSED_PAD src0_sel:DWORD src1_sel:WORD_0
	v_max_f32_e32 v35, v36, v36
	v_max_f32_e32 v33, v31, v31
	v_min_f32_e32 v37, v35, v33
	v_cmp_u_f32_e32 vcc, v36, v36
	v_max_f32_e32 v35, v35, v33
	v_cndmask_b32_e32 v37, v37, v36, vcc
	v_cmp_u_f32_e64 s[24:25], v31, v31
	v_cndmask_b32_e32 v35, v35, v36, vcc
	v_cndmask_b32_e64 v37, v37, v31, s[24:25]
	v_cndmask_b32_e64 v35, v35, v31, s[24:25]
	v_cmp_neq_f32_e32 vcc, v37, v35
	v_cmp_class_f32_e64 s[26:27], v37, s26
	s_or_b64 s[30:31], vcc, s[26:27]
	s_and_saveexec_b64 s[26:27], s[30:31]
	s_cbranch_execz .LBB442_294
; %bb.293:
	v_sub_f32_e32 v36, v37, v35
	s_mov_b32 s29, 0x3fb8aa3b
	v_mul_f32_e32 v37, 0x3fb8aa3b, v36
	v_fma_f32 v38, v36, s29, -v37
	v_rndne_f32_e32 v39, v37
	v_fmac_f32_e32 v38, 0x32a5705f, v36
	v_sub_f32_e32 v37, v37, v39
	v_add_f32_e32 v37, v37, v38
	v_exp_f32_e32 v37, v37
	v_cvt_i32_f32_e32 v38, v39
	s_mov_b32 s29, 0xc2ce8ed0
	v_cmp_ngt_f32_e32 vcc, s29, v36
	s_mov_b32 s29, 0x42b17218
	v_ldexp_f32 v37, v37, v38
	v_cndmask_b32_e32 v37, 0, v37, vcc
	v_mov_b32_e32 v38, 0x7f800000
	v_cmp_nlt_f32_e32 vcc, s29, v36
	v_cndmask_b32_e32 v39, v38, v37, vcc
	v_add_f32_e32 v40, 1.0, v39
	v_cvt_f64_f32_e32 v[36:37], v40
	v_add_f32_e32 v41, -1.0, v40
	v_sub_f32_e32 v42, v41, v40
	v_sub_f32_e32 v41, v39, v41
	v_frexp_exp_i32_f64_e32 v36, v[36:37]
	v_add_f32_e32 v37, 1.0, v42
	v_add_f32_e32 v37, v41, v37
	v_frexp_mant_f32_e32 v41, v40
	s_mov_b32 s30, 0x3f2aaaab
	v_cmp_gt_f32_e32 vcc, s30, v41
	s_mov_b32 s30, 0x3f317218
	s_mov_b32 s29, 0x7f800000
	v_subbrev_co_u32_e32 v36, vcc, 0, v36, vcc
	v_sub_u32_e32 v41, 0, v36
	v_ldexp_f32 v40, v40, v41
	v_ldexp_f32 v37, v37, v41
	v_add_f32_e32 v41, -1.0, v40
	v_add_f32_e32 v44, 1.0, v40
	v_add_f32_e32 v42, 1.0, v41
	v_add_f32_e32 v45, -1.0, v44
	v_sub_f32_e32 v42, v40, v42
	v_sub_f32_e32 v40, v40, v45
	v_add_f32_e32 v42, v37, v42
	v_add_f32_e32 v37, v37, v40
	v_add_f32_e32 v40, v44, v37
	v_rcp_f32_e32 v45, v40
	v_add_f32_e32 v43, v41, v42
	v_sub_f32_e32 v41, v41, v43
	v_add_f32_e32 v41, v42, v41
	v_sub_f32_e32 v42, v44, v40
	v_add_f32_e32 v37, v37, v42
	v_mul_f32_e32 v42, v43, v45
	v_mul_f32_e32 v44, v40, v42
	v_fma_f32 v46, v42, v40, -v44
	v_fmac_f32_e32 v46, v42, v37
	v_add_f32_e32 v47, v44, v46
	v_sub_f32_e32 v48, v43, v47
	v_sub_f32_e32 v43, v43, v48
	;; [unrolled: 1-line block ×4, first 2 shown]
	v_add_f32_e32 v41, v41, v43
	v_sub_f32_e32 v43, v44, v46
	v_add_f32_e32 v41, v43, v41
	v_add_f32_e32 v43, v48, v41
	v_mul_f32_e32 v44, v45, v43
	v_mul_f32_e32 v46, v40, v44
	v_fma_f32 v40, v44, v40, -v46
	v_fmac_f32_e32 v40, v44, v37
	v_sub_f32_e32 v37, v48, v43
	v_add_f32_e32 v37, v41, v37
	v_add_f32_e32 v41, v46, v40
	v_sub_f32_e32 v47, v43, v41
	v_sub_f32_e32 v43, v43, v47
	;; [unrolled: 1-line block ×4, first 2 shown]
	v_add_f32_e32 v37, v37, v41
	v_sub_f32_e32 v40, v46, v40
	v_add_f32_e32 v37, v40, v37
	v_add_f32_e32 v40, v42, v44
	;; [unrolled: 1-line block ×3, first 2 shown]
	v_sub_f32_e32 v41, v40, v42
	v_mul_f32_e32 v37, v45, v37
	v_sub_f32_e32 v41, v44, v41
	v_add_f32_e32 v37, v41, v37
	v_cvt_f32_i32_e32 v36, v36
	v_add_f32_e32 v41, v40, v37
	v_mul_f32_e32 v42, v41, v41
	v_mov_b32_e32 v43, 0x3ecc95a3
	v_fmac_f32_e32 v43, 0x3e9b6dac, v42
	v_mov_b32_e32 v44, 0x3f2aaada
	v_fmac_f32_e32 v44, v42, v43
	v_mul_f32_e32 v43, 0x3f317218, v36
	v_fma_f32 v45, v36, s30, -v43
	v_fmac_f32_e32 v45, 0xb102e308, v36
	v_sub_f32_e32 v36, v41, v40
	v_sub_f32_e32 v36, v37, v36
	v_add_f32_e32 v37, v43, v45
	v_sub_f32_e32 v40, v37, v43
	v_ldexp_f32 v43, v41, 1
	v_mul_f32_e32 v41, v41, v42
	v_mul_f32_e32 v41, v41, v44
	v_add_f32_e32 v42, v43, v41
	v_sub_f32_e32 v43, v42, v43
	v_ldexp_f32 v36, v36, 1
	v_sub_f32_e32 v41, v41, v43
	v_add_f32_e32 v36, v36, v41
	v_add_f32_e32 v41, v42, v36
	v_sub_f32_e32 v42, v41, v42
	v_sub_f32_e32 v36, v36, v42
	v_add_f32_e32 v42, v37, v41
	v_sub_f32_e32 v43, v42, v37
	v_sub_f32_e32 v44, v42, v43
	;; [unrolled: 1-line block ×5, first 2 shown]
	v_add_f32_e32 v37, v41, v37
	v_add_f32_e32 v41, v40, v36
	v_sub_f32_e32 v43, v41, v40
	v_sub_f32_e32 v44, v41, v43
	;; [unrolled: 1-line block ×4, first 2 shown]
	v_add_f32_e32 v37, v41, v37
	v_add_f32_e32 v36, v36, v40
	v_add_f32_e32 v40, v42, v37
	v_sub_f32_e32 v41, v40, v42
	v_sub_f32_e32 v37, v37, v41
	v_add_f32_e32 v36, v36, v37
	v_add_f32_e32 v36, v40, v36
	v_cmp_neq_f32_e32 vcc, s29, v39
	s_mov_b32 s29, 0x33800000
	v_cndmask_b32_e32 v36, v38, v36, vcc
	v_cmp_lt_f32_e64 vcc, |v39|, s29
	v_cndmask_b32_e32 v36, v36, v39, vcc
	v_add_f32_e32 v36, v35, v36
.LBB442_294:
	s_or_b64 exec, exec, s[26:27]
	v_bfe_u32 v35, v36, 16, 1
	v_add3_u32 v35, v36, v35, s28
	v_and_b32_e32 v35, 0xffff0000, v35
	v_cmp_o_f32_e32 vcc, v36, v36
	v_cndmask_b32_e32 v38, v34, v35, vcc
	v_mov_b32_e32 v34, 16
	v_lshlrev_b32_sdwa v7, v34, v7 dst_sel:DWORD dst_unused:UNUSED_PAD src0_sel:DWORD src1_sel:WORD_1
	v_max_f32_e32 v36, v38, v38
	v_max_f32_e32 v35, v7, v7
	v_min_f32_e32 v37, v36, v35
	v_cmp_u_f32_e32 vcc, v38, v38
	v_max_f32_e32 v36, v36, v35
	v_cndmask_b32_e32 v37, v37, v38, vcc
	v_cmp_u_f32_e64 s[26:27], v7, v7
	v_cndmask_b32_e32 v36, v36, v38, vcc
	v_cndmask_b32_e64 v37, v37, v7, s[26:27]
	v_cndmask_b32_e64 v36, v36, v7, s[26:27]
	s_movk_i32 s30, 0x1f8
	v_cmp_neq_f32_e32 vcc, v37, v36
	v_cmp_class_f32_e64 s[28:29], v37, s30
	s_or_b64 s[34:35], vcc, s[28:29]
	s_and_saveexec_b64 s[28:29], s[34:35]
	s_cbranch_execz .LBB442_296
; %bb.295:
	v_sub_f32_e32 v37, v37, v36
	s_mov_b32 s31, 0x3fb8aa3b
	v_mul_f32_e32 v38, 0x3fb8aa3b, v37
	v_fma_f32 v39, v37, s31, -v38
	v_rndne_f32_e32 v40, v38
	v_fmac_f32_e32 v39, 0x32a5705f, v37
	v_sub_f32_e32 v38, v38, v40
	v_add_f32_e32 v38, v38, v39
	v_exp_f32_e32 v38, v38
	v_cvt_i32_f32_e32 v39, v40
	s_mov_b32 s31, 0xc2ce8ed0
	v_cmp_ngt_f32_e32 vcc, s31, v37
	s_mov_b32 s31, 0x42b17218
	v_ldexp_f32 v38, v38, v39
	v_cndmask_b32_e32 v38, 0, v38, vcc
	v_mov_b32_e32 v39, 0x7f800000
	v_cmp_nlt_f32_e32 vcc, s31, v37
	v_cndmask_b32_e32 v40, v39, v38, vcc
	v_add_f32_e32 v41, 1.0, v40
	v_cvt_f64_f32_e32 v[37:38], v41
	v_add_f32_e32 v42, -1.0, v41
	v_sub_f32_e32 v43, v42, v41
	v_sub_f32_e32 v42, v40, v42
	v_frexp_exp_i32_f64_e32 v37, v[37:38]
	v_add_f32_e32 v38, 1.0, v43
	v_add_f32_e32 v38, v42, v38
	v_frexp_mant_f32_e32 v42, v41
	s_mov_b32 s34, 0x3f2aaaab
	v_cmp_gt_f32_e32 vcc, s34, v42
	s_mov_b32 s34, 0x3f317218
	s_mov_b32 s31, 0x7f800000
	v_subbrev_co_u32_e32 v37, vcc, 0, v37, vcc
	v_sub_u32_e32 v42, 0, v37
	v_ldexp_f32 v41, v41, v42
	v_ldexp_f32 v38, v38, v42
	v_add_f32_e32 v42, -1.0, v41
	v_add_f32_e32 v45, 1.0, v41
	v_add_f32_e32 v43, 1.0, v42
	v_add_f32_e32 v46, -1.0, v45
	v_sub_f32_e32 v43, v41, v43
	v_sub_f32_e32 v41, v41, v46
	v_add_f32_e32 v43, v38, v43
	v_add_f32_e32 v38, v38, v41
	;; [unrolled: 1-line block ×3, first 2 shown]
	v_rcp_f32_e32 v46, v41
	v_add_f32_e32 v44, v42, v43
	v_sub_f32_e32 v42, v42, v44
	v_add_f32_e32 v42, v43, v42
	v_sub_f32_e32 v43, v45, v41
	v_add_f32_e32 v38, v38, v43
	v_mul_f32_e32 v43, v44, v46
	v_mul_f32_e32 v45, v41, v43
	v_fma_f32 v47, v43, v41, -v45
	v_fmac_f32_e32 v47, v43, v38
	v_add_f32_e32 v48, v45, v47
	v_sub_f32_e32 v49, v44, v48
	v_sub_f32_e32 v44, v44, v49
	;; [unrolled: 1-line block ×4, first 2 shown]
	v_add_f32_e32 v42, v42, v44
	v_sub_f32_e32 v44, v45, v47
	v_add_f32_e32 v42, v44, v42
	v_add_f32_e32 v44, v49, v42
	v_mul_f32_e32 v45, v46, v44
	v_mul_f32_e32 v47, v41, v45
	v_fma_f32 v41, v45, v41, -v47
	v_fmac_f32_e32 v41, v45, v38
	v_sub_f32_e32 v38, v49, v44
	v_add_f32_e32 v38, v42, v38
	v_add_f32_e32 v42, v47, v41
	v_sub_f32_e32 v48, v44, v42
	v_sub_f32_e32 v44, v44, v48
	;; [unrolled: 1-line block ×4, first 2 shown]
	v_add_f32_e32 v38, v38, v42
	v_sub_f32_e32 v41, v47, v41
	v_add_f32_e32 v38, v41, v38
	v_add_f32_e32 v41, v43, v45
	v_add_f32_e32 v38, v48, v38
	v_sub_f32_e32 v42, v41, v43
	v_mul_f32_e32 v38, v46, v38
	v_sub_f32_e32 v42, v45, v42
	v_add_f32_e32 v38, v42, v38
	v_cvt_f32_i32_e32 v37, v37
	v_add_f32_e32 v42, v41, v38
	v_mul_f32_e32 v43, v42, v42
	v_mov_b32_e32 v44, 0x3ecc95a3
	v_fmac_f32_e32 v44, 0x3e9b6dac, v43
	v_mov_b32_e32 v45, 0x3f2aaada
	v_fmac_f32_e32 v45, v43, v44
	v_mul_f32_e32 v44, 0x3f317218, v37
	v_fma_f32 v46, v37, s34, -v44
	v_fmac_f32_e32 v46, 0xb102e308, v37
	v_sub_f32_e32 v37, v42, v41
	v_sub_f32_e32 v37, v38, v37
	v_add_f32_e32 v38, v44, v46
	v_sub_f32_e32 v41, v38, v44
	v_ldexp_f32 v44, v42, 1
	v_mul_f32_e32 v42, v42, v43
	v_mul_f32_e32 v42, v42, v45
	v_add_f32_e32 v43, v44, v42
	v_sub_f32_e32 v44, v43, v44
	v_ldexp_f32 v37, v37, 1
	v_sub_f32_e32 v42, v42, v44
	v_add_f32_e32 v37, v37, v42
	v_add_f32_e32 v42, v43, v37
	v_sub_f32_e32 v43, v42, v43
	v_sub_f32_e32 v37, v37, v43
	v_add_f32_e32 v43, v38, v42
	v_sub_f32_e32 v44, v43, v38
	v_sub_f32_e32 v45, v43, v44
	;; [unrolled: 1-line block ×5, first 2 shown]
	v_add_f32_e32 v38, v42, v38
	v_add_f32_e32 v42, v41, v37
	v_sub_f32_e32 v44, v42, v41
	v_sub_f32_e32 v45, v42, v44
	;; [unrolled: 1-line block ×4, first 2 shown]
	v_add_f32_e32 v38, v42, v38
	v_add_f32_e32 v37, v37, v41
	;; [unrolled: 1-line block ×3, first 2 shown]
	v_sub_f32_e32 v42, v41, v43
	v_sub_f32_e32 v38, v38, v42
	v_add_f32_e32 v37, v37, v38
	v_add_f32_e32 v37, v41, v37
	v_cmp_neq_f32_e32 vcc, s31, v40
	s_mov_b32 s31, 0x33800000
	v_cndmask_b32_e32 v37, v39, v37, vcc
	v_cmp_lt_f32_e64 vcc, |v40|, s31
	v_cndmask_b32_e32 v37, v37, v40, vcc
	v_add_f32_e32 v38, v36, v37
.LBB442_296:
	s_or_b64 exec, exec, s[28:29]
	v_bfe_u32 v36, v38, 16, 1
	s_movk_i32 s34, 0x7fff
	v_add3_u32 v36, v38, v36, s34
	v_and_b32_e32 v36, 0xffff0000, v36
	v_mov_b32_e32 v37, 0x7fc00000
	v_cmp_o_f32_e32 vcc, v38, v38
	v_cndmask_b32_e32 v39, v37, v36, vcc
	v_lshlrev_b32_sdwa v34, v34, v8 dst_sel:DWORD dst_unused:UNUSED_PAD src0_sel:DWORD src1_sel:WORD_0
	v_max_f32_e32 v38, v39, v39
	v_max_f32_e32 v36, v34, v34
	v_min_f32_e32 v40, v38, v36
	v_cmp_u_f32_e32 vcc, v39, v39
	v_max_f32_e32 v38, v38, v36
	v_cndmask_b32_e32 v40, v40, v39, vcc
	v_cmp_u_f32_e64 s[28:29], v34, v34
	v_cndmask_b32_e32 v38, v38, v39, vcc
	v_cndmask_b32_e64 v40, v40, v34, s[28:29]
	v_cndmask_b32_e64 v38, v38, v34, s[28:29]
	v_cmp_neq_f32_e32 vcc, v40, v38
	v_cmp_class_f32_e64 s[30:31], v40, s30
	s_or_b64 s[36:37], vcc, s[30:31]
	s_and_saveexec_b64 s[30:31], s[36:37]
	s_cbranch_execz .LBB442_298
; %bb.297:
	v_sub_f32_e32 v39, v40, v38
	s_mov_b32 s35, 0x3fb8aa3b
	v_mul_f32_e32 v40, 0x3fb8aa3b, v39
	v_fma_f32 v41, v39, s35, -v40
	v_rndne_f32_e32 v42, v40
	v_fmac_f32_e32 v41, 0x32a5705f, v39
	v_sub_f32_e32 v40, v40, v42
	v_add_f32_e32 v40, v40, v41
	v_exp_f32_e32 v40, v40
	v_cvt_i32_f32_e32 v41, v42
	s_mov_b32 s35, 0xc2ce8ed0
	v_cmp_ngt_f32_e32 vcc, s35, v39
	s_mov_b32 s35, 0x42b17218
	v_ldexp_f32 v40, v40, v41
	v_cndmask_b32_e32 v40, 0, v40, vcc
	v_mov_b32_e32 v41, 0x7f800000
	v_cmp_nlt_f32_e32 vcc, s35, v39
	v_cndmask_b32_e32 v42, v41, v40, vcc
	v_add_f32_e32 v43, 1.0, v42
	v_cvt_f64_f32_e32 v[39:40], v43
	v_add_f32_e32 v44, -1.0, v43
	v_sub_f32_e32 v45, v44, v43
	v_sub_f32_e32 v44, v42, v44
	v_frexp_exp_i32_f64_e32 v39, v[39:40]
	v_add_f32_e32 v40, 1.0, v45
	v_add_f32_e32 v40, v44, v40
	v_frexp_mant_f32_e32 v44, v43
	s_mov_b32 s36, 0x3f2aaaab
	v_cmp_gt_f32_e32 vcc, s36, v44
	s_mov_b32 s36, 0x3f317218
	s_mov_b32 s35, 0x7f800000
	v_subbrev_co_u32_e32 v39, vcc, 0, v39, vcc
	v_sub_u32_e32 v44, 0, v39
	v_ldexp_f32 v43, v43, v44
	v_ldexp_f32 v40, v40, v44
	v_add_f32_e32 v44, -1.0, v43
	v_add_f32_e32 v47, 1.0, v43
	v_add_f32_e32 v45, 1.0, v44
	v_add_f32_e32 v48, -1.0, v47
	v_sub_f32_e32 v45, v43, v45
	v_sub_f32_e32 v43, v43, v48
	v_add_f32_e32 v45, v40, v45
	v_add_f32_e32 v40, v40, v43
	;; [unrolled: 1-line block ×3, first 2 shown]
	v_rcp_f32_e32 v48, v43
	v_add_f32_e32 v46, v44, v45
	v_sub_f32_e32 v44, v44, v46
	v_add_f32_e32 v44, v45, v44
	v_sub_f32_e32 v45, v47, v43
	v_add_f32_e32 v40, v40, v45
	v_mul_f32_e32 v45, v46, v48
	v_mul_f32_e32 v47, v43, v45
	v_fma_f32 v49, v45, v43, -v47
	v_fmac_f32_e32 v49, v45, v40
	v_add_f32_e32 v54, v47, v49
	v_sub_f32_e32 v55, v46, v54
	v_sub_f32_e32 v46, v46, v55
	;; [unrolled: 1-line block ×4, first 2 shown]
	v_add_f32_e32 v44, v44, v46
	v_sub_f32_e32 v46, v47, v49
	v_add_f32_e32 v44, v46, v44
	v_add_f32_e32 v46, v55, v44
	v_mul_f32_e32 v47, v48, v46
	v_mul_f32_e32 v49, v43, v47
	v_fma_f32 v43, v47, v43, -v49
	v_fmac_f32_e32 v43, v47, v40
	v_sub_f32_e32 v40, v55, v46
	v_add_f32_e32 v40, v44, v40
	v_add_f32_e32 v44, v49, v43
	v_sub_f32_e32 v54, v46, v44
	v_sub_f32_e32 v46, v46, v54
	;; [unrolled: 1-line block ×4, first 2 shown]
	v_add_f32_e32 v40, v40, v44
	v_sub_f32_e32 v43, v49, v43
	v_add_f32_e32 v40, v43, v40
	v_add_f32_e32 v43, v45, v47
	;; [unrolled: 1-line block ×3, first 2 shown]
	v_sub_f32_e32 v44, v43, v45
	v_mul_f32_e32 v40, v48, v40
	v_sub_f32_e32 v44, v47, v44
	v_add_f32_e32 v40, v44, v40
	v_cvt_f32_i32_e32 v39, v39
	v_add_f32_e32 v44, v43, v40
	v_mul_f32_e32 v45, v44, v44
	v_mov_b32_e32 v46, 0x3ecc95a3
	v_fmac_f32_e32 v46, 0x3e9b6dac, v45
	v_mov_b32_e32 v47, 0x3f2aaada
	v_fmac_f32_e32 v47, v45, v46
	v_mul_f32_e32 v46, 0x3f317218, v39
	v_fma_f32 v48, v39, s36, -v46
	v_fmac_f32_e32 v48, 0xb102e308, v39
	v_sub_f32_e32 v39, v44, v43
	v_sub_f32_e32 v39, v40, v39
	v_add_f32_e32 v40, v46, v48
	v_sub_f32_e32 v43, v40, v46
	v_ldexp_f32 v46, v44, 1
	v_mul_f32_e32 v44, v44, v45
	v_mul_f32_e32 v44, v44, v47
	v_add_f32_e32 v45, v46, v44
	v_sub_f32_e32 v46, v45, v46
	v_ldexp_f32 v39, v39, 1
	v_sub_f32_e32 v44, v44, v46
	v_add_f32_e32 v39, v39, v44
	v_add_f32_e32 v44, v45, v39
	v_sub_f32_e32 v45, v44, v45
	v_sub_f32_e32 v39, v39, v45
	v_add_f32_e32 v45, v40, v44
	v_sub_f32_e32 v46, v45, v40
	v_sub_f32_e32 v47, v45, v46
	;; [unrolled: 1-line block ×5, first 2 shown]
	v_add_f32_e32 v40, v44, v40
	v_add_f32_e32 v44, v43, v39
	v_sub_f32_e32 v46, v44, v43
	v_sub_f32_e32 v47, v44, v46
	;; [unrolled: 1-line block ×4, first 2 shown]
	v_add_f32_e32 v40, v44, v40
	v_add_f32_e32 v39, v39, v43
	;; [unrolled: 1-line block ×3, first 2 shown]
	v_sub_f32_e32 v44, v43, v45
	v_sub_f32_e32 v40, v40, v44
	v_add_f32_e32 v39, v39, v40
	v_add_f32_e32 v39, v43, v39
	v_cmp_neq_f32_e32 vcc, s35, v42
	s_mov_b32 s35, 0x33800000
	v_cndmask_b32_e32 v39, v41, v39, vcc
	v_cmp_lt_f32_e64 vcc, |v42|, s35
	v_cndmask_b32_e32 v39, v39, v42, vcc
	v_add_f32_e32 v39, v38, v39
.LBB442_298:
	s_or_b64 exec, exec, s[30:31]
	v_bfe_u32 v38, v39, 16, 1
	v_add3_u32 v38, v39, v38, s34
	v_and_b32_e32 v38, 0xffff0000, v38
	v_cmp_o_f32_e32 vcc, v39, v39
	v_cndmask_b32_e32 v41, v37, v38, vcc
	v_mov_b32_e32 v37, 16
	v_lshlrev_b32_sdwa v8, v37, v8 dst_sel:DWORD dst_unused:UNUSED_PAD src0_sel:DWORD src1_sel:WORD_1
	v_max_f32_e32 v39, v41, v41
	v_max_f32_e32 v38, v8, v8
	v_min_f32_e32 v40, v39, v38
	v_cmp_u_f32_e32 vcc, v41, v41
	v_max_f32_e32 v39, v39, v38
	v_cndmask_b32_e32 v40, v40, v41, vcc
	v_cmp_u_f32_e64 s[30:31], v8, v8
	v_cndmask_b32_e32 v39, v39, v41, vcc
	v_cndmask_b32_e64 v40, v40, v8, s[30:31]
	v_cndmask_b32_e64 v39, v39, v8, s[30:31]
	s_movk_i32 s36, 0x1f8
	v_cmp_neq_f32_e32 vcc, v40, v39
	v_cmp_class_f32_e64 s[34:35], v40, s36
	s_or_b64 s[38:39], vcc, s[34:35]
	s_and_saveexec_b64 s[34:35], s[38:39]
	s_cbranch_execz .LBB442_300
; %bb.299:
	v_sub_f32_e32 v40, v40, v39
	s_mov_b32 s37, 0x3fb8aa3b
	v_mul_f32_e32 v41, 0x3fb8aa3b, v40
	v_fma_f32 v42, v40, s37, -v41
	v_rndne_f32_e32 v43, v41
	v_fmac_f32_e32 v42, 0x32a5705f, v40
	v_sub_f32_e32 v41, v41, v43
	v_add_f32_e32 v41, v41, v42
	v_exp_f32_e32 v41, v41
	v_cvt_i32_f32_e32 v42, v43
	s_mov_b32 s37, 0xc2ce8ed0
	v_cmp_ngt_f32_e32 vcc, s37, v40
	s_mov_b32 s37, 0x42b17218
	v_ldexp_f32 v41, v41, v42
	v_cndmask_b32_e32 v41, 0, v41, vcc
	v_mov_b32_e32 v42, 0x7f800000
	v_cmp_nlt_f32_e32 vcc, s37, v40
	v_cndmask_b32_e32 v43, v42, v41, vcc
	v_add_f32_e32 v44, 1.0, v43
	v_cvt_f64_f32_e32 v[40:41], v44
	v_add_f32_e32 v45, -1.0, v44
	v_sub_f32_e32 v46, v45, v44
	v_sub_f32_e32 v45, v43, v45
	v_frexp_exp_i32_f64_e32 v40, v[40:41]
	v_add_f32_e32 v41, 1.0, v46
	v_add_f32_e32 v41, v45, v41
	v_frexp_mant_f32_e32 v45, v44
	s_mov_b32 s38, 0x3f2aaaab
	v_cmp_gt_f32_e32 vcc, s38, v45
	s_mov_b32 s38, 0x3f317218
	s_mov_b32 s37, 0x7f800000
	v_subbrev_co_u32_e32 v40, vcc, 0, v40, vcc
	v_sub_u32_e32 v45, 0, v40
	v_ldexp_f32 v44, v44, v45
	v_ldexp_f32 v41, v41, v45
	v_add_f32_e32 v45, -1.0, v44
	v_add_f32_e32 v48, 1.0, v44
	v_add_f32_e32 v46, 1.0, v45
	v_add_f32_e32 v49, -1.0, v48
	v_sub_f32_e32 v46, v44, v46
	v_sub_f32_e32 v44, v44, v49
	v_add_f32_e32 v46, v41, v46
	v_add_f32_e32 v41, v41, v44
	;; [unrolled: 1-line block ×3, first 2 shown]
	v_rcp_f32_e32 v49, v44
	v_add_f32_e32 v47, v45, v46
	v_sub_f32_e32 v45, v45, v47
	v_add_f32_e32 v45, v46, v45
	v_sub_f32_e32 v46, v48, v44
	v_add_f32_e32 v41, v41, v46
	v_mul_f32_e32 v46, v47, v49
	v_mul_f32_e32 v48, v44, v46
	v_fma_f32 v54, v46, v44, -v48
	v_fmac_f32_e32 v54, v46, v41
	v_add_f32_e32 v55, v48, v54
	v_sub_f32_e32 v56, v47, v55
	v_sub_f32_e32 v47, v47, v56
	;; [unrolled: 1-line block ×4, first 2 shown]
	v_add_f32_e32 v45, v45, v47
	v_sub_f32_e32 v47, v48, v54
	v_add_f32_e32 v45, v47, v45
	v_add_f32_e32 v47, v56, v45
	v_mul_f32_e32 v48, v49, v47
	v_mul_f32_e32 v54, v44, v48
	v_fma_f32 v44, v48, v44, -v54
	v_fmac_f32_e32 v44, v48, v41
	v_sub_f32_e32 v41, v56, v47
	v_add_f32_e32 v41, v45, v41
	v_add_f32_e32 v45, v54, v44
	v_sub_f32_e32 v55, v47, v45
	v_sub_f32_e32 v47, v47, v55
	;; [unrolled: 1-line block ×4, first 2 shown]
	v_add_f32_e32 v41, v41, v45
	v_sub_f32_e32 v44, v54, v44
	v_add_f32_e32 v41, v44, v41
	v_add_f32_e32 v44, v46, v48
	;; [unrolled: 1-line block ×3, first 2 shown]
	v_sub_f32_e32 v45, v44, v46
	v_mul_f32_e32 v41, v49, v41
	v_sub_f32_e32 v45, v48, v45
	v_add_f32_e32 v41, v45, v41
	v_cvt_f32_i32_e32 v40, v40
	v_add_f32_e32 v45, v44, v41
	v_mul_f32_e32 v46, v45, v45
	v_mov_b32_e32 v47, 0x3ecc95a3
	v_fmac_f32_e32 v47, 0x3e9b6dac, v46
	v_mov_b32_e32 v48, 0x3f2aaada
	v_fmac_f32_e32 v48, v46, v47
	v_mul_f32_e32 v47, 0x3f317218, v40
	v_fma_f32 v49, v40, s38, -v47
	v_fmac_f32_e32 v49, 0xb102e308, v40
	v_sub_f32_e32 v40, v45, v44
	v_sub_f32_e32 v40, v41, v40
	v_add_f32_e32 v41, v47, v49
	v_sub_f32_e32 v44, v41, v47
	v_ldexp_f32 v47, v45, 1
	v_mul_f32_e32 v45, v45, v46
	v_mul_f32_e32 v45, v45, v48
	v_add_f32_e32 v46, v47, v45
	v_sub_f32_e32 v47, v46, v47
	v_ldexp_f32 v40, v40, 1
	v_sub_f32_e32 v45, v45, v47
	v_add_f32_e32 v40, v40, v45
	v_add_f32_e32 v45, v46, v40
	v_sub_f32_e32 v46, v45, v46
	v_sub_f32_e32 v40, v40, v46
	v_add_f32_e32 v46, v41, v45
	v_sub_f32_e32 v47, v46, v41
	v_sub_f32_e32 v48, v46, v47
	;; [unrolled: 1-line block ×5, first 2 shown]
	v_add_f32_e32 v41, v45, v41
	v_add_f32_e32 v45, v44, v40
	v_sub_f32_e32 v47, v45, v44
	v_sub_f32_e32 v48, v45, v47
	;; [unrolled: 1-line block ×4, first 2 shown]
	v_add_f32_e32 v41, v45, v41
	v_add_f32_e32 v40, v40, v44
	;; [unrolled: 1-line block ×3, first 2 shown]
	v_sub_f32_e32 v45, v44, v46
	v_sub_f32_e32 v41, v41, v45
	v_add_f32_e32 v40, v40, v41
	v_add_f32_e32 v40, v44, v40
	v_cmp_neq_f32_e32 vcc, s37, v43
	s_mov_b32 s37, 0x33800000
	v_cndmask_b32_e32 v40, v42, v40, vcc
	v_cmp_lt_f32_e64 vcc, |v43|, s37
	v_cndmask_b32_e32 v40, v40, v43, vcc
	v_add_f32_e32 v41, v39, v40
.LBB442_300:
	s_or_b64 exec, exec, s[34:35]
	v_bfe_u32 v39, v41, 16, 1
	s_movk_i32 s38, 0x7fff
	v_add3_u32 v39, v41, v39, s38
	v_and_b32_e32 v39, 0xffff0000, v39
	v_mov_b32_e32 v40, 0x7fc00000
	v_cmp_o_f32_e32 vcc, v41, v41
	v_cndmask_b32_e32 v42, v40, v39, vcc
	v_lshlrev_b32_sdwa v37, v37, v1 dst_sel:DWORD dst_unused:UNUSED_PAD src0_sel:DWORD src1_sel:WORD_0
	v_max_f32_e32 v41, v42, v42
	v_max_f32_e32 v39, v37, v37
	v_min_f32_e32 v43, v41, v39
	v_cmp_u_f32_e32 vcc, v42, v42
	v_max_f32_e32 v41, v41, v39
	v_cndmask_b32_e32 v43, v43, v42, vcc
	v_cmp_u_f32_e64 s[34:35], v37, v37
	v_cndmask_b32_e32 v41, v41, v42, vcc
	v_cndmask_b32_e64 v43, v43, v37, s[34:35]
	v_cndmask_b32_e64 v41, v41, v37, s[34:35]
	v_cmp_neq_f32_e32 vcc, v43, v41
	v_cmp_class_f32_e64 s[36:37], v43, s36
	s_or_b64 s[40:41], vcc, s[36:37]
	s_and_saveexec_b64 s[36:37], s[40:41]
	s_cbranch_execz .LBB442_302
; %bb.301:
	v_sub_f32_e32 v42, v43, v41
	s_mov_b32 s39, 0x3fb8aa3b
	v_mul_f32_e32 v43, 0x3fb8aa3b, v42
	v_fma_f32 v44, v42, s39, -v43
	v_rndne_f32_e32 v45, v43
	v_fmac_f32_e32 v44, 0x32a5705f, v42
	v_sub_f32_e32 v43, v43, v45
	v_add_f32_e32 v43, v43, v44
	v_exp_f32_e32 v43, v43
	v_cvt_i32_f32_e32 v44, v45
	s_mov_b32 s39, 0xc2ce8ed0
	v_cmp_ngt_f32_e32 vcc, s39, v42
	s_mov_b32 s39, 0x42b17218
	v_ldexp_f32 v43, v43, v44
	v_cndmask_b32_e32 v43, 0, v43, vcc
	v_mov_b32_e32 v44, 0x7f800000
	v_cmp_nlt_f32_e32 vcc, s39, v42
	v_cndmask_b32_e32 v45, v44, v43, vcc
	v_add_f32_e32 v46, 1.0, v45
	v_cvt_f64_f32_e32 v[42:43], v46
	v_add_f32_e32 v47, -1.0, v46
	v_sub_f32_e32 v48, v47, v46
	v_sub_f32_e32 v47, v45, v47
	v_frexp_exp_i32_f64_e32 v42, v[42:43]
	v_add_f32_e32 v43, 1.0, v48
	v_add_f32_e32 v43, v47, v43
	v_frexp_mant_f32_e32 v47, v46
	s_mov_b32 s40, 0x3f2aaaab
	v_cmp_gt_f32_e32 vcc, s40, v47
	s_mov_b32 s40, 0x3f317218
	s_mov_b32 s39, 0x7f800000
	v_subbrev_co_u32_e32 v42, vcc, 0, v42, vcc
	v_sub_u32_e32 v47, 0, v42
	v_ldexp_f32 v46, v46, v47
	v_ldexp_f32 v43, v43, v47
	v_add_f32_e32 v47, -1.0, v46
	v_add_f32_e32 v54, 1.0, v46
	v_add_f32_e32 v48, 1.0, v47
	v_add_f32_e32 v55, -1.0, v54
	v_sub_f32_e32 v48, v46, v48
	v_sub_f32_e32 v46, v46, v55
	v_add_f32_e32 v48, v43, v48
	v_add_f32_e32 v43, v43, v46
	;; [unrolled: 1-line block ×3, first 2 shown]
	v_rcp_f32_e32 v55, v46
	v_add_f32_e32 v49, v47, v48
	v_sub_f32_e32 v47, v47, v49
	v_add_f32_e32 v47, v48, v47
	v_sub_f32_e32 v48, v54, v46
	v_add_f32_e32 v43, v43, v48
	v_mul_f32_e32 v48, v49, v55
	v_mul_f32_e32 v54, v46, v48
	v_fma_f32 v56, v48, v46, -v54
	v_fmac_f32_e32 v56, v48, v43
	v_add_f32_e32 v57, v54, v56
	v_sub_f32_e32 v58, v49, v57
	v_sub_f32_e32 v49, v49, v58
	;; [unrolled: 1-line block ×4, first 2 shown]
	v_add_f32_e32 v47, v47, v49
	v_sub_f32_e32 v49, v54, v56
	v_add_f32_e32 v47, v49, v47
	v_add_f32_e32 v49, v58, v47
	v_mul_f32_e32 v54, v55, v49
	v_mul_f32_e32 v56, v46, v54
	v_fma_f32 v46, v54, v46, -v56
	v_fmac_f32_e32 v46, v54, v43
	v_sub_f32_e32 v43, v58, v49
	v_add_f32_e32 v43, v47, v43
	v_add_f32_e32 v47, v56, v46
	v_sub_f32_e32 v57, v49, v47
	v_sub_f32_e32 v49, v49, v57
	;; [unrolled: 1-line block ×4, first 2 shown]
	v_add_f32_e32 v43, v43, v47
	v_sub_f32_e32 v46, v56, v46
	v_add_f32_e32 v43, v46, v43
	v_add_f32_e32 v46, v48, v54
	;; [unrolled: 1-line block ×3, first 2 shown]
	v_sub_f32_e32 v47, v46, v48
	v_mul_f32_e32 v43, v55, v43
	v_sub_f32_e32 v47, v54, v47
	v_add_f32_e32 v43, v47, v43
	v_cvt_f32_i32_e32 v42, v42
	v_add_f32_e32 v47, v46, v43
	v_mul_f32_e32 v48, v47, v47
	v_mov_b32_e32 v49, 0x3ecc95a3
	v_fmac_f32_e32 v49, 0x3e9b6dac, v48
	v_mov_b32_e32 v54, 0x3f2aaada
	v_fmac_f32_e32 v54, v48, v49
	v_mul_f32_e32 v49, 0x3f317218, v42
	v_fma_f32 v55, v42, s40, -v49
	v_fmac_f32_e32 v55, 0xb102e308, v42
	v_sub_f32_e32 v42, v47, v46
	v_sub_f32_e32 v42, v43, v42
	v_add_f32_e32 v43, v49, v55
	v_sub_f32_e32 v46, v43, v49
	v_ldexp_f32 v49, v47, 1
	v_mul_f32_e32 v47, v47, v48
	v_mul_f32_e32 v47, v47, v54
	v_add_f32_e32 v48, v49, v47
	v_sub_f32_e32 v49, v48, v49
	v_ldexp_f32 v42, v42, 1
	v_sub_f32_e32 v47, v47, v49
	v_add_f32_e32 v42, v42, v47
	v_add_f32_e32 v47, v48, v42
	v_sub_f32_e32 v48, v47, v48
	v_sub_f32_e32 v42, v42, v48
	v_add_f32_e32 v48, v43, v47
	v_sub_f32_e32 v49, v48, v43
	v_sub_f32_e32 v54, v48, v49
	;; [unrolled: 1-line block ×5, first 2 shown]
	v_add_f32_e32 v43, v47, v43
	v_add_f32_e32 v47, v46, v42
	v_sub_f32_e32 v49, v47, v46
	v_sub_f32_e32 v54, v47, v49
	;; [unrolled: 1-line block ×4, first 2 shown]
	v_add_f32_e32 v43, v47, v43
	v_add_f32_e32 v42, v42, v46
	;; [unrolled: 1-line block ×3, first 2 shown]
	v_sub_f32_e32 v47, v46, v48
	v_sub_f32_e32 v43, v43, v47
	v_add_f32_e32 v42, v42, v43
	v_add_f32_e32 v42, v46, v42
	v_cmp_neq_f32_e32 vcc, s39, v45
	s_mov_b32 s39, 0x33800000
	v_cndmask_b32_e32 v42, v44, v42, vcc
	v_cmp_lt_f32_e64 vcc, |v45|, s39
	v_cndmask_b32_e32 v42, v42, v45, vcc
	v_add_f32_e32 v42, v41, v42
.LBB442_302:
	s_or_b64 exec, exec, s[36:37]
	v_bfe_u32 v41, v42, 16, 1
	v_add3_u32 v41, v42, v41, s38
	v_and_b32_e32 v41, 0xffff0000, v41
	v_cmp_o_f32_e32 vcc, v42, v42
	v_cndmask_b32_e32 v44, v40, v41, vcc
	v_mov_b32_e32 v40, 16
	v_lshlrev_b32_sdwa v1, v40, v1 dst_sel:DWORD dst_unused:UNUSED_PAD src0_sel:DWORD src1_sel:WORD_1
	v_max_f32_e32 v42, v44, v44
	v_max_f32_e32 v41, v1, v1
	v_min_f32_e32 v43, v42, v41
	v_cmp_u_f32_e32 vcc, v44, v44
	v_max_f32_e32 v42, v42, v41
	v_cndmask_b32_e32 v43, v43, v44, vcc
	v_cmp_u_f32_e64 s[36:37], v1, v1
	v_cndmask_b32_e32 v42, v42, v44, vcc
	v_cndmask_b32_e64 v43, v43, v1, s[36:37]
	v_cndmask_b32_e64 v42, v42, v1, s[36:37]
	s_movk_i32 s40, 0x1f8
	v_cmp_neq_f32_e32 vcc, v43, v42
	v_cmp_class_f32_e64 s[38:39], v43, s40
	s_or_b64 s[42:43], vcc, s[38:39]
	s_and_saveexec_b64 s[38:39], s[42:43]
	s_cbranch_execz .LBB442_304
; %bb.303:
	v_sub_f32_e32 v43, v43, v42
	s_mov_b32 s41, 0x3fb8aa3b
	v_mul_f32_e32 v44, 0x3fb8aa3b, v43
	v_fma_f32 v45, v43, s41, -v44
	v_rndne_f32_e32 v46, v44
	v_fmac_f32_e32 v45, 0x32a5705f, v43
	v_sub_f32_e32 v44, v44, v46
	v_add_f32_e32 v44, v44, v45
	v_exp_f32_e32 v44, v44
	v_cvt_i32_f32_e32 v45, v46
	s_mov_b32 s41, 0xc2ce8ed0
	v_cmp_ngt_f32_e32 vcc, s41, v43
	s_mov_b32 s41, 0x42b17218
	v_ldexp_f32 v44, v44, v45
	v_cndmask_b32_e32 v44, 0, v44, vcc
	v_mov_b32_e32 v45, 0x7f800000
	v_cmp_nlt_f32_e32 vcc, s41, v43
	v_cndmask_b32_e32 v46, v45, v44, vcc
	v_add_f32_e32 v47, 1.0, v46
	v_cvt_f64_f32_e32 v[43:44], v47
	v_add_f32_e32 v48, -1.0, v47
	v_sub_f32_e32 v49, v48, v47
	v_sub_f32_e32 v48, v46, v48
	v_frexp_exp_i32_f64_e32 v43, v[43:44]
	v_add_f32_e32 v44, 1.0, v49
	v_add_f32_e32 v44, v48, v44
	v_frexp_mant_f32_e32 v48, v47
	s_mov_b32 s42, 0x3f2aaaab
	v_cmp_gt_f32_e32 vcc, s42, v48
	s_mov_b32 s42, 0x3f317218
	s_mov_b32 s41, 0x7f800000
	v_subbrev_co_u32_e32 v43, vcc, 0, v43, vcc
	v_sub_u32_e32 v48, 0, v43
	v_ldexp_f32 v47, v47, v48
	v_ldexp_f32 v44, v44, v48
	v_add_f32_e32 v48, -1.0, v47
	v_add_f32_e32 v55, 1.0, v47
	v_add_f32_e32 v49, 1.0, v48
	v_add_f32_e32 v56, -1.0, v55
	v_sub_f32_e32 v49, v47, v49
	v_sub_f32_e32 v47, v47, v56
	v_add_f32_e32 v49, v44, v49
	v_add_f32_e32 v44, v44, v47
	;; [unrolled: 1-line block ×3, first 2 shown]
	v_rcp_f32_e32 v56, v47
	v_add_f32_e32 v54, v48, v49
	v_sub_f32_e32 v48, v48, v54
	v_add_f32_e32 v48, v49, v48
	v_sub_f32_e32 v49, v55, v47
	v_add_f32_e32 v44, v44, v49
	v_mul_f32_e32 v49, v54, v56
	v_mul_f32_e32 v55, v47, v49
	v_fma_f32 v57, v49, v47, -v55
	v_fmac_f32_e32 v57, v49, v44
	v_add_f32_e32 v58, v55, v57
	v_sub_f32_e32 v59, v54, v58
	v_sub_f32_e32 v54, v54, v59
	;; [unrolled: 1-line block ×4, first 2 shown]
	v_add_f32_e32 v48, v48, v54
	v_sub_f32_e32 v54, v55, v57
	v_add_f32_e32 v48, v54, v48
	v_add_f32_e32 v54, v59, v48
	v_mul_f32_e32 v55, v56, v54
	v_mul_f32_e32 v57, v47, v55
	v_fma_f32 v47, v55, v47, -v57
	v_fmac_f32_e32 v47, v55, v44
	v_sub_f32_e32 v44, v59, v54
	v_add_f32_e32 v44, v48, v44
	v_add_f32_e32 v48, v57, v47
	v_sub_f32_e32 v58, v54, v48
	v_sub_f32_e32 v54, v54, v58
	;; [unrolled: 1-line block ×4, first 2 shown]
	v_add_f32_e32 v44, v44, v48
	v_sub_f32_e32 v47, v57, v47
	v_add_f32_e32 v44, v47, v44
	v_add_f32_e32 v47, v49, v55
	;; [unrolled: 1-line block ×3, first 2 shown]
	v_sub_f32_e32 v48, v47, v49
	v_mul_f32_e32 v44, v56, v44
	v_sub_f32_e32 v48, v55, v48
	v_add_f32_e32 v44, v48, v44
	v_cvt_f32_i32_e32 v43, v43
	v_add_f32_e32 v48, v47, v44
	v_mul_f32_e32 v49, v48, v48
	v_mov_b32_e32 v54, 0x3ecc95a3
	v_fmac_f32_e32 v54, 0x3e9b6dac, v49
	v_mov_b32_e32 v55, 0x3f2aaada
	v_fmac_f32_e32 v55, v49, v54
	v_mul_f32_e32 v54, 0x3f317218, v43
	v_fma_f32 v56, v43, s42, -v54
	v_fmac_f32_e32 v56, 0xb102e308, v43
	v_sub_f32_e32 v43, v48, v47
	v_sub_f32_e32 v43, v44, v43
	v_add_f32_e32 v44, v54, v56
	v_sub_f32_e32 v47, v44, v54
	v_ldexp_f32 v54, v48, 1
	v_mul_f32_e32 v48, v48, v49
	v_mul_f32_e32 v48, v48, v55
	v_add_f32_e32 v49, v54, v48
	v_sub_f32_e32 v54, v49, v54
	v_ldexp_f32 v43, v43, 1
	v_sub_f32_e32 v48, v48, v54
	v_add_f32_e32 v43, v43, v48
	v_add_f32_e32 v48, v49, v43
	v_sub_f32_e32 v49, v48, v49
	v_sub_f32_e32 v43, v43, v49
	v_add_f32_e32 v49, v44, v48
	v_sub_f32_e32 v54, v49, v44
	v_sub_f32_e32 v55, v49, v54
	;; [unrolled: 1-line block ×5, first 2 shown]
	v_add_f32_e32 v44, v48, v44
	v_add_f32_e32 v48, v47, v43
	v_sub_f32_e32 v54, v48, v47
	v_sub_f32_e32 v55, v48, v54
	;; [unrolled: 1-line block ×4, first 2 shown]
	v_add_f32_e32 v44, v48, v44
	v_add_f32_e32 v43, v43, v47
	;; [unrolled: 1-line block ×3, first 2 shown]
	v_sub_f32_e32 v48, v47, v49
	v_sub_f32_e32 v44, v44, v48
	v_add_f32_e32 v43, v43, v44
	v_add_f32_e32 v43, v47, v43
	v_cmp_neq_f32_e32 vcc, s41, v46
	s_mov_b32 s41, 0x33800000
	v_cndmask_b32_e32 v43, v45, v43, vcc
	v_cmp_lt_f32_e64 vcc, |v46|, s41
	v_cndmask_b32_e32 v43, v43, v46, vcc
	v_add_f32_e32 v44, v42, v43
.LBB442_304:
	s_or_b64 exec, exec, s[38:39]
	v_bfe_u32 v42, v44, 16, 1
	s_movk_i32 s42, 0x7fff
	v_add3_u32 v42, v44, v42, s42
	v_and_b32_e32 v42, 0xffff0000, v42
	v_mov_b32_e32 v43, 0x7fc00000
	v_cmp_o_f32_e32 vcc, v44, v44
	v_cndmask_b32_e32 v45, v43, v42, vcc
	v_lshlrev_b32_sdwa v40, v40, v2 dst_sel:DWORD dst_unused:UNUSED_PAD src0_sel:DWORD src1_sel:WORD_0
	v_max_f32_e32 v44, v45, v45
	v_max_f32_e32 v42, v40, v40
	v_min_f32_e32 v46, v44, v42
	v_cmp_u_f32_e32 vcc, v45, v45
	v_max_f32_e32 v44, v44, v42
	v_cndmask_b32_e32 v46, v46, v45, vcc
	v_cmp_u_f32_e64 s[38:39], v40, v40
	v_cndmask_b32_e32 v44, v44, v45, vcc
	v_cndmask_b32_e64 v46, v46, v40, s[38:39]
	v_cndmask_b32_e64 v44, v44, v40, s[38:39]
	v_cmp_neq_f32_e32 vcc, v46, v44
	v_cmp_class_f32_e64 s[40:41], v46, s40
	s_or_b64 s[44:45], vcc, s[40:41]
	s_and_saveexec_b64 s[40:41], s[44:45]
	s_cbranch_execz .LBB442_306
; %bb.305:
	v_sub_f32_e32 v45, v46, v44
	s_mov_b32 s43, 0x3fb8aa3b
	v_mul_f32_e32 v46, 0x3fb8aa3b, v45
	v_fma_f32 v47, v45, s43, -v46
	v_rndne_f32_e32 v48, v46
	v_fmac_f32_e32 v47, 0x32a5705f, v45
	v_sub_f32_e32 v46, v46, v48
	v_add_f32_e32 v46, v46, v47
	v_exp_f32_e32 v46, v46
	v_cvt_i32_f32_e32 v47, v48
	s_mov_b32 s43, 0xc2ce8ed0
	v_cmp_ngt_f32_e32 vcc, s43, v45
	s_mov_b32 s43, 0x42b17218
	v_ldexp_f32 v46, v46, v47
	v_cndmask_b32_e32 v46, 0, v46, vcc
	v_mov_b32_e32 v47, 0x7f800000
	v_cmp_nlt_f32_e32 vcc, s43, v45
	v_cndmask_b32_e32 v48, v47, v46, vcc
	v_add_f32_e32 v49, 1.0, v48
	v_cvt_f64_f32_e32 v[45:46], v49
	v_add_f32_e32 v54, -1.0, v49
	v_sub_f32_e32 v55, v54, v49
	v_sub_f32_e32 v54, v48, v54
	v_frexp_exp_i32_f64_e32 v45, v[45:46]
	v_add_f32_e32 v46, 1.0, v55
	v_add_f32_e32 v46, v54, v46
	v_frexp_mant_f32_e32 v54, v49
	s_mov_b32 s44, 0x3f2aaaab
	v_cmp_gt_f32_e32 vcc, s44, v54
	s_mov_b32 s44, 0x3f317218
	s_mov_b32 s43, 0x7f800000
	v_subbrev_co_u32_e32 v45, vcc, 0, v45, vcc
	v_sub_u32_e32 v54, 0, v45
	v_ldexp_f32 v49, v49, v54
	v_ldexp_f32 v46, v46, v54
	v_add_f32_e32 v54, -1.0, v49
	v_add_f32_e32 v57, 1.0, v49
	v_add_f32_e32 v55, 1.0, v54
	v_add_f32_e32 v58, -1.0, v57
	v_sub_f32_e32 v55, v49, v55
	v_sub_f32_e32 v49, v49, v58
	v_add_f32_e32 v55, v46, v55
	v_add_f32_e32 v46, v46, v49
	;; [unrolled: 1-line block ×3, first 2 shown]
	v_rcp_f32_e32 v58, v49
	v_add_f32_e32 v56, v54, v55
	v_sub_f32_e32 v54, v54, v56
	v_add_f32_e32 v54, v55, v54
	v_sub_f32_e32 v55, v57, v49
	v_add_f32_e32 v46, v46, v55
	v_mul_f32_e32 v55, v56, v58
	v_mul_f32_e32 v57, v49, v55
	v_fma_f32 v59, v55, v49, -v57
	v_fmac_f32_e32 v59, v55, v46
	v_add_f32_e32 v60, v57, v59
	v_sub_f32_e32 v61, v56, v60
	v_sub_f32_e32 v56, v56, v61
	;; [unrolled: 1-line block ×4, first 2 shown]
	v_add_f32_e32 v54, v54, v56
	v_sub_f32_e32 v56, v57, v59
	v_add_f32_e32 v54, v56, v54
	v_add_f32_e32 v56, v61, v54
	v_mul_f32_e32 v57, v58, v56
	v_mul_f32_e32 v59, v49, v57
	v_fma_f32 v49, v57, v49, -v59
	v_fmac_f32_e32 v49, v57, v46
	v_sub_f32_e32 v46, v61, v56
	v_add_f32_e32 v46, v54, v46
	v_add_f32_e32 v54, v59, v49
	v_sub_f32_e32 v60, v56, v54
	v_sub_f32_e32 v56, v56, v60
	;; [unrolled: 1-line block ×4, first 2 shown]
	v_add_f32_e32 v46, v46, v54
	v_sub_f32_e32 v49, v59, v49
	v_add_f32_e32 v46, v49, v46
	v_add_f32_e32 v49, v55, v57
	;; [unrolled: 1-line block ×3, first 2 shown]
	v_sub_f32_e32 v54, v49, v55
	v_mul_f32_e32 v46, v58, v46
	v_sub_f32_e32 v54, v57, v54
	v_add_f32_e32 v46, v54, v46
	v_cvt_f32_i32_e32 v45, v45
	v_add_f32_e32 v54, v49, v46
	v_mul_f32_e32 v55, v54, v54
	v_mov_b32_e32 v56, 0x3ecc95a3
	v_fmac_f32_e32 v56, 0x3e9b6dac, v55
	v_mov_b32_e32 v57, 0x3f2aaada
	v_fmac_f32_e32 v57, v55, v56
	v_mul_f32_e32 v56, 0x3f317218, v45
	v_fma_f32 v58, v45, s44, -v56
	v_fmac_f32_e32 v58, 0xb102e308, v45
	v_sub_f32_e32 v45, v54, v49
	v_sub_f32_e32 v45, v46, v45
	v_add_f32_e32 v46, v56, v58
	v_sub_f32_e32 v49, v46, v56
	v_ldexp_f32 v56, v54, 1
	v_mul_f32_e32 v54, v54, v55
	v_mul_f32_e32 v54, v54, v57
	v_add_f32_e32 v55, v56, v54
	v_sub_f32_e32 v56, v55, v56
	v_ldexp_f32 v45, v45, 1
	v_sub_f32_e32 v54, v54, v56
	v_add_f32_e32 v45, v45, v54
	v_add_f32_e32 v54, v55, v45
	v_sub_f32_e32 v55, v54, v55
	v_sub_f32_e32 v45, v45, v55
	v_add_f32_e32 v55, v46, v54
	v_sub_f32_e32 v56, v55, v46
	v_sub_f32_e32 v57, v55, v56
	v_sub_f32_e32 v49, v58, v49
	v_sub_f32_e32 v46, v46, v57
	v_sub_f32_e32 v54, v54, v56
	v_add_f32_e32 v46, v54, v46
	v_add_f32_e32 v54, v49, v45
	v_sub_f32_e32 v56, v54, v49
	v_sub_f32_e32 v57, v54, v56
	v_sub_f32_e32 v49, v49, v57
	v_sub_f32_e32 v45, v45, v56
	v_add_f32_e32 v46, v54, v46
	v_add_f32_e32 v45, v45, v49
	;; [unrolled: 1-line block ×3, first 2 shown]
	v_sub_f32_e32 v54, v49, v55
	v_sub_f32_e32 v46, v46, v54
	v_add_f32_e32 v45, v45, v46
	v_add_f32_e32 v45, v49, v45
	v_cmp_neq_f32_e32 vcc, s43, v48
	s_mov_b32 s43, 0x33800000
	v_cndmask_b32_e32 v45, v47, v45, vcc
	v_cmp_lt_f32_e64 vcc, |v48|, s43
	v_cndmask_b32_e32 v45, v45, v48, vcc
	v_add_f32_e32 v45, v44, v45
.LBB442_306:
	s_or_b64 exec, exec, s[40:41]
	v_bfe_u32 v44, v45, 16, 1
	v_add3_u32 v44, v45, v44, s42
	v_and_b32_e32 v44, 0xffff0000, v44
	v_cmp_o_f32_e32 vcc, v45, v45
	v_cndmask_b32_e32 v47, v43, v44, vcc
	v_mov_b32_e32 v43, 16
	v_lshlrev_b32_sdwa v2, v43, v2 dst_sel:DWORD dst_unused:UNUSED_PAD src0_sel:DWORD src1_sel:WORD_1
	v_max_f32_e32 v45, v47, v47
	v_max_f32_e32 v44, v2, v2
	v_min_f32_e32 v46, v45, v44
	v_cmp_u_f32_e32 vcc, v47, v47
	v_max_f32_e32 v45, v45, v44
	v_cndmask_b32_e32 v46, v46, v47, vcc
	v_cmp_u_f32_e64 s[40:41], v2, v2
	v_cndmask_b32_e32 v45, v45, v47, vcc
	v_cndmask_b32_e64 v46, v46, v2, s[40:41]
	v_cndmask_b32_e64 v45, v45, v2, s[40:41]
	s_movk_i32 s44, 0x1f8
	v_cmp_neq_f32_e32 vcc, v46, v45
	v_cmp_class_f32_e64 s[42:43], v46, s44
	s_or_b64 s[46:47], vcc, s[42:43]
	s_and_saveexec_b64 s[42:43], s[46:47]
	s_cbranch_execz .LBB442_308
; %bb.307:
	v_sub_f32_e32 v46, v46, v45
	s_mov_b32 s45, 0x3fb8aa3b
	v_mul_f32_e32 v47, 0x3fb8aa3b, v46
	v_fma_f32 v48, v46, s45, -v47
	v_rndne_f32_e32 v49, v47
	v_fmac_f32_e32 v48, 0x32a5705f, v46
	v_sub_f32_e32 v47, v47, v49
	v_add_f32_e32 v47, v47, v48
	v_exp_f32_e32 v47, v47
	v_cvt_i32_f32_e32 v48, v49
	s_mov_b32 s45, 0xc2ce8ed0
	v_cmp_ngt_f32_e32 vcc, s45, v46
	s_mov_b32 s45, 0x42b17218
	v_ldexp_f32 v47, v47, v48
	v_cndmask_b32_e32 v47, 0, v47, vcc
	v_mov_b32_e32 v48, 0x7f800000
	v_cmp_nlt_f32_e32 vcc, s45, v46
	v_cndmask_b32_e32 v49, v48, v47, vcc
	v_add_f32_e32 v54, 1.0, v49
	v_cvt_f64_f32_e32 v[46:47], v54
	v_add_f32_e32 v55, -1.0, v54
	v_sub_f32_e32 v56, v55, v54
	v_sub_f32_e32 v55, v49, v55
	v_frexp_exp_i32_f64_e32 v46, v[46:47]
	v_add_f32_e32 v47, 1.0, v56
	v_add_f32_e32 v47, v55, v47
	v_frexp_mant_f32_e32 v55, v54
	s_mov_b32 s46, 0x3f2aaaab
	v_cmp_gt_f32_e32 vcc, s46, v55
	s_mov_b32 s46, 0x3f317218
	s_mov_b32 s45, 0x7f800000
	v_subbrev_co_u32_e32 v46, vcc, 0, v46, vcc
	v_sub_u32_e32 v55, 0, v46
	v_ldexp_f32 v54, v54, v55
	v_ldexp_f32 v47, v47, v55
	v_add_f32_e32 v55, -1.0, v54
	v_add_f32_e32 v58, 1.0, v54
	v_add_f32_e32 v56, 1.0, v55
	v_add_f32_e32 v59, -1.0, v58
	v_sub_f32_e32 v56, v54, v56
	v_sub_f32_e32 v54, v54, v59
	v_add_f32_e32 v56, v47, v56
	v_add_f32_e32 v47, v47, v54
	;; [unrolled: 1-line block ×3, first 2 shown]
	v_rcp_f32_e32 v59, v54
	v_add_f32_e32 v57, v55, v56
	v_sub_f32_e32 v55, v55, v57
	v_add_f32_e32 v55, v56, v55
	v_sub_f32_e32 v56, v58, v54
	v_add_f32_e32 v47, v47, v56
	v_mul_f32_e32 v56, v57, v59
	v_mul_f32_e32 v58, v54, v56
	v_fma_f32 v60, v56, v54, -v58
	v_fmac_f32_e32 v60, v56, v47
	v_add_f32_e32 v61, v58, v60
	v_sub_f32_e32 v62, v57, v61
	v_sub_f32_e32 v57, v57, v62
	;; [unrolled: 1-line block ×4, first 2 shown]
	v_add_f32_e32 v55, v55, v57
	v_sub_f32_e32 v57, v58, v60
	v_add_f32_e32 v55, v57, v55
	v_add_f32_e32 v57, v62, v55
	v_mul_f32_e32 v58, v59, v57
	v_mul_f32_e32 v60, v54, v58
	v_fma_f32 v54, v58, v54, -v60
	v_fmac_f32_e32 v54, v58, v47
	v_sub_f32_e32 v47, v62, v57
	v_add_f32_e32 v47, v55, v47
	v_add_f32_e32 v55, v60, v54
	v_sub_f32_e32 v61, v57, v55
	v_sub_f32_e32 v57, v57, v61
	v_sub_f32_e32 v60, v55, v60
	v_sub_f32_e32 v55, v57, v55
	v_add_f32_e32 v47, v47, v55
	v_sub_f32_e32 v54, v60, v54
	v_add_f32_e32 v47, v54, v47
	v_add_f32_e32 v54, v56, v58
	;; [unrolled: 1-line block ×3, first 2 shown]
	v_sub_f32_e32 v55, v54, v56
	v_mul_f32_e32 v47, v59, v47
	v_sub_f32_e32 v55, v58, v55
	v_add_f32_e32 v47, v55, v47
	v_cvt_f32_i32_e32 v46, v46
	v_add_f32_e32 v55, v54, v47
	v_mul_f32_e32 v56, v55, v55
	v_mov_b32_e32 v57, 0x3ecc95a3
	v_fmac_f32_e32 v57, 0x3e9b6dac, v56
	v_mov_b32_e32 v58, 0x3f2aaada
	v_fmac_f32_e32 v58, v56, v57
	v_mul_f32_e32 v57, 0x3f317218, v46
	v_fma_f32 v59, v46, s46, -v57
	v_fmac_f32_e32 v59, 0xb102e308, v46
	v_sub_f32_e32 v46, v55, v54
	v_sub_f32_e32 v46, v47, v46
	v_add_f32_e32 v47, v57, v59
	v_sub_f32_e32 v54, v47, v57
	v_ldexp_f32 v57, v55, 1
	v_mul_f32_e32 v55, v55, v56
	v_mul_f32_e32 v55, v55, v58
	v_add_f32_e32 v56, v57, v55
	v_sub_f32_e32 v57, v56, v57
	v_ldexp_f32 v46, v46, 1
	v_sub_f32_e32 v55, v55, v57
	v_add_f32_e32 v46, v46, v55
	v_add_f32_e32 v55, v56, v46
	v_sub_f32_e32 v56, v55, v56
	v_sub_f32_e32 v46, v46, v56
	v_add_f32_e32 v56, v47, v55
	v_sub_f32_e32 v57, v56, v47
	v_sub_f32_e32 v58, v56, v57
	v_sub_f32_e32 v54, v59, v54
	v_sub_f32_e32 v47, v47, v58
	v_sub_f32_e32 v55, v55, v57
	v_add_f32_e32 v47, v55, v47
	v_add_f32_e32 v55, v54, v46
	v_sub_f32_e32 v57, v55, v54
	v_sub_f32_e32 v58, v55, v57
	;; [unrolled: 1-line block ×4, first 2 shown]
	v_add_f32_e32 v47, v55, v47
	v_add_f32_e32 v46, v46, v54
	;; [unrolled: 1-line block ×3, first 2 shown]
	v_sub_f32_e32 v55, v54, v56
	v_sub_f32_e32 v47, v47, v55
	v_add_f32_e32 v46, v46, v47
	v_add_f32_e32 v46, v54, v46
	v_cmp_neq_f32_e32 vcc, s45, v49
	s_mov_b32 s45, 0x33800000
	v_cndmask_b32_e32 v46, v48, v46, vcc
	v_cmp_lt_f32_e64 vcc, |v49|, s45
	v_cndmask_b32_e32 v46, v46, v49, vcc
	v_add_f32_e32 v47, v45, v46
.LBB442_308:
	s_or_b64 exec, exec, s[42:43]
	v_bfe_u32 v45, v47, 16, 1
	s_movk_i32 s46, 0x7fff
	v_add3_u32 v45, v47, v45, s46
	v_and_b32_e32 v45, 0xffff0000, v45
	v_mov_b32_e32 v46, 0x7fc00000
	v_cmp_o_f32_e32 vcc, v47, v47
	v_cndmask_b32_e32 v48, v46, v45, vcc
	v_lshlrev_b32_sdwa v43, v43, v3 dst_sel:DWORD dst_unused:UNUSED_PAD src0_sel:DWORD src1_sel:WORD_0
	v_max_f32_e32 v47, v48, v48
	v_max_f32_e32 v45, v43, v43
	v_min_f32_e32 v49, v47, v45
	v_cmp_u_f32_e32 vcc, v48, v48
	v_max_f32_e32 v47, v47, v45
	v_cndmask_b32_e32 v49, v49, v48, vcc
	v_cmp_u_f32_e64 s[42:43], v43, v43
	v_cndmask_b32_e32 v47, v47, v48, vcc
	v_cndmask_b32_e64 v49, v49, v43, s[42:43]
	v_cndmask_b32_e64 v47, v47, v43, s[42:43]
	v_cmp_neq_f32_e32 vcc, v49, v47
	v_cmp_class_f32_e64 s[44:45], v49, s44
	s_or_b64 s[48:49], vcc, s[44:45]
	s_and_saveexec_b64 s[44:45], s[48:49]
	s_cbranch_execz .LBB442_310
; %bb.309:
	v_sub_f32_e32 v48, v49, v47
	s_mov_b32 s47, 0x3fb8aa3b
	v_mul_f32_e32 v49, 0x3fb8aa3b, v48
	v_fma_f32 v54, v48, s47, -v49
	v_rndne_f32_e32 v55, v49
	v_fmac_f32_e32 v54, 0x32a5705f, v48
	v_sub_f32_e32 v49, v49, v55
	v_add_f32_e32 v49, v49, v54
	v_exp_f32_e32 v49, v49
	v_cvt_i32_f32_e32 v54, v55
	s_mov_b32 s47, 0xc2ce8ed0
	v_cmp_ngt_f32_e32 vcc, s47, v48
	s_mov_b32 s47, 0x42b17218
	v_ldexp_f32 v49, v49, v54
	v_cndmask_b32_e32 v49, 0, v49, vcc
	v_mov_b32_e32 v54, 0x7f800000
	v_cmp_nlt_f32_e32 vcc, s47, v48
	v_cndmask_b32_e32 v55, v54, v49, vcc
	v_add_f32_e32 v56, 1.0, v55
	v_cvt_f64_f32_e32 v[48:49], v56
	v_add_f32_e32 v57, -1.0, v56
	v_sub_f32_e32 v58, v57, v56
	v_sub_f32_e32 v57, v55, v57
	v_frexp_exp_i32_f64_e32 v48, v[48:49]
	v_add_f32_e32 v49, 1.0, v58
	v_add_f32_e32 v49, v57, v49
	v_frexp_mant_f32_e32 v57, v56
	s_mov_b32 s48, 0x3f2aaaab
	v_cmp_gt_f32_e32 vcc, s48, v57
	s_mov_b32 s48, 0x3f317218
	s_mov_b32 s47, 0x7f800000
	v_subbrev_co_u32_e32 v48, vcc, 0, v48, vcc
	v_sub_u32_e32 v57, 0, v48
	v_ldexp_f32 v56, v56, v57
	v_ldexp_f32 v49, v49, v57
	v_add_f32_e32 v57, -1.0, v56
	v_add_f32_e32 v60, 1.0, v56
	v_add_f32_e32 v58, 1.0, v57
	v_add_f32_e32 v61, -1.0, v60
	v_sub_f32_e32 v58, v56, v58
	v_sub_f32_e32 v56, v56, v61
	v_add_f32_e32 v58, v49, v58
	v_add_f32_e32 v49, v49, v56
	;; [unrolled: 1-line block ×3, first 2 shown]
	v_rcp_f32_e32 v61, v56
	v_add_f32_e32 v59, v57, v58
	v_sub_f32_e32 v57, v57, v59
	v_add_f32_e32 v57, v58, v57
	v_sub_f32_e32 v58, v60, v56
	v_add_f32_e32 v49, v49, v58
	v_mul_f32_e32 v58, v59, v61
	v_mul_f32_e32 v60, v56, v58
	v_fma_f32 v62, v58, v56, -v60
	v_fmac_f32_e32 v62, v58, v49
	v_add_f32_e32 v63, v60, v62
	v_sub_f32_e32 v64, v59, v63
	v_sub_f32_e32 v59, v59, v64
	;; [unrolled: 1-line block ×4, first 2 shown]
	v_add_f32_e32 v57, v57, v59
	v_sub_f32_e32 v59, v60, v62
	v_add_f32_e32 v57, v59, v57
	v_add_f32_e32 v59, v64, v57
	v_mul_f32_e32 v60, v61, v59
	v_mul_f32_e32 v62, v56, v60
	v_fma_f32 v56, v60, v56, -v62
	v_fmac_f32_e32 v56, v60, v49
	v_sub_f32_e32 v49, v64, v59
	v_add_f32_e32 v49, v57, v49
	v_add_f32_e32 v57, v62, v56
	v_sub_f32_e32 v63, v59, v57
	v_sub_f32_e32 v59, v59, v63
	;; [unrolled: 1-line block ×4, first 2 shown]
	v_add_f32_e32 v49, v49, v57
	v_sub_f32_e32 v56, v62, v56
	v_add_f32_e32 v49, v56, v49
	v_add_f32_e32 v56, v58, v60
	;; [unrolled: 1-line block ×3, first 2 shown]
	v_sub_f32_e32 v57, v56, v58
	v_mul_f32_e32 v49, v61, v49
	v_sub_f32_e32 v57, v60, v57
	v_add_f32_e32 v49, v57, v49
	v_cvt_f32_i32_e32 v48, v48
	v_add_f32_e32 v57, v56, v49
	v_mul_f32_e32 v58, v57, v57
	v_mov_b32_e32 v59, 0x3ecc95a3
	v_fmac_f32_e32 v59, 0x3e9b6dac, v58
	v_mov_b32_e32 v60, 0x3f2aaada
	v_fmac_f32_e32 v60, v58, v59
	v_mul_f32_e32 v59, 0x3f317218, v48
	v_fma_f32 v61, v48, s48, -v59
	v_fmac_f32_e32 v61, 0xb102e308, v48
	v_sub_f32_e32 v48, v57, v56
	v_sub_f32_e32 v48, v49, v48
	v_add_f32_e32 v49, v59, v61
	v_sub_f32_e32 v56, v49, v59
	v_ldexp_f32 v59, v57, 1
	v_mul_f32_e32 v57, v57, v58
	v_mul_f32_e32 v57, v57, v60
	v_add_f32_e32 v58, v59, v57
	v_sub_f32_e32 v59, v58, v59
	v_ldexp_f32 v48, v48, 1
	v_sub_f32_e32 v57, v57, v59
	v_add_f32_e32 v48, v48, v57
	v_add_f32_e32 v57, v58, v48
	v_sub_f32_e32 v58, v57, v58
	v_sub_f32_e32 v48, v48, v58
	v_add_f32_e32 v58, v49, v57
	v_sub_f32_e32 v59, v58, v49
	v_sub_f32_e32 v60, v58, v59
	;; [unrolled: 1-line block ×5, first 2 shown]
	v_add_f32_e32 v49, v57, v49
	v_add_f32_e32 v57, v56, v48
	v_sub_f32_e32 v59, v57, v56
	v_sub_f32_e32 v60, v57, v59
	;; [unrolled: 1-line block ×4, first 2 shown]
	v_add_f32_e32 v49, v57, v49
	v_add_f32_e32 v48, v48, v56
	;; [unrolled: 1-line block ×3, first 2 shown]
	v_sub_f32_e32 v57, v56, v58
	v_sub_f32_e32 v49, v49, v57
	v_add_f32_e32 v48, v48, v49
	v_add_f32_e32 v48, v56, v48
	v_cmp_neq_f32_e32 vcc, s47, v55
	s_mov_b32 s47, 0x33800000
	v_cndmask_b32_e32 v48, v54, v48, vcc
	v_cmp_lt_f32_e64 vcc, |v55|, s47
	v_cndmask_b32_e32 v48, v48, v55, vcc
	v_add_f32_e32 v48, v47, v48
.LBB442_310:
	s_or_b64 exec, exec, s[44:45]
	v_bfe_u32 v47, v48, 16, 1
	v_add3_u32 v47, v48, v47, s46
	v_and_b32_e32 v47, 0xffff0000, v47
	v_cmp_o_f32_e32 vcc, v48, v48
	v_cndmask_b32_e32 v54, v46, v47, vcc
	v_mov_b32_e32 v46, 16
	v_lshlrev_b32_sdwa v3, v46, v3 dst_sel:DWORD dst_unused:UNUSED_PAD src0_sel:DWORD src1_sel:WORD_1
	v_max_f32_e32 v48, v54, v54
	v_max_f32_e32 v47, v3, v3
	v_min_f32_e32 v49, v48, v47
	v_cmp_u_f32_e32 vcc, v54, v54
	v_max_f32_e32 v48, v48, v47
	v_cndmask_b32_e32 v49, v49, v54, vcc
	v_cmp_u_f32_e64 s[44:45], v3, v3
	v_cndmask_b32_e32 v48, v48, v54, vcc
	v_cndmask_b32_e64 v49, v49, v3, s[44:45]
	v_cndmask_b32_e64 v48, v48, v3, s[44:45]
	s_movk_i32 s48, 0x1f8
	v_cmp_neq_f32_e32 vcc, v49, v48
	v_cmp_class_f32_e64 s[46:47], v49, s48
	s_or_b64 s[54:55], vcc, s[46:47]
	s_and_saveexec_b64 s[46:47], s[54:55]
	s_cbranch_execz .LBB442_312
; %bb.311:
	v_sub_f32_e32 v49, v49, v48
	s_mov_b32 s49, 0x3fb8aa3b
	v_mul_f32_e32 v54, 0x3fb8aa3b, v49
	v_fma_f32 v55, v49, s49, -v54
	v_rndne_f32_e32 v56, v54
	v_fmac_f32_e32 v55, 0x32a5705f, v49
	v_sub_f32_e32 v54, v54, v56
	v_add_f32_e32 v54, v54, v55
	v_exp_f32_e32 v54, v54
	v_cvt_i32_f32_e32 v55, v56
	s_mov_b32 s49, 0xc2ce8ed0
	v_cmp_ngt_f32_e32 vcc, s49, v49
	s_mov_b32 s49, 0x42b17218
	v_ldexp_f32 v54, v54, v55
	v_cndmask_b32_e32 v54, 0, v54, vcc
	v_mov_b32_e32 v56, 0x7f800000
	v_cmp_nlt_f32_e32 vcc, s49, v49
	v_cndmask_b32_e32 v49, v56, v54, vcc
	v_add_f32_e32 v57, 1.0, v49
	v_cvt_f64_f32_e32 v[54:55], v57
	v_add_f32_e32 v58, -1.0, v57
	v_sub_f32_e32 v59, v58, v57
	v_sub_f32_e32 v58, v49, v58
	v_frexp_exp_i32_f64_e32 v54, v[54:55]
	v_add_f32_e32 v55, 1.0, v59
	v_add_f32_e32 v55, v58, v55
	v_frexp_mant_f32_e32 v58, v57
	s_mov_b32 s54, 0x3f2aaaab
	v_cmp_gt_f32_e32 vcc, s54, v58
	s_mov_b32 s54, 0x3f317218
	s_mov_b32 s49, 0x7f800000
	v_subbrev_co_u32_e32 v54, vcc, 0, v54, vcc
	v_sub_u32_e32 v58, 0, v54
	v_ldexp_f32 v57, v57, v58
	v_ldexp_f32 v55, v55, v58
	v_add_f32_e32 v58, -1.0, v57
	v_add_f32_e32 v61, 1.0, v57
	v_add_f32_e32 v59, 1.0, v58
	v_add_f32_e32 v62, -1.0, v61
	v_sub_f32_e32 v59, v57, v59
	v_sub_f32_e32 v57, v57, v62
	v_add_f32_e32 v59, v55, v59
	v_add_f32_e32 v55, v55, v57
	;; [unrolled: 1-line block ×3, first 2 shown]
	v_rcp_f32_e32 v62, v57
	v_add_f32_e32 v60, v58, v59
	v_sub_f32_e32 v58, v58, v60
	v_add_f32_e32 v58, v59, v58
	v_sub_f32_e32 v59, v61, v57
	v_add_f32_e32 v55, v55, v59
	v_mul_f32_e32 v59, v60, v62
	v_mul_f32_e32 v61, v57, v59
	v_fma_f32 v63, v59, v57, -v61
	v_fmac_f32_e32 v63, v59, v55
	v_add_f32_e32 v64, v61, v63
	v_sub_f32_e32 v65, v60, v64
	v_sub_f32_e32 v60, v60, v65
	;; [unrolled: 1-line block ×4, first 2 shown]
	v_add_f32_e32 v58, v58, v60
	v_sub_f32_e32 v60, v61, v63
	v_add_f32_e32 v58, v60, v58
	v_add_f32_e32 v60, v65, v58
	v_mul_f32_e32 v61, v62, v60
	v_mul_f32_e32 v63, v57, v61
	v_fma_f32 v57, v61, v57, -v63
	v_fmac_f32_e32 v57, v61, v55
	v_sub_f32_e32 v55, v65, v60
	v_add_f32_e32 v55, v58, v55
	v_add_f32_e32 v58, v63, v57
	v_sub_f32_e32 v64, v60, v58
	v_sub_f32_e32 v60, v60, v64
	;; [unrolled: 1-line block ×4, first 2 shown]
	v_add_f32_e32 v55, v55, v58
	v_sub_f32_e32 v57, v63, v57
	v_add_f32_e32 v55, v57, v55
	v_add_f32_e32 v57, v59, v61
	;; [unrolled: 1-line block ×3, first 2 shown]
	v_sub_f32_e32 v58, v57, v59
	v_mul_f32_e32 v55, v62, v55
	v_sub_f32_e32 v58, v61, v58
	v_add_f32_e32 v55, v58, v55
	v_cvt_f32_i32_e32 v54, v54
	v_add_f32_e32 v58, v57, v55
	v_mul_f32_e32 v59, v58, v58
	v_mov_b32_e32 v60, 0x3ecc95a3
	v_fmac_f32_e32 v60, 0x3e9b6dac, v59
	v_mov_b32_e32 v61, 0x3f2aaada
	v_fmac_f32_e32 v61, v59, v60
	v_mul_f32_e32 v60, 0x3f317218, v54
	v_fma_f32 v62, v54, s54, -v60
	v_fmac_f32_e32 v62, 0xb102e308, v54
	v_sub_f32_e32 v54, v58, v57
	v_sub_f32_e32 v54, v55, v54
	v_add_f32_e32 v55, v60, v62
	v_sub_f32_e32 v57, v55, v60
	v_ldexp_f32 v60, v58, 1
	v_mul_f32_e32 v58, v58, v59
	v_mul_f32_e32 v58, v58, v61
	v_add_f32_e32 v59, v60, v58
	v_sub_f32_e32 v60, v59, v60
	v_ldexp_f32 v54, v54, 1
	v_sub_f32_e32 v58, v58, v60
	v_add_f32_e32 v54, v54, v58
	v_add_f32_e32 v58, v59, v54
	v_sub_f32_e32 v59, v58, v59
	v_sub_f32_e32 v54, v54, v59
	v_add_f32_e32 v59, v55, v58
	v_sub_f32_e32 v60, v59, v55
	v_sub_f32_e32 v61, v59, v60
	v_sub_f32_e32 v57, v62, v57
	v_sub_f32_e32 v55, v55, v61
	v_sub_f32_e32 v58, v58, v60
	v_add_f32_e32 v55, v58, v55
	v_add_f32_e32 v58, v57, v54
	v_sub_f32_e32 v60, v58, v57
	v_sub_f32_e32 v61, v58, v60
	;; [unrolled: 1-line block ×4, first 2 shown]
	v_add_f32_e32 v55, v58, v55
	v_add_f32_e32 v54, v54, v57
	;; [unrolled: 1-line block ×3, first 2 shown]
	v_sub_f32_e32 v58, v57, v59
	v_sub_f32_e32 v55, v55, v58
	v_add_f32_e32 v54, v54, v55
	v_add_f32_e32 v54, v57, v54
	v_cmp_neq_f32_e32 vcc, s49, v49
	s_mov_b32 s49, 0x33800000
	v_cndmask_b32_e32 v54, v56, v54, vcc
	v_cmp_lt_f32_e64 vcc, |v49|, s49
	v_cndmask_b32_e32 v49, v54, v49, vcc
	v_add_f32_e32 v54, v48, v49
.LBB442_312:
	s_or_b64 exec, exec, s[46:47]
	v_bfe_u32 v48, v54, 16, 1
	s_movk_i32 s54, 0x7fff
	v_add3_u32 v48, v54, v48, s54
	v_and_b32_e32 v48, 0xffff0000, v48
	v_mov_b32_e32 v49, 0x7fc00000
	v_cmp_o_f32_e32 vcc, v54, v54
	v_cndmask_b32_e32 v55, v49, v48, vcc
	v_lshlrev_b32_sdwa v46, v46, v4 dst_sel:DWORD dst_unused:UNUSED_PAD src0_sel:DWORD src1_sel:WORD_0
	v_max_f32_e32 v54, v55, v55
	v_max_f32_e32 v48, v46, v46
	v_min_f32_e32 v56, v54, v48
	v_cmp_u_f32_e32 vcc, v55, v55
	v_max_f32_e32 v54, v54, v48
	v_cndmask_b32_e32 v56, v56, v55, vcc
	v_cmp_u_f32_e64 s[46:47], v46, v46
	v_cndmask_b32_e32 v54, v54, v55, vcc
	v_cndmask_b32_e64 v56, v56, v46, s[46:47]
	v_cndmask_b32_e64 v54, v54, v46, s[46:47]
	v_cmp_neq_f32_e32 vcc, v56, v54
	v_cmp_class_f32_e64 s[48:49], v56, s48
	s_or_b64 s[56:57], vcc, s[48:49]
	s_and_saveexec_b64 s[48:49], s[56:57]
	s_cbranch_execz .LBB442_314
; %bb.313:
	v_sub_f32_e32 v55, v56, v54
	s_mov_b32 s55, 0x3fb8aa3b
	v_mul_f32_e32 v56, 0x3fb8aa3b, v55
	v_fma_f32 v57, v55, s55, -v56
	v_rndne_f32_e32 v58, v56
	v_fmac_f32_e32 v57, 0x32a5705f, v55
	v_sub_f32_e32 v56, v56, v58
	v_add_f32_e32 v56, v56, v57
	v_exp_f32_e32 v56, v56
	v_cvt_i32_f32_e32 v57, v58
	s_mov_b32 s55, 0xc2ce8ed0
	v_cmp_ngt_f32_e32 vcc, s55, v55
	s_mov_b32 s55, 0x42b17218
	v_ldexp_f32 v56, v56, v57
	v_cndmask_b32_e32 v56, 0, v56, vcc
	v_mov_b32_e32 v57, 0x7f800000
	v_cmp_nlt_f32_e32 vcc, s55, v55
	v_cndmask_b32_e32 v58, v57, v56, vcc
	v_add_f32_e32 v59, 1.0, v58
	v_cvt_f64_f32_e32 v[55:56], v59
	v_add_f32_e32 v60, -1.0, v59
	v_sub_f32_e32 v61, v60, v59
	v_sub_f32_e32 v60, v58, v60
	v_frexp_exp_i32_f64_e32 v55, v[55:56]
	v_add_f32_e32 v56, 1.0, v61
	v_add_f32_e32 v56, v60, v56
	v_frexp_mant_f32_e32 v60, v59
	s_mov_b32 s56, 0x3f2aaaab
	v_cmp_gt_f32_e32 vcc, s56, v60
	s_mov_b32 s56, 0x3f317218
	s_mov_b32 s55, 0x7f800000
	v_subbrev_co_u32_e32 v55, vcc, 0, v55, vcc
	v_sub_u32_e32 v60, 0, v55
	v_ldexp_f32 v59, v59, v60
	v_ldexp_f32 v56, v56, v60
	v_add_f32_e32 v60, -1.0, v59
	v_add_f32_e32 v63, 1.0, v59
	v_add_f32_e32 v61, 1.0, v60
	v_add_f32_e32 v64, -1.0, v63
	v_sub_f32_e32 v61, v59, v61
	v_sub_f32_e32 v59, v59, v64
	v_add_f32_e32 v61, v56, v61
	v_add_f32_e32 v56, v56, v59
	;; [unrolled: 1-line block ×3, first 2 shown]
	v_rcp_f32_e32 v64, v59
	v_add_f32_e32 v62, v60, v61
	v_sub_f32_e32 v60, v60, v62
	v_add_f32_e32 v60, v61, v60
	v_sub_f32_e32 v61, v63, v59
	v_add_f32_e32 v56, v56, v61
	v_mul_f32_e32 v61, v62, v64
	v_mul_f32_e32 v63, v59, v61
	v_fma_f32 v65, v61, v59, -v63
	v_fmac_f32_e32 v65, v61, v56
	v_add_f32_e32 v66, v63, v65
	v_sub_f32_e32 v67, v62, v66
	v_sub_f32_e32 v62, v62, v67
	;; [unrolled: 1-line block ×4, first 2 shown]
	v_add_f32_e32 v60, v60, v62
	v_sub_f32_e32 v62, v63, v65
	v_add_f32_e32 v60, v62, v60
	v_add_f32_e32 v62, v67, v60
	v_mul_f32_e32 v63, v64, v62
	v_mul_f32_e32 v65, v59, v63
	v_fma_f32 v59, v63, v59, -v65
	v_fmac_f32_e32 v59, v63, v56
	v_sub_f32_e32 v56, v67, v62
	v_add_f32_e32 v56, v60, v56
	v_add_f32_e32 v60, v65, v59
	v_sub_f32_e32 v66, v62, v60
	v_sub_f32_e32 v62, v62, v66
	;; [unrolled: 1-line block ×4, first 2 shown]
	v_add_f32_e32 v56, v56, v60
	v_sub_f32_e32 v59, v65, v59
	v_add_f32_e32 v56, v59, v56
	v_add_f32_e32 v59, v61, v63
	;; [unrolled: 1-line block ×3, first 2 shown]
	v_sub_f32_e32 v60, v59, v61
	v_mul_f32_e32 v56, v64, v56
	v_sub_f32_e32 v60, v63, v60
	v_add_f32_e32 v56, v60, v56
	v_cvt_f32_i32_e32 v55, v55
	v_add_f32_e32 v60, v59, v56
	v_mul_f32_e32 v61, v60, v60
	v_mov_b32_e32 v62, 0x3ecc95a3
	v_fmac_f32_e32 v62, 0x3e9b6dac, v61
	v_mov_b32_e32 v63, 0x3f2aaada
	v_fmac_f32_e32 v63, v61, v62
	v_mul_f32_e32 v62, 0x3f317218, v55
	v_fma_f32 v64, v55, s56, -v62
	v_fmac_f32_e32 v64, 0xb102e308, v55
	v_sub_f32_e32 v55, v60, v59
	v_sub_f32_e32 v55, v56, v55
	v_add_f32_e32 v56, v62, v64
	v_sub_f32_e32 v59, v56, v62
	v_ldexp_f32 v62, v60, 1
	v_mul_f32_e32 v60, v60, v61
	v_mul_f32_e32 v60, v60, v63
	v_add_f32_e32 v61, v62, v60
	v_sub_f32_e32 v62, v61, v62
	v_ldexp_f32 v55, v55, 1
	v_sub_f32_e32 v60, v60, v62
	v_add_f32_e32 v55, v55, v60
	v_add_f32_e32 v60, v61, v55
	v_sub_f32_e32 v61, v60, v61
	v_sub_f32_e32 v55, v55, v61
	v_add_f32_e32 v61, v56, v60
	v_sub_f32_e32 v62, v61, v56
	v_sub_f32_e32 v63, v61, v62
	;; [unrolled: 1-line block ×5, first 2 shown]
	v_add_f32_e32 v56, v60, v56
	v_add_f32_e32 v60, v59, v55
	v_sub_f32_e32 v62, v60, v59
	v_sub_f32_e32 v63, v60, v62
	;; [unrolled: 1-line block ×4, first 2 shown]
	v_add_f32_e32 v56, v60, v56
	v_add_f32_e32 v55, v55, v59
	;; [unrolled: 1-line block ×3, first 2 shown]
	v_sub_f32_e32 v60, v59, v61
	v_sub_f32_e32 v56, v56, v60
	v_add_f32_e32 v55, v55, v56
	v_add_f32_e32 v55, v59, v55
	v_cmp_neq_f32_e32 vcc, s55, v58
	s_mov_b32 s55, 0x33800000
	v_cndmask_b32_e32 v55, v57, v55, vcc
	v_cmp_lt_f32_e64 vcc, |v58|, s55
	v_cndmask_b32_e32 v55, v55, v58, vcc
	v_add_f32_e32 v55, v54, v55
.LBB442_314:
	s_or_b64 exec, exec, s[48:49]
	v_bfe_u32 v54, v55, 16, 1
	v_add3_u32 v54, v55, v54, s54
	v_and_b32_e32 v54, 0xffff0000, v54
	v_cmp_o_f32_e32 vcc, v55, v55
	v_cndmask_b32_e32 v55, v49, v54, vcc
	v_mov_b32_e32 v49, 16
	v_lshlrev_b32_sdwa v4, v49, v4 dst_sel:DWORD dst_unused:UNUSED_PAD src0_sel:DWORD src1_sel:WORD_1
	v_max_f32_e32 v54, v55, v55
	v_max_f32_e32 v49, v4, v4
	v_min_f32_e32 v56, v54, v49
	v_cmp_u_f32_e32 vcc, v55, v55
	v_max_f32_e32 v54, v54, v49
	v_cndmask_b32_e32 v56, v56, v55, vcc
	v_cmp_u_f32_e64 s[48:49], v4, v4
	v_cndmask_b32_e32 v54, v54, v55, vcc
	v_cndmask_b32_e64 v56, v56, v4, s[48:49]
	v_cndmask_b32_e64 v54, v54, v4, s[48:49]
	s_movk_i32 s54, 0x1f8
	v_cmp_neq_f32_e32 vcc, v56, v54
	v_cmp_class_f32_e64 s[54:55], v56, s54
	s_or_b64 s[56:57], vcc, s[54:55]
	s_and_saveexec_b64 s[54:55], s[56:57]
	s_cbranch_execz .LBB442_316
; %bb.315:
	v_sub_f32_e32 v55, v56, v54
	s_mov_b32 s56, 0x3fb8aa3b
	v_mul_f32_e32 v56, 0x3fb8aa3b, v55
	v_fma_f32 v57, v55, s56, -v56
	v_rndne_f32_e32 v58, v56
	v_fmac_f32_e32 v57, 0x32a5705f, v55
	v_sub_f32_e32 v56, v56, v58
	v_add_f32_e32 v56, v56, v57
	v_exp_f32_e32 v56, v56
	v_cvt_i32_f32_e32 v57, v58
	s_mov_b32 s56, 0xc2ce8ed0
	v_cmp_ngt_f32_e32 vcc, s56, v55
	s_mov_b32 s56, 0x42b17218
	v_ldexp_f32 v56, v56, v57
	v_cndmask_b32_e32 v56, 0, v56, vcc
	v_mov_b32_e32 v57, 0x7f800000
	v_cmp_nlt_f32_e32 vcc, s56, v55
	v_cndmask_b32_e32 v58, v57, v56, vcc
	v_add_f32_e32 v59, 1.0, v58
	v_cvt_f64_f32_e32 v[55:56], v59
	v_add_f32_e32 v60, -1.0, v59
	v_sub_f32_e32 v61, v60, v59
	v_sub_f32_e32 v60, v58, v60
	v_frexp_exp_i32_f64_e32 v55, v[55:56]
	v_add_f32_e32 v56, 1.0, v61
	v_add_f32_e32 v56, v60, v56
	v_frexp_mant_f32_e32 v60, v59
	s_mov_b32 s57, 0x3f2aaaab
	v_cmp_gt_f32_e32 vcc, s57, v60
	s_mov_b32 s57, 0x3f317218
	s_mov_b32 s56, 0x7f800000
	v_subbrev_co_u32_e32 v55, vcc, 0, v55, vcc
	v_sub_u32_e32 v60, 0, v55
	v_ldexp_f32 v59, v59, v60
	v_ldexp_f32 v56, v56, v60
	v_add_f32_e32 v60, -1.0, v59
	v_add_f32_e32 v63, 1.0, v59
	v_add_f32_e32 v61, 1.0, v60
	v_add_f32_e32 v64, -1.0, v63
	v_sub_f32_e32 v61, v59, v61
	v_sub_f32_e32 v59, v59, v64
	v_add_f32_e32 v61, v56, v61
	v_add_f32_e32 v56, v56, v59
	;; [unrolled: 1-line block ×3, first 2 shown]
	v_rcp_f32_e32 v64, v59
	v_add_f32_e32 v62, v60, v61
	v_sub_f32_e32 v60, v60, v62
	v_add_f32_e32 v60, v61, v60
	v_sub_f32_e32 v61, v63, v59
	v_add_f32_e32 v56, v56, v61
	v_mul_f32_e32 v61, v62, v64
	v_mul_f32_e32 v63, v59, v61
	v_fma_f32 v65, v61, v59, -v63
	v_fmac_f32_e32 v65, v61, v56
	v_add_f32_e32 v66, v63, v65
	v_sub_f32_e32 v67, v62, v66
	v_sub_f32_e32 v62, v62, v67
	;; [unrolled: 1-line block ×4, first 2 shown]
	v_add_f32_e32 v60, v60, v62
	v_sub_f32_e32 v62, v63, v65
	v_add_f32_e32 v60, v62, v60
	v_add_f32_e32 v62, v67, v60
	v_mul_f32_e32 v63, v64, v62
	v_mul_f32_e32 v65, v59, v63
	v_fma_f32 v59, v63, v59, -v65
	v_fmac_f32_e32 v59, v63, v56
	v_sub_f32_e32 v56, v67, v62
	v_add_f32_e32 v56, v60, v56
	v_add_f32_e32 v60, v65, v59
	v_sub_f32_e32 v66, v62, v60
	v_sub_f32_e32 v62, v62, v66
	;; [unrolled: 1-line block ×4, first 2 shown]
	v_add_f32_e32 v56, v56, v60
	v_sub_f32_e32 v59, v65, v59
	v_add_f32_e32 v56, v59, v56
	v_add_f32_e32 v59, v61, v63
	;; [unrolled: 1-line block ×3, first 2 shown]
	v_sub_f32_e32 v60, v59, v61
	v_mul_f32_e32 v56, v64, v56
	v_sub_f32_e32 v60, v63, v60
	v_add_f32_e32 v56, v60, v56
	v_cvt_f32_i32_e32 v55, v55
	v_add_f32_e32 v60, v59, v56
	v_mul_f32_e32 v61, v60, v60
	v_mov_b32_e32 v62, 0x3ecc95a3
	v_fmac_f32_e32 v62, 0x3e9b6dac, v61
	v_mov_b32_e32 v63, 0x3f2aaada
	v_fmac_f32_e32 v63, v61, v62
	v_mul_f32_e32 v62, 0x3f317218, v55
	v_fma_f32 v64, v55, s57, -v62
	v_fmac_f32_e32 v64, 0xb102e308, v55
	v_sub_f32_e32 v55, v60, v59
	v_sub_f32_e32 v55, v56, v55
	v_add_f32_e32 v56, v62, v64
	v_sub_f32_e32 v59, v56, v62
	v_ldexp_f32 v62, v60, 1
	v_mul_f32_e32 v60, v60, v61
	v_mul_f32_e32 v60, v60, v63
	v_add_f32_e32 v61, v62, v60
	v_sub_f32_e32 v62, v61, v62
	v_ldexp_f32 v55, v55, 1
	v_sub_f32_e32 v60, v60, v62
	v_add_f32_e32 v55, v55, v60
	v_add_f32_e32 v60, v61, v55
	v_sub_f32_e32 v61, v60, v61
	v_sub_f32_e32 v55, v55, v61
	v_add_f32_e32 v61, v56, v60
	v_sub_f32_e32 v62, v61, v56
	v_sub_f32_e32 v63, v61, v62
	v_sub_f32_e32 v59, v64, v59
	v_sub_f32_e32 v56, v56, v63
	v_sub_f32_e32 v60, v60, v62
	v_add_f32_e32 v56, v60, v56
	v_add_f32_e32 v60, v59, v55
	v_sub_f32_e32 v62, v60, v59
	v_sub_f32_e32 v63, v60, v62
	v_sub_f32_e32 v59, v59, v63
	v_sub_f32_e32 v55, v55, v62
	v_add_f32_e32 v56, v60, v56
	v_add_f32_e32 v55, v55, v59
	v_add_f32_e32 v59, v61, v56
	v_sub_f32_e32 v60, v59, v61
	v_sub_f32_e32 v56, v56, v60
	v_add_f32_e32 v55, v55, v56
	v_add_f32_e32 v55, v59, v55
	v_cmp_neq_f32_e32 vcc, s56, v58
	s_mov_b32 s56, 0x33800000
	v_cndmask_b32_e32 v55, v57, v55, vcc
	v_cmp_lt_f32_e64 vcc, |v58|, s56
	v_cndmask_b32_e32 v55, v55, v58, vcc
	v_add_f32_e32 v55, v54, v55
.LBB442_316:
	s_or_b64 exec, exec, s[54:55]
	v_bfe_u32 v54, v55, 16, 1
	s_movk_i32 s54, 0x7fff
	v_add3_u32 v54, v55, v54, s54
	v_cmp_o_f32_e32 vcc, v55, v55
	v_mov_b32_e32 v55, 0x7fc0
	v_cndmask_b32_sdwa v55, v55, v54, vcc dst_sel:DWORD dst_unused:UNUSED_PAD src0_sel:DWORD src1_sel:WORD_1
	v_lshrrev_b32_e32 v54, 4, v0
	v_and_b32_e32 v54, 14, v54
	v_lshl_add_u32 v54, v0, 1, v54
	v_cmp_gt_u32_e32 vcc, 64, v0
	ds_write_b16 v54, v55
	s_waitcnt lgkmcnt(0)
	s_barrier
	s_and_saveexec_b64 s[60:61], vcc
	s_cbranch_execz .LBB442_356
; %bb.317:
	v_lshrrev_b32_e32 v54, 2, v0
	v_and_b32_e32 v54, 62, v54
	v_lshlrev_b32_e32 v56, 3, v0
	v_add_u32_e32 v54, v54, v56
	ds_read_u16 v56, v54
	ds_read_u16 v57, v54 offset:2
	s_movk_i32 s75, 0x1f8
	s_waitcnt lgkmcnt(1)
	v_lshlrev_b32_e32 v56, 16, v56
	s_waitcnt lgkmcnt(0)
	v_lshlrev_b32_e32 v58, 16, v57
	v_max_f32_e32 v59, v58, v58
	v_max_f32_e32 v57, v56, v56
	v_min_f32_e32 v60, v57, v59
	v_cmp_u_f32_e64 s[54:55], v56, v56
	v_max_f32_e32 v59, v57, v59
	v_cndmask_b32_e64 v60, v60, v56, s[54:55]
	v_cmp_u_f32_e32 vcc, v58, v58
	v_cndmask_b32_e64 v59, v59, v56, s[54:55]
	v_cndmask_b32_e32 v60, v60, v58, vcc
	v_cndmask_b32_e32 v58, v59, v58, vcc
	v_cmp_neq_f32_e32 vcc, v60, v58
	v_cmp_class_f32_e64 s[56:57], v60, s75
	s_or_b64 s[78:79], vcc, s[56:57]
	v_mov_b32_e32 v59, v56
	s_and_saveexec_b64 s[56:57], s[78:79]
	s_cbranch_execz .LBB442_319
; %bb.318:
	v_sub_f32_e32 v59, v60, v58
	s_mov_b32 s74, 0x3fb8aa3b
	v_mul_f32_e32 v60, 0x3fb8aa3b, v59
	v_fma_f32 v61, v59, s74, -v60
	v_rndne_f32_e32 v62, v60
	v_fmac_f32_e32 v61, 0x32a5705f, v59
	v_sub_f32_e32 v60, v60, v62
	v_add_f32_e32 v60, v60, v61
	v_exp_f32_e32 v60, v60
	v_cvt_i32_f32_e32 v61, v62
	s_mov_b32 s74, 0xc2ce8ed0
	v_cmp_ngt_f32_e32 vcc, s74, v59
	s_mov_b32 s74, 0x42b17218
	v_ldexp_f32 v60, v60, v61
	v_cndmask_b32_e32 v60, 0, v60, vcc
	v_mov_b32_e32 v61, 0x7f800000
	v_cmp_nlt_f32_e32 vcc, s74, v59
	v_cndmask_b32_e32 v62, v61, v60, vcc
	v_add_f32_e32 v63, 1.0, v62
	v_cvt_f64_f32_e32 v[59:60], v63
	v_add_f32_e32 v64, -1.0, v63
	v_sub_f32_e32 v65, v64, v63
	v_sub_f32_e32 v64, v62, v64
	v_frexp_exp_i32_f64_e32 v59, v[59:60]
	v_add_f32_e32 v60, 1.0, v65
	v_add_f32_e32 v60, v64, v60
	v_frexp_mant_f32_e32 v64, v63
	s_mov_b32 s77, 0x3f2aaaab
	v_cmp_gt_f32_e32 vcc, s77, v64
	s_mov_b32 s77, 0x3f317218
	s_mov_b32 s74, 0x7f800000
	v_subbrev_co_u32_e32 v59, vcc, 0, v59, vcc
	v_sub_u32_e32 v64, 0, v59
	v_ldexp_f32 v63, v63, v64
	v_ldexp_f32 v60, v60, v64
	v_add_f32_e32 v64, -1.0, v63
	v_add_f32_e32 v67, 1.0, v63
	v_add_f32_e32 v65, 1.0, v64
	v_add_f32_e32 v68, -1.0, v67
	v_sub_f32_e32 v65, v63, v65
	v_sub_f32_e32 v63, v63, v68
	v_add_f32_e32 v65, v60, v65
	v_add_f32_e32 v60, v60, v63
	;; [unrolled: 1-line block ×3, first 2 shown]
	v_rcp_f32_e32 v68, v63
	v_add_f32_e32 v66, v64, v65
	v_sub_f32_e32 v64, v64, v66
	v_add_f32_e32 v64, v65, v64
	v_sub_f32_e32 v65, v67, v63
	v_add_f32_e32 v60, v60, v65
	v_mul_f32_e32 v65, v66, v68
	v_mul_f32_e32 v67, v63, v65
	v_fma_f32 v69, v65, v63, -v67
	v_fmac_f32_e32 v69, v65, v60
	v_add_f32_e32 v70, v67, v69
	v_sub_f32_e32 v71, v66, v70
	v_sub_f32_e32 v66, v66, v71
	;; [unrolled: 1-line block ×4, first 2 shown]
	v_add_f32_e32 v64, v64, v66
	v_sub_f32_e32 v66, v67, v69
	v_add_f32_e32 v64, v66, v64
	v_add_f32_e32 v66, v71, v64
	v_mul_f32_e32 v67, v68, v66
	v_mul_f32_e32 v69, v63, v67
	v_fma_f32 v63, v67, v63, -v69
	v_fmac_f32_e32 v63, v67, v60
	v_sub_f32_e32 v60, v71, v66
	v_add_f32_e32 v60, v64, v60
	v_add_f32_e32 v64, v69, v63
	v_sub_f32_e32 v70, v66, v64
	v_sub_f32_e32 v66, v66, v70
	;; [unrolled: 1-line block ×4, first 2 shown]
	v_add_f32_e32 v60, v60, v64
	v_sub_f32_e32 v63, v69, v63
	v_add_f32_e32 v60, v63, v60
	v_add_f32_e32 v63, v65, v67
	;; [unrolled: 1-line block ×3, first 2 shown]
	v_sub_f32_e32 v64, v63, v65
	v_mul_f32_e32 v60, v68, v60
	v_sub_f32_e32 v64, v67, v64
	v_add_f32_e32 v60, v64, v60
	v_cvt_f32_i32_e32 v59, v59
	v_add_f32_e32 v64, v63, v60
	v_mul_f32_e32 v65, v64, v64
	v_mov_b32_e32 v66, 0x3ecc95a3
	v_fmac_f32_e32 v66, 0x3e9b6dac, v65
	v_mov_b32_e32 v67, 0x3f2aaada
	v_fmac_f32_e32 v67, v65, v66
	v_mul_f32_e32 v66, 0x3f317218, v59
	v_fma_f32 v68, v59, s77, -v66
	v_fmac_f32_e32 v68, 0xb102e308, v59
	v_sub_f32_e32 v59, v64, v63
	v_sub_f32_e32 v59, v60, v59
	v_add_f32_e32 v60, v66, v68
	v_sub_f32_e32 v63, v60, v66
	v_ldexp_f32 v66, v64, 1
	v_mul_f32_e32 v64, v64, v65
	v_mul_f32_e32 v64, v64, v67
	v_add_f32_e32 v65, v66, v64
	v_sub_f32_e32 v66, v65, v66
	v_ldexp_f32 v59, v59, 1
	v_sub_f32_e32 v64, v64, v66
	v_add_f32_e32 v59, v59, v64
	v_add_f32_e32 v64, v65, v59
	v_sub_f32_e32 v65, v64, v65
	v_sub_f32_e32 v59, v59, v65
	v_add_f32_e32 v65, v60, v64
	v_sub_f32_e32 v66, v65, v60
	v_sub_f32_e32 v67, v65, v66
	;; [unrolled: 1-line block ×5, first 2 shown]
	v_add_f32_e32 v60, v64, v60
	v_add_f32_e32 v64, v63, v59
	v_sub_f32_e32 v66, v64, v63
	v_sub_f32_e32 v67, v64, v66
	;; [unrolled: 1-line block ×4, first 2 shown]
	v_add_f32_e32 v60, v64, v60
	v_add_f32_e32 v59, v59, v63
	;; [unrolled: 1-line block ×3, first 2 shown]
	v_sub_f32_e32 v64, v63, v65
	v_sub_f32_e32 v60, v60, v64
	v_add_f32_e32 v59, v59, v60
	v_add_f32_e32 v59, v63, v59
	v_cmp_neq_f32_e32 vcc, s74, v62
	s_mov_b32 s74, 0x33800000
	v_cndmask_b32_e32 v59, v61, v59, vcc
	v_cmp_lt_f32_e64 vcc, |v62|, s74
	v_cndmask_b32_e32 v59, v59, v62, vcc
	v_add_f32_e32 v59, v58, v59
.LBB442_319:
	s_or_b64 exec, exec, s[56:57]
	ds_read_u16 v61, v54 offset:4
	v_bfe_u32 v58, v59, 16, 1
	s_movk_i32 s74, 0x7fff
	v_add3_u32 v58, v59, v58, s74
	v_and_b32_e32 v60, 0xffff0000, v58
	v_mov_b32_e32 v58, 0x7fc00000
	v_cmp_o_f32_e32 vcc, v59, v59
	v_cndmask_b32_e32 v60, v58, v60, vcc
	s_waitcnt lgkmcnt(0)
	v_lshlrev_b32_e32 v59, 16, v61
	v_max_f32_e32 v62, v60, v60
	v_max_f32_e32 v63, v59, v59
	v_min_f32_e32 v61, v62, v63
	v_cmp_u_f32_e32 vcc, v60, v60
	v_max_f32_e32 v62, v62, v63
	v_cndmask_b32_e32 v61, v61, v60, vcc
	v_cmp_u_f32_e64 s[56:57], v59, v59
	v_cndmask_b32_e32 v62, v62, v60, vcc
	v_cndmask_b32_e64 v61, v61, v59, s[56:57]
	v_cndmask_b32_e64 v59, v62, v59, s[56:57]
	v_cmp_neq_f32_e32 vcc, v61, v59
	v_cmp_class_f32_e64 s[56:57], v61, s75
	s_or_b64 s[78:79], vcc, s[56:57]
	s_and_saveexec_b64 s[56:57], s[78:79]
	s_cbranch_execz .LBB442_321
; %bb.320:
	v_sub_f32_e32 v60, v61, v59
	s_mov_b32 s75, 0x3fb8aa3b
	v_mul_f32_e32 v61, 0x3fb8aa3b, v60
	v_fma_f32 v62, v60, s75, -v61
	v_rndne_f32_e32 v63, v61
	v_fmac_f32_e32 v62, 0x32a5705f, v60
	v_sub_f32_e32 v61, v61, v63
	v_add_f32_e32 v61, v61, v62
	v_exp_f32_e32 v61, v61
	v_cvt_i32_f32_e32 v62, v63
	s_mov_b32 s75, 0xc2ce8ed0
	v_cmp_ngt_f32_e32 vcc, s75, v60
	s_mov_b32 s75, 0x42b17218
	v_ldexp_f32 v61, v61, v62
	v_cndmask_b32_e32 v61, 0, v61, vcc
	v_mov_b32_e32 v62, 0x7f800000
	v_cmp_nlt_f32_e32 vcc, s75, v60
	v_cndmask_b32_e32 v63, v62, v61, vcc
	v_add_f32_e32 v64, 1.0, v63
	v_cvt_f64_f32_e32 v[60:61], v64
	v_add_f32_e32 v65, -1.0, v64
	v_sub_f32_e32 v66, v65, v64
	v_sub_f32_e32 v65, v63, v65
	v_frexp_exp_i32_f64_e32 v60, v[60:61]
	v_add_f32_e32 v61, 1.0, v66
	v_add_f32_e32 v61, v65, v61
	v_frexp_mant_f32_e32 v65, v64
	s_mov_b32 s77, 0x3f2aaaab
	v_cmp_gt_f32_e32 vcc, s77, v65
	s_mov_b32 s77, 0x3f317218
	s_mov_b32 s75, 0x7f800000
	v_subbrev_co_u32_e32 v60, vcc, 0, v60, vcc
	v_sub_u32_e32 v65, 0, v60
	v_ldexp_f32 v64, v64, v65
	v_ldexp_f32 v61, v61, v65
	v_add_f32_e32 v65, -1.0, v64
	v_add_f32_e32 v68, 1.0, v64
	v_add_f32_e32 v66, 1.0, v65
	v_add_f32_e32 v69, -1.0, v68
	v_sub_f32_e32 v66, v64, v66
	v_sub_f32_e32 v64, v64, v69
	v_add_f32_e32 v66, v61, v66
	v_add_f32_e32 v61, v61, v64
	;; [unrolled: 1-line block ×3, first 2 shown]
	v_rcp_f32_e32 v69, v64
	v_add_f32_e32 v67, v65, v66
	v_sub_f32_e32 v65, v65, v67
	v_add_f32_e32 v65, v66, v65
	v_sub_f32_e32 v66, v68, v64
	v_add_f32_e32 v61, v61, v66
	v_mul_f32_e32 v66, v67, v69
	v_mul_f32_e32 v68, v64, v66
	v_fma_f32 v70, v66, v64, -v68
	v_fmac_f32_e32 v70, v66, v61
	v_add_f32_e32 v71, v68, v70
	v_sub_f32_e32 v72, v67, v71
	v_sub_f32_e32 v67, v67, v72
	;; [unrolled: 1-line block ×4, first 2 shown]
	v_add_f32_e32 v65, v65, v67
	v_sub_f32_e32 v67, v68, v70
	v_add_f32_e32 v65, v67, v65
	v_add_f32_e32 v67, v72, v65
	v_mul_f32_e32 v68, v69, v67
	v_mul_f32_e32 v70, v64, v68
	v_fma_f32 v64, v68, v64, -v70
	v_fmac_f32_e32 v64, v68, v61
	v_sub_f32_e32 v61, v72, v67
	v_add_f32_e32 v61, v65, v61
	v_add_f32_e32 v65, v70, v64
	v_sub_f32_e32 v71, v67, v65
	v_sub_f32_e32 v67, v67, v71
	v_sub_f32_e32 v70, v65, v70
	v_sub_f32_e32 v65, v67, v65
	v_add_f32_e32 v61, v61, v65
	v_sub_f32_e32 v64, v70, v64
	v_add_f32_e32 v61, v64, v61
	v_add_f32_e32 v64, v66, v68
	;; [unrolled: 1-line block ×3, first 2 shown]
	v_sub_f32_e32 v65, v64, v66
	v_mul_f32_e32 v61, v69, v61
	v_sub_f32_e32 v65, v68, v65
	v_add_f32_e32 v61, v65, v61
	v_cvt_f32_i32_e32 v60, v60
	v_add_f32_e32 v65, v64, v61
	v_mul_f32_e32 v66, v65, v65
	v_mov_b32_e32 v67, 0x3ecc95a3
	v_fmac_f32_e32 v67, 0x3e9b6dac, v66
	v_mov_b32_e32 v68, 0x3f2aaada
	v_fmac_f32_e32 v68, v66, v67
	v_mul_f32_e32 v67, 0x3f317218, v60
	v_fma_f32 v69, v60, s77, -v67
	v_fmac_f32_e32 v69, 0xb102e308, v60
	v_sub_f32_e32 v60, v65, v64
	v_sub_f32_e32 v60, v61, v60
	v_add_f32_e32 v61, v67, v69
	v_sub_f32_e32 v64, v61, v67
	v_ldexp_f32 v67, v65, 1
	v_mul_f32_e32 v65, v65, v66
	v_mul_f32_e32 v65, v65, v68
	v_add_f32_e32 v66, v67, v65
	v_sub_f32_e32 v67, v66, v67
	v_ldexp_f32 v60, v60, 1
	v_sub_f32_e32 v65, v65, v67
	v_add_f32_e32 v60, v60, v65
	v_add_f32_e32 v65, v66, v60
	v_sub_f32_e32 v66, v65, v66
	v_sub_f32_e32 v60, v60, v66
	v_add_f32_e32 v66, v61, v65
	v_sub_f32_e32 v67, v66, v61
	v_sub_f32_e32 v68, v66, v67
	;; [unrolled: 1-line block ×5, first 2 shown]
	v_add_f32_e32 v61, v65, v61
	v_add_f32_e32 v65, v64, v60
	v_sub_f32_e32 v67, v65, v64
	v_sub_f32_e32 v68, v65, v67
	;; [unrolled: 1-line block ×4, first 2 shown]
	v_add_f32_e32 v61, v65, v61
	v_add_f32_e32 v60, v60, v64
	;; [unrolled: 1-line block ×3, first 2 shown]
	v_sub_f32_e32 v65, v64, v66
	v_sub_f32_e32 v61, v61, v65
	v_add_f32_e32 v60, v60, v61
	v_add_f32_e32 v60, v64, v60
	v_cmp_neq_f32_e32 vcc, s75, v63
	s_mov_b32 s75, 0x33800000
	v_cndmask_b32_e32 v60, v62, v60, vcc
	v_cmp_lt_f32_e64 vcc, |v63|, s75
	v_cndmask_b32_e32 v60, v60, v63, vcc
	v_add_f32_e32 v60, v59, v60
.LBB442_321:
	s_or_b64 exec, exec, s[56:57]
	ds_read_u16 v61, v54 offset:6
	v_bfe_u32 v59, v60, 16, 1
	v_add3_u32 v59, v60, v59, s74
	v_and_b32_e32 v59, 0xffff0000, v59
	v_cmp_o_f32_e32 vcc, v60, v60
	v_cndmask_b32_e32 v59, v58, v59, vcc
	s_waitcnt lgkmcnt(0)
	v_lshlrev_b32_e32 v58, 16, v61
	v_max_f32_e32 v61, v59, v59
	v_max_f32_e32 v62, v58, v58
	v_min_f32_e32 v60, v61, v62
	v_cmp_u_f32_e32 vcc, v59, v59
	v_max_f32_e32 v61, v61, v62
	v_cndmask_b32_e32 v60, v60, v59, vcc
	v_cmp_u_f32_e64 s[56:57], v58, v58
	v_cndmask_b32_e32 v61, v61, v59, vcc
	v_cndmask_b32_e64 v60, v60, v58, s[56:57]
	v_cndmask_b32_e64 v58, v61, v58, s[56:57]
	s_movk_i32 s56, 0x1f8
	v_cmp_neq_f32_e32 vcc, v60, v58
	v_cmp_class_f32_e64 s[56:57], v60, s56
	s_or_b64 s[74:75], vcc, s[56:57]
	s_and_saveexec_b64 s[56:57], s[74:75]
	s_cbranch_execz .LBB442_323
; %bb.322:
	v_sub_f32_e32 v59, v60, v58
	s_mov_b32 s74, 0x3fb8aa3b
	v_mul_f32_e32 v60, 0x3fb8aa3b, v59
	v_fma_f32 v61, v59, s74, -v60
	v_rndne_f32_e32 v62, v60
	v_fmac_f32_e32 v61, 0x32a5705f, v59
	v_sub_f32_e32 v60, v60, v62
	v_add_f32_e32 v60, v60, v61
	v_exp_f32_e32 v60, v60
	v_cvt_i32_f32_e32 v61, v62
	s_mov_b32 s74, 0xc2ce8ed0
	v_cmp_ngt_f32_e32 vcc, s74, v59
	s_mov_b32 s74, 0x42b17218
	v_ldexp_f32 v60, v60, v61
	v_cndmask_b32_e32 v60, 0, v60, vcc
	v_mov_b32_e32 v61, 0x7f800000
	v_cmp_nlt_f32_e32 vcc, s74, v59
	v_cndmask_b32_e32 v62, v61, v60, vcc
	v_add_f32_e32 v63, 1.0, v62
	v_cvt_f64_f32_e32 v[59:60], v63
	v_add_f32_e32 v64, -1.0, v63
	v_sub_f32_e32 v65, v64, v63
	v_sub_f32_e32 v64, v62, v64
	v_frexp_exp_i32_f64_e32 v59, v[59:60]
	v_add_f32_e32 v60, 1.0, v65
	v_add_f32_e32 v60, v64, v60
	v_frexp_mant_f32_e32 v64, v63
	s_mov_b32 s75, 0x3f2aaaab
	v_cmp_gt_f32_e32 vcc, s75, v64
	s_mov_b32 s75, 0x3f317218
	s_mov_b32 s74, 0x7f800000
	v_subbrev_co_u32_e32 v59, vcc, 0, v59, vcc
	v_sub_u32_e32 v64, 0, v59
	v_ldexp_f32 v63, v63, v64
	v_ldexp_f32 v60, v60, v64
	v_add_f32_e32 v64, -1.0, v63
	v_add_f32_e32 v67, 1.0, v63
	v_add_f32_e32 v65, 1.0, v64
	v_add_f32_e32 v68, -1.0, v67
	v_sub_f32_e32 v65, v63, v65
	v_sub_f32_e32 v63, v63, v68
	v_add_f32_e32 v65, v60, v65
	v_add_f32_e32 v60, v60, v63
	;; [unrolled: 1-line block ×3, first 2 shown]
	v_rcp_f32_e32 v68, v63
	v_add_f32_e32 v66, v64, v65
	v_sub_f32_e32 v64, v64, v66
	v_add_f32_e32 v64, v65, v64
	v_sub_f32_e32 v65, v67, v63
	v_add_f32_e32 v60, v60, v65
	v_mul_f32_e32 v65, v66, v68
	v_mul_f32_e32 v67, v63, v65
	v_fma_f32 v69, v65, v63, -v67
	v_fmac_f32_e32 v69, v65, v60
	v_add_f32_e32 v70, v67, v69
	v_sub_f32_e32 v71, v66, v70
	v_sub_f32_e32 v66, v66, v71
	;; [unrolled: 1-line block ×4, first 2 shown]
	v_add_f32_e32 v64, v64, v66
	v_sub_f32_e32 v66, v67, v69
	v_add_f32_e32 v64, v66, v64
	v_add_f32_e32 v66, v71, v64
	v_mul_f32_e32 v67, v68, v66
	v_mul_f32_e32 v69, v63, v67
	v_fma_f32 v63, v67, v63, -v69
	v_fmac_f32_e32 v63, v67, v60
	v_sub_f32_e32 v60, v71, v66
	v_add_f32_e32 v60, v64, v60
	v_add_f32_e32 v64, v69, v63
	v_sub_f32_e32 v70, v66, v64
	v_sub_f32_e32 v66, v66, v70
	v_sub_f32_e32 v69, v64, v69
	v_sub_f32_e32 v64, v66, v64
	v_add_f32_e32 v60, v60, v64
	v_sub_f32_e32 v63, v69, v63
	v_add_f32_e32 v60, v63, v60
	v_add_f32_e32 v63, v65, v67
	;; [unrolled: 1-line block ×3, first 2 shown]
	v_sub_f32_e32 v64, v63, v65
	v_mul_f32_e32 v60, v68, v60
	v_sub_f32_e32 v64, v67, v64
	v_add_f32_e32 v60, v64, v60
	v_cvt_f32_i32_e32 v59, v59
	v_add_f32_e32 v64, v63, v60
	v_mul_f32_e32 v65, v64, v64
	v_mov_b32_e32 v66, 0x3ecc95a3
	v_fmac_f32_e32 v66, 0x3e9b6dac, v65
	v_mov_b32_e32 v67, 0x3f2aaada
	v_fmac_f32_e32 v67, v65, v66
	v_mul_f32_e32 v66, 0x3f317218, v59
	v_fma_f32 v68, v59, s75, -v66
	v_fmac_f32_e32 v68, 0xb102e308, v59
	v_sub_f32_e32 v59, v64, v63
	v_sub_f32_e32 v59, v60, v59
	v_add_f32_e32 v60, v66, v68
	v_sub_f32_e32 v63, v60, v66
	v_ldexp_f32 v66, v64, 1
	v_mul_f32_e32 v64, v64, v65
	v_mul_f32_e32 v64, v64, v67
	v_add_f32_e32 v65, v66, v64
	v_sub_f32_e32 v66, v65, v66
	v_ldexp_f32 v59, v59, 1
	v_sub_f32_e32 v64, v64, v66
	v_add_f32_e32 v59, v59, v64
	v_add_f32_e32 v64, v65, v59
	v_sub_f32_e32 v65, v64, v65
	v_sub_f32_e32 v59, v59, v65
	v_add_f32_e32 v65, v60, v64
	v_sub_f32_e32 v66, v65, v60
	v_sub_f32_e32 v67, v65, v66
	;; [unrolled: 1-line block ×5, first 2 shown]
	v_add_f32_e32 v60, v64, v60
	v_add_f32_e32 v64, v63, v59
	v_sub_f32_e32 v66, v64, v63
	v_sub_f32_e32 v67, v64, v66
	;; [unrolled: 1-line block ×4, first 2 shown]
	v_add_f32_e32 v60, v64, v60
	v_add_f32_e32 v59, v59, v63
	;; [unrolled: 1-line block ×3, first 2 shown]
	v_sub_f32_e32 v64, v63, v65
	v_sub_f32_e32 v60, v60, v64
	v_add_f32_e32 v59, v59, v60
	v_add_f32_e32 v59, v63, v59
	v_cmp_neq_f32_e32 vcc, s74, v62
	s_mov_b32 s74, 0x33800000
	v_cndmask_b32_e32 v59, v61, v59, vcc
	v_cmp_lt_f32_e64 vcc, |v62|, s74
	v_cndmask_b32_e32 v59, v59, v62, vcc
	v_add_f32_e32 v59, v58, v59
.LBB442_323:
	s_or_b64 exec, exec, s[56:57]
	v_bfe_u32 v58, v59, 16, 1
	s_movk_i32 s56, 0x7fff
	v_add3_u32 v58, v59, v58, s56
	v_cmp_o_f32_e32 vcc, v59, v59
	v_mov_b32_e32 v59, 0x7fc0
	v_cndmask_b32_sdwa v60, v59, v58, vcc dst_sel:DWORD dst_unused:UNUSED_PAD src0_sel:DWORD src1_sel:WORD_1
	v_mbcnt_lo_u32_b32 v58, -1, 0
	v_mbcnt_hi_u32_b32 v58, -1, v58
	v_and_b32_e32 v59, 15, v58
	v_and_b32_e32 v61, 0xffff, v60
	v_cmp_ne_u32_e32 vcc, 0, v59
	s_nop 0
	v_mov_b32_dpp v62, v61 row_shr:1 row_mask:0xf bank_mask:0xf
	s_and_saveexec_b64 s[56:57], vcc
	s_xor_b64 s[74:75], exec, s[56:57]
	s_cbranch_execz .LBB442_327
; %bb.324:
	v_lshlrev_b32_e32 v62, 16, v62
	v_lshlrev_b32_e32 v60, 16, v61
	v_max_f32_e32 v63, v60, v60
	v_max_f32_e32 v64, v62, v62
	v_min_f32_e32 v61, v64, v63
	v_cmp_u_f32_e32 vcc, v62, v62
	v_max_f32_e32 v63, v64, v63
	v_cndmask_b32_e32 v61, v61, v62, vcc
	v_cmp_u_f32_e64 s[56:57], v60, v60
	v_cndmask_b32_e32 v63, v63, v62, vcc
	v_cndmask_b32_e64 v61, v61, v60, s[56:57]
	v_cndmask_b32_e64 v60, v63, v60, s[56:57]
	s_movk_i32 s56, 0x1f8
	v_cmp_neq_f32_e32 vcc, v61, v60
	v_cmp_class_f32_e64 s[56:57], v61, s56
	s_or_b64 s[78:79], vcc, s[56:57]
	s_and_saveexec_b64 s[56:57], s[78:79]
	s_cbranch_execz .LBB442_326
; %bb.325:
	v_sub_f32_e32 v61, v61, v60
	s_mov_b32 s77, 0x3fb8aa3b
	v_mul_f32_e32 v62, 0x3fb8aa3b, v61
	v_fma_f32 v63, v61, s77, -v62
	v_rndne_f32_e32 v64, v62
	v_fmac_f32_e32 v63, 0x32a5705f, v61
	v_sub_f32_e32 v62, v62, v64
	v_add_f32_e32 v62, v62, v63
	v_exp_f32_e32 v62, v62
	v_cvt_i32_f32_e32 v63, v64
	s_mov_b32 s77, 0xc2ce8ed0
	v_cmp_ngt_f32_e32 vcc, s77, v61
	s_mov_b32 s77, 0x42b17218
	v_ldexp_f32 v62, v62, v63
	v_cndmask_b32_e32 v62, 0, v62, vcc
	v_mov_b32_e32 v63, 0x7f800000
	v_cmp_nlt_f32_e32 vcc, s77, v61
	v_cndmask_b32_e32 v64, v63, v62, vcc
	v_add_f32_e32 v65, 1.0, v64
	v_cvt_f64_f32_e32 v[61:62], v65
	v_add_f32_e32 v66, -1.0, v65
	v_sub_f32_e32 v67, v66, v65
	v_sub_f32_e32 v66, v64, v66
	v_frexp_exp_i32_f64_e32 v61, v[61:62]
	v_add_f32_e32 v62, 1.0, v67
	v_add_f32_e32 v62, v66, v62
	v_frexp_mant_f32_e32 v66, v65
	s_mov_b32 s78, 0x3f2aaaab
	v_cmp_gt_f32_e32 vcc, s78, v66
	s_mov_b32 s78, 0x3f317218
	s_mov_b32 s77, 0x7f800000
	v_subbrev_co_u32_e32 v61, vcc, 0, v61, vcc
	v_sub_u32_e32 v66, 0, v61
	v_ldexp_f32 v65, v65, v66
	v_ldexp_f32 v62, v62, v66
	v_add_f32_e32 v66, -1.0, v65
	v_add_f32_e32 v69, 1.0, v65
	v_add_f32_e32 v67, 1.0, v66
	v_add_f32_e32 v70, -1.0, v69
	v_sub_f32_e32 v67, v65, v67
	v_sub_f32_e32 v65, v65, v70
	v_add_f32_e32 v67, v62, v67
	v_add_f32_e32 v62, v62, v65
	;; [unrolled: 1-line block ×3, first 2 shown]
	v_rcp_f32_e32 v70, v65
	v_add_f32_e32 v68, v66, v67
	v_sub_f32_e32 v66, v66, v68
	v_add_f32_e32 v66, v67, v66
	v_sub_f32_e32 v67, v69, v65
	v_add_f32_e32 v62, v62, v67
	v_mul_f32_e32 v67, v68, v70
	v_mul_f32_e32 v69, v65, v67
	v_fma_f32 v71, v67, v65, -v69
	v_fmac_f32_e32 v71, v67, v62
	v_add_f32_e32 v72, v69, v71
	v_sub_f32_e32 v73, v68, v72
	v_sub_f32_e32 v68, v68, v73
	;; [unrolled: 1-line block ×4, first 2 shown]
	v_add_f32_e32 v66, v66, v68
	v_sub_f32_e32 v68, v69, v71
	v_add_f32_e32 v66, v68, v66
	v_add_f32_e32 v68, v73, v66
	v_mul_f32_e32 v69, v70, v68
	v_mul_f32_e32 v71, v65, v69
	v_fma_f32 v65, v69, v65, -v71
	v_fmac_f32_e32 v65, v69, v62
	v_sub_f32_e32 v62, v73, v68
	v_add_f32_e32 v62, v66, v62
	v_add_f32_e32 v66, v71, v65
	v_sub_f32_e32 v72, v68, v66
	v_sub_f32_e32 v68, v68, v72
	v_sub_f32_e32 v71, v66, v71
	v_sub_f32_e32 v66, v68, v66
	v_add_f32_e32 v62, v62, v66
	v_sub_f32_e32 v65, v71, v65
	v_add_f32_e32 v62, v65, v62
	v_add_f32_e32 v65, v67, v69
	v_add_f32_e32 v62, v72, v62
	v_sub_f32_e32 v66, v65, v67
	v_mul_f32_e32 v62, v70, v62
	v_sub_f32_e32 v66, v69, v66
	v_add_f32_e32 v62, v66, v62
	v_cvt_f32_i32_e32 v61, v61
	v_add_f32_e32 v66, v65, v62
	v_mul_f32_e32 v67, v66, v66
	v_mov_b32_e32 v68, 0x3ecc95a3
	v_fmac_f32_e32 v68, 0x3e9b6dac, v67
	v_mov_b32_e32 v69, 0x3f2aaada
	v_fmac_f32_e32 v69, v67, v68
	v_mul_f32_e32 v68, 0x3f317218, v61
	v_fma_f32 v70, v61, s78, -v68
	v_fmac_f32_e32 v70, 0xb102e308, v61
	v_sub_f32_e32 v61, v66, v65
	v_sub_f32_e32 v61, v62, v61
	v_add_f32_e32 v62, v68, v70
	v_sub_f32_e32 v65, v62, v68
	v_ldexp_f32 v68, v66, 1
	v_mul_f32_e32 v66, v66, v67
	v_mul_f32_e32 v66, v66, v69
	v_add_f32_e32 v67, v68, v66
	v_sub_f32_e32 v68, v67, v68
	v_ldexp_f32 v61, v61, 1
	v_sub_f32_e32 v66, v66, v68
	v_add_f32_e32 v61, v61, v66
	v_add_f32_e32 v66, v67, v61
	v_sub_f32_e32 v67, v66, v67
	v_sub_f32_e32 v61, v61, v67
	v_add_f32_e32 v67, v62, v66
	v_sub_f32_e32 v68, v67, v62
	v_sub_f32_e32 v69, v67, v68
	;; [unrolled: 1-line block ×5, first 2 shown]
	v_add_f32_e32 v62, v66, v62
	v_add_f32_e32 v66, v65, v61
	v_sub_f32_e32 v68, v66, v65
	v_sub_f32_e32 v69, v66, v68
	;; [unrolled: 1-line block ×4, first 2 shown]
	v_add_f32_e32 v62, v66, v62
	v_add_f32_e32 v61, v61, v65
	;; [unrolled: 1-line block ×3, first 2 shown]
	v_sub_f32_e32 v66, v65, v67
	v_sub_f32_e32 v62, v62, v66
	v_add_f32_e32 v61, v61, v62
	v_add_f32_e32 v61, v65, v61
	v_cmp_neq_f32_e32 vcc, s77, v64
	s_mov_b32 s77, 0x33800000
	v_cndmask_b32_e32 v61, v63, v61, vcc
	v_cmp_lt_f32_e64 vcc, |v64|, s77
	v_cndmask_b32_e32 v61, v61, v64, vcc
	v_add_f32_e32 v62, v60, v61
.LBB442_326:
	s_or_b64 exec, exec, s[56:57]
	v_bfe_u32 v60, v62, 16, 1
	s_movk_i32 s56, 0x7fff
	v_add3_u32 v60, v62, v60, s56
	v_cmp_o_f32_e32 vcc, v62, v62
	v_mov_b32_e32 v61, 0x7fc0
	v_cndmask_b32_sdwa v60, v61, v60, vcc dst_sel:DWORD dst_unused:UNUSED_PAD src0_sel:DWORD src1_sel:WORD_1
	v_and_b32_e32 v61, 0xffff, v60
.LBB442_327:
	s_or_b64 exec, exec, s[74:75]
	s_nop 0
	v_mov_b32_dpp v62, v61 row_shr:2 row_mask:0xf bank_mask:0xf
	v_cmp_lt_u32_e32 vcc, 1, v59
	s_and_saveexec_b64 s[74:75], vcc
	s_cbranch_execz .LBB442_331
; %bb.328:
	v_lshlrev_b32_e32 v62, 16, v62
	v_lshlrev_b32_e32 v60, 16, v61
	v_max_f32_e32 v63, v60, v60
	v_max_f32_e32 v64, v62, v62
	v_min_f32_e32 v61, v64, v63
	v_cmp_u_f32_e32 vcc, v62, v62
	v_max_f32_e32 v63, v64, v63
	v_cndmask_b32_e32 v61, v61, v62, vcc
	v_cmp_u_f32_e64 s[56:57], v60, v60
	v_cndmask_b32_e32 v63, v63, v62, vcc
	v_cndmask_b32_e64 v61, v61, v60, s[56:57]
	v_cndmask_b32_e64 v60, v63, v60, s[56:57]
	s_movk_i32 s56, 0x1f8
	v_cmp_neq_f32_e32 vcc, v61, v60
	v_cmp_class_f32_e64 s[56:57], v61, s56
	s_or_b64 s[78:79], vcc, s[56:57]
	s_and_saveexec_b64 s[56:57], s[78:79]
	s_cbranch_execz .LBB442_330
; %bb.329:
	v_sub_f32_e32 v61, v61, v60
	s_mov_b32 s77, 0x3fb8aa3b
	v_mul_f32_e32 v62, 0x3fb8aa3b, v61
	v_fma_f32 v63, v61, s77, -v62
	v_rndne_f32_e32 v64, v62
	v_fmac_f32_e32 v63, 0x32a5705f, v61
	v_sub_f32_e32 v62, v62, v64
	v_add_f32_e32 v62, v62, v63
	v_exp_f32_e32 v62, v62
	v_cvt_i32_f32_e32 v63, v64
	s_mov_b32 s77, 0xc2ce8ed0
	v_cmp_ngt_f32_e32 vcc, s77, v61
	s_mov_b32 s77, 0x42b17218
	v_ldexp_f32 v62, v62, v63
	v_cndmask_b32_e32 v62, 0, v62, vcc
	v_mov_b32_e32 v63, 0x7f800000
	v_cmp_nlt_f32_e32 vcc, s77, v61
	v_cndmask_b32_e32 v64, v63, v62, vcc
	v_add_f32_e32 v65, 1.0, v64
	v_cvt_f64_f32_e32 v[61:62], v65
	v_add_f32_e32 v66, -1.0, v65
	v_sub_f32_e32 v67, v66, v65
	v_sub_f32_e32 v66, v64, v66
	v_frexp_exp_i32_f64_e32 v61, v[61:62]
	v_add_f32_e32 v62, 1.0, v67
	v_add_f32_e32 v62, v66, v62
	v_frexp_mant_f32_e32 v66, v65
	s_mov_b32 s78, 0x3f2aaaab
	v_cmp_gt_f32_e32 vcc, s78, v66
	s_mov_b32 s78, 0x3f317218
	s_mov_b32 s77, 0x7f800000
	v_subbrev_co_u32_e32 v61, vcc, 0, v61, vcc
	v_sub_u32_e32 v66, 0, v61
	v_ldexp_f32 v65, v65, v66
	v_ldexp_f32 v62, v62, v66
	v_add_f32_e32 v66, -1.0, v65
	v_add_f32_e32 v69, 1.0, v65
	v_add_f32_e32 v67, 1.0, v66
	v_add_f32_e32 v70, -1.0, v69
	v_sub_f32_e32 v67, v65, v67
	v_sub_f32_e32 v65, v65, v70
	v_add_f32_e32 v67, v62, v67
	v_add_f32_e32 v62, v62, v65
	;; [unrolled: 1-line block ×3, first 2 shown]
	v_rcp_f32_e32 v70, v65
	v_add_f32_e32 v68, v66, v67
	v_sub_f32_e32 v66, v66, v68
	v_add_f32_e32 v66, v67, v66
	v_sub_f32_e32 v67, v69, v65
	v_add_f32_e32 v62, v62, v67
	v_mul_f32_e32 v67, v68, v70
	v_mul_f32_e32 v69, v65, v67
	v_fma_f32 v71, v67, v65, -v69
	v_fmac_f32_e32 v71, v67, v62
	v_add_f32_e32 v72, v69, v71
	v_sub_f32_e32 v73, v68, v72
	v_sub_f32_e32 v68, v68, v73
	;; [unrolled: 1-line block ×4, first 2 shown]
	v_add_f32_e32 v66, v66, v68
	v_sub_f32_e32 v68, v69, v71
	v_add_f32_e32 v66, v68, v66
	v_add_f32_e32 v68, v73, v66
	v_mul_f32_e32 v69, v70, v68
	v_mul_f32_e32 v71, v65, v69
	v_fma_f32 v65, v69, v65, -v71
	v_fmac_f32_e32 v65, v69, v62
	v_sub_f32_e32 v62, v73, v68
	v_add_f32_e32 v62, v66, v62
	v_add_f32_e32 v66, v71, v65
	v_sub_f32_e32 v72, v68, v66
	v_sub_f32_e32 v68, v68, v72
	;; [unrolled: 1-line block ×4, first 2 shown]
	v_add_f32_e32 v62, v62, v66
	v_sub_f32_e32 v65, v71, v65
	v_add_f32_e32 v62, v65, v62
	v_add_f32_e32 v65, v67, v69
	;; [unrolled: 1-line block ×3, first 2 shown]
	v_sub_f32_e32 v66, v65, v67
	v_mul_f32_e32 v62, v70, v62
	v_sub_f32_e32 v66, v69, v66
	v_add_f32_e32 v62, v66, v62
	v_cvt_f32_i32_e32 v61, v61
	v_add_f32_e32 v66, v65, v62
	v_mul_f32_e32 v67, v66, v66
	v_mov_b32_e32 v68, 0x3ecc95a3
	v_fmac_f32_e32 v68, 0x3e9b6dac, v67
	v_mov_b32_e32 v69, 0x3f2aaada
	v_fmac_f32_e32 v69, v67, v68
	v_mul_f32_e32 v68, 0x3f317218, v61
	v_fma_f32 v70, v61, s78, -v68
	v_fmac_f32_e32 v70, 0xb102e308, v61
	v_sub_f32_e32 v61, v66, v65
	v_sub_f32_e32 v61, v62, v61
	v_add_f32_e32 v62, v68, v70
	v_sub_f32_e32 v65, v62, v68
	v_ldexp_f32 v68, v66, 1
	v_mul_f32_e32 v66, v66, v67
	v_mul_f32_e32 v66, v66, v69
	v_add_f32_e32 v67, v68, v66
	v_sub_f32_e32 v68, v67, v68
	v_ldexp_f32 v61, v61, 1
	v_sub_f32_e32 v66, v66, v68
	v_add_f32_e32 v61, v61, v66
	v_add_f32_e32 v66, v67, v61
	v_sub_f32_e32 v67, v66, v67
	v_sub_f32_e32 v61, v61, v67
	v_add_f32_e32 v67, v62, v66
	v_sub_f32_e32 v68, v67, v62
	v_sub_f32_e32 v69, v67, v68
	;; [unrolled: 1-line block ×5, first 2 shown]
	v_add_f32_e32 v62, v66, v62
	v_add_f32_e32 v66, v65, v61
	v_sub_f32_e32 v68, v66, v65
	v_sub_f32_e32 v69, v66, v68
	;; [unrolled: 1-line block ×4, first 2 shown]
	v_add_f32_e32 v62, v66, v62
	v_add_f32_e32 v61, v61, v65
	;; [unrolled: 1-line block ×3, first 2 shown]
	v_sub_f32_e32 v66, v65, v67
	v_sub_f32_e32 v62, v62, v66
	v_add_f32_e32 v61, v61, v62
	v_add_f32_e32 v61, v65, v61
	v_cmp_neq_f32_e32 vcc, s77, v64
	s_mov_b32 s77, 0x33800000
	v_cndmask_b32_e32 v61, v63, v61, vcc
	v_cmp_lt_f32_e64 vcc, |v64|, s77
	v_cndmask_b32_e32 v61, v61, v64, vcc
	v_add_f32_e32 v62, v60, v61
.LBB442_330:
	s_or_b64 exec, exec, s[56:57]
	v_bfe_u32 v60, v62, 16, 1
	s_movk_i32 s56, 0x7fff
	v_add3_u32 v60, v62, v60, s56
	v_cmp_o_f32_e32 vcc, v62, v62
	v_mov_b32_e32 v61, 0x7fc0
	v_cndmask_b32_sdwa v60, v61, v60, vcc dst_sel:DWORD dst_unused:UNUSED_PAD src0_sel:DWORD src1_sel:WORD_1
	v_and_b32_e32 v61, 0xffff, v60
.LBB442_331:
	s_or_b64 exec, exec, s[74:75]
	s_nop 0
	v_mov_b32_dpp v62, v61 row_shr:4 row_mask:0xf bank_mask:0xf
	v_cmp_lt_u32_e32 vcc, 3, v59
	s_and_saveexec_b64 s[74:75], vcc
	s_cbranch_execz .LBB442_335
; %bb.332:
	v_lshlrev_b32_e32 v62, 16, v62
	v_lshlrev_b32_e32 v60, 16, v61
	v_max_f32_e32 v63, v60, v60
	v_max_f32_e32 v64, v62, v62
	v_min_f32_e32 v61, v64, v63
	v_cmp_u_f32_e32 vcc, v62, v62
	v_max_f32_e32 v63, v64, v63
	v_cndmask_b32_e32 v61, v61, v62, vcc
	v_cmp_u_f32_e64 s[56:57], v60, v60
	v_cndmask_b32_e32 v63, v63, v62, vcc
	v_cndmask_b32_e64 v61, v61, v60, s[56:57]
	v_cndmask_b32_e64 v60, v63, v60, s[56:57]
	s_movk_i32 s56, 0x1f8
	v_cmp_neq_f32_e32 vcc, v61, v60
	v_cmp_class_f32_e64 s[56:57], v61, s56
	s_or_b64 s[78:79], vcc, s[56:57]
	s_and_saveexec_b64 s[56:57], s[78:79]
	s_cbranch_execz .LBB442_334
; %bb.333:
	v_sub_f32_e32 v61, v61, v60
	s_mov_b32 s77, 0x3fb8aa3b
	v_mul_f32_e32 v62, 0x3fb8aa3b, v61
	v_fma_f32 v63, v61, s77, -v62
	v_rndne_f32_e32 v64, v62
	v_fmac_f32_e32 v63, 0x32a5705f, v61
	v_sub_f32_e32 v62, v62, v64
	v_add_f32_e32 v62, v62, v63
	v_exp_f32_e32 v62, v62
	v_cvt_i32_f32_e32 v63, v64
	s_mov_b32 s77, 0xc2ce8ed0
	v_cmp_ngt_f32_e32 vcc, s77, v61
	s_mov_b32 s77, 0x42b17218
	v_ldexp_f32 v62, v62, v63
	v_cndmask_b32_e32 v62, 0, v62, vcc
	v_mov_b32_e32 v63, 0x7f800000
	v_cmp_nlt_f32_e32 vcc, s77, v61
	v_cndmask_b32_e32 v64, v63, v62, vcc
	v_add_f32_e32 v65, 1.0, v64
	v_cvt_f64_f32_e32 v[61:62], v65
	v_add_f32_e32 v66, -1.0, v65
	v_sub_f32_e32 v67, v66, v65
	v_sub_f32_e32 v66, v64, v66
	v_frexp_exp_i32_f64_e32 v61, v[61:62]
	v_add_f32_e32 v62, 1.0, v67
	v_add_f32_e32 v62, v66, v62
	v_frexp_mant_f32_e32 v66, v65
	s_mov_b32 s78, 0x3f2aaaab
	v_cmp_gt_f32_e32 vcc, s78, v66
	s_mov_b32 s78, 0x3f317218
	s_mov_b32 s77, 0x7f800000
	v_subbrev_co_u32_e32 v61, vcc, 0, v61, vcc
	v_sub_u32_e32 v66, 0, v61
	v_ldexp_f32 v65, v65, v66
	v_ldexp_f32 v62, v62, v66
	v_add_f32_e32 v66, -1.0, v65
	v_add_f32_e32 v69, 1.0, v65
	v_add_f32_e32 v67, 1.0, v66
	v_add_f32_e32 v70, -1.0, v69
	v_sub_f32_e32 v67, v65, v67
	v_sub_f32_e32 v65, v65, v70
	v_add_f32_e32 v67, v62, v67
	v_add_f32_e32 v62, v62, v65
	;; [unrolled: 1-line block ×3, first 2 shown]
	v_rcp_f32_e32 v70, v65
	v_add_f32_e32 v68, v66, v67
	v_sub_f32_e32 v66, v66, v68
	v_add_f32_e32 v66, v67, v66
	v_sub_f32_e32 v67, v69, v65
	v_add_f32_e32 v62, v62, v67
	v_mul_f32_e32 v67, v68, v70
	v_mul_f32_e32 v69, v65, v67
	v_fma_f32 v71, v67, v65, -v69
	v_fmac_f32_e32 v71, v67, v62
	v_add_f32_e32 v72, v69, v71
	v_sub_f32_e32 v73, v68, v72
	v_sub_f32_e32 v68, v68, v73
	;; [unrolled: 1-line block ×4, first 2 shown]
	v_add_f32_e32 v66, v66, v68
	v_sub_f32_e32 v68, v69, v71
	v_add_f32_e32 v66, v68, v66
	v_add_f32_e32 v68, v73, v66
	v_mul_f32_e32 v69, v70, v68
	v_mul_f32_e32 v71, v65, v69
	v_fma_f32 v65, v69, v65, -v71
	v_fmac_f32_e32 v65, v69, v62
	v_sub_f32_e32 v62, v73, v68
	v_add_f32_e32 v62, v66, v62
	v_add_f32_e32 v66, v71, v65
	v_sub_f32_e32 v72, v68, v66
	v_sub_f32_e32 v68, v68, v72
	;; [unrolled: 1-line block ×4, first 2 shown]
	v_add_f32_e32 v62, v62, v66
	v_sub_f32_e32 v65, v71, v65
	v_add_f32_e32 v62, v65, v62
	v_add_f32_e32 v65, v67, v69
	;; [unrolled: 1-line block ×3, first 2 shown]
	v_sub_f32_e32 v66, v65, v67
	v_mul_f32_e32 v62, v70, v62
	v_sub_f32_e32 v66, v69, v66
	v_add_f32_e32 v62, v66, v62
	v_cvt_f32_i32_e32 v61, v61
	v_add_f32_e32 v66, v65, v62
	v_mul_f32_e32 v67, v66, v66
	v_mov_b32_e32 v68, 0x3ecc95a3
	v_fmac_f32_e32 v68, 0x3e9b6dac, v67
	v_mov_b32_e32 v69, 0x3f2aaada
	v_fmac_f32_e32 v69, v67, v68
	v_mul_f32_e32 v68, 0x3f317218, v61
	v_fma_f32 v70, v61, s78, -v68
	v_fmac_f32_e32 v70, 0xb102e308, v61
	v_sub_f32_e32 v61, v66, v65
	v_sub_f32_e32 v61, v62, v61
	v_add_f32_e32 v62, v68, v70
	v_sub_f32_e32 v65, v62, v68
	v_ldexp_f32 v68, v66, 1
	v_mul_f32_e32 v66, v66, v67
	v_mul_f32_e32 v66, v66, v69
	v_add_f32_e32 v67, v68, v66
	v_sub_f32_e32 v68, v67, v68
	v_ldexp_f32 v61, v61, 1
	v_sub_f32_e32 v66, v66, v68
	v_add_f32_e32 v61, v61, v66
	v_add_f32_e32 v66, v67, v61
	v_sub_f32_e32 v67, v66, v67
	v_sub_f32_e32 v61, v61, v67
	v_add_f32_e32 v67, v62, v66
	v_sub_f32_e32 v68, v67, v62
	v_sub_f32_e32 v69, v67, v68
	;; [unrolled: 1-line block ×5, first 2 shown]
	v_add_f32_e32 v62, v66, v62
	v_add_f32_e32 v66, v65, v61
	v_sub_f32_e32 v68, v66, v65
	v_sub_f32_e32 v69, v66, v68
	;; [unrolled: 1-line block ×4, first 2 shown]
	v_add_f32_e32 v62, v66, v62
	v_add_f32_e32 v61, v61, v65
	;; [unrolled: 1-line block ×3, first 2 shown]
	v_sub_f32_e32 v66, v65, v67
	v_sub_f32_e32 v62, v62, v66
	v_add_f32_e32 v61, v61, v62
	v_add_f32_e32 v61, v65, v61
	v_cmp_neq_f32_e32 vcc, s77, v64
	s_mov_b32 s77, 0x33800000
	v_cndmask_b32_e32 v61, v63, v61, vcc
	v_cmp_lt_f32_e64 vcc, |v64|, s77
	v_cndmask_b32_e32 v61, v61, v64, vcc
	v_add_f32_e32 v62, v60, v61
.LBB442_334:
	s_or_b64 exec, exec, s[56:57]
	v_bfe_u32 v60, v62, 16, 1
	s_movk_i32 s56, 0x7fff
	v_add3_u32 v60, v62, v60, s56
	v_cmp_o_f32_e32 vcc, v62, v62
	v_mov_b32_e32 v61, 0x7fc0
	v_cndmask_b32_sdwa v60, v61, v60, vcc dst_sel:DWORD dst_unused:UNUSED_PAD src0_sel:DWORD src1_sel:WORD_1
	v_and_b32_e32 v61, 0xffff, v60
.LBB442_335:
	s_or_b64 exec, exec, s[74:75]
	s_nop 0
	v_mov_b32_dpp v62, v61 row_shr:8 row_mask:0xf bank_mask:0xf
	v_cmp_lt_u32_e32 vcc, 7, v59
	s_and_saveexec_b64 s[74:75], vcc
	s_cbranch_execz .LBB442_339
; %bb.336:
	v_lshlrev_b32_e32 v60, 16, v62
	v_lshlrev_b32_e32 v59, 16, v61
	v_max_f32_e32 v62, v59, v59
	v_max_f32_e32 v63, v60, v60
	v_min_f32_e32 v61, v63, v62
	v_cmp_u_f32_e32 vcc, v60, v60
	v_max_f32_e32 v62, v63, v62
	v_cndmask_b32_e32 v61, v61, v60, vcc
	v_cmp_u_f32_e64 s[56:57], v59, v59
	v_cndmask_b32_e32 v62, v62, v60, vcc
	v_cndmask_b32_e64 v61, v61, v59, s[56:57]
	v_cndmask_b32_e64 v59, v62, v59, s[56:57]
	s_movk_i32 s56, 0x1f8
	v_cmp_neq_f32_e32 vcc, v61, v59
	v_cmp_class_f32_e64 s[56:57], v61, s56
	s_or_b64 s[78:79], vcc, s[56:57]
	s_and_saveexec_b64 s[56:57], s[78:79]
	s_cbranch_execz .LBB442_338
; %bb.337:
	v_sub_f32_e32 v60, v61, v59
	s_mov_b32 s77, 0x3fb8aa3b
	v_mul_f32_e32 v61, 0x3fb8aa3b, v60
	v_fma_f32 v62, v60, s77, -v61
	v_rndne_f32_e32 v63, v61
	v_fmac_f32_e32 v62, 0x32a5705f, v60
	v_sub_f32_e32 v61, v61, v63
	v_add_f32_e32 v61, v61, v62
	v_exp_f32_e32 v61, v61
	v_cvt_i32_f32_e32 v62, v63
	s_mov_b32 s77, 0xc2ce8ed0
	v_cmp_ngt_f32_e32 vcc, s77, v60
	s_mov_b32 s77, 0x42b17218
	v_ldexp_f32 v61, v61, v62
	v_cndmask_b32_e32 v61, 0, v61, vcc
	v_mov_b32_e32 v62, 0x7f800000
	v_cmp_nlt_f32_e32 vcc, s77, v60
	v_cndmask_b32_e32 v63, v62, v61, vcc
	v_add_f32_e32 v64, 1.0, v63
	v_cvt_f64_f32_e32 v[60:61], v64
	v_add_f32_e32 v65, -1.0, v64
	v_sub_f32_e32 v66, v65, v64
	v_sub_f32_e32 v65, v63, v65
	v_frexp_exp_i32_f64_e32 v60, v[60:61]
	v_add_f32_e32 v61, 1.0, v66
	v_add_f32_e32 v61, v65, v61
	v_frexp_mant_f32_e32 v65, v64
	s_mov_b32 s78, 0x3f2aaaab
	v_cmp_gt_f32_e32 vcc, s78, v65
	s_mov_b32 s78, 0x3f317218
	s_mov_b32 s77, 0x7f800000
	v_subbrev_co_u32_e32 v60, vcc, 0, v60, vcc
	v_sub_u32_e32 v65, 0, v60
	v_ldexp_f32 v64, v64, v65
	v_ldexp_f32 v61, v61, v65
	v_add_f32_e32 v65, -1.0, v64
	v_add_f32_e32 v68, 1.0, v64
	v_add_f32_e32 v66, 1.0, v65
	v_add_f32_e32 v69, -1.0, v68
	v_sub_f32_e32 v66, v64, v66
	v_sub_f32_e32 v64, v64, v69
	v_add_f32_e32 v66, v61, v66
	v_add_f32_e32 v61, v61, v64
	;; [unrolled: 1-line block ×3, first 2 shown]
	v_rcp_f32_e32 v69, v64
	v_add_f32_e32 v67, v65, v66
	v_sub_f32_e32 v65, v65, v67
	v_add_f32_e32 v65, v66, v65
	v_sub_f32_e32 v66, v68, v64
	v_add_f32_e32 v61, v61, v66
	v_mul_f32_e32 v66, v67, v69
	v_mul_f32_e32 v68, v64, v66
	v_fma_f32 v70, v66, v64, -v68
	v_fmac_f32_e32 v70, v66, v61
	v_add_f32_e32 v71, v68, v70
	v_sub_f32_e32 v72, v67, v71
	v_sub_f32_e32 v67, v67, v72
	;; [unrolled: 1-line block ×4, first 2 shown]
	v_add_f32_e32 v65, v65, v67
	v_sub_f32_e32 v67, v68, v70
	v_add_f32_e32 v65, v67, v65
	v_add_f32_e32 v67, v72, v65
	v_mul_f32_e32 v68, v69, v67
	v_mul_f32_e32 v70, v64, v68
	v_fma_f32 v64, v68, v64, -v70
	v_fmac_f32_e32 v64, v68, v61
	v_sub_f32_e32 v61, v72, v67
	v_add_f32_e32 v61, v65, v61
	v_add_f32_e32 v65, v70, v64
	v_sub_f32_e32 v71, v67, v65
	v_sub_f32_e32 v67, v67, v71
	;; [unrolled: 1-line block ×4, first 2 shown]
	v_add_f32_e32 v61, v61, v65
	v_sub_f32_e32 v64, v70, v64
	v_add_f32_e32 v61, v64, v61
	v_add_f32_e32 v64, v66, v68
	;; [unrolled: 1-line block ×3, first 2 shown]
	v_sub_f32_e32 v65, v64, v66
	v_mul_f32_e32 v61, v69, v61
	v_sub_f32_e32 v65, v68, v65
	v_add_f32_e32 v61, v65, v61
	v_cvt_f32_i32_e32 v60, v60
	v_add_f32_e32 v65, v64, v61
	v_mul_f32_e32 v66, v65, v65
	v_mov_b32_e32 v67, 0x3ecc95a3
	v_fmac_f32_e32 v67, 0x3e9b6dac, v66
	v_mov_b32_e32 v68, 0x3f2aaada
	v_fmac_f32_e32 v68, v66, v67
	v_mul_f32_e32 v67, 0x3f317218, v60
	v_fma_f32 v69, v60, s78, -v67
	v_fmac_f32_e32 v69, 0xb102e308, v60
	v_sub_f32_e32 v60, v65, v64
	v_sub_f32_e32 v60, v61, v60
	v_add_f32_e32 v61, v67, v69
	v_sub_f32_e32 v64, v61, v67
	v_ldexp_f32 v67, v65, 1
	v_mul_f32_e32 v65, v65, v66
	v_mul_f32_e32 v65, v65, v68
	v_add_f32_e32 v66, v67, v65
	v_sub_f32_e32 v67, v66, v67
	v_ldexp_f32 v60, v60, 1
	v_sub_f32_e32 v65, v65, v67
	v_add_f32_e32 v60, v60, v65
	v_add_f32_e32 v65, v66, v60
	v_sub_f32_e32 v66, v65, v66
	v_sub_f32_e32 v60, v60, v66
	v_add_f32_e32 v66, v61, v65
	v_sub_f32_e32 v67, v66, v61
	v_sub_f32_e32 v68, v66, v67
	;; [unrolled: 1-line block ×5, first 2 shown]
	v_add_f32_e32 v61, v65, v61
	v_add_f32_e32 v65, v64, v60
	v_sub_f32_e32 v67, v65, v64
	v_sub_f32_e32 v68, v65, v67
	;; [unrolled: 1-line block ×4, first 2 shown]
	v_add_f32_e32 v61, v65, v61
	v_add_f32_e32 v60, v60, v64
	;; [unrolled: 1-line block ×3, first 2 shown]
	v_sub_f32_e32 v65, v64, v66
	v_sub_f32_e32 v61, v61, v65
	v_add_f32_e32 v60, v60, v61
	v_add_f32_e32 v60, v64, v60
	v_cmp_neq_f32_e32 vcc, s77, v63
	s_mov_b32 s77, 0x33800000
	v_cndmask_b32_e32 v60, v62, v60, vcc
	v_cmp_lt_f32_e64 vcc, |v63|, s77
	v_cndmask_b32_e32 v60, v60, v63, vcc
	v_add_f32_e32 v60, v59, v60
.LBB442_338:
	s_or_b64 exec, exec, s[56:57]
	v_bfe_u32 v59, v60, 16, 1
	s_movk_i32 s56, 0x7fff
	v_add3_u32 v59, v60, v59, s56
	v_cmp_o_f32_e32 vcc, v60, v60
	v_mov_b32_e32 v60, 0x7fc0
	v_cndmask_b32_sdwa v60, v60, v59, vcc dst_sel:DWORD dst_unused:UNUSED_PAD src0_sel:DWORD src1_sel:WORD_1
	v_and_b32_e32 v61, 0xffff, v60
.LBB442_339:
	s_or_b64 exec, exec, s[74:75]
	v_and_b32_e32 v62, 16, v58
	v_mov_b32_dpp v59, v61 row_bcast:15 row_mask:0xf bank_mask:0xf
	v_cmp_ne_u32_e32 vcc, 0, v62
	s_and_saveexec_b64 s[74:75], vcc
	s_cbranch_execz .LBB442_343
; %bb.340:
	v_lshlrev_b32_e32 v60, 16, v59
	v_lshlrev_b32_e32 v59, 16, v61
	v_max_f32_e32 v62, v59, v59
	v_max_f32_e32 v63, v60, v60
	v_min_f32_e32 v61, v63, v62
	v_cmp_u_f32_e32 vcc, v60, v60
	v_max_f32_e32 v62, v63, v62
	v_cndmask_b32_e32 v61, v61, v60, vcc
	v_cmp_u_f32_e64 s[56:57], v59, v59
	v_cndmask_b32_e32 v62, v62, v60, vcc
	v_cndmask_b32_e64 v61, v61, v59, s[56:57]
	v_cndmask_b32_e64 v59, v62, v59, s[56:57]
	s_movk_i32 s56, 0x1f8
	v_cmp_neq_f32_e32 vcc, v61, v59
	v_cmp_class_f32_e64 s[56:57], v61, s56
	s_or_b64 s[78:79], vcc, s[56:57]
	s_and_saveexec_b64 s[56:57], s[78:79]
	s_cbranch_execz .LBB442_342
; %bb.341:
	v_sub_f32_e32 v60, v61, v59
	s_mov_b32 s77, 0x3fb8aa3b
	v_mul_f32_e32 v61, 0x3fb8aa3b, v60
	v_fma_f32 v62, v60, s77, -v61
	v_rndne_f32_e32 v63, v61
	v_fmac_f32_e32 v62, 0x32a5705f, v60
	v_sub_f32_e32 v61, v61, v63
	v_add_f32_e32 v61, v61, v62
	v_exp_f32_e32 v61, v61
	v_cvt_i32_f32_e32 v62, v63
	s_mov_b32 s77, 0xc2ce8ed0
	v_cmp_ngt_f32_e32 vcc, s77, v60
	s_mov_b32 s77, 0x42b17218
	v_ldexp_f32 v61, v61, v62
	v_cndmask_b32_e32 v61, 0, v61, vcc
	v_mov_b32_e32 v62, 0x7f800000
	v_cmp_nlt_f32_e32 vcc, s77, v60
	v_cndmask_b32_e32 v63, v62, v61, vcc
	v_add_f32_e32 v64, 1.0, v63
	v_cvt_f64_f32_e32 v[60:61], v64
	v_add_f32_e32 v65, -1.0, v64
	v_sub_f32_e32 v66, v65, v64
	v_sub_f32_e32 v65, v63, v65
	v_frexp_exp_i32_f64_e32 v60, v[60:61]
	v_add_f32_e32 v61, 1.0, v66
	v_add_f32_e32 v61, v65, v61
	v_frexp_mant_f32_e32 v65, v64
	s_mov_b32 s78, 0x3f2aaaab
	v_cmp_gt_f32_e32 vcc, s78, v65
	s_mov_b32 s78, 0x3f317218
	s_mov_b32 s77, 0x7f800000
	v_subbrev_co_u32_e32 v60, vcc, 0, v60, vcc
	v_sub_u32_e32 v65, 0, v60
	v_ldexp_f32 v64, v64, v65
	v_ldexp_f32 v61, v61, v65
	v_add_f32_e32 v65, -1.0, v64
	v_add_f32_e32 v68, 1.0, v64
	v_add_f32_e32 v66, 1.0, v65
	v_add_f32_e32 v69, -1.0, v68
	v_sub_f32_e32 v66, v64, v66
	v_sub_f32_e32 v64, v64, v69
	v_add_f32_e32 v66, v61, v66
	v_add_f32_e32 v61, v61, v64
	;; [unrolled: 1-line block ×3, first 2 shown]
	v_rcp_f32_e32 v69, v64
	v_add_f32_e32 v67, v65, v66
	v_sub_f32_e32 v65, v65, v67
	v_add_f32_e32 v65, v66, v65
	v_sub_f32_e32 v66, v68, v64
	v_add_f32_e32 v61, v61, v66
	v_mul_f32_e32 v66, v67, v69
	v_mul_f32_e32 v68, v64, v66
	v_fma_f32 v70, v66, v64, -v68
	v_fmac_f32_e32 v70, v66, v61
	v_add_f32_e32 v71, v68, v70
	v_sub_f32_e32 v72, v67, v71
	v_sub_f32_e32 v67, v67, v72
	;; [unrolled: 1-line block ×4, first 2 shown]
	v_add_f32_e32 v65, v65, v67
	v_sub_f32_e32 v67, v68, v70
	v_add_f32_e32 v65, v67, v65
	v_add_f32_e32 v67, v72, v65
	v_mul_f32_e32 v68, v69, v67
	v_mul_f32_e32 v70, v64, v68
	v_fma_f32 v64, v68, v64, -v70
	v_fmac_f32_e32 v64, v68, v61
	v_sub_f32_e32 v61, v72, v67
	v_add_f32_e32 v61, v65, v61
	v_add_f32_e32 v65, v70, v64
	v_sub_f32_e32 v71, v67, v65
	v_sub_f32_e32 v67, v67, v71
	;; [unrolled: 1-line block ×4, first 2 shown]
	v_add_f32_e32 v61, v61, v65
	v_sub_f32_e32 v64, v70, v64
	v_add_f32_e32 v61, v64, v61
	v_add_f32_e32 v64, v66, v68
	v_add_f32_e32 v61, v71, v61
	v_sub_f32_e32 v65, v64, v66
	v_mul_f32_e32 v61, v69, v61
	v_sub_f32_e32 v65, v68, v65
	v_add_f32_e32 v61, v65, v61
	v_cvt_f32_i32_e32 v60, v60
	v_add_f32_e32 v65, v64, v61
	v_mul_f32_e32 v66, v65, v65
	v_mov_b32_e32 v67, 0x3ecc95a3
	v_fmac_f32_e32 v67, 0x3e9b6dac, v66
	v_mov_b32_e32 v68, 0x3f2aaada
	v_fmac_f32_e32 v68, v66, v67
	v_mul_f32_e32 v67, 0x3f317218, v60
	v_fma_f32 v69, v60, s78, -v67
	v_fmac_f32_e32 v69, 0xb102e308, v60
	v_sub_f32_e32 v60, v65, v64
	v_sub_f32_e32 v60, v61, v60
	v_add_f32_e32 v61, v67, v69
	v_sub_f32_e32 v64, v61, v67
	v_ldexp_f32 v67, v65, 1
	v_mul_f32_e32 v65, v65, v66
	v_mul_f32_e32 v65, v65, v68
	v_add_f32_e32 v66, v67, v65
	v_sub_f32_e32 v67, v66, v67
	v_ldexp_f32 v60, v60, 1
	v_sub_f32_e32 v65, v65, v67
	v_add_f32_e32 v60, v60, v65
	v_add_f32_e32 v65, v66, v60
	v_sub_f32_e32 v66, v65, v66
	v_sub_f32_e32 v60, v60, v66
	v_add_f32_e32 v66, v61, v65
	v_sub_f32_e32 v67, v66, v61
	v_sub_f32_e32 v68, v66, v67
	;; [unrolled: 1-line block ×5, first 2 shown]
	v_add_f32_e32 v61, v65, v61
	v_add_f32_e32 v65, v64, v60
	v_sub_f32_e32 v67, v65, v64
	v_sub_f32_e32 v68, v65, v67
	;; [unrolled: 1-line block ×4, first 2 shown]
	v_add_f32_e32 v61, v65, v61
	v_add_f32_e32 v60, v60, v64
	;; [unrolled: 1-line block ×3, first 2 shown]
	v_sub_f32_e32 v65, v64, v66
	v_sub_f32_e32 v61, v61, v65
	v_add_f32_e32 v60, v60, v61
	v_add_f32_e32 v60, v64, v60
	v_cmp_neq_f32_e32 vcc, s77, v63
	s_mov_b32 s77, 0x33800000
	v_cndmask_b32_e32 v60, v62, v60, vcc
	v_cmp_lt_f32_e64 vcc, |v63|, s77
	v_cndmask_b32_e32 v60, v60, v63, vcc
	v_add_f32_e32 v60, v59, v60
.LBB442_342:
	s_or_b64 exec, exec, s[56:57]
	v_bfe_u32 v59, v60, 16, 1
	s_movk_i32 s56, 0x7fff
	v_add3_u32 v59, v60, v59, s56
	v_cmp_o_f32_e32 vcc, v60, v60
	v_mov_b32_e32 v60, 0x7fc0
	v_cndmask_b32_sdwa v60, v60, v59, vcc dst_sel:DWORD dst_unused:UNUSED_PAD src0_sel:DWORD src1_sel:WORD_1
	v_and_b32_e32 v61, 0xffff, v60
.LBB442_343:
	s_or_b64 exec, exec, s[74:75]
	s_nop 0
	v_mov_b32_dpp v59, v61 row_bcast:31 row_mask:0xf bank_mask:0xf
	v_cmp_lt_u32_e32 vcc, 31, v58
	s_and_saveexec_b64 s[74:75], vcc
	s_cbranch_execz .LBB442_347
; %bb.344:
	v_lshlrev_b32_e32 v60, 16, v59
	v_lshlrev_b32_e32 v59, 16, v61
	v_max_f32_e32 v62, v59, v59
	v_max_f32_e32 v63, v60, v60
	v_min_f32_e32 v61, v63, v62
	v_cmp_u_f32_e32 vcc, v60, v60
	v_max_f32_e32 v62, v63, v62
	v_cndmask_b32_e32 v61, v61, v60, vcc
	v_cmp_u_f32_e64 s[56:57], v59, v59
	v_cndmask_b32_e32 v62, v62, v60, vcc
	v_cndmask_b32_e64 v61, v61, v59, s[56:57]
	v_cndmask_b32_e64 v59, v62, v59, s[56:57]
	s_movk_i32 s56, 0x1f8
	v_cmp_neq_f32_e32 vcc, v61, v59
	v_cmp_class_f32_e64 s[56:57], v61, s56
	s_or_b64 s[78:79], vcc, s[56:57]
	s_and_saveexec_b64 s[56:57], s[78:79]
	s_cbranch_execz .LBB442_346
; %bb.345:
	v_sub_f32_e32 v60, v61, v59
	s_mov_b32 s77, 0x3fb8aa3b
	v_mul_f32_e32 v61, 0x3fb8aa3b, v60
	v_fma_f32 v62, v60, s77, -v61
	v_rndne_f32_e32 v63, v61
	v_fmac_f32_e32 v62, 0x32a5705f, v60
	v_sub_f32_e32 v61, v61, v63
	v_add_f32_e32 v61, v61, v62
	v_exp_f32_e32 v61, v61
	v_cvt_i32_f32_e32 v62, v63
	s_mov_b32 s77, 0xc2ce8ed0
	v_cmp_ngt_f32_e32 vcc, s77, v60
	s_mov_b32 s77, 0x42b17218
	v_ldexp_f32 v61, v61, v62
	v_cndmask_b32_e32 v61, 0, v61, vcc
	v_mov_b32_e32 v62, 0x7f800000
	v_cmp_nlt_f32_e32 vcc, s77, v60
	v_cndmask_b32_e32 v63, v62, v61, vcc
	v_add_f32_e32 v64, 1.0, v63
	v_cvt_f64_f32_e32 v[60:61], v64
	v_add_f32_e32 v65, -1.0, v64
	v_sub_f32_e32 v66, v65, v64
	v_sub_f32_e32 v65, v63, v65
	v_frexp_exp_i32_f64_e32 v60, v[60:61]
	v_add_f32_e32 v61, 1.0, v66
	v_add_f32_e32 v61, v65, v61
	v_frexp_mant_f32_e32 v65, v64
	s_mov_b32 s78, 0x3f2aaaab
	v_cmp_gt_f32_e32 vcc, s78, v65
	s_mov_b32 s78, 0x3f317218
	s_mov_b32 s77, 0x7f800000
	v_subbrev_co_u32_e32 v60, vcc, 0, v60, vcc
	v_sub_u32_e32 v65, 0, v60
	v_ldexp_f32 v64, v64, v65
	v_ldexp_f32 v61, v61, v65
	v_add_f32_e32 v65, -1.0, v64
	v_add_f32_e32 v68, 1.0, v64
	v_add_f32_e32 v66, 1.0, v65
	v_add_f32_e32 v69, -1.0, v68
	v_sub_f32_e32 v66, v64, v66
	v_sub_f32_e32 v64, v64, v69
	v_add_f32_e32 v66, v61, v66
	v_add_f32_e32 v61, v61, v64
	;; [unrolled: 1-line block ×3, first 2 shown]
	v_rcp_f32_e32 v69, v64
	v_add_f32_e32 v67, v65, v66
	v_sub_f32_e32 v65, v65, v67
	v_add_f32_e32 v65, v66, v65
	v_sub_f32_e32 v66, v68, v64
	v_add_f32_e32 v61, v61, v66
	v_mul_f32_e32 v66, v67, v69
	v_mul_f32_e32 v68, v64, v66
	v_fma_f32 v70, v66, v64, -v68
	v_fmac_f32_e32 v70, v66, v61
	v_add_f32_e32 v71, v68, v70
	v_sub_f32_e32 v72, v67, v71
	v_sub_f32_e32 v67, v67, v72
	;; [unrolled: 1-line block ×4, first 2 shown]
	v_add_f32_e32 v65, v65, v67
	v_sub_f32_e32 v67, v68, v70
	v_add_f32_e32 v65, v67, v65
	v_add_f32_e32 v67, v72, v65
	v_mul_f32_e32 v68, v69, v67
	v_mul_f32_e32 v70, v64, v68
	v_fma_f32 v64, v68, v64, -v70
	v_fmac_f32_e32 v64, v68, v61
	v_sub_f32_e32 v61, v72, v67
	v_add_f32_e32 v61, v65, v61
	v_add_f32_e32 v65, v70, v64
	v_sub_f32_e32 v71, v67, v65
	v_sub_f32_e32 v67, v67, v71
	;; [unrolled: 1-line block ×4, first 2 shown]
	v_add_f32_e32 v61, v61, v65
	v_sub_f32_e32 v64, v70, v64
	v_add_f32_e32 v61, v64, v61
	v_add_f32_e32 v64, v66, v68
	v_add_f32_e32 v61, v71, v61
	v_sub_f32_e32 v65, v64, v66
	v_mul_f32_e32 v61, v69, v61
	v_sub_f32_e32 v65, v68, v65
	v_add_f32_e32 v61, v65, v61
	v_cvt_f32_i32_e32 v60, v60
	v_add_f32_e32 v65, v64, v61
	v_mul_f32_e32 v66, v65, v65
	v_mov_b32_e32 v67, 0x3ecc95a3
	v_fmac_f32_e32 v67, 0x3e9b6dac, v66
	v_mov_b32_e32 v68, 0x3f2aaada
	v_fmac_f32_e32 v68, v66, v67
	v_mul_f32_e32 v67, 0x3f317218, v60
	v_fma_f32 v69, v60, s78, -v67
	v_fmac_f32_e32 v69, 0xb102e308, v60
	v_sub_f32_e32 v60, v65, v64
	v_sub_f32_e32 v60, v61, v60
	v_add_f32_e32 v61, v67, v69
	v_sub_f32_e32 v64, v61, v67
	v_ldexp_f32 v67, v65, 1
	v_mul_f32_e32 v65, v65, v66
	v_mul_f32_e32 v65, v65, v68
	v_add_f32_e32 v66, v67, v65
	v_sub_f32_e32 v67, v66, v67
	v_ldexp_f32 v60, v60, 1
	v_sub_f32_e32 v65, v65, v67
	v_add_f32_e32 v60, v60, v65
	v_add_f32_e32 v65, v66, v60
	v_sub_f32_e32 v66, v65, v66
	v_sub_f32_e32 v60, v60, v66
	v_add_f32_e32 v66, v61, v65
	v_sub_f32_e32 v67, v66, v61
	v_sub_f32_e32 v68, v66, v67
	;; [unrolled: 1-line block ×5, first 2 shown]
	v_add_f32_e32 v61, v65, v61
	v_add_f32_e32 v65, v64, v60
	v_sub_f32_e32 v67, v65, v64
	v_sub_f32_e32 v68, v65, v67
	;; [unrolled: 1-line block ×4, first 2 shown]
	v_add_f32_e32 v61, v65, v61
	v_add_f32_e32 v60, v60, v64
	;; [unrolled: 1-line block ×3, first 2 shown]
	v_sub_f32_e32 v65, v64, v66
	v_sub_f32_e32 v61, v61, v65
	v_add_f32_e32 v60, v60, v61
	v_add_f32_e32 v60, v64, v60
	v_cmp_neq_f32_e32 vcc, s77, v63
	s_mov_b32 s77, 0x33800000
	v_cndmask_b32_e32 v60, v62, v60, vcc
	v_cmp_lt_f32_e64 vcc, |v63|, s77
	v_cndmask_b32_e32 v60, v60, v63, vcc
	v_add_f32_e32 v60, v59, v60
.LBB442_346:
	s_or_b64 exec, exec, s[56:57]
	v_bfe_u32 v59, v60, 16, 1
	s_movk_i32 s56, 0x7fff
	v_add3_u32 v59, v60, v59, s56
	v_cmp_o_f32_e32 vcc, v60, v60
	v_mov_b32_e32 v60, 0x7fc0
	v_cndmask_b32_sdwa v60, v60, v59, vcc dst_sel:DWORD dst_unused:UNUSED_PAD src0_sel:DWORD src1_sel:WORD_1
.LBB442_347:
	s_or_b64 exec, exec, s[74:75]
	v_add_u32_e32 v59, -1, v58
	v_and_b32_e32 v61, 64, v58
	v_cmp_lt_i32_e32 vcc, v59, v61
	v_cndmask_b32_e32 v58, v59, v58, vcc
	v_lshlrev_b32_e32 v58, 2, v58
	v_and_b32_e32 v59, 0xffff, v60
	ds_bpermute_b32 v58, v58, v59
	s_movk_i32 s56, 0x1f8
	s_waitcnt lgkmcnt(0)
	v_lshlrev_b32_e32 v58, 16, v58
	v_max_f32_e32 v60, v58, v58
	v_min_f32_e32 v59, v60, v57
	v_cmp_u_f32_e32 vcc, v58, v58
	v_max_f32_e32 v57, v60, v57
	v_cndmask_b32_e32 v59, v59, v58, vcc
	v_cndmask_b32_e32 v57, v57, v58, vcc
	v_cndmask_b32_e64 v59, v59, v56, s[54:55]
	v_cndmask_b32_e64 v56, v57, v56, s[54:55]
	v_cmp_neq_f32_e32 vcc, v59, v56
	v_cmp_class_f32_e64 s[54:55], v59, s56
	s_or_b64 s[74:75], vcc, s[54:55]
	s_and_saveexec_b64 s[54:55], s[74:75]
	s_cbranch_execz .LBB442_349
; %bb.348:
	v_sub_f32_e32 v57, v59, v56
	s_mov_b32 s57, 0x3fb8aa3b
	v_mul_f32_e32 v58, 0x3fb8aa3b, v57
	v_fma_f32 v59, v57, s57, -v58
	v_rndne_f32_e32 v60, v58
	v_fmac_f32_e32 v59, 0x32a5705f, v57
	v_sub_f32_e32 v58, v58, v60
	v_add_f32_e32 v58, v58, v59
	v_exp_f32_e32 v58, v58
	v_cvt_i32_f32_e32 v59, v60
	s_mov_b32 s57, 0xc2ce8ed0
	v_cmp_ngt_f32_e32 vcc, s57, v57
	s_mov_b32 s57, 0x42b17218
	v_ldexp_f32 v58, v58, v59
	v_cndmask_b32_e32 v58, 0, v58, vcc
	v_mov_b32_e32 v59, 0x7f800000
	v_cmp_nlt_f32_e32 vcc, s57, v57
	v_cndmask_b32_e32 v60, v59, v58, vcc
	v_add_f32_e32 v61, 1.0, v60
	v_cvt_f64_f32_e32 v[57:58], v61
	v_add_f32_e32 v62, -1.0, v61
	v_sub_f32_e32 v63, v62, v61
	v_sub_f32_e32 v62, v60, v62
	v_frexp_exp_i32_f64_e32 v57, v[57:58]
	v_add_f32_e32 v58, 1.0, v63
	v_add_f32_e32 v58, v62, v58
	v_frexp_mant_f32_e32 v62, v61
	s_mov_b32 s74, 0x3f2aaaab
	v_cmp_gt_f32_e32 vcc, s74, v62
	s_mov_b32 s74, 0x3f317218
	s_mov_b32 s57, 0x7f800000
	v_subbrev_co_u32_e32 v57, vcc, 0, v57, vcc
	v_sub_u32_e32 v62, 0, v57
	v_ldexp_f32 v61, v61, v62
	v_ldexp_f32 v58, v58, v62
	v_add_f32_e32 v62, -1.0, v61
	v_add_f32_e32 v65, 1.0, v61
	v_add_f32_e32 v63, 1.0, v62
	v_add_f32_e32 v66, -1.0, v65
	v_sub_f32_e32 v63, v61, v63
	v_sub_f32_e32 v61, v61, v66
	v_add_f32_e32 v63, v58, v63
	v_add_f32_e32 v58, v58, v61
	;; [unrolled: 1-line block ×3, first 2 shown]
	v_rcp_f32_e32 v66, v61
	v_add_f32_e32 v64, v62, v63
	v_sub_f32_e32 v62, v62, v64
	v_add_f32_e32 v62, v63, v62
	v_sub_f32_e32 v63, v65, v61
	v_add_f32_e32 v58, v58, v63
	v_mul_f32_e32 v63, v64, v66
	v_mul_f32_e32 v65, v61, v63
	v_fma_f32 v67, v63, v61, -v65
	v_fmac_f32_e32 v67, v63, v58
	v_add_f32_e32 v68, v65, v67
	v_sub_f32_e32 v69, v64, v68
	v_sub_f32_e32 v64, v64, v69
	v_sub_f32_e32 v65, v68, v65
	v_sub_f32_e32 v64, v64, v68
	v_add_f32_e32 v62, v62, v64
	v_sub_f32_e32 v64, v65, v67
	v_add_f32_e32 v62, v64, v62
	v_add_f32_e32 v64, v69, v62
	v_mul_f32_e32 v65, v66, v64
	v_mul_f32_e32 v67, v61, v65
	v_fma_f32 v61, v65, v61, -v67
	v_fmac_f32_e32 v61, v65, v58
	v_sub_f32_e32 v58, v69, v64
	v_add_f32_e32 v58, v62, v58
	v_add_f32_e32 v62, v67, v61
	v_sub_f32_e32 v68, v64, v62
	v_sub_f32_e32 v64, v64, v68
	v_sub_f32_e32 v67, v62, v67
	v_sub_f32_e32 v62, v64, v62
	v_add_f32_e32 v58, v58, v62
	v_sub_f32_e32 v61, v67, v61
	v_add_f32_e32 v58, v61, v58
	v_add_f32_e32 v61, v63, v65
	;; [unrolled: 1-line block ×3, first 2 shown]
	v_sub_f32_e32 v62, v61, v63
	v_mul_f32_e32 v58, v66, v58
	v_sub_f32_e32 v62, v65, v62
	v_add_f32_e32 v58, v62, v58
	v_cvt_f32_i32_e32 v57, v57
	v_add_f32_e32 v62, v61, v58
	v_mul_f32_e32 v63, v62, v62
	v_mov_b32_e32 v64, 0x3ecc95a3
	v_fmac_f32_e32 v64, 0x3e9b6dac, v63
	v_mov_b32_e32 v65, 0x3f2aaada
	v_fmac_f32_e32 v65, v63, v64
	v_mul_f32_e32 v64, 0x3f317218, v57
	v_fma_f32 v66, v57, s74, -v64
	v_fmac_f32_e32 v66, 0xb102e308, v57
	v_sub_f32_e32 v57, v62, v61
	v_sub_f32_e32 v57, v58, v57
	v_add_f32_e32 v58, v64, v66
	v_sub_f32_e32 v61, v58, v64
	v_ldexp_f32 v64, v62, 1
	v_mul_f32_e32 v62, v62, v63
	v_mul_f32_e32 v62, v62, v65
	v_add_f32_e32 v63, v64, v62
	v_sub_f32_e32 v64, v63, v64
	v_ldexp_f32 v57, v57, 1
	v_sub_f32_e32 v62, v62, v64
	v_add_f32_e32 v57, v57, v62
	v_add_f32_e32 v62, v63, v57
	v_sub_f32_e32 v63, v62, v63
	v_sub_f32_e32 v57, v57, v63
	v_add_f32_e32 v63, v58, v62
	v_sub_f32_e32 v64, v63, v58
	v_sub_f32_e32 v65, v63, v64
	;; [unrolled: 1-line block ×5, first 2 shown]
	v_add_f32_e32 v58, v62, v58
	v_add_f32_e32 v62, v61, v57
	v_sub_f32_e32 v64, v62, v61
	v_sub_f32_e32 v65, v62, v64
	;; [unrolled: 1-line block ×4, first 2 shown]
	v_add_f32_e32 v58, v62, v58
	v_add_f32_e32 v57, v57, v61
	;; [unrolled: 1-line block ×3, first 2 shown]
	v_sub_f32_e32 v62, v61, v63
	v_sub_f32_e32 v58, v58, v62
	v_add_f32_e32 v57, v57, v58
	v_add_f32_e32 v57, v61, v57
	v_cmp_neq_f32_e32 vcc, s57, v60
	s_mov_b32 s57, 0x33800000
	v_cndmask_b32_e32 v57, v59, v57, vcc
	v_cmp_lt_f32_e64 vcc, |v60|, s57
	v_cndmask_b32_e32 v57, v57, v60, vcc
	v_add_f32_e32 v58, v56, v57
.LBB442_349:
	s_or_b64 exec, exec, s[54:55]
	v_bfe_u32 v56, v58, 16, 1
	s_movk_i32 s54, 0x7fff
	v_add3_u32 v57, v58, v56, s54
	v_cmp_o_f32_e32 vcc, v58, v58
	v_mov_b32_e32 v56, 0x7fc0
	v_cndmask_b32_sdwa v57, v56, v57, vcc dst_sel:DWORD dst_unused:UNUSED_PAD src0_sel:DWORD src1_sel:WORD_1
	v_cndmask_b32_e64 v55, v57, v55, s[52:53]
	; wave barrier
	ds_write_b16 v54, v55
	; wave barrier
	ds_read_u16 v58, v54 offset:2
	v_lshlrev_b32_e32 v57, 16, v55
	v_max_f32_e32 v59, v57, v57
	v_cmp_u_f32_e32 vcc, v57, v57
	s_waitcnt lgkmcnt(0)
	v_lshlrev_b32_e32 v55, 16, v58
	v_max_f32_e32 v60, v55, v55
	v_min_f32_e32 v58, v59, v60
	v_max_f32_e32 v59, v59, v60
	v_cndmask_b32_e32 v58, v58, v57, vcc
	v_cmp_u_f32_e64 s[52:53], v55, v55
	v_cndmask_b32_e32 v59, v59, v57, vcc
	v_cndmask_b32_e64 v58, v58, v55, s[52:53]
	v_cndmask_b32_e64 v55, v59, v55, s[52:53]
	v_cmp_neq_f32_e32 vcc, v58, v55
	v_cmp_class_f32_e64 s[52:53], v58, s56
	s_or_b64 s[56:57], vcc, s[52:53]
	s_and_saveexec_b64 s[52:53], s[56:57]
	s_cbranch_execz .LBB442_351
; %bb.350:
	v_sub_f32_e32 v57, v58, v55
	s_mov_b32 s55, 0x3fb8aa3b
	v_mul_f32_e32 v58, 0x3fb8aa3b, v57
	v_fma_f32 v59, v57, s55, -v58
	v_rndne_f32_e32 v60, v58
	v_fmac_f32_e32 v59, 0x32a5705f, v57
	v_sub_f32_e32 v58, v58, v60
	v_add_f32_e32 v58, v58, v59
	v_exp_f32_e32 v58, v58
	v_cvt_i32_f32_e32 v59, v60
	s_mov_b32 s55, 0xc2ce8ed0
	v_cmp_ngt_f32_e32 vcc, s55, v57
	s_mov_b32 s55, 0x42b17218
	v_ldexp_f32 v58, v58, v59
	v_cndmask_b32_e32 v58, 0, v58, vcc
	v_mov_b32_e32 v59, 0x7f800000
	v_cmp_nlt_f32_e32 vcc, s55, v57
	v_cndmask_b32_e32 v60, v59, v58, vcc
	v_add_f32_e32 v61, 1.0, v60
	v_cvt_f64_f32_e32 v[57:58], v61
	v_add_f32_e32 v62, -1.0, v61
	v_sub_f32_e32 v63, v62, v61
	v_sub_f32_e32 v62, v60, v62
	v_frexp_exp_i32_f64_e32 v57, v[57:58]
	v_add_f32_e32 v58, 1.0, v63
	v_add_f32_e32 v58, v62, v58
	v_frexp_mant_f32_e32 v62, v61
	s_mov_b32 s56, 0x3f2aaaab
	v_cmp_gt_f32_e32 vcc, s56, v62
	s_mov_b32 s56, 0x3f317218
	s_mov_b32 s55, 0x7f800000
	v_subbrev_co_u32_e32 v57, vcc, 0, v57, vcc
	v_sub_u32_e32 v62, 0, v57
	v_ldexp_f32 v61, v61, v62
	v_ldexp_f32 v58, v58, v62
	v_add_f32_e32 v62, -1.0, v61
	v_add_f32_e32 v65, 1.0, v61
	v_add_f32_e32 v63, 1.0, v62
	v_add_f32_e32 v66, -1.0, v65
	v_sub_f32_e32 v63, v61, v63
	v_sub_f32_e32 v61, v61, v66
	v_add_f32_e32 v63, v58, v63
	v_add_f32_e32 v58, v58, v61
	;; [unrolled: 1-line block ×3, first 2 shown]
	v_rcp_f32_e32 v66, v61
	v_add_f32_e32 v64, v62, v63
	v_sub_f32_e32 v62, v62, v64
	v_add_f32_e32 v62, v63, v62
	v_sub_f32_e32 v63, v65, v61
	v_add_f32_e32 v58, v58, v63
	v_mul_f32_e32 v63, v64, v66
	v_mul_f32_e32 v65, v61, v63
	v_fma_f32 v67, v63, v61, -v65
	v_fmac_f32_e32 v67, v63, v58
	v_add_f32_e32 v68, v65, v67
	v_sub_f32_e32 v69, v64, v68
	v_sub_f32_e32 v64, v64, v69
	;; [unrolled: 1-line block ×4, first 2 shown]
	v_add_f32_e32 v62, v62, v64
	v_sub_f32_e32 v64, v65, v67
	v_add_f32_e32 v62, v64, v62
	v_add_f32_e32 v64, v69, v62
	v_mul_f32_e32 v65, v66, v64
	v_mul_f32_e32 v67, v61, v65
	v_fma_f32 v61, v65, v61, -v67
	v_fmac_f32_e32 v61, v65, v58
	v_sub_f32_e32 v58, v69, v64
	v_add_f32_e32 v58, v62, v58
	v_add_f32_e32 v62, v67, v61
	v_sub_f32_e32 v68, v64, v62
	v_sub_f32_e32 v64, v64, v68
	;; [unrolled: 1-line block ×4, first 2 shown]
	v_add_f32_e32 v58, v58, v62
	v_sub_f32_e32 v61, v67, v61
	v_add_f32_e32 v58, v61, v58
	v_add_f32_e32 v61, v63, v65
	;; [unrolled: 1-line block ×3, first 2 shown]
	v_sub_f32_e32 v62, v61, v63
	v_mul_f32_e32 v58, v66, v58
	v_sub_f32_e32 v62, v65, v62
	v_add_f32_e32 v58, v62, v58
	v_cvt_f32_i32_e32 v57, v57
	v_add_f32_e32 v62, v61, v58
	v_mul_f32_e32 v63, v62, v62
	v_mov_b32_e32 v64, 0x3ecc95a3
	v_fmac_f32_e32 v64, 0x3e9b6dac, v63
	v_mov_b32_e32 v65, 0x3f2aaada
	v_fmac_f32_e32 v65, v63, v64
	v_mul_f32_e32 v64, 0x3f317218, v57
	v_fma_f32 v66, v57, s56, -v64
	v_fmac_f32_e32 v66, 0xb102e308, v57
	v_sub_f32_e32 v57, v62, v61
	v_sub_f32_e32 v57, v58, v57
	v_add_f32_e32 v58, v64, v66
	v_sub_f32_e32 v61, v58, v64
	v_ldexp_f32 v64, v62, 1
	v_mul_f32_e32 v62, v62, v63
	v_mul_f32_e32 v62, v62, v65
	v_add_f32_e32 v63, v64, v62
	v_sub_f32_e32 v64, v63, v64
	v_ldexp_f32 v57, v57, 1
	v_sub_f32_e32 v62, v62, v64
	v_add_f32_e32 v57, v57, v62
	v_add_f32_e32 v62, v63, v57
	v_sub_f32_e32 v63, v62, v63
	v_sub_f32_e32 v57, v57, v63
	v_add_f32_e32 v63, v58, v62
	v_sub_f32_e32 v64, v63, v58
	v_sub_f32_e32 v65, v63, v64
	v_sub_f32_e32 v61, v66, v61
	v_sub_f32_e32 v58, v58, v65
	v_sub_f32_e32 v62, v62, v64
	v_add_f32_e32 v58, v62, v58
	v_add_f32_e32 v62, v61, v57
	v_sub_f32_e32 v64, v62, v61
	v_sub_f32_e32 v65, v62, v64
	;; [unrolled: 1-line block ×4, first 2 shown]
	v_add_f32_e32 v58, v62, v58
	v_add_f32_e32 v57, v57, v61
	;; [unrolled: 1-line block ×3, first 2 shown]
	v_sub_f32_e32 v62, v61, v63
	v_sub_f32_e32 v58, v58, v62
	v_add_f32_e32 v57, v57, v58
	v_add_f32_e32 v57, v61, v57
	v_cmp_neq_f32_e32 vcc, s55, v60
	s_mov_b32 s55, 0x33800000
	v_cndmask_b32_e32 v57, v59, v57, vcc
	v_cmp_lt_f32_e64 vcc, |v60|, s55
	v_cndmask_b32_e32 v57, v57, v60, vcc
	v_add_f32_e32 v57, v55, v57
.LBB442_351:
	s_or_b64 exec, exec, s[52:53]
	v_bfe_u32 v55, v57, 16, 1
	v_add3_u32 v55, v57, v55, s54
	v_cmp_o_f32_e32 vcc, v57, v57
	ds_read_u16 v57, v54 offset:4
	v_cndmask_b32_sdwa v55, v56, v55, vcc dst_sel:DWORD dst_unused:UNUSED_PAD src0_sel:DWORD src1_sel:WORD_1
	ds_write_b16 v54, v55 offset:2
	v_lshlrev_b32_e32 v56, 16, v55
	v_max_f32_e32 v58, v56, v56
	s_waitcnt lgkmcnt(1)
	v_lshlrev_b32_e32 v55, 16, v57
	v_max_f32_e32 v59, v55, v55
	v_min_f32_e32 v57, v58, v59
	v_cmp_u_f32_e32 vcc, v56, v56
	v_max_f32_e32 v58, v58, v59
	v_cndmask_b32_e32 v57, v57, v56, vcc
	v_cmp_u_f32_e64 s[52:53], v55, v55
	v_cndmask_b32_e32 v58, v58, v56, vcc
	v_cndmask_b32_e64 v57, v57, v55, s[52:53]
	v_cndmask_b32_e64 v55, v58, v55, s[52:53]
	s_movk_i32 s54, 0x1f8
	v_cmp_neq_f32_e32 vcc, v57, v55
	v_cmp_class_f32_e64 s[52:53], v57, s54
	s_or_b64 s[56:57], vcc, s[52:53]
	s_and_saveexec_b64 s[52:53], s[56:57]
	s_cbranch_execz .LBB442_353
; %bb.352:
	v_sub_f32_e32 v56, v57, v55
	s_mov_b32 s55, 0x3fb8aa3b
	v_mul_f32_e32 v57, 0x3fb8aa3b, v56
	v_fma_f32 v58, v56, s55, -v57
	v_rndne_f32_e32 v59, v57
	v_fmac_f32_e32 v58, 0x32a5705f, v56
	v_sub_f32_e32 v57, v57, v59
	v_add_f32_e32 v57, v57, v58
	v_exp_f32_e32 v57, v57
	v_cvt_i32_f32_e32 v58, v59
	s_mov_b32 s55, 0xc2ce8ed0
	v_cmp_ngt_f32_e32 vcc, s55, v56
	s_mov_b32 s55, 0x42b17218
	v_ldexp_f32 v57, v57, v58
	v_cndmask_b32_e32 v57, 0, v57, vcc
	v_mov_b32_e32 v58, 0x7f800000
	v_cmp_nlt_f32_e32 vcc, s55, v56
	v_cndmask_b32_e32 v59, v58, v57, vcc
	v_add_f32_e32 v60, 1.0, v59
	v_cvt_f64_f32_e32 v[56:57], v60
	v_add_f32_e32 v61, -1.0, v60
	v_sub_f32_e32 v62, v61, v60
	v_sub_f32_e32 v61, v59, v61
	v_frexp_exp_i32_f64_e32 v56, v[56:57]
	v_add_f32_e32 v57, 1.0, v62
	v_add_f32_e32 v57, v61, v57
	v_frexp_mant_f32_e32 v61, v60
	s_mov_b32 s56, 0x3f2aaaab
	v_cmp_gt_f32_e32 vcc, s56, v61
	s_mov_b32 s56, 0x3f317218
	s_mov_b32 s55, 0x7f800000
	v_subbrev_co_u32_e32 v56, vcc, 0, v56, vcc
	v_sub_u32_e32 v61, 0, v56
	v_ldexp_f32 v60, v60, v61
	v_ldexp_f32 v57, v57, v61
	v_add_f32_e32 v61, -1.0, v60
	v_add_f32_e32 v64, 1.0, v60
	v_add_f32_e32 v62, 1.0, v61
	v_add_f32_e32 v65, -1.0, v64
	v_sub_f32_e32 v62, v60, v62
	v_sub_f32_e32 v60, v60, v65
	v_add_f32_e32 v62, v57, v62
	v_add_f32_e32 v57, v57, v60
	v_add_f32_e32 v60, v64, v57
	v_rcp_f32_e32 v65, v60
	v_add_f32_e32 v63, v61, v62
	v_sub_f32_e32 v61, v61, v63
	v_add_f32_e32 v61, v62, v61
	v_sub_f32_e32 v62, v64, v60
	v_add_f32_e32 v57, v57, v62
	v_mul_f32_e32 v62, v63, v65
	v_mul_f32_e32 v64, v60, v62
	v_fma_f32 v66, v62, v60, -v64
	v_fmac_f32_e32 v66, v62, v57
	v_add_f32_e32 v67, v64, v66
	v_sub_f32_e32 v68, v63, v67
	v_sub_f32_e32 v63, v63, v68
	;; [unrolled: 1-line block ×4, first 2 shown]
	v_add_f32_e32 v61, v61, v63
	v_sub_f32_e32 v63, v64, v66
	v_add_f32_e32 v61, v63, v61
	v_add_f32_e32 v63, v68, v61
	v_mul_f32_e32 v64, v65, v63
	v_mul_f32_e32 v66, v60, v64
	v_fma_f32 v60, v64, v60, -v66
	v_fmac_f32_e32 v60, v64, v57
	v_sub_f32_e32 v57, v68, v63
	v_add_f32_e32 v57, v61, v57
	v_add_f32_e32 v61, v66, v60
	v_sub_f32_e32 v67, v63, v61
	v_sub_f32_e32 v63, v63, v67
	;; [unrolled: 1-line block ×4, first 2 shown]
	v_add_f32_e32 v57, v57, v61
	v_sub_f32_e32 v60, v66, v60
	v_add_f32_e32 v57, v60, v57
	v_add_f32_e32 v60, v62, v64
	;; [unrolled: 1-line block ×3, first 2 shown]
	v_sub_f32_e32 v61, v60, v62
	v_mul_f32_e32 v57, v65, v57
	v_sub_f32_e32 v61, v64, v61
	v_add_f32_e32 v57, v61, v57
	v_cvt_f32_i32_e32 v56, v56
	v_add_f32_e32 v61, v60, v57
	v_mul_f32_e32 v62, v61, v61
	v_mov_b32_e32 v63, 0x3ecc95a3
	v_fmac_f32_e32 v63, 0x3e9b6dac, v62
	v_mov_b32_e32 v64, 0x3f2aaada
	v_fmac_f32_e32 v64, v62, v63
	v_mul_f32_e32 v63, 0x3f317218, v56
	v_fma_f32 v65, v56, s56, -v63
	v_fmac_f32_e32 v65, 0xb102e308, v56
	v_sub_f32_e32 v56, v61, v60
	v_sub_f32_e32 v56, v57, v56
	v_add_f32_e32 v57, v63, v65
	v_sub_f32_e32 v60, v57, v63
	v_ldexp_f32 v63, v61, 1
	v_mul_f32_e32 v61, v61, v62
	v_mul_f32_e32 v61, v61, v64
	v_add_f32_e32 v62, v63, v61
	v_sub_f32_e32 v63, v62, v63
	v_ldexp_f32 v56, v56, 1
	v_sub_f32_e32 v61, v61, v63
	v_add_f32_e32 v56, v56, v61
	v_add_f32_e32 v61, v62, v56
	v_sub_f32_e32 v62, v61, v62
	v_sub_f32_e32 v56, v56, v62
	v_add_f32_e32 v62, v57, v61
	v_sub_f32_e32 v63, v62, v57
	v_sub_f32_e32 v64, v62, v63
	;; [unrolled: 1-line block ×5, first 2 shown]
	v_add_f32_e32 v57, v61, v57
	v_add_f32_e32 v61, v60, v56
	v_sub_f32_e32 v63, v61, v60
	v_sub_f32_e32 v64, v61, v63
	;; [unrolled: 1-line block ×4, first 2 shown]
	v_add_f32_e32 v57, v61, v57
	v_add_f32_e32 v56, v56, v60
	;; [unrolled: 1-line block ×3, first 2 shown]
	v_sub_f32_e32 v61, v60, v62
	v_sub_f32_e32 v57, v57, v61
	v_add_f32_e32 v56, v56, v57
	v_add_f32_e32 v56, v60, v56
	v_cmp_neq_f32_e32 vcc, s55, v59
	s_mov_b32 s55, 0x33800000
	v_cndmask_b32_e32 v56, v58, v56, vcc
	v_cmp_lt_f32_e64 vcc, |v59|, s55
	v_cndmask_b32_e32 v56, v56, v59, vcc
	v_add_f32_e32 v56, v55, v56
.LBB442_353:
	s_or_b64 exec, exec, s[52:53]
	v_bfe_u32 v55, v56, 16, 1
	s_movk_i32 s55, 0x7fff
	v_add3_u32 v57, v56, v55, s55
	v_cmp_o_f32_e32 vcc, v56, v56
	ds_read_u16 v56, v54 offset:6
	v_mov_b32_e32 v55, 0x7fc0
	v_cndmask_b32_sdwa v57, v55, v57, vcc dst_sel:DWORD dst_unused:UNUSED_PAD src0_sel:DWORD src1_sel:WORD_1
	ds_write_b16 v54, v57 offset:4
	v_lshlrev_b32_e32 v57, 16, v57
	s_waitcnt lgkmcnt(1)
	v_lshlrev_b32_e32 v56, 16, v56
	v_max_f32_e32 v59, v57, v57
	v_max_f32_e32 v60, v56, v56
	v_min_f32_e32 v58, v59, v60
	v_cmp_u_f32_e32 vcc, v57, v57
	v_max_f32_e32 v59, v59, v60
	v_cndmask_b32_e32 v58, v58, v57, vcc
	v_cmp_u_f32_e64 s[52:53], v56, v56
	v_cndmask_b32_e32 v59, v59, v57, vcc
	v_cndmask_b32_e64 v58, v58, v56, s[52:53]
	v_cndmask_b32_e64 v56, v59, v56, s[52:53]
	v_cmp_neq_f32_e32 vcc, v58, v56
	v_cmp_class_f32_e64 s[52:53], v58, s54
	s_or_b64 s[56:57], vcc, s[52:53]
	s_and_saveexec_b64 s[52:53], s[56:57]
	s_cbranch_execz .LBB442_355
; %bb.354:
	v_sub_f32_e32 v57, v58, v56
	s_mov_b32 s54, 0x3fb8aa3b
	v_mul_f32_e32 v58, 0x3fb8aa3b, v57
	v_fma_f32 v59, v57, s54, -v58
	v_rndne_f32_e32 v60, v58
	v_fmac_f32_e32 v59, 0x32a5705f, v57
	v_sub_f32_e32 v58, v58, v60
	v_add_f32_e32 v58, v58, v59
	v_exp_f32_e32 v58, v58
	v_cvt_i32_f32_e32 v59, v60
	s_mov_b32 s54, 0xc2ce8ed0
	v_cmp_ngt_f32_e32 vcc, s54, v57
	s_mov_b32 s54, 0x42b17218
	v_ldexp_f32 v58, v58, v59
	v_cndmask_b32_e32 v58, 0, v58, vcc
	v_mov_b32_e32 v59, 0x7f800000
	v_cmp_nlt_f32_e32 vcc, s54, v57
	v_cndmask_b32_e32 v60, v59, v58, vcc
	v_add_f32_e32 v61, 1.0, v60
	v_cvt_f64_f32_e32 v[57:58], v61
	v_add_f32_e32 v62, -1.0, v61
	v_sub_f32_e32 v63, v62, v61
	v_sub_f32_e32 v62, v60, v62
	v_frexp_exp_i32_f64_e32 v57, v[57:58]
	v_add_f32_e32 v58, 1.0, v63
	v_add_f32_e32 v58, v62, v58
	v_frexp_mant_f32_e32 v62, v61
	s_mov_b32 s56, 0x3f2aaaab
	v_cmp_gt_f32_e32 vcc, s56, v62
	s_mov_b32 s56, 0x3f317218
	s_mov_b32 s54, 0x7f800000
	v_subbrev_co_u32_e32 v57, vcc, 0, v57, vcc
	v_sub_u32_e32 v62, 0, v57
	v_ldexp_f32 v61, v61, v62
	v_ldexp_f32 v58, v58, v62
	v_add_f32_e32 v62, -1.0, v61
	v_add_f32_e32 v65, 1.0, v61
	v_add_f32_e32 v63, 1.0, v62
	v_add_f32_e32 v66, -1.0, v65
	v_sub_f32_e32 v63, v61, v63
	v_sub_f32_e32 v61, v61, v66
	v_add_f32_e32 v63, v58, v63
	v_add_f32_e32 v58, v58, v61
	;; [unrolled: 1-line block ×3, first 2 shown]
	v_rcp_f32_e32 v66, v61
	v_add_f32_e32 v64, v62, v63
	v_sub_f32_e32 v62, v62, v64
	v_add_f32_e32 v62, v63, v62
	v_sub_f32_e32 v63, v65, v61
	v_add_f32_e32 v58, v58, v63
	v_mul_f32_e32 v63, v64, v66
	v_mul_f32_e32 v65, v61, v63
	v_fma_f32 v67, v63, v61, -v65
	v_fmac_f32_e32 v67, v63, v58
	v_add_f32_e32 v68, v65, v67
	v_sub_f32_e32 v69, v64, v68
	v_sub_f32_e32 v64, v64, v69
	v_sub_f32_e32 v65, v68, v65
	v_sub_f32_e32 v64, v64, v68
	v_add_f32_e32 v62, v62, v64
	v_sub_f32_e32 v64, v65, v67
	v_add_f32_e32 v62, v64, v62
	v_add_f32_e32 v64, v69, v62
	v_mul_f32_e32 v65, v66, v64
	v_mul_f32_e32 v67, v61, v65
	v_fma_f32 v61, v65, v61, -v67
	v_fmac_f32_e32 v61, v65, v58
	v_sub_f32_e32 v58, v69, v64
	v_add_f32_e32 v58, v62, v58
	v_add_f32_e32 v62, v67, v61
	v_sub_f32_e32 v68, v64, v62
	v_sub_f32_e32 v64, v64, v68
	;; [unrolled: 1-line block ×4, first 2 shown]
	v_add_f32_e32 v58, v58, v62
	v_sub_f32_e32 v61, v67, v61
	v_add_f32_e32 v58, v61, v58
	v_add_f32_e32 v61, v63, v65
	v_add_f32_e32 v58, v68, v58
	v_sub_f32_e32 v62, v61, v63
	v_mul_f32_e32 v58, v66, v58
	v_sub_f32_e32 v62, v65, v62
	v_add_f32_e32 v58, v62, v58
	v_cvt_f32_i32_e32 v57, v57
	v_add_f32_e32 v62, v61, v58
	v_mul_f32_e32 v63, v62, v62
	v_mov_b32_e32 v64, 0x3ecc95a3
	v_fmac_f32_e32 v64, 0x3e9b6dac, v63
	v_mov_b32_e32 v65, 0x3f2aaada
	v_fmac_f32_e32 v65, v63, v64
	v_mul_f32_e32 v64, 0x3f317218, v57
	v_fma_f32 v66, v57, s56, -v64
	v_fmac_f32_e32 v66, 0xb102e308, v57
	v_sub_f32_e32 v57, v62, v61
	v_sub_f32_e32 v57, v58, v57
	v_add_f32_e32 v58, v64, v66
	v_sub_f32_e32 v61, v58, v64
	v_ldexp_f32 v64, v62, 1
	v_mul_f32_e32 v62, v62, v63
	v_mul_f32_e32 v62, v62, v65
	v_add_f32_e32 v63, v64, v62
	v_sub_f32_e32 v64, v63, v64
	v_ldexp_f32 v57, v57, 1
	v_sub_f32_e32 v62, v62, v64
	v_add_f32_e32 v57, v57, v62
	v_add_f32_e32 v62, v63, v57
	v_sub_f32_e32 v63, v62, v63
	v_sub_f32_e32 v57, v57, v63
	v_add_f32_e32 v63, v58, v62
	v_sub_f32_e32 v64, v63, v58
	v_sub_f32_e32 v65, v63, v64
	;; [unrolled: 1-line block ×5, first 2 shown]
	v_add_f32_e32 v58, v62, v58
	v_add_f32_e32 v62, v61, v57
	v_sub_f32_e32 v64, v62, v61
	v_sub_f32_e32 v65, v62, v64
	;; [unrolled: 1-line block ×4, first 2 shown]
	v_add_f32_e32 v58, v62, v58
	v_add_f32_e32 v57, v57, v61
	;; [unrolled: 1-line block ×3, first 2 shown]
	v_sub_f32_e32 v62, v61, v63
	v_sub_f32_e32 v58, v58, v62
	v_add_f32_e32 v57, v57, v58
	v_add_f32_e32 v57, v61, v57
	v_cmp_neq_f32_e32 vcc, s54, v60
	s_mov_b32 s54, 0x33800000
	v_cndmask_b32_e32 v57, v59, v57, vcc
	v_cmp_lt_f32_e64 vcc, |v60|, s54
	v_cndmask_b32_e32 v57, v57, v60, vcc
	v_add_f32_e32 v57, v56, v57
.LBB442_355:
	s_or_b64 exec, exec, s[52:53]
	v_bfe_u32 v56, v57, 16, 1
	v_add3_u32 v56, v57, v56, s55
	v_cmp_o_f32_e32 vcc, v57, v57
	v_cndmask_b32_sdwa v55, v55, v56, vcc dst_sel:DWORD dst_unused:UNUSED_PAD src0_sel:DWORD src1_sel:WORD_1
	ds_write_b16 v54, v55 offset:6
.LBB442_356:
	s_or_b64 exec, exec, s[60:61]
	s_waitcnt lgkmcnt(0)
	s_barrier
	s_and_saveexec_b64 s[52:53], s[0:1]
	s_cbranch_execz .LBB442_360
; %bb.357:
	v_add_u32_e32 v13, -1, v0
	v_lshrrev_b32_e32 v51, 4, v13
	v_and_b32_e32 v51, 0xffffffe, v51
	v_lshl_add_u32 v13, v13, 1, v51
	ds_read_u16 v13, v13
	s_movk_i32 s0, 0x1f8
	s_waitcnt lgkmcnt(0)
	v_lshlrev_b32_e32 v51, 16, v13
	v_max_f32_e32 v13, v51, v51
	v_min_f32_e32 v53, v13, v52
	v_max_f32_e32 v13, v13, v52
	v_cmp_u_f32_e32 vcc, v51, v51
	v_cndmask_b32_e32 v52, v53, v51, vcc
	v_cndmask_b32_e32 v13, v13, v51, vcc
	v_cndmask_b32_e64 v52, v52, v50, s[50:51]
	v_cndmask_b32_e64 v13, v13, v50, s[50:51]
	v_cmp_neq_f32_e32 vcc, v52, v13
	v_cmp_class_f32_e64 s[0:1], v52, s0
	s_or_b64 s[50:51], vcc, s[0:1]
	s_and_saveexec_b64 s[0:1], s[50:51]
	s_cbranch_execz .LBB442_359
; %bb.358:
	v_sub_f32_e32 v50, v52, v13
	s_mov_b32 s50, 0x3fb8aa3b
	v_mul_f32_e32 v51, 0x3fb8aa3b, v50
	v_fma_f32 v52, v50, s50, -v51
	v_rndne_f32_e32 v53, v51
	v_fmac_f32_e32 v52, 0x32a5705f, v50
	v_sub_f32_e32 v51, v51, v53
	v_add_f32_e32 v51, v51, v52
	v_exp_f32_e32 v51, v51
	v_cvt_i32_f32_e32 v52, v53
	s_mov_b32 s50, 0xc2ce8ed0
	v_cmp_ngt_f32_e32 vcc, s50, v50
	s_mov_b32 s50, 0x42b17218
	v_ldexp_f32 v51, v51, v52
	v_cndmask_b32_e32 v51, 0, v51, vcc
	v_mov_b32_e32 v52, 0x7f800000
	v_cmp_nlt_f32_e32 vcc, s50, v50
	v_cndmask_b32_e32 v53, v52, v51, vcc
	v_add_f32_e32 v54, 1.0, v53
	v_cvt_f64_f32_e32 v[50:51], v54
	v_add_f32_e32 v55, -1.0, v54
	v_sub_f32_e32 v56, v55, v54
	v_sub_f32_e32 v55, v53, v55
	v_frexp_exp_i32_f64_e32 v50, v[50:51]
	v_add_f32_e32 v51, 1.0, v56
	v_add_f32_e32 v51, v55, v51
	v_frexp_mant_f32_e32 v55, v54
	s_mov_b32 s51, 0x3f2aaaab
	v_cmp_gt_f32_e32 vcc, s51, v55
	s_mov_b32 s51, 0x3f317218
	s_mov_b32 s50, 0x7f800000
	v_subbrev_co_u32_e32 v50, vcc, 0, v50, vcc
	v_sub_u32_e32 v55, 0, v50
	v_ldexp_f32 v54, v54, v55
	v_ldexp_f32 v51, v51, v55
	v_add_f32_e32 v55, -1.0, v54
	v_add_f32_e32 v58, 1.0, v54
	v_add_f32_e32 v56, 1.0, v55
	v_add_f32_e32 v59, -1.0, v58
	v_sub_f32_e32 v56, v54, v56
	v_sub_f32_e32 v54, v54, v59
	v_add_f32_e32 v56, v51, v56
	v_add_f32_e32 v51, v51, v54
	;; [unrolled: 1-line block ×3, first 2 shown]
	v_rcp_f32_e32 v59, v54
	v_add_f32_e32 v57, v55, v56
	v_sub_f32_e32 v55, v55, v57
	v_add_f32_e32 v55, v56, v55
	v_sub_f32_e32 v56, v58, v54
	v_add_f32_e32 v51, v51, v56
	v_mul_f32_e32 v56, v57, v59
	v_mul_f32_e32 v58, v54, v56
	v_fma_f32 v60, v56, v54, -v58
	v_fmac_f32_e32 v60, v56, v51
	v_add_f32_e32 v61, v58, v60
	v_sub_f32_e32 v62, v57, v61
	v_sub_f32_e32 v57, v57, v62
	;; [unrolled: 1-line block ×4, first 2 shown]
	v_add_f32_e32 v55, v55, v57
	v_sub_f32_e32 v57, v58, v60
	v_add_f32_e32 v55, v57, v55
	v_add_f32_e32 v57, v62, v55
	v_mul_f32_e32 v58, v59, v57
	v_mul_f32_e32 v60, v54, v58
	v_fma_f32 v54, v58, v54, -v60
	v_fmac_f32_e32 v54, v58, v51
	v_sub_f32_e32 v51, v62, v57
	v_add_f32_e32 v51, v55, v51
	v_add_f32_e32 v55, v60, v54
	v_sub_f32_e32 v61, v57, v55
	v_sub_f32_e32 v57, v57, v61
	;; [unrolled: 1-line block ×4, first 2 shown]
	v_add_f32_e32 v51, v51, v55
	v_sub_f32_e32 v54, v60, v54
	v_add_f32_e32 v51, v54, v51
	v_add_f32_e32 v54, v56, v58
	;; [unrolled: 1-line block ×3, first 2 shown]
	v_sub_f32_e32 v55, v54, v56
	v_mul_f32_e32 v51, v59, v51
	v_sub_f32_e32 v55, v58, v55
	v_add_f32_e32 v51, v55, v51
	v_cvt_f32_i32_e32 v50, v50
	v_add_f32_e32 v55, v54, v51
	v_mul_f32_e32 v56, v55, v55
	v_mov_b32_e32 v57, 0x3ecc95a3
	v_fmac_f32_e32 v57, 0x3e9b6dac, v56
	v_mov_b32_e32 v58, 0x3f2aaada
	v_fmac_f32_e32 v58, v56, v57
	v_mul_f32_e32 v57, 0x3f317218, v50
	v_fma_f32 v59, v50, s51, -v57
	v_fmac_f32_e32 v59, 0xb102e308, v50
	v_sub_f32_e32 v50, v55, v54
	v_sub_f32_e32 v50, v51, v50
	v_add_f32_e32 v51, v57, v59
	v_sub_f32_e32 v54, v51, v57
	v_ldexp_f32 v57, v55, 1
	v_mul_f32_e32 v55, v55, v56
	v_mul_f32_e32 v55, v55, v58
	v_add_f32_e32 v56, v57, v55
	v_sub_f32_e32 v57, v56, v57
	v_ldexp_f32 v50, v50, 1
	v_sub_f32_e32 v55, v55, v57
	v_add_f32_e32 v50, v50, v55
	v_add_f32_e32 v55, v56, v50
	v_sub_f32_e32 v56, v55, v56
	v_sub_f32_e32 v50, v50, v56
	v_add_f32_e32 v56, v51, v55
	v_sub_f32_e32 v57, v56, v51
	v_sub_f32_e32 v58, v56, v57
	;; [unrolled: 1-line block ×5, first 2 shown]
	v_add_f32_e32 v51, v55, v51
	v_add_f32_e32 v55, v54, v50
	v_sub_f32_e32 v57, v55, v54
	v_sub_f32_e32 v58, v55, v57
	;; [unrolled: 1-line block ×4, first 2 shown]
	v_add_f32_e32 v51, v55, v51
	v_add_f32_e32 v50, v50, v54
	;; [unrolled: 1-line block ×3, first 2 shown]
	v_sub_f32_e32 v55, v54, v56
	v_sub_f32_e32 v51, v51, v55
	v_add_f32_e32 v50, v50, v51
	v_add_f32_e32 v50, v54, v50
	v_cmp_neq_f32_e32 vcc, s50, v53
	s_mov_b32 s50, 0x33800000
	v_cndmask_b32_e32 v50, v52, v50, vcc
	v_cmp_lt_f32_e64 vcc, |v53|, s50
	v_cndmask_b32_e32 v50, v50, v53, vcc
	v_add_f32_e32 v51, v13, v50
.LBB442_359:
	s_or_b64 exec, exec, s[0:1]
	v_bfe_u32 v13, v51, 16, 1
	s_movk_i32 s0, 0x7fff
	v_add3_u32 v13, v51, v13, s0
	v_cmp_o_f32_e32 vcc, v51, v51
	v_mov_b32_e32 v50, 0x7fc0
	v_cndmask_b32_sdwa v13, v50, v13, vcc dst_sel:DWORD dst_unused:UNUSED_PAD src0_sel:DWORD src1_sel:WORD_1
	v_lshlrev_b32_e32 v50, 16, v13
	v_max_f32_e32 v52, v50, v50
	v_min_f32_e32 v51, v52, v14
	v_max_f32_e32 v53, v52, v14
	;;#ASMSTART
	;;#ASMEND
.LBB442_360:
	s_or_b64 exec, exec, s[52:53]
	v_cmp_u_f32_e32 vcc, v50, v50
	v_cndmask_b32_e32 v14, v51, v50, vcc
	v_cndmask_b32_e32 v51, v53, v50, vcc
	v_cndmask_b32_e64 v14, v14, v9, s[2:3]
	v_cndmask_b32_e64 v9, v51, v9, s[2:3]
	s_movk_i32 s2, 0x1f8
	v_cmp_neq_f32_e32 vcc, v14, v9
	v_cmp_class_f32_e64 s[0:1], v14, s2
	s_or_b64 s[50:51], vcc, s[0:1]
	s_and_saveexec_b64 s[0:1], s[50:51]
	s_cbranch_execz .LBB442_362
; %bb.361:
	v_sub_f32_e32 v14, v14, v9
	s_mov_b32 s3, 0x3fb8aa3b
	v_mul_f32_e32 v50, 0x3fb8aa3b, v14
	v_fma_f32 v51, v14, s3, -v50
	v_rndne_f32_e32 v52, v50
	v_fmac_f32_e32 v51, 0x32a5705f, v14
	v_sub_f32_e32 v50, v50, v52
	v_add_f32_e32 v50, v50, v51
	v_exp_f32_e32 v50, v50
	v_cvt_i32_f32_e32 v51, v52
	s_mov_b32 s3, 0xc2ce8ed0
	v_cmp_ngt_f32_e32 vcc, s3, v14
	s_mov_b32 s3, 0x42b17218
	v_ldexp_f32 v50, v50, v51
	v_cndmask_b32_e32 v50, 0, v50, vcc
	v_mov_b32_e32 v52, 0x7f800000
	v_cmp_nlt_f32_e32 vcc, s3, v14
	v_cndmask_b32_e32 v14, v52, v50, vcc
	v_add_f32_e32 v53, 1.0, v14
	v_cvt_f64_f32_e32 v[50:51], v53
	v_add_f32_e32 v54, -1.0, v53
	v_sub_f32_e32 v55, v54, v53
	v_sub_f32_e32 v54, v14, v54
	v_frexp_exp_i32_f64_e32 v50, v[50:51]
	v_add_f32_e32 v51, 1.0, v55
	v_add_f32_e32 v51, v54, v51
	v_frexp_mant_f32_e32 v54, v53
	s_mov_b32 s50, 0x3f2aaaab
	v_cmp_gt_f32_e32 vcc, s50, v54
	s_mov_b32 s50, 0x3f317218
	s_mov_b32 s3, 0x7f800000
	v_subbrev_co_u32_e32 v50, vcc, 0, v50, vcc
	v_sub_u32_e32 v54, 0, v50
	v_ldexp_f32 v53, v53, v54
	v_ldexp_f32 v51, v51, v54
	v_add_f32_e32 v54, -1.0, v53
	v_add_f32_e32 v57, 1.0, v53
	v_add_f32_e32 v55, 1.0, v54
	v_add_f32_e32 v58, -1.0, v57
	v_sub_f32_e32 v55, v53, v55
	v_sub_f32_e32 v53, v53, v58
	v_add_f32_e32 v55, v51, v55
	v_add_f32_e32 v51, v51, v53
	;; [unrolled: 1-line block ×3, first 2 shown]
	v_rcp_f32_e32 v58, v53
	v_add_f32_e32 v56, v54, v55
	v_sub_f32_e32 v54, v54, v56
	v_add_f32_e32 v54, v55, v54
	v_sub_f32_e32 v55, v57, v53
	v_add_f32_e32 v51, v51, v55
	v_mul_f32_e32 v55, v56, v58
	v_mul_f32_e32 v57, v53, v55
	v_fma_f32 v59, v55, v53, -v57
	v_fmac_f32_e32 v59, v55, v51
	v_add_f32_e32 v60, v57, v59
	v_sub_f32_e32 v61, v56, v60
	v_sub_f32_e32 v56, v56, v61
	v_sub_f32_e32 v57, v60, v57
	v_sub_f32_e32 v56, v56, v60
	v_add_f32_e32 v54, v54, v56
	v_sub_f32_e32 v56, v57, v59
	v_add_f32_e32 v54, v56, v54
	v_add_f32_e32 v56, v61, v54
	v_mul_f32_e32 v57, v58, v56
	v_mul_f32_e32 v59, v53, v57
	v_fma_f32 v53, v57, v53, -v59
	v_fmac_f32_e32 v53, v57, v51
	v_sub_f32_e32 v51, v61, v56
	v_add_f32_e32 v51, v54, v51
	v_add_f32_e32 v54, v59, v53
	v_sub_f32_e32 v60, v56, v54
	v_sub_f32_e32 v56, v56, v60
	;; [unrolled: 1-line block ×4, first 2 shown]
	v_add_f32_e32 v51, v51, v54
	v_sub_f32_e32 v53, v59, v53
	v_add_f32_e32 v51, v53, v51
	v_add_f32_e32 v53, v55, v57
	;; [unrolled: 1-line block ×3, first 2 shown]
	v_sub_f32_e32 v54, v53, v55
	v_mul_f32_e32 v51, v58, v51
	v_sub_f32_e32 v54, v57, v54
	v_add_f32_e32 v51, v54, v51
	v_cvt_f32_i32_e32 v50, v50
	v_add_f32_e32 v54, v53, v51
	v_mul_f32_e32 v55, v54, v54
	v_mov_b32_e32 v56, 0x3ecc95a3
	v_fmac_f32_e32 v56, 0x3e9b6dac, v55
	v_mov_b32_e32 v57, 0x3f2aaada
	v_fmac_f32_e32 v57, v55, v56
	v_mul_f32_e32 v56, 0x3f317218, v50
	v_fma_f32 v58, v50, s50, -v56
	v_fmac_f32_e32 v58, 0xb102e308, v50
	v_sub_f32_e32 v50, v54, v53
	v_sub_f32_e32 v50, v51, v50
	v_add_f32_e32 v51, v56, v58
	v_sub_f32_e32 v53, v51, v56
	v_ldexp_f32 v56, v54, 1
	v_mul_f32_e32 v54, v54, v55
	v_mul_f32_e32 v54, v54, v57
	v_add_f32_e32 v55, v56, v54
	v_sub_f32_e32 v56, v55, v56
	v_ldexp_f32 v50, v50, 1
	v_sub_f32_e32 v54, v54, v56
	v_add_f32_e32 v50, v50, v54
	v_add_f32_e32 v54, v55, v50
	v_sub_f32_e32 v55, v54, v55
	v_sub_f32_e32 v50, v50, v55
	v_add_f32_e32 v55, v51, v54
	v_sub_f32_e32 v56, v55, v51
	v_sub_f32_e32 v57, v55, v56
	;; [unrolled: 1-line block ×5, first 2 shown]
	v_add_f32_e32 v51, v54, v51
	v_add_f32_e32 v54, v53, v50
	v_sub_f32_e32 v56, v54, v53
	v_sub_f32_e32 v57, v54, v56
	;; [unrolled: 1-line block ×4, first 2 shown]
	v_add_f32_e32 v51, v54, v51
	v_add_f32_e32 v50, v50, v53
	;; [unrolled: 1-line block ×3, first 2 shown]
	v_sub_f32_e32 v54, v53, v55
	v_sub_f32_e32 v51, v51, v54
	v_add_f32_e32 v50, v50, v51
	v_add_f32_e32 v50, v53, v50
	v_cmp_neq_f32_e32 vcc, s3, v14
	s_mov_b32 s3, 0x33800000
	v_cndmask_b32_e32 v50, v52, v50, vcc
	v_cmp_lt_f32_e64 vcc, |v14|, s3
	v_cndmask_b32_e32 v14, v50, v14, vcc
	v_add_f32_e32 v50, v9, v14
.LBB442_362:
	s_or_b64 exec, exec, s[0:1]
	v_bfe_u32 v9, v50, 16, 1
	s_movk_i32 s3, 0x7fff
	v_add3_u32 v14, v50, v9, s3
	v_cmp_o_f32_e32 vcc, v50, v50
	v_mov_b32_e32 v9, 0x7fc0
	v_cndmask_b32_sdwa v14, v9, v14, vcc dst_sel:DWORD dst_unused:UNUSED_PAD src0_sel:DWORD src1_sel:WORD_1
	v_lshlrev_b32_e32 v50, 16, v14
	v_max_f32_e32 v52, v50, v50
	v_min_f32_e32 v51, v52, v16
	v_cmp_u_f32_e32 vcc, v50, v50
	v_max_f32_e32 v16, v52, v16
	v_cndmask_b32_e32 v51, v51, v50, vcc
	v_cndmask_b32_e32 v16, v16, v50, vcc
	v_cndmask_b32_e64 v51, v51, v15, s[4:5]
	v_cndmask_b32_e64 v15, v16, v15, s[4:5]
	v_cmp_neq_f32_e32 vcc, v51, v15
	v_cmp_class_f32_e64 s[0:1], v51, s2
	s_or_b64 s[4:5], vcc, s[0:1]
	s_and_saveexec_b64 s[0:1], s[4:5]
	s_cbranch_execz .LBB442_364
; %bb.363:
	v_sub_f32_e32 v16, v51, v15
	s_mov_b32 s2, 0x3fb8aa3b
	v_mul_f32_e32 v50, 0x3fb8aa3b, v16
	v_fma_f32 v51, v16, s2, -v50
	v_rndne_f32_e32 v52, v50
	v_fmac_f32_e32 v51, 0x32a5705f, v16
	v_sub_f32_e32 v50, v50, v52
	v_add_f32_e32 v50, v50, v51
	v_exp_f32_e32 v50, v50
	v_cvt_i32_f32_e32 v51, v52
	s_mov_b32 s2, 0xc2ce8ed0
	v_cmp_ngt_f32_e32 vcc, s2, v16
	s_mov_b32 s2, 0x42b17218
	v_ldexp_f32 v50, v50, v51
	v_cndmask_b32_e32 v50, 0, v50, vcc
	v_mov_b32_e32 v52, 0x7f800000
	v_cmp_nlt_f32_e32 vcc, s2, v16
	v_cndmask_b32_e32 v16, v52, v50, vcc
	v_add_f32_e32 v53, 1.0, v16
	v_cvt_f64_f32_e32 v[50:51], v53
	v_add_f32_e32 v54, -1.0, v53
	v_sub_f32_e32 v55, v54, v53
	v_sub_f32_e32 v54, v16, v54
	v_frexp_exp_i32_f64_e32 v50, v[50:51]
	v_add_f32_e32 v51, 1.0, v55
	v_add_f32_e32 v51, v54, v51
	v_frexp_mant_f32_e32 v54, v53
	s_mov_b32 s4, 0x3f2aaaab
	v_cmp_gt_f32_e32 vcc, s4, v54
	s_mov_b32 s4, 0x3f317218
	s_mov_b32 s2, 0x7f800000
	v_subbrev_co_u32_e32 v50, vcc, 0, v50, vcc
	v_sub_u32_e32 v54, 0, v50
	v_ldexp_f32 v53, v53, v54
	v_ldexp_f32 v51, v51, v54
	v_add_f32_e32 v54, -1.0, v53
	v_add_f32_e32 v57, 1.0, v53
	v_add_f32_e32 v55, 1.0, v54
	v_add_f32_e32 v58, -1.0, v57
	v_sub_f32_e32 v55, v53, v55
	v_sub_f32_e32 v53, v53, v58
	v_add_f32_e32 v55, v51, v55
	v_add_f32_e32 v51, v51, v53
	;; [unrolled: 1-line block ×3, first 2 shown]
	v_rcp_f32_e32 v58, v53
	v_add_f32_e32 v56, v54, v55
	v_sub_f32_e32 v54, v54, v56
	v_add_f32_e32 v54, v55, v54
	v_sub_f32_e32 v55, v57, v53
	v_add_f32_e32 v51, v51, v55
	v_mul_f32_e32 v55, v56, v58
	v_mul_f32_e32 v57, v53, v55
	v_fma_f32 v59, v55, v53, -v57
	v_fmac_f32_e32 v59, v55, v51
	v_add_f32_e32 v60, v57, v59
	v_sub_f32_e32 v61, v56, v60
	v_sub_f32_e32 v56, v56, v61
	;; [unrolled: 1-line block ×4, first 2 shown]
	v_add_f32_e32 v54, v54, v56
	v_sub_f32_e32 v56, v57, v59
	v_add_f32_e32 v54, v56, v54
	v_add_f32_e32 v56, v61, v54
	v_mul_f32_e32 v57, v58, v56
	v_mul_f32_e32 v59, v53, v57
	v_fma_f32 v53, v57, v53, -v59
	v_fmac_f32_e32 v53, v57, v51
	v_sub_f32_e32 v51, v61, v56
	v_add_f32_e32 v51, v54, v51
	v_add_f32_e32 v54, v59, v53
	v_sub_f32_e32 v60, v56, v54
	v_sub_f32_e32 v56, v56, v60
	;; [unrolled: 1-line block ×4, first 2 shown]
	v_add_f32_e32 v51, v51, v54
	v_sub_f32_e32 v53, v59, v53
	v_add_f32_e32 v51, v53, v51
	v_add_f32_e32 v53, v55, v57
	;; [unrolled: 1-line block ×3, first 2 shown]
	v_sub_f32_e32 v54, v53, v55
	v_mul_f32_e32 v51, v58, v51
	v_sub_f32_e32 v54, v57, v54
	v_add_f32_e32 v51, v54, v51
	v_cvt_f32_i32_e32 v50, v50
	v_add_f32_e32 v54, v53, v51
	v_mul_f32_e32 v55, v54, v54
	v_mov_b32_e32 v56, 0x3ecc95a3
	v_fmac_f32_e32 v56, 0x3e9b6dac, v55
	v_mov_b32_e32 v57, 0x3f2aaada
	v_fmac_f32_e32 v57, v55, v56
	v_mul_f32_e32 v56, 0x3f317218, v50
	v_fma_f32 v58, v50, s4, -v56
	v_fmac_f32_e32 v58, 0xb102e308, v50
	v_sub_f32_e32 v50, v54, v53
	v_sub_f32_e32 v50, v51, v50
	v_add_f32_e32 v51, v56, v58
	v_sub_f32_e32 v53, v51, v56
	v_ldexp_f32 v56, v54, 1
	v_mul_f32_e32 v54, v54, v55
	v_mul_f32_e32 v54, v54, v57
	v_add_f32_e32 v55, v56, v54
	v_sub_f32_e32 v56, v55, v56
	v_ldexp_f32 v50, v50, 1
	v_sub_f32_e32 v54, v54, v56
	v_add_f32_e32 v50, v50, v54
	v_add_f32_e32 v54, v55, v50
	v_sub_f32_e32 v55, v54, v55
	v_sub_f32_e32 v50, v50, v55
	v_add_f32_e32 v55, v51, v54
	v_sub_f32_e32 v56, v55, v51
	v_sub_f32_e32 v57, v55, v56
	;; [unrolled: 1-line block ×5, first 2 shown]
	v_add_f32_e32 v51, v54, v51
	v_add_f32_e32 v54, v53, v50
	v_sub_f32_e32 v56, v54, v53
	v_sub_f32_e32 v57, v54, v56
	;; [unrolled: 1-line block ×4, first 2 shown]
	v_add_f32_e32 v51, v54, v51
	v_add_f32_e32 v50, v50, v53
	;; [unrolled: 1-line block ×3, first 2 shown]
	v_sub_f32_e32 v54, v53, v55
	v_sub_f32_e32 v51, v51, v54
	v_add_f32_e32 v50, v50, v51
	v_add_f32_e32 v50, v53, v50
	v_cmp_neq_f32_e32 vcc, s2, v16
	s_mov_b32 s2, 0x33800000
	v_cndmask_b32_e32 v50, v52, v50, vcc
	v_cmp_lt_f32_e64 vcc, |v16|, s2
	v_cndmask_b32_e32 v16, v50, v16, vcc
	v_add_f32_e32 v50, v15, v16
.LBB442_364:
	s_or_b64 exec, exec, s[0:1]
	v_bfe_u32 v15, v50, 16, 1
	v_add3_u32 v15, v50, v15, s3
	v_cmp_o_f32_e32 vcc, v50, v50
	v_cndmask_b32_sdwa v15, v9, v15, vcc dst_sel:DWORD dst_unused:UNUSED_PAD src0_sel:DWORD src1_sel:WORD_1
	v_lshlrev_b32_e32 v16, 16, v15
	v_max_f32_e32 v9, v16, v16
	v_min_f32_e32 v50, v9, v18
	v_cmp_u_f32_e32 vcc, v16, v16
	v_max_f32_e32 v9, v9, v18
	v_cndmask_b32_e32 v50, v50, v16, vcc
	v_cndmask_b32_e32 v9, v9, v16, vcc
	v_cndmask_b32_e64 v50, v50, v10, s[6:7]
	v_cndmask_b32_e64 v9, v9, v10, s[6:7]
	s_movk_i32 s2, 0x1f8
	v_cmp_neq_f32_e32 vcc, v50, v9
	v_cmp_class_f32_e64 s[0:1], v50, s2
	s_or_b64 s[4:5], vcc, s[0:1]
	s_and_saveexec_b64 s[0:1], s[4:5]
	s_cbranch_execz .LBB442_366
; %bb.365:
	v_sub_f32_e32 v10, v50, v9
	s_mov_b32 s3, 0x3fb8aa3b
	v_mul_f32_e32 v16, 0x3fb8aa3b, v10
	v_fma_f32 v18, v10, s3, -v16
	v_rndne_f32_e32 v50, v16
	v_fmac_f32_e32 v18, 0x32a5705f, v10
	v_sub_f32_e32 v16, v16, v50
	v_add_f32_e32 v16, v16, v18
	v_exp_f32_e32 v16, v16
	v_cvt_i32_f32_e32 v18, v50
	s_mov_b32 s3, 0xc2ce8ed0
	v_cmp_ngt_f32_e32 vcc, s3, v10
	s_mov_b32 s3, 0x42b17218
	v_ldexp_f32 v16, v16, v18
	v_cndmask_b32_e32 v16, 0, v16, vcc
	v_mov_b32_e32 v18, 0x7f800000
	v_cmp_nlt_f32_e32 vcc, s3, v10
	v_cndmask_b32_e32 v10, v18, v16, vcc
	v_add_f32_e32 v16, 1.0, v10
	v_cvt_f64_f32_e32 v[50:51], v16
	v_add_f32_e32 v52, -1.0, v16
	v_sub_f32_e32 v53, v52, v16
	v_sub_f32_e32 v52, v10, v52
	v_frexp_exp_i32_f64_e32 v50, v[50:51]
	v_add_f32_e32 v51, 1.0, v53
	v_add_f32_e32 v51, v52, v51
	v_frexp_mant_f32_e32 v52, v16
	s_mov_b32 s4, 0x3f2aaaab
	v_cmp_gt_f32_e32 vcc, s4, v52
	s_mov_b32 s4, 0x3f317218
	s_mov_b32 s3, 0x7f800000
	v_subbrev_co_u32_e32 v50, vcc, 0, v50, vcc
	v_sub_u32_e32 v52, 0, v50
	v_ldexp_f32 v16, v16, v52
	v_ldexp_f32 v51, v51, v52
	v_add_f32_e32 v52, -1.0, v16
	v_add_f32_e32 v55, 1.0, v16
	v_add_f32_e32 v53, 1.0, v52
	v_add_f32_e32 v56, -1.0, v55
	v_sub_f32_e32 v53, v16, v53
	v_sub_f32_e32 v16, v16, v56
	v_add_f32_e32 v16, v51, v16
	v_add_f32_e32 v53, v51, v53
	;; [unrolled: 1-line block ×3, first 2 shown]
	v_rcp_f32_e32 v56, v51
	v_add_f32_e32 v54, v52, v53
	v_sub_f32_e32 v52, v52, v54
	v_add_f32_e32 v52, v53, v52
	v_sub_f32_e32 v53, v55, v51
	v_add_f32_e32 v16, v16, v53
	v_mul_f32_e32 v53, v54, v56
	v_mul_f32_e32 v55, v51, v53
	v_fma_f32 v57, v53, v51, -v55
	v_fmac_f32_e32 v57, v53, v16
	v_add_f32_e32 v58, v55, v57
	v_sub_f32_e32 v59, v54, v58
	v_sub_f32_e32 v54, v54, v59
	;; [unrolled: 1-line block ×4, first 2 shown]
	v_add_f32_e32 v52, v52, v54
	v_sub_f32_e32 v54, v55, v57
	v_add_f32_e32 v52, v54, v52
	v_add_f32_e32 v54, v59, v52
	v_mul_f32_e32 v55, v56, v54
	v_mul_f32_e32 v57, v51, v55
	v_fma_f32 v51, v55, v51, -v57
	v_fmac_f32_e32 v51, v55, v16
	v_sub_f32_e32 v16, v59, v54
	v_add_f32_e32 v16, v52, v16
	v_add_f32_e32 v52, v57, v51
	v_sub_f32_e32 v58, v54, v52
	v_sub_f32_e32 v54, v54, v58
	;; [unrolled: 1-line block ×4, first 2 shown]
	v_add_f32_e32 v16, v16, v52
	v_sub_f32_e32 v51, v57, v51
	v_add_f32_e32 v16, v51, v16
	v_add_f32_e32 v51, v53, v55
	;; [unrolled: 1-line block ×3, first 2 shown]
	v_sub_f32_e32 v52, v51, v53
	v_mul_f32_e32 v16, v56, v16
	v_sub_f32_e32 v52, v55, v52
	v_add_f32_e32 v16, v52, v16
	v_cvt_f32_i32_e32 v50, v50
	v_add_f32_e32 v52, v51, v16
	v_mul_f32_e32 v53, v52, v52
	v_mov_b32_e32 v54, 0x3ecc95a3
	v_fmac_f32_e32 v54, 0x3e9b6dac, v53
	v_mov_b32_e32 v55, 0x3f2aaada
	v_fmac_f32_e32 v55, v53, v54
	v_mul_f32_e32 v54, 0x3f317218, v50
	v_fma_f32 v56, v50, s4, -v54
	v_fmac_f32_e32 v56, 0xb102e308, v50
	v_sub_f32_e32 v50, v52, v51
	v_sub_f32_e32 v16, v16, v50
	v_add_f32_e32 v50, v54, v56
	v_sub_f32_e32 v51, v50, v54
	v_ldexp_f32 v54, v52, 1
	v_mul_f32_e32 v52, v52, v53
	v_mul_f32_e32 v52, v52, v55
	v_add_f32_e32 v53, v54, v52
	v_sub_f32_e32 v54, v53, v54
	v_ldexp_f32 v16, v16, 1
	v_sub_f32_e32 v52, v52, v54
	v_add_f32_e32 v16, v16, v52
	v_add_f32_e32 v52, v53, v16
	v_sub_f32_e32 v53, v52, v53
	v_sub_f32_e32 v16, v16, v53
	v_add_f32_e32 v53, v50, v52
	v_sub_f32_e32 v54, v53, v50
	v_sub_f32_e32 v55, v53, v54
	;; [unrolled: 1-line block ×5, first 2 shown]
	v_add_f32_e32 v50, v52, v50
	v_add_f32_e32 v52, v51, v16
	v_sub_f32_e32 v54, v52, v51
	v_sub_f32_e32 v55, v52, v54
	;; [unrolled: 1-line block ×4, first 2 shown]
	v_add_f32_e32 v50, v52, v50
	v_add_f32_e32 v16, v16, v51
	;; [unrolled: 1-line block ×3, first 2 shown]
	v_sub_f32_e32 v52, v51, v53
	v_sub_f32_e32 v50, v50, v52
	v_add_f32_e32 v16, v16, v50
	v_add_f32_e32 v16, v51, v16
	v_cmp_neq_f32_e32 vcc, s3, v10
	s_mov_b32 s3, 0x33800000
	v_cndmask_b32_e32 v16, v18, v16, vcc
	v_cmp_lt_f32_e64 vcc, |v10|, s3
	v_cndmask_b32_e32 v10, v16, v10, vcc
	v_add_f32_e32 v16, v9, v10
.LBB442_366:
	s_or_b64 exec, exec, s[0:1]
	v_bfe_u32 v9, v16, 16, 1
	s_movk_i32 s3, 0x7fff
	v_add3_u32 v10, v16, v9, s3
	v_cmp_o_f32_e32 vcc, v16, v16
	v_mov_b32_e32 v9, 0x7fc0
	v_cndmask_b32_sdwa v16, v9, v10, vcc dst_sel:DWORD dst_unused:UNUSED_PAD src0_sel:DWORD src1_sel:WORD_1
	v_lshlrev_b32_e32 v18, 16, v16
	v_max_f32_e32 v10, v18, v18
	v_min_f32_e32 v50, v10, v21
	v_cmp_u_f32_e32 vcc, v18, v18
	v_max_f32_e32 v10, v10, v21
	v_cndmask_b32_e32 v50, v50, v18, vcc
	v_cndmask_b32_e32 v10, v10, v18, vcc
	v_cndmask_b32_e64 v50, v50, v17, s[8:9]
	v_cndmask_b32_e64 v10, v10, v17, s[8:9]
	v_cmp_neq_f32_e32 vcc, v50, v10
	v_cmp_class_f32_e64 s[0:1], v50, s2
	s_or_b64 s[4:5], vcc, s[0:1]
	s_and_saveexec_b64 s[0:1], s[4:5]
	s_cbranch_execz .LBB442_368
; %bb.367:
	v_sub_f32_e32 v17, v50, v10
	s_mov_b32 s2, 0x3fb8aa3b
	v_mul_f32_e32 v18, 0x3fb8aa3b, v17
	v_fma_f32 v21, v17, s2, -v18
	v_rndne_f32_e32 v50, v18
	v_fmac_f32_e32 v21, 0x32a5705f, v17
	v_sub_f32_e32 v18, v18, v50
	v_add_f32_e32 v18, v18, v21
	v_exp_f32_e32 v18, v18
	v_cvt_i32_f32_e32 v21, v50
	s_mov_b32 s2, 0xc2ce8ed0
	v_cmp_ngt_f32_e32 vcc, s2, v17
	s_mov_b32 s2, 0x42b17218
	v_ldexp_f32 v18, v18, v21
	v_cndmask_b32_e32 v18, 0, v18, vcc
	v_mov_b32_e32 v21, 0x7f800000
	v_cmp_nlt_f32_e32 vcc, s2, v17
	v_cndmask_b32_e32 v50, v21, v18, vcc
	v_add_f32_e32 v51, 1.0, v50
	v_cvt_f64_f32_e32 v[17:18], v51
	v_add_f32_e32 v52, -1.0, v51
	v_sub_f32_e32 v53, v52, v51
	v_sub_f32_e32 v52, v50, v52
	v_frexp_exp_i32_f64_e32 v17, v[17:18]
	v_add_f32_e32 v18, 1.0, v53
	v_add_f32_e32 v18, v52, v18
	v_frexp_mant_f32_e32 v52, v51
	s_mov_b32 s4, 0x3f2aaaab
	v_cmp_gt_f32_e32 vcc, s4, v52
	s_mov_b32 s4, 0x3f317218
	s_mov_b32 s2, 0x7f800000
	v_subbrev_co_u32_e32 v17, vcc, 0, v17, vcc
	v_sub_u32_e32 v52, 0, v17
	v_ldexp_f32 v51, v51, v52
	v_ldexp_f32 v18, v18, v52
	v_add_f32_e32 v52, -1.0, v51
	v_add_f32_e32 v55, 1.0, v51
	v_add_f32_e32 v53, 1.0, v52
	v_add_f32_e32 v56, -1.0, v55
	v_sub_f32_e32 v53, v51, v53
	v_sub_f32_e32 v51, v51, v56
	v_add_f32_e32 v53, v18, v53
	v_add_f32_e32 v18, v18, v51
	;; [unrolled: 1-line block ×3, first 2 shown]
	v_rcp_f32_e32 v56, v51
	v_add_f32_e32 v54, v52, v53
	v_sub_f32_e32 v52, v52, v54
	v_add_f32_e32 v52, v53, v52
	v_sub_f32_e32 v53, v55, v51
	v_add_f32_e32 v18, v18, v53
	v_mul_f32_e32 v53, v54, v56
	v_mul_f32_e32 v55, v51, v53
	v_fma_f32 v57, v53, v51, -v55
	v_fmac_f32_e32 v57, v53, v18
	v_add_f32_e32 v58, v55, v57
	v_sub_f32_e32 v59, v54, v58
	v_sub_f32_e32 v54, v54, v59
	;; [unrolled: 1-line block ×4, first 2 shown]
	v_add_f32_e32 v52, v52, v54
	v_sub_f32_e32 v54, v55, v57
	v_add_f32_e32 v52, v54, v52
	v_add_f32_e32 v54, v59, v52
	v_mul_f32_e32 v55, v56, v54
	v_mul_f32_e32 v57, v51, v55
	v_fma_f32 v51, v55, v51, -v57
	v_fmac_f32_e32 v51, v55, v18
	v_sub_f32_e32 v18, v59, v54
	v_add_f32_e32 v18, v52, v18
	v_add_f32_e32 v52, v57, v51
	v_sub_f32_e32 v58, v54, v52
	v_sub_f32_e32 v54, v54, v58
	;; [unrolled: 1-line block ×4, first 2 shown]
	v_add_f32_e32 v18, v18, v52
	v_sub_f32_e32 v51, v57, v51
	v_add_f32_e32 v18, v51, v18
	v_add_f32_e32 v51, v53, v55
	;; [unrolled: 1-line block ×3, first 2 shown]
	v_sub_f32_e32 v52, v51, v53
	v_mul_f32_e32 v18, v56, v18
	v_sub_f32_e32 v52, v55, v52
	v_add_f32_e32 v18, v52, v18
	v_cvt_f32_i32_e32 v17, v17
	v_add_f32_e32 v52, v51, v18
	v_mul_f32_e32 v53, v52, v52
	v_mov_b32_e32 v54, 0x3ecc95a3
	v_fmac_f32_e32 v54, 0x3e9b6dac, v53
	v_mov_b32_e32 v55, 0x3f2aaada
	v_fmac_f32_e32 v55, v53, v54
	v_mul_f32_e32 v54, 0x3f317218, v17
	v_fma_f32 v56, v17, s4, -v54
	v_fmac_f32_e32 v56, 0xb102e308, v17
	v_sub_f32_e32 v17, v52, v51
	v_sub_f32_e32 v17, v18, v17
	v_add_f32_e32 v18, v54, v56
	v_sub_f32_e32 v51, v18, v54
	v_ldexp_f32 v54, v52, 1
	v_mul_f32_e32 v52, v52, v53
	v_mul_f32_e32 v52, v52, v55
	v_add_f32_e32 v53, v54, v52
	v_sub_f32_e32 v54, v53, v54
	v_ldexp_f32 v17, v17, 1
	v_sub_f32_e32 v52, v52, v54
	v_add_f32_e32 v17, v17, v52
	v_add_f32_e32 v52, v53, v17
	v_sub_f32_e32 v53, v52, v53
	v_sub_f32_e32 v17, v17, v53
	v_add_f32_e32 v53, v18, v52
	v_sub_f32_e32 v54, v53, v18
	v_sub_f32_e32 v55, v53, v54
	;; [unrolled: 1-line block ×5, first 2 shown]
	v_add_f32_e32 v18, v52, v18
	v_add_f32_e32 v52, v51, v17
	v_sub_f32_e32 v54, v52, v51
	v_sub_f32_e32 v55, v52, v54
	;; [unrolled: 1-line block ×4, first 2 shown]
	v_add_f32_e32 v18, v52, v18
	v_add_f32_e32 v17, v17, v51
	;; [unrolled: 1-line block ×3, first 2 shown]
	v_sub_f32_e32 v52, v51, v53
	v_sub_f32_e32 v18, v18, v52
	v_add_f32_e32 v17, v17, v18
	v_add_f32_e32 v17, v51, v17
	v_cmp_neq_f32_e32 vcc, s2, v50
	s_mov_b32 s2, 0x33800000
	v_cndmask_b32_e32 v17, v21, v17, vcc
	v_cmp_lt_f32_e64 vcc, |v50|, s2
	v_cndmask_b32_e32 v17, v17, v50, vcc
	v_add_f32_e32 v18, v10, v17
.LBB442_368:
	s_or_b64 exec, exec, s[0:1]
	v_bfe_u32 v10, v18, 16, 1
	v_add3_u32 v10, v18, v10, s3
	v_cmp_o_f32_e32 vcc, v18, v18
	v_cndmask_b32_sdwa v17, v9, v10, vcc dst_sel:DWORD dst_unused:UNUSED_PAD src0_sel:DWORD src1_sel:WORD_1
	v_lshlrev_b32_e32 v10, 16, v17
	v_max_f32_e32 v9, v10, v10
	v_min_f32_e32 v18, v9, v23
	v_cmp_u_f32_e32 vcc, v10, v10
	v_max_f32_e32 v9, v9, v23
	v_cndmask_b32_e32 v18, v18, v10, vcc
	v_cndmask_b32_e32 v9, v9, v10, vcc
	v_cndmask_b32_e64 v18, v18, v11, s[10:11]
	v_cndmask_b32_e64 v9, v9, v11, s[10:11]
	s_movk_i32 s2, 0x1f8
	v_cmp_neq_f32_e32 vcc, v18, v9
	v_cmp_class_f32_e64 s[0:1], v18, s2
	s_or_b64 s[4:5], vcc, s[0:1]
	s_and_saveexec_b64 s[0:1], s[4:5]
	s_cbranch_execz .LBB442_370
; %bb.369:
	v_sub_f32_e32 v10, v18, v9
	s_mov_b32 s3, 0x3fb8aa3b
	v_mul_f32_e32 v11, 0x3fb8aa3b, v10
	v_fma_f32 v18, v10, s3, -v11
	v_rndne_f32_e32 v21, v11
	v_fmac_f32_e32 v18, 0x32a5705f, v10
	v_sub_f32_e32 v11, v11, v21
	v_add_f32_e32 v11, v11, v18
	v_exp_f32_e32 v11, v11
	v_cvt_i32_f32_e32 v18, v21
	s_mov_b32 s3, 0xc2ce8ed0
	v_cmp_ngt_f32_e32 vcc, s3, v10
	s_mov_b32 s3, 0x42b17218
	v_ldexp_f32 v11, v11, v18
	v_cndmask_b32_e32 v11, 0, v11, vcc
	v_mov_b32_e32 v18, 0x7f800000
	v_cmp_nlt_f32_e32 vcc, s3, v10
	v_cndmask_b32_e32 v21, v18, v11, vcc
	v_add_f32_e32 v23, 1.0, v21
	v_cvt_f64_f32_e32 v[10:11], v23
	v_add_f32_e32 v50, -1.0, v23
	v_sub_f32_e32 v51, v50, v23
	v_sub_f32_e32 v50, v21, v50
	v_frexp_exp_i32_f64_e32 v10, v[10:11]
	v_add_f32_e32 v11, 1.0, v51
	v_add_f32_e32 v11, v50, v11
	v_frexp_mant_f32_e32 v50, v23
	s_mov_b32 s4, 0x3f2aaaab
	v_cmp_gt_f32_e32 vcc, s4, v50
	s_mov_b32 s4, 0x3f317218
	s_mov_b32 s3, 0x7f800000
	v_subbrev_co_u32_e32 v10, vcc, 0, v10, vcc
	v_sub_u32_e32 v50, 0, v10
	v_ldexp_f32 v23, v23, v50
	v_ldexp_f32 v11, v11, v50
	v_add_f32_e32 v50, -1.0, v23
	v_add_f32_e32 v53, 1.0, v23
	v_add_f32_e32 v51, 1.0, v50
	v_add_f32_e32 v54, -1.0, v53
	v_sub_f32_e32 v51, v23, v51
	v_sub_f32_e32 v23, v23, v54
	v_add_f32_e32 v51, v11, v51
	v_add_f32_e32 v11, v11, v23
	;; [unrolled: 1-line block ×3, first 2 shown]
	v_rcp_f32_e32 v54, v23
	v_add_f32_e32 v52, v50, v51
	v_sub_f32_e32 v50, v50, v52
	v_add_f32_e32 v50, v51, v50
	v_sub_f32_e32 v51, v53, v23
	v_add_f32_e32 v11, v11, v51
	v_mul_f32_e32 v51, v52, v54
	v_mul_f32_e32 v53, v23, v51
	v_fma_f32 v55, v51, v23, -v53
	v_fmac_f32_e32 v55, v51, v11
	v_add_f32_e32 v56, v53, v55
	v_sub_f32_e32 v57, v52, v56
	v_sub_f32_e32 v52, v52, v57
	;; [unrolled: 1-line block ×4, first 2 shown]
	v_add_f32_e32 v50, v50, v52
	v_sub_f32_e32 v52, v53, v55
	v_add_f32_e32 v50, v52, v50
	v_add_f32_e32 v52, v57, v50
	v_mul_f32_e32 v53, v54, v52
	v_mul_f32_e32 v55, v23, v53
	v_fma_f32 v23, v53, v23, -v55
	v_fmac_f32_e32 v23, v53, v11
	v_sub_f32_e32 v11, v57, v52
	v_add_f32_e32 v11, v50, v11
	v_add_f32_e32 v50, v55, v23
	v_sub_f32_e32 v56, v52, v50
	v_sub_f32_e32 v52, v52, v56
	;; [unrolled: 1-line block ×4, first 2 shown]
	v_add_f32_e32 v11, v11, v50
	v_sub_f32_e32 v23, v55, v23
	v_add_f32_e32 v11, v23, v11
	v_add_f32_e32 v23, v51, v53
	;; [unrolled: 1-line block ×3, first 2 shown]
	v_sub_f32_e32 v50, v23, v51
	v_mul_f32_e32 v11, v54, v11
	v_sub_f32_e32 v50, v53, v50
	v_add_f32_e32 v11, v50, v11
	v_cvt_f32_i32_e32 v10, v10
	v_add_f32_e32 v50, v23, v11
	v_mul_f32_e32 v51, v50, v50
	v_mov_b32_e32 v52, 0x3ecc95a3
	v_fmac_f32_e32 v52, 0x3e9b6dac, v51
	v_mov_b32_e32 v53, 0x3f2aaada
	v_fmac_f32_e32 v53, v51, v52
	v_mul_f32_e32 v52, 0x3f317218, v10
	v_fma_f32 v54, v10, s4, -v52
	v_fmac_f32_e32 v54, 0xb102e308, v10
	v_sub_f32_e32 v10, v50, v23
	v_sub_f32_e32 v10, v11, v10
	v_add_f32_e32 v11, v52, v54
	v_sub_f32_e32 v23, v11, v52
	v_ldexp_f32 v52, v50, 1
	v_mul_f32_e32 v50, v50, v51
	v_mul_f32_e32 v50, v50, v53
	v_add_f32_e32 v51, v52, v50
	v_sub_f32_e32 v52, v51, v52
	v_ldexp_f32 v10, v10, 1
	v_sub_f32_e32 v50, v50, v52
	v_add_f32_e32 v10, v10, v50
	v_add_f32_e32 v50, v51, v10
	v_sub_f32_e32 v51, v50, v51
	v_sub_f32_e32 v10, v10, v51
	v_add_f32_e32 v51, v11, v50
	v_sub_f32_e32 v52, v51, v11
	v_sub_f32_e32 v53, v51, v52
	;; [unrolled: 1-line block ×5, first 2 shown]
	v_add_f32_e32 v11, v50, v11
	v_add_f32_e32 v50, v23, v10
	v_sub_f32_e32 v52, v50, v23
	v_sub_f32_e32 v53, v50, v52
	;; [unrolled: 1-line block ×4, first 2 shown]
	v_add_f32_e32 v11, v50, v11
	v_add_f32_e32 v10, v10, v23
	;; [unrolled: 1-line block ×3, first 2 shown]
	v_sub_f32_e32 v50, v23, v51
	v_sub_f32_e32 v11, v11, v50
	v_add_f32_e32 v10, v10, v11
	v_add_f32_e32 v10, v23, v10
	v_cmp_neq_f32_e32 vcc, s3, v21
	s_mov_b32 s3, 0x33800000
	v_cndmask_b32_e32 v10, v18, v10, vcc
	v_cmp_lt_f32_e64 vcc, |v21|, s3
	v_cndmask_b32_e32 v10, v10, v21, vcc
	v_add_f32_e32 v10, v9, v10
.LBB442_370:
	s_or_b64 exec, exec, s[0:1]
	v_bfe_u32 v9, v10, 16, 1
	s_movk_i32 s3, 0x7fff
	v_add3_u32 v11, v10, v9, s3
	v_cmp_o_f32_e32 vcc, v10, v10
	v_mov_b32_e32 v9, 0x7fc0
	v_cndmask_b32_sdwa v18, v9, v11, vcc dst_sel:DWORD dst_unused:UNUSED_PAD src0_sel:DWORD src1_sel:WORD_1
	v_lshlrev_b32_e32 v11, 16, v18
	v_max_f32_e32 v10, v11, v11
	v_min_f32_e32 v21, v10, v24
	v_cmp_u_f32_e32 vcc, v11, v11
	v_max_f32_e32 v10, v10, v24
	v_cndmask_b32_e32 v21, v21, v11, vcc
	v_cndmask_b32_e32 v10, v10, v11, vcc
	v_cndmask_b32_e64 v21, v21, v22, s[12:13]
	v_cndmask_b32_e64 v10, v10, v22, s[12:13]
	v_cmp_neq_f32_e32 vcc, v21, v10
	v_cmp_class_f32_e64 s[0:1], v21, s2
	s_or_b64 s[4:5], vcc, s[0:1]
	s_and_saveexec_b64 s[0:1], s[4:5]
	s_cbranch_execz .LBB442_372
; %bb.371:
	v_sub_f32_e32 v11, v21, v10
	s_mov_b32 s2, 0x3fb8aa3b
	v_mul_f32_e32 v21, 0x3fb8aa3b, v11
	v_fma_f32 v22, v11, s2, -v21
	v_rndne_f32_e32 v23, v21
	v_fmac_f32_e32 v22, 0x32a5705f, v11
	v_sub_f32_e32 v21, v21, v23
	v_add_f32_e32 v21, v21, v22
	v_exp_f32_e32 v21, v21
	v_cvt_i32_f32_e32 v22, v23
	s_mov_b32 s2, 0xc2ce8ed0
	v_cmp_ngt_f32_e32 vcc, s2, v11
	s_mov_b32 s2, 0x42b17218
	v_ldexp_f32 v21, v21, v22
	v_cndmask_b32_e32 v21, 0, v21, vcc
	v_mov_b32_e32 v23, 0x7f800000
	v_cmp_nlt_f32_e32 vcc, s2, v11
	v_cndmask_b32_e32 v11, v23, v21, vcc
	v_add_f32_e32 v24, 1.0, v11
	v_cvt_f64_f32_e32 v[21:22], v24
	v_add_f32_e32 v50, -1.0, v24
	v_sub_f32_e32 v51, v50, v24
	v_sub_f32_e32 v50, v11, v50
	v_frexp_exp_i32_f64_e32 v21, v[21:22]
	v_add_f32_e32 v22, 1.0, v51
	v_add_f32_e32 v22, v50, v22
	v_frexp_mant_f32_e32 v50, v24
	s_mov_b32 s4, 0x3f2aaaab
	v_cmp_gt_f32_e32 vcc, s4, v50
	s_mov_b32 s4, 0x3f317218
	s_mov_b32 s2, 0x7f800000
	v_subbrev_co_u32_e32 v21, vcc, 0, v21, vcc
	v_sub_u32_e32 v50, 0, v21
	v_ldexp_f32 v24, v24, v50
	v_ldexp_f32 v22, v22, v50
	v_add_f32_e32 v50, -1.0, v24
	v_add_f32_e32 v53, 1.0, v24
	v_add_f32_e32 v51, 1.0, v50
	v_add_f32_e32 v54, -1.0, v53
	v_sub_f32_e32 v51, v24, v51
	v_sub_f32_e32 v24, v24, v54
	v_add_f32_e32 v51, v22, v51
	v_add_f32_e32 v22, v22, v24
	;; [unrolled: 1-line block ×3, first 2 shown]
	v_rcp_f32_e32 v54, v24
	v_add_f32_e32 v52, v50, v51
	v_sub_f32_e32 v50, v50, v52
	v_add_f32_e32 v50, v51, v50
	v_sub_f32_e32 v51, v53, v24
	v_add_f32_e32 v22, v22, v51
	v_mul_f32_e32 v51, v52, v54
	v_mul_f32_e32 v53, v24, v51
	v_fma_f32 v55, v51, v24, -v53
	v_fmac_f32_e32 v55, v51, v22
	v_add_f32_e32 v56, v53, v55
	v_sub_f32_e32 v57, v52, v56
	v_sub_f32_e32 v52, v52, v57
	;; [unrolled: 1-line block ×4, first 2 shown]
	v_add_f32_e32 v50, v50, v52
	v_sub_f32_e32 v52, v53, v55
	v_add_f32_e32 v50, v52, v50
	v_add_f32_e32 v52, v57, v50
	v_mul_f32_e32 v53, v54, v52
	v_mul_f32_e32 v55, v24, v53
	v_fma_f32 v24, v53, v24, -v55
	v_fmac_f32_e32 v24, v53, v22
	v_sub_f32_e32 v22, v57, v52
	v_add_f32_e32 v22, v50, v22
	v_add_f32_e32 v50, v55, v24
	v_sub_f32_e32 v56, v52, v50
	v_sub_f32_e32 v52, v52, v56
	;; [unrolled: 1-line block ×4, first 2 shown]
	v_add_f32_e32 v22, v22, v50
	v_sub_f32_e32 v24, v55, v24
	v_add_f32_e32 v22, v24, v22
	v_add_f32_e32 v24, v51, v53
	;; [unrolled: 1-line block ×3, first 2 shown]
	v_sub_f32_e32 v50, v24, v51
	v_mul_f32_e32 v22, v54, v22
	v_sub_f32_e32 v50, v53, v50
	v_add_f32_e32 v22, v50, v22
	v_cvt_f32_i32_e32 v21, v21
	v_add_f32_e32 v50, v24, v22
	v_mul_f32_e32 v51, v50, v50
	v_mov_b32_e32 v52, 0x3ecc95a3
	v_fmac_f32_e32 v52, 0x3e9b6dac, v51
	v_mov_b32_e32 v53, 0x3f2aaada
	v_fmac_f32_e32 v53, v51, v52
	v_mul_f32_e32 v52, 0x3f317218, v21
	v_fma_f32 v54, v21, s4, -v52
	v_fmac_f32_e32 v54, 0xb102e308, v21
	v_sub_f32_e32 v21, v50, v24
	v_sub_f32_e32 v21, v22, v21
	v_add_f32_e32 v22, v52, v54
	v_sub_f32_e32 v24, v22, v52
	v_ldexp_f32 v52, v50, 1
	v_mul_f32_e32 v50, v50, v51
	v_mul_f32_e32 v50, v50, v53
	v_add_f32_e32 v51, v52, v50
	v_sub_f32_e32 v52, v51, v52
	v_ldexp_f32 v21, v21, 1
	v_sub_f32_e32 v50, v50, v52
	v_add_f32_e32 v21, v21, v50
	v_add_f32_e32 v50, v51, v21
	v_sub_f32_e32 v51, v50, v51
	v_sub_f32_e32 v21, v21, v51
	v_add_f32_e32 v51, v22, v50
	v_sub_f32_e32 v52, v51, v22
	v_sub_f32_e32 v53, v51, v52
	;; [unrolled: 1-line block ×5, first 2 shown]
	v_add_f32_e32 v22, v50, v22
	v_add_f32_e32 v50, v24, v21
	v_sub_f32_e32 v52, v50, v24
	v_sub_f32_e32 v53, v50, v52
	;; [unrolled: 1-line block ×4, first 2 shown]
	v_add_f32_e32 v22, v50, v22
	v_add_f32_e32 v21, v21, v24
	;; [unrolled: 1-line block ×3, first 2 shown]
	v_sub_f32_e32 v50, v24, v51
	v_sub_f32_e32 v22, v22, v50
	v_add_f32_e32 v21, v21, v22
	v_add_f32_e32 v21, v24, v21
	v_cmp_neq_f32_e32 vcc, s2, v11
	s_mov_b32 s2, 0x33800000
	v_cndmask_b32_e32 v21, v23, v21, vcc
	v_cmp_lt_f32_e64 vcc, |v11|, s2
	v_cndmask_b32_e32 v11, v21, v11, vcc
	v_add_f32_e32 v11, v10, v11
.LBB442_372:
	s_or_b64 exec, exec, s[0:1]
	v_bfe_u32 v10, v11, 16, 1
	v_add3_u32 v10, v11, v10, s3
	v_cmp_o_f32_e32 vcc, v11, v11
	v_cndmask_b32_sdwa v21, v9, v10, vcc dst_sel:DWORD dst_unused:UNUSED_PAD src0_sel:DWORD src1_sel:WORD_1
	v_lshlrev_b32_e32 v10, 16, v21
	v_max_f32_e32 v9, v10, v10
	v_min_f32_e32 v11, v9, v26
	v_cmp_u_f32_e32 vcc, v10, v10
	v_max_f32_e32 v9, v9, v26
	v_cndmask_b32_e32 v11, v11, v10, vcc
	v_cndmask_b32_e32 v9, v9, v10, vcc
	v_cndmask_b32_e64 v11, v11, v12, s[14:15]
	v_cndmask_b32_e64 v9, v9, v12, s[14:15]
	s_movk_i32 s2, 0x1f8
	v_cmp_neq_f32_e32 vcc, v11, v9
	v_cmp_class_f32_e64 s[0:1], v11, s2
	s_or_b64 s[4:5], vcc, s[0:1]
	s_and_saveexec_b64 s[0:1], s[4:5]
	s_cbranch_execz .LBB442_374
; %bb.373:
	v_sub_f32_e32 v10, v11, v9
	s_mov_b32 s3, 0x3fb8aa3b
	v_mul_f32_e32 v11, 0x3fb8aa3b, v10
	v_fma_f32 v12, v10, s3, -v11
	v_rndne_f32_e32 v22, v11
	v_fmac_f32_e32 v12, 0x32a5705f, v10
	v_sub_f32_e32 v11, v11, v22
	v_add_f32_e32 v11, v11, v12
	v_exp_f32_e32 v11, v11
	v_cvt_i32_f32_e32 v12, v22
	s_mov_b32 s3, 0xc2ce8ed0
	v_cmp_ngt_f32_e32 vcc, s3, v10
	s_mov_b32 s3, 0x42b17218
	v_ldexp_f32 v11, v11, v12
	v_cndmask_b32_e32 v11, 0, v11, vcc
	v_mov_b32_e32 v12, 0x7f800000
	v_cmp_nlt_f32_e32 vcc, s3, v10
	v_cndmask_b32_e32 v22, v12, v11, vcc
	v_add_f32_e32 v23, 1.0, v22
	v_cvt_f64_f32_e32 v[10:11], v23
	v_add_f32_e32 v24, -1.0, v23
	v_sub_f32_e32 v26, v24, v23
	v_sub_f32_e32 v24, v22, v24
	v_frexp_exp_i32_f64_e32 v10, v[10:11]
	v_add_f32_e32 v11, 1.0, v26
	v_add_f32_e32 v11, v24, v11
	v_frexp_mant_f32_e32 v24, v23
	s_mov_b32 s4, 0x3f2aaaab
	v_cmp_gt_f32_e32 vcc, s4, v24
	s_mov_b32 s4, 0x3f317218
	s_mov_b32 s3, 0x7f800000
	v_subbrev_co_u32_e32 v10, vcc, 0, v10, vcc
	v_sub_u32_e32 v24, 0, v10
	v_ldexp_f32 v23, v23, v24
	v_ldexp_f32 v11, v11, v24
	v_add_f32_e32 v24, -1.0, v23
	v_add_f32_e32 v51, 1.0, v23
	v_add_f32_e32 v26, 1.0, v24
	v_add_f32_e32 v52, -1.0, v51
	v_sub_f32_e32 v26, v23, v26
	v_sub_f32_e32 v23, v23, v52
	v_add_f32_e32 v26, v11, v26
	v_add_f32_e32 v11, v11, v23
	;; [unrolled: 1-line block ×3, first 2 shown]
	v_rcp_f32_e32 v52, v23
	v_add_f32_e32 v50, v24, v26
	v_sub_f32_e32 v24, v24, v50
	v_add_f32_e32 v24, v26, v24
	v_sub_f32_e32 v26, v51, v23
	v_add_f32_e32 v11, v11, v26
	v_mul_f32_e32 v26, v50, v52
	v_mul_f32_e32 v51, v23, v26
	v_fma_f32 v53, v26, v23, -v51
	v_fmac_f32_e32 v53, v26, v11
	v_add_f32_e32 v54, v51, v53
	v_sub_f32_e32 v55, v50, v54
	v_sub_f32_e32 v50, v50, v55
	;; [unrolled: 1-line block ×4, first 2 shown]
	v_add_f32_e32 v24, v24, v50
	v_sub_f32_e32 v50, v51, v53
	v_add_f32_e32 v24, v50, v24
	v_add_f32_e32 v50, v55, v24
	v_mul_f32_e32 v51, v52, v50
	v_mul_f32_e32 v53, v23, v51
	v_fma_f32 v23, v51, v23, -v53
	v_fmac_f32_e32 v23, v51, v11
	v_sub_f32_e32 v11, v55, v50
	v_add_f32_e32 v11, v24, v11
	v_add_f32_e32 v24, v53, v23
	v_sub_f32_e32 v54, v50, v24
	v_sub_f32_e32 v50, v50, v54
	;; [unrolled: 1-line block ×4, first 2 shown]
	v_add_f32_e32 v11, v11, v24
	v_sub_f32_e32 v23, v53, v23
	v_add_f32_e32 v11, v23, v11
	v_add_f32_e32 v23, v26, v51
	;; [unrolled: 1-line block ×3, first 2 shown]
	v_sub_f32_e32 v24, v23, v26
	v_mul_f32_e32 v11, v52, v11
	v_sub_f32_e32 v24, v51, v24
	v_add_f32_e32 v11, v24, v11
	v_cvt_f32_i32_e32 v10, v10
	v_add_f32_e32 v24, v23, v11
	v_mul_f32_e32 v26, v24, v24
	v_mov_b32_e32 v50, 0x3ecc95a3
	v_fmac_f32_e32 v50, 0x3e9b6dac, v26
	v_mov_b32_e32 v51, 0x3f2aaada
	v_fmac_f32_e32 v51, v26, v50
	v_mul_f32_e32 v50, 0x3f317218, v10
	v_fma_f32 v52, v10, s4, -v50
	v_fmac_f32_e32 v52, 0xb102e308, v10
	v_sub_f32_e32 v10, v24, v23
	v_sub_f32_e32 v10, v11, v10
	v_add_f32_e32 v11, v50, v52
	v_sub_f32_e32 v23, v11, v50
	v_ldexp_f32 v50, v24, 1
	v_mul_f32_e32 v24, v24, v26
	v_mul_f32_e32 v24, v24, v51
	v_add_f32_e32 v26, v50, v24
	v_sub_f32_e32 v50, v26, v50
	v_ldexp_f32 v10, v10, 1
	v_sub_f32_e32 v24, v24, v50
	v_add_f32_e32 v10, v10, v24
	v_add_f32_e32 v24, v26, v10
	v_sub_f32_e32 v26, v24, v26
	v_sub_f32_e32 v10, v10, v26
	v_add_f32_e32 v26, v11, v24
	v_sub_f32_e32 v50, v26, v11
	v_sub_f32_e32 v51, v26, v50
	;; [unrolled: 1-line block ×5, first 2 shown]
	v_add_f32_e32 v11, v24, v11
	v_add_f32_e32 v24, v23, v10
	v_sub_f32_e32 v50, v24, v23
	v_sub_f32_e32 v51, v24, v50
	v_sub_f32_e32 v23, v23, v51
	v_sub_f32_e32 v10, v10, v50
	v_add_f32_e32 v11, v24, v11
	v_add_f32_e32 v10, v10, v23
	v_add_f32_e32 v23, v26, v11
	v_sub_f32_e32 v24, v23, v26
	v_sub_f32_e32 v11, v11, v24
	v_add_f32_e32 v10, v10, v11
	v_add_f32_e32 v10, v23, v10
	v_cmp_neq_f32_e32 vcc, s3, v22
	s_mov_b32 s3, 0x33800000
	v_cndmask_b32_e32 v10, v12, v10, vcc
	v_cmp_lt_f32_e64 vcc, |v22|, s3
	v_cndmask_b32_e32 v10, v10, v22, vcc
	v_add_f32_e32 v10, v9, v10
.LBB442_374:
	s_or_b64 exec, exec, s[0:1]
	v_bfe_u32 v9, v10, 16, 1
	s_movk_i32 s3, 0x7fff
	v_add3_u32 v11, v10, v9, s3
	v_cmp_o_f32_e32 vcc, v10, v10
	v_mov_b32_e32 v9, 0x7fc0
	v_cndmask_b32_sdwa v22, v9, v11, vcc dst_sel:DWORD dst_unused:UNUSED_PAD src0_sel:DWORD src1_sel:WORD_1
	v_lshlrev_b32_e32 v11, 16, v22
	v_max_f32_e32 v10, v11, v11
	v_min_f32_e32 v12, v10, v27
	v_cmp_u_f32_e32 vcc, v11, v11
	v_max_f32_e32 v10, v10, v27
	v_cndmask_b32_e32 v12, v12, v11, vcc
	v_cndmask_b32_e32 v10, v10, v11, vcc
	v_cndmask_b32_e64 v12, v12, v25, s[16:17]
	v_cndmask_b32_e64 v10, v10, v25, s[16:17]
	v_cmp_neq_f32_e32 vcc, v12, v10
	v_cmp_class_f32_e64 s[0:1], v12, s2
	s_or_b64 s[4:5], vcc, s[0:1]
	s_and_saveexec_b64 s[0:1], s[4:5]
	s_cbranch_execz .LBB442_376
; %bb.375:
	v_sub_f32_e32 v11, v12, v10
	s_mov_b32 s2, 0x3fb8aa3b
	v_mul_f32_e32 v12, 0x3fb8aa3b, v11
	v_fma_f32 v23, v11, s2, -v12
	v_rndne_f32_e32 v24, v12
	v_fmac_f32_e32 v23, 0x32a5705f, v11
	v_sub_f32_e32 v12, v12, v24
	v_add_f32_e32 v12, v12, v23
	v_exp_f32_e32 v12, v12
	v_cvt_i32_f32_e32 v23, v24
	s_mov_b32 s2, 0xc2ce8ed0
	v_cmp_ngt_f32_e32 vcc, s2, v11
	s_mov_b32 s2, 0x42b17218
	v_ldexp_f32 v12, v12, v23
	v_cndmask_b32_e32 v12, 0, v12, vcc
	v_mov_b32_e32 v23, 0x7f800000
	v_cmp_nlt_f32_e32 vcc, s2, v11
	v_cndmask_b32_e32 v24, v23, v12, vcc
	v_add_f32_e32 v25, 1.0, v24
	v_cvt_f64_f32_e32 v[11:12], v25
	v_add_f32_e32 v26, -1.0, v25
	v_sub_f32_e32 v27, v26, v25
	v_sub_f32_e32 v26, v24, v26
	v_frexp_exp_i32_f64_e32 v11, v[11:12]
	v_add_f32_e32 v12, 1.0, v27
	v_add_f32_e32 v12, v26, v12
	v_frexp_mant_f32_e32 v26, v25
	s_mov_b32 s4, 0x3f2aaaab
	v_cmp_gt_f32_e32 vcc, s4, v26
	s_mov_b32 s4, 0x3f317218
	s_mov_b32 s2, 0x7f800000
	v_subbrev_co_u32_e32 v11, vcc, 0, v11, vcc
	v_sub_u32_e32 v26, 0, v11
	v_ldexp_f32 v25, v25, v26
	v_ldexp_f32 v12, v12, v26
	v_add_f32_e32 v26, -1.0, v25
	v_add_f32_e32 v51, 1.0, v25
	v_add_f32_e32 v27, 1.0, v26
	v_add_f32_e32 v52, -1.0, v51
	v_sub_f32_e32 v27, v25, v27
	v_sub_f32_e32 v25, v25, v52
	v_add_f32_e32 v27, v12, v27
	v_add_f32_e32 v12, v12, v25
	;; [unrolled: 1-line block ×3, first 2 shown]
	v_rcp_f32_e32 v52, v25
	v_add_f32_e32 v50, v26, v27
	v_sub_f32_e32 v26, v26, v50
	v_add_f32_e32 v26, v27, v26
	v_sub_f32_e32 v27, v51, v25
	v_add_f32_e32 v12, v12, v27
	v_mul_f32_e32 v27, v50, v52
	v_mul_f32_e32 v51, v25, v27
	v_fma_f32 v53, v27, v25, -v51
	v_fmac_f32_e32 v53, v27, v12
	v_add_f32_e32 v54, v51, v53
	v_sub_f32_e32 v55, v50, v54
	v_sub_f32_e32 v50, v50, v55
	;; [unrolled: 1-line block ×4, first 2 shown]
	v_add_f32_e32 v26, v26, v50
	v_sub_f32_e32 v50, v51, v53
	v_add_f32_e32 v26, v50, v26
	v_add_f32_e32 v50, v55, v26
	v_mul_f32_e32 v51, v52, v50
	v_mul_f32_e32 v53, v25, v51
	v_fma_f32 v25, v51, v25, -v53
	v_fmac_f32_e32 v25, v51, v12
	v_sub_f32_e32 v12, v55, v50
	v_add_f32_e32 v12, v26, v12
	v_add_f32_e32 v26, v53, v25
	v_sub_f32_e32 v54, v50, v26
	v_sub_f32_e32 v50, v50, v54
	;; [unrolled: 1-line block ×4, first 2 shown]
	v_add_f32_e32 v12, v12, v26
	v_sub_f32_e32 v25, v53, v25
	v_add_f32_e32 v12, v25, v12
	v_add_f32_e32 v25, v27, v51
	;; [unrolled: 1-line block ×3, first 2 shown]
	v_sub_f32_e32 v26, v25, v27
	v_mul_f32_e32 v12, v52, v12
	v_sub_f32_e32 v26, v51, v26
	v_add_f32_e32 v12, v26, v12
	v_cvt_f32_i32_e32 v11, v11
	v_add_f32_e32 v26, v25, v12
	v_mul_f32_e32 v27, v26, v26
	v_mov_b32_e32 v50, 0x3ecc95a3
	v_fmac_f32_e32 v50, 0x3e9b6dac, v27
	v_mov_b32_e32 v51, 0x3f2aaada
	v_fmac_f32_e32 v51, v27, v50
	v_mul_f32_e32 v50, 0x3f317218, v11
	v_fma_f32 v52, v11, s4, -v50
	v_fmac_f32_e32 v52, 0xb102e308, v11
	v_sub_f32_e32 v11, v26, v25
	v_sub_f32_e32 v11, v12, v11
	v_add_f32_e32 v12, v50, v52
	v_sub_f32_e32 v25, v12, v50
	v_ldexp_f32 v50, v26, 1
	v_mul_f32_e32 v26, v26, v27
	v_mul_f32_e32 v26, v26, v51
	v_add_f32_e32 v27, v50, v26
	v_sub_f32_e32 v50, v27, v50
	v_ldexp_f32 v11, v11, 1
	v_sub_f32_e32 v26, v26, v50
	v_add_f32_e32 v11, v11, v26
	v_add_f32_e32 v26, v27, v11
	v_sub_f32_e32 v27, v26, v27
	v_sub_f32_e32 v11, v11, v27
	v_add_f32_e32 v27, v12, v26
	v_sub_f32_e32 v50, v27, v12
	v_sub_f32_e32 v51, v27, v50
	;; [unrolled: 1-line block ×5, first 2 shown]
	v_add_f32_e32 v12, v26, v12
	v_add_f32_e32 v26, v25, v11
	v_sub_f32_e32 v50, v26, v25
	v_sub_f32_e32 v51, v26, v50
	;; [unrolled: 1-line block ×4, first 2 shown]
	v_add_f32_e32 v12, v26, v12
	v_add_f32_e32 v11, v11, v25
	;; [unrolled: 1-line block ×3, first 2 shown]
	v_sub_f32_e32 v26, v25, v27
	v_sub_f32_e32 v12, v12, v26
	v_add_f32_e32 v11, v11, v12
	v_add_f32_e32 v11, v25, v11
	v_cmp_neq_f32_e32 vcc, s2, v24
	s_mov_b32 s2, 0x33800000
	v_cndmask_b32_e32 v11, v23, v11, vcc
	v_cmp_lt_f32_e64 vcc, |v24|, s2
	v_cndmask_b32_e32 v11, v11, v24, vcc
	v_add_f32_e32 v11, v10, v11
.LBB442_376:
	s_or_b64 exec, exec, s[0:1]
	v_bfe_u32 v10, v11, 16, 1
	v_add3_u32 v10, v11, v10, s3
	v_cmp_o_f32_e32 vcc, v11, v11
	v_cndmask_b32_sdwa v23, v9, v10, vcc dst_sel:DWORD dst_unused:UNUSED_PAD src0_sel:DWORD src1_sel:WORD_1
	v_lshlrev_b32_e32 v9, 16, v23
	v_max_f32_e32 v11, v9, v9
	v_min_f32_e32 v10, v11, v29
	v_cmp_u_f32_e32 vcc, v9, v9
	v_max_f32_e32 v11, v11, v29
	v_cndmask_b32_e32 v10, v10, v9, vcc
	v_cndmask_b32_e32 v11, v11, v9, vcc
	v_cndmask_b32_e64 v10, v10, v5, s[18:19]
	v_cndmask_b32_e64 v5, v11, v5, s[18:19]
	s_movk_i32 s2, 0x1f8
	v_cmp_neq_f32_e32 vcc, v10, v5
	v_cmp_class_f32_e64 s[0:1], v10, s2
	s_or_b64 s[4:5], vcc, s[0:1]
	s_and_saveexec_b64 s[0:1], s[4:5]
	s_cbranch_execz .LBB442_378
; %bb.377:
	v_sub_f32_e32 v9, v10, v5
	s_mov_b32 s3, 0x3fb8aa3b
	v_mul_f32_e32 v10, 0x3fb8aa3b, v9
	v_fma_f32 v11, v9, s3, -v10
	v_rndne_f32_e32 v12, v10
	v_fmac_f32_e32 v11, 0x32a5705f, v9
	v_sub_f32_e32 v10, v10, v12
	v_add_f32_e32 v10, v10, v11
	v_exp_f32_e32 v10, v10
	v_cvt_i32_f32_e32 v11, v12
	s_mov_b32 s3, 0xc2ce8ed0
	v_cmp_ngt_f32_e32 vcc, s3, v9
	s_mov_b32 s3, 0x42b17218
	v_ldexp_f32 v10, v10, v11
	v_cndmask_b32_e32 v10, 0, v10, vcc
	v_mov_b32_e32 v11, 0x7f800000
	v_cmp_nlt_f32_e32 vcc, s3, v9
	v_cndmask_b32_e32 v12, v11, v10, vcc
	v_add_f32_e32 v24, 1.0, v12
	v_cvt_f64_f32_e32 v[9:10], v24
	v_add_f32_e32 v25, -1.0, v24
	v_sub_f32_e32 v26, v25, v24
	v_sub_f32_e32 v25, v12, v25
	v_frexp_exp_i32_f64_e32 v9, v[9:10]
	v_add_f32_e32 v10, 1.0, v26
	v_add_f32_e32 v10, v25, v10
	v_frexp_mant_f32_e32 v25, v24
	s_mov_b32 s4, 0x3f2aaaab
	v_cmp_gt_f32_e32 vcc, s4, v25
	s_mov_b32 s4, 0x3f317218
	s_mov_b32 s3, 0x7f800000
	v_subbrev_co_u32_e32 v9, vcc, 0, v9, vcc
	v_sub_u32_e32 v25, 0, v9
	v_ldexp_f32 v24, v24, v25
	v_ldexp_f32 v10, v10, v25
	v_add_f32_e32 v25, -1.0, v24
	v_add_f32_e32 v29, 1.0, v24
	v_add_f32_e32 v26, 1.0, v25
	v_add_f32_e32 v50, -1.0, v29
	v_sub_f32_e32 v26, v24, v26
	v_sub_f32_e32 v24, v24, v50
	v_add_f32_e32 v26, v10, v26
	v_add_f32_e32 v10, v10, v24
	;; [unrolled: 1-line block ×3, first 2 shown]
	v_rcp_f32_e32 v50, v24
	v_add_f32_e32 v27, v25, v26
	v_sub_f32_e32 v25, v25, v27
	v_add_f32_e32 v25, v26, v25
	v_sub_f32_e32 v26, v29, v24
	v_add_f32_e32 v10, v10, v26
	v_mul_f32_e32 v26, v27, v50
	v_mul_f32_e32 v29, v24, v26
	v_fma_f32 v51, v26, v24, -v29
	v_fmac_f32_e32 v51, v26, v10
	v_add_f32_e32 v52, v29, v51
	v_sub_f32_e32 v53, v27, v52
	v_sub_f32_e32 v27, v27, v53
	v_sub_f32_e32 v29, v52, v29
	v_sub_f32_e32 v27, v27, v52
	v_add_f32_e32 v25, v25, v27
	v_sub_f32_e32 v27, v29, v51
	v_add_f32_e32 v25, v27, v25
	v_add_f32_e32 v27, v53, v25
	v_mul_f32_e32 v29, v50, v27
	v_mul_f32_e32 v51, v24, v29
	v_fma_f32 v24, v29, v24, -v51
	v_fmac_f32_e32 v24, v29, v10
	v_sub_f32_e32 v10, v53, v27
	v_add_f32_e32 v10, v25, v10
	v_add_f32_e32 v25, v51, v24
	v_sub_f32_e32 v52, v27, v25
	v_sub_f32_e32 v27, v27, v52
	;; [unrolled: 1-line block ×4, first 2 shown]
	v_add_f32_e32 v10, v10, v25
	v_sub_f32_e32 v24, v51, v24
	v_add_f32_e32 v10, v24, v10
	v_add_f32_e32 v24, v26, v29
	;; [unrolled: 1-line block ×3, first 2 shown]
	v_sub_f32_e32 v25, v24, v26
	v_mul_f32_e32 v10, v50, v10
	v_sub_f32_e32 v25, v29, v25
	v_add_f32_e32 v10, v25, v10
	v_cvt_f32_i32_e32 v9, v9
	v_add_f32_e32 v25, v24, v10
	v_mul_f32_e32 v26, v25, v25
	v_mov_b32_e32 v27, 0x3ecc95a3
	v_fmac_f32_e32 v27, 0x3e9b6dac, v26
	v_mov_b32_e32 v29, 0x3f2aaada
	v_fmac_f32_e32 v29, v26, v27
	v_mul_f32_e32 v27, 0x3f317218, v9
	v_fma_f32 v50, v9, s4, -v27
	v_fmac_f32_e32 v50, 0xb102e308, v9
	v_sub_f32_e32 v9, v25, v24
	v_sub_f32_e32 v9, v10, v9
	v_add_f32_e32 v10, v27, v50
	v_sub_f32_e32 v24, v10, v27
	v_ldexp_f32 v27, v25, 1
	v_mul_f32_e32 v25, v25, v26
	v_mul_f32_e32 v25, v25, v29
	v_add_f32_e32 v26, v27, v25
	v_sub_f32_e32 v27, v26, v27
	v_ldexp_f32 v9, v9, 1
	v_sub_f32_e32 v25, v25, v27
	v_add_f32_e32 v9, v9, v25
	v_add_f32_e32 v25, v26, v9
	v_sub_f32_e32 v26, v25, v26
	v_sub_f32_e32 v9, v9, v26
	v_add_f32_e32 v26, v10, v25
	v_sub_f32_e32 v27, v26, v10
	v_sub_f32_e32 v29, v26, v27
	v_sub_f32_e32 v24, v50, v24
	v_sub_f32_e32 v10, v10, v29
	v_sub_f32_e32 v25, v25, v27
	v_add_f32_e32 v10, v25, v10
	v_add_f32_e32 v25, v24, v9
	v_sub_f32_e32 v27, v25, v24
	v_sub_f32_e32 v29, v25, v27
	;; [unrolled: 1-line block ×4, first 2 shown]
	v_add_f32_e32 v10, v25, v10
	v_add_f32_e32 v9, v9, v24
	;; [unrolled: 1-line block ×3, first 2 shown]
	v_sub_f32_e32 v25, v24, v26
	v_sub_f32_e32 v10, v10, v25
	v_add_f32_e32 v9, v9, v10
	v_add_f32_e32 v9, v24, v9
	v_cmp_neq_f32_e32 vcc, s3, v12
	s_mov_b32 s3, 0x33800000
	v_cndmask_b32_e32 v9, v11, v9, vcc
	v_cmp_lt_f32_e64 vcc, |v12|, s3
	v_cndmask_b32_e32 v9, v9, v12, vcc
	v_add_f32_e32 v9, v5, v9
.LBB442_378:
	s_or_b64 exec, exec, s[0:1]
	v_bfe_u32 v5, v9, 16, 1
	s_movk_i32 s3, 0x7fff
	v_add3_u32 v10, v9, v5, s3
	v_cmp_o_f32_e32 vcc, v9, v9
	v_mov_b32_e32 v5, 0x7fc0
	v_cndmask_b32_sdwa v24, v5, v10, vcc dst_sel:DWORD dst_unused:UNUSED_PAD src0_sel:DWORD src1_sel:WORD_1
	v_lshlrev_b32_e32 v10, 16, v24
	v_max_f32_e32 v9, v10, v10
	v_min_f32_e32 v11, v9, v30
	v_cmp_u_f32_e32 vcc, v10, v10
	v_max_f32_e32 v9, v9, v30
	v_cndmask_b32_e32 v11, v11, v10, vcc
	v_cndmask_b32_e32 v9, v9, v10, vcc
	v_cndmask_b32_e64 v11, v11, v28, s[20:21]
	v_cndmask_b32_e64 v9, v9, v28, s[20:21]
	v_cmp_neq_f32_e32 vcc, v11, v9
	v_cmp_class_f32_e64 s[0:1], v11, s2
	s_or_b64 s[4:5], vcc, s[0:1]
	s_and_saveexec_b64 s[0:1], s[4:5]
	s_cbranch_execz .LBB442_380
; %bb.379:
	v_sub_f32_e32 v10, v11, v9
	s_mov_b32 s2, 0x3fb8aa3b
	v_mul_f32_e32 v11, 0x3fb8aa3b, v10
	v_fma_f32 v12, v10, s2, -v11
	v_rndne_f32_e32 v25, v11
	v_fmac_f32_e32 v12, 0x32a5705f, v10
	v_sub_f32_e32 v11, v11, v25
	v_add_f32_e32 v11, v11, v12
	v_exp_f32_e32 v11, v11
	v_cvt_i32_f32_e32 v12, v25
	s_mov_b32 s2, 0xc2ce8ed0
	v_cmp_ngt_f32_e32 vcc, s2, v10
	s_mov_b32 s2, 0x42b17218
	v_ldexp_f32 v11, v11, v12
	v_cndmask_b32_e32 v11, 0, v11, vcc
	v_mov_b32_e32 v12, 0x7f800000
	v_cmp_nlt_f32_e32 vcc, s2, v10
	v_cndmask_b32_e32 v25, v12, v11, vcc
	v_add_f32_e32 v26, 1.0, v25
	v_cvt_f64_f32_e32 v[10:11], v26
	v_add_f32_e32 v27, -1.0, v26
	v_sub_f32_e32 v28, v27, v26
	v_sub_f32_e32 v27, v25, v27
	v_frexp_exp_i32_f64_e32 v10, v[10:11]
	v_add_f32_e32 v11, 1.0, v28
	v_add_f32_e32 v11, v27, v11
	v_frexp_mant_f32_e32 v27, v26
	s_mov_b32 s4, 0x3f2aaaab
	v_cmp_gt_f32_e32 vcc, s4, v27
	s_mov_b32 s4, 0x3f317218
	s_mov_b32 s2, 0x7f800000
	v_subbrev_co_u32_e32 v10, vcc, 0, v10, vcc
	v_sub_u32_e32 v27, 0, v10
	v_ldexp_f32 v26, v26, v27
	v_ldexp_f32 v11, v11, v27
	v_add_f32_e32 v27, -1.0, v26
	v_add_f32_e32 v30, 1.0, v26
	v_add_f32_e32 v28, 1.0, v27
	v_add_f32_e32 v50, -1.0, v30
	v_sub_f32_e32 v28, v26, v28
	v_sub_f32_e32 v26, v26, v50
	v_add_f32_e32 v28, v11, v28
	v_add_f32_e32 v11, v11, v26
	;; [unrolled: 1-line block ×3, first 2 shown]
	v_rcp_f32_e32 v50, v26
	v_add_f32_e32 v29, v27, v28
	v_sub_f32_e32 v27, v27, v29
	v_add_f32_e32 v27, v28, v27
	v_sub_f32_e32 v28, v30, v26
	v_add_f32_e32 v11, v11, v28
	v_mul_f32_e32 v28, v29, v50
	v_mul_f32_e32 v30, v26, v28
	v_fma_f32 v51, v28, v26, -v30
	v_fmac_f32_e32 v51, v28, v11
	v_add_f32_e32 v52, v30, v51
	v_sub_f32_e32 v53, v29, v52
	v_sub_f32_e32 v29, v29, v53
	;; [unrolled: 1-line block ×4, first 2 shown]
	v_add_f32_e32 v27, v27, v29
	v_sub_f32_e32 v29, v30, v51
	v_add_f32_e32 v27, v29, v27
	v_add_f32_e32 v29, v53, v27
	v_mul_f32_e32 v30, v50, v29
	v_mul_f32_e32 v51, v26, v30
	v_fma_f32 v26, v30, v26, -v51
	v_fmac_f32_e32 v26, v30, v11
	v_sub_f32_e32 v11, v53, v29
	v_add_f32_e32 v11, v27, v11
	v_add_f32_e32 v27, v51, v26
	v_sub_f32_e32 v52, v29, v27
	v_sub_f32_e32 v29, v29, v52
	;; [unrolled: 1-line block ×4, first 2 shown]
	v_add_f32_e32 v11, v11, v27
	v_sub_f32_e32 v26, v51, v26
	v_add_f32_e32 v11, v26, v11
	v_add_f32_e32 v26, v28, v30
	;; [unrolled: 1-line block ×3, first 2 shown]
	v_sub_f32_e32 v27, v26, v28
	v_mul_f32_e32 v11, v50, v11
	v_sub_f32_e32 v27, v30, v27
	v_add_f32_e32 v11, v27, v11
	v_cvt_f32_i32_e32 v10, v10
	v_add_f32_e32 v27, v26, v11
	v_mul_f32_e32 v28, v27, v27
	v_mov_b32_e32 v29, 0x3ecc95a3
	v_fmac_f32_e32 v29, 0x3e9b6dac, v28
	v_mov_b32_e32 v30, 0x3f2aaada
	v_fmac_f32_e32 v30, v28, v29
	v_mul_f32_e32 v29, 0x3f317218, v10
	v_fma_f32 v50, v10, s4, -v29
	v_fmac_f32_e32 v50, 0xb102e308, v10
	v_sub_f32_e32 v10, v27, v26
	v_sub_f32_e32 v10, v11, v10
	v_add_f32_e32 v11, v29, v50
	v_sub_f32_e32 v26, v11, v29
	v_ldexp_f32 v29, v27, 1
	v_mul_f32_e32 v27, v27, v28
	v_mul_f32_e32 v27, v27, v30
	v_add_f32_e32 v28, v29, v27
	v_sub_f32_e32 v29, v28, v29
	v_ldexp_f32 v10, v10, 1
	v_sub_f32_e32 v27, v27, v29
	v_add_f32_e32 v10, v10, v27
	v_add_f32_e32 v27, v28, v10
	v_sub_f32_e32 v28, v27, v28
	v_sub_f32_e32 v10, v10, v28
	v_add_f32_e32 v28, v11, v27
	v_sub_f32_e32 v29, v28, v11
	v_sub_f32_e32 v30, v28, v29
	;; [unrolled: 1-line block ×5, first 2 shown]
	v_add_f32_e32 v11, v27, v11
	v_add_f32_e32 v27, v26, v10
	v_sub_f32_e32 v29, v27, v26
	v_sub_f32_e32 v30, v27, v29
	;; [unrolled: 1-line block ×4, first 2 shown]
	v_add_f32_e32 v11, v27, v11
	v_add_f32_e32 v10, v10, v26
	v_add_f32_e32 v26, v28, v11
	v_sub_f32_e32 v27, v26, v28
	v_sub_f32_e32 v11, v11, v27
	v_add_f32_e32 v10, v10, v11
	v_add_f32_e32 v10, v26, v10
	v_cmp_neq_f32_e32 vcc, s2, v25
	s_mov_b32 s2, 0x33800000
	v_cndmask_b32_e32 v10, v12, v10, vcc
	v_cmp_lt_f32_e64 vcc, |v25|, s2
	v_cndmask_b32_e32 v10, v10, v25, vcc
	v_add_f32_e32 v10, v9, v10
.LBB442_380:
	s_or_b64 exec, exec, s[0:1]
	v_bfe_u32 v9, v10, 16, 1
	v_add3_u32 v9, v10, v9, s3
	v_cmp_o_f32_e32 vcc, v10, v10
	v_cndmask_b32_sdwa v25, v5, v9, vcc dst_sel:DWORD dst_unused:UNUSED_PAD src0_sel:DWORD src1_sel:WORD_1
	v_lshlrev_b32_e32 v9, 16, v25
	v_max_f32_e32 v5, v9, v9
	v_min_f32_e32 v10, v5, v32
	v_cmp_u_f32_e32 vcc, v9, v9
	v_max_f32_e32 v5, v5, v32
	v_cndmask_b32_e32 v10, v10, v9, vcc
	v_cndmask_b32_e32 v5, v5, v9, vcc
	v_cndmask_b32_e64 v10, v10, v6, s[22:23]
	v_cndmask_b32_e64 v5, v5, v6, s[22:23]
	s_movk_i32 s2, 0x1f8
	v_cmp_neq_f32_e32 vcc, v10, v5
	v_cmp_class_f32_e64 s[0:1], v10, s2
	s_or_b64 s[4:5], vcc, s[0:1]
	s_and_saveexec_b64 s[0:1], s[4:5]
	s_cbranch_execz .LBB442_382
; %bb.381:
	v_sub_f32_e32 v6, v10, v5
	s_mov_b32 s3, 0x3fb8aa3b
	v_mul_f32_e32 v9, 0x3fb8aa3b, v6
	v_fma_f32 v10, v6, s3, -v9
	v_rndne_f32_e32 v11, v9
	v_fmac_f32_e32 v10, 0x32a5705f, v6
	v_sub_f32_e32 v9, v9, v11
	v_add_f32_e32 v9, v9, v10
	v_exp_f32_e32 v9, v9
	v_cvt_i32_f32_e32 v10, v11
	s_mov_b32 s3, 0xc2ce8ed0
	v_cmp_ngt_f32_e32 vcc, s3, v6
	s_mov_b32 s3, 0x42b17218
	v_ldexp_f32 v9, v9, v10
	v_cndmask_b32_e32 v9, 0, v9, vcc
	v_mov_b32_e32 v11, 0x7f800000
	v_cmp_nlt_f32_e32 vcc, s3, v6
	v_cndmask_b32_e32 v6, v11, v9, vcc
	v_add_f32_e32 v12, 1.0, v6
	v_cvt_f64_f32_e32 v[9:10], v12
	v_add_f32_e32 v26, -1.0, v12
	v_sub_f32_e32 v27, v26, v12
	v_sub_f32_e32 v26, v6, v26
	v_frexp_exp_i32_f64_e32 v9, v[9:10]
	v_add_f32_e32 v10, 1.0, v27
	v_add_f32_e32 v10, v26, v10
	v_frexp_mant_f32_e32 v26, v12
	s_mov_b32 s4, 0x3f2aaaab
	v_cmp_gt_f32_e32 vcc, s4, v26
	s_mov_b32 s4, 0x3f317218
	s_mov_b32 s3, 0x7f800000
	v_subbrev_co_u32_e32 v9, vcc, 0, v9, vcc
	v_sub_u32_e32 v26, 0, v9
	v_ldexp_f32 v12, v12, v26
	v_ldexp_f32 v10, v10, v26
	v_add_f32_e32 v26, -1.0, v12
	v_add_f32_e32 v29, 1.0, v12
	v_add_f32_e32 v27, 1.0, v26
	v_add_f32_e32 v30, -1.0, v29
	v_sub_f32_e32 v27, v12, v27
	v_sub_f32_e32 v12, v12, v30
	v_add_f32_e32 v27, v10, v27
	v_add_f32_e32 v10, v10, v12
	v_add_f32_e32 v12, v29, v10
	v_rcp_f32_e32 v30, v12
	v_add_f32_e32 v28, v26, v27
	v_sub_f32_e32 v26, v26, v28
	v_add_f32_e32 v26, v27, v26
	v_sub_f32_e32 v27, v29, v12
	v_add_f32_e32 v10, v10, v27
	v_mul_f32_e32 v27, v28, v30
	v_mul_f32_e32 v29, v12, v27
	v_fma_f32 v32, v27, v12, -v29
	v_fmac_f32_e32 v32, v27, v10
	v_add_f32_e32 v50, v29, v32
	v_sub_f32_e32 v51, v28, v50
	v_sub_f32_e32 v28, v28, v51
	;; [unrolled: 1-line block ×4, first 2 shown]
	v_add_f32_e32 v26, v26, v28
	v_sub_f32_e32 v28, v29, v32
	v_add_f32_e32 v26, v28, v26
	v_add_f32_e32 v28, v51, v26
	v_mul_f32_e32 v29, v30, v28
	v_mul_f32_e32 v32, v12, v29
	v_fma_f32 v12, v29, v12, -v32
	v_fmac_f32_e32 v12, v29, v10
	v_sub_f32_e32 v10, v51, v28
	v_add_f32_e32 v10, v26, v10
	v_add_f32_e32 v26, v32, v12
	v_sub_f32_e32 v50, v28, v26
	v_sub_f32_e32 v28, v28, v50
	v_sub_f32_e32 v32, v26, v32
	v_sub_f32_e32 v26, v28, v26
	v_add_f32_e32 v10, v10, v26
	v_sub_f32_e32 v12, v32, v12
	v_add_f32_e32 v10, v12, v10
	v_add_f32_e32 v12, v27, v29
	;; [unrolled: 1-line block ×3, first 2 shown]
	v_sub_f32_e32 v26, v12, v27
	v_mul_f32_e32 v10, v30, v10
	v_sub_f32_e32 v26, v29, v26
	v_add_f32_e32 v10, v26, v10
	v_cvt_f32_i32_e32 v9, v9
	v_add_f32_e32 v26, v12, v10
	v_mul_f32_e32 v27, v26, v26
	v_mov_b32_e32 v28, 0x3ecc95a3
	v_fmac_f32_e32 v28, 0x3e9b6dac, v27
	v_mov_b32_e32 v29, 0x3f2aaada
	v_fmac_f32_e32 v29, v27, v28
	v_mul_f32_e32 v28, 0x3f317218, v9
	v_fma_f32 v30, v9, s4, -v28
	v_fmac_f32_e32 v30, 0xb102e308, v9
	v_sub_f32_e32 v9, v26, v12
	v_sub_f32_e32 v9, v10, v9
	v_add_f32_e32 v10, v28, v30
	v_sub_f32_e32 v12, v10, v28
	v_ldexp_f32 v28, v26, 1
	v_mul_f32_e32 v26, v26, v27
	v_mul_f32_e32 v26, v26, v29
	v_add_f32_e32 v27, v28, v26
	v_sub_f32_e32 v28, v27, v28
	v_ldexp_f32 v9, v9, 1
	v_sub_f32_e32 v26, v26, v28
	v_add_f32_e32 v9, v9, v26
	v_add_f32_e32 v26, v27, v9
	v_sub_f32_e32 v27, v26, v27
	v_sub_f32_e32 v9, v9, v27
	v_add_f32_e32 v27, v10, v26
	v_sub_f32_e32 v28, v27, v10
	v_sub_f32_e32 v29, v27, v28
	v_sub_f32_e32 v12, v30, v12
	v_sub_f32_e32 v10, v10, v29
	v_sub_f32_e32 v26, v26, v28
	v_add_f32_e32 v10, v26, v10
	v_add_f32_e32 v26, v12, v9
	v_sub_f32_e32 v28, v26, v12
	v_sub_f32_e32 v29, v26, v28
	;; [unrolled: 1-line block ×4, first 2 shown]
	v_add_f32_e32 v10, v26, v10
	v_add_f32_e32 v9, v9, v12
	;; [unrolled: 1-line block ×3, first 2 shown]
	v_sub_f32_e32 v26, v12, v27
	v_sub_f32_e32 v10, v10, v26
	v_add_f32_e32 v9, v9, v10
	v_add_f32_e32 v9, v12, v9
	v_cmp_neq_f32_e32 vcc, s3, v6
	s_mov_b32 s3, 0x33800000
	v_cndmask_b32_e32 v9, v11, v9, vcc
	v_cmp_lt_f32_e64 vcc, |v6|, s3
	v_cndmask_b32_e32 v6, v9, v6, vcc
	v_add_f32_e32 v9, v5, v6
.LBB442_382:
	s_or_b64 exec, exec, s[0:1]
	v_bfe_u32 v5, v9, 16, 1
	s_movk_i32 s3, 0x7fff
	v_add3_u32 v6, v9, v5, s3
	v_cmp_o_f32_e32 vcc, v9, v9
	v_mov_b32_e32 v5, 0x7fc0
	v_cndmask_b32_sdwa v26, v5, v6, vcc dst_sel:DWORD dst_unused:UNUSED_PAD src0_sel:DWORD src1_sel:WORD_1
	v_lshlrev_b32_e32 v9, 16, v26
	v_max_f32_e32 v6, v9, v9
	v_min_f32_e32 v10, v6, v33
	v_cmp_u_f32_e32 vcc, v9, v9
	v_max_f32_e32 v6, v6, v33
	v_cndmask_b32_e32 v10, v10, v9, vcc
	v_cndmask_b32_e32 v6, v6, v9, vcc
	v_cndmask_b32_e64 v10, v10, v31, s[24:25]
	v_cndmask_b32_e64 v6, v6, v31, s[24:25]
	v_cmp_neq_f32_e32 vcc, v10, v6
	v_cmp_class_f32_e64 s[0:1], v10, s2
	s_or_b64 s[4:5], vcc, s[0:1]
	s_and_saveexec_b64 s[0:1], s[4:5]
	s_cbranch_execz .LBB442_384
; %bb.383:
	v_sub_f32_e32 v9, v10, v6
	s_mov_b32 s2, 0x3fb8aa3b
	v_mul_f32_e32 v10, 0x3fb8aa3b, v9
	v_fma_f32 v11, v9, s2, -v10
	v_rndne_f32_e32 v12, v10
	v_fmac_f32_e32 v11, 0x32a5705f, v9
	v_sub_f32_e32 v10, v10, v12
	v_add_f32_e32 v10, v10, v11
	v_exp_f32_e32 v10, v10
	v_cvt_i32_f32_e32 v11, v12
	s_mov_b32 s2, 0xc2ce8ed0
	v_cmp_ngt_f32_e32 vcc, s2, v9
	s_mov_b32 s2, 0x42b17218
	v_ldexp_f32 v10, v10, v11
	v_cndmask_b32_e32 v10, 0, v10, vcc
	v_mov_b32_e32 v11, 0x7f800000
	v_cmp_nlt_f32_e32 vcc, s2, v9
	v_cndmask_b32_e32 v12, v11, v10, vcc
	v_add_f32_e32 v27, 1.0, v12
	v_cvt_f64_f32_e32 v[9:10], v27
	v_add_f32_e32 v28, -1.0, v27
	v_sub_f32_e32 v29, v28, v27
	v_sub_f32_e32 v28, v12, v28
	v_frexp_exp_i32_f64_e32 v9, v[9:10]
	v_add_f32_e32 v10, 1.0, v29
	v_add_f32_e32 v10, v28, v10
	v_frexp_mant_f32_e32 v28, v27
	s_mov_b32 s4, 0x3f2aaaab
	v_cmp_gt_f32_e32 vcc, s4, v28
	s_mov_b32 s4, 0x3f317218
	s_mov_b32 s2, 0x7f800000
	v_subbrev_co_u32_e32 v9, vcc, 0, v9, vcc
	v_sub_u32_e32 v28, 0, v9
	v_ldexp_f32 v27, v27, v28
	v_ldexp_f32 v10, v10, v28
	v_add_f32_e32 v28, -1.0, v27
	v_add_f32_e32 v31, 1.0, v27
	v_add_f32_e32 v29, 1.0, v28
	v_add_f32_e32 v32, -1.0, v31
	v_sub_f32_e32 v29, v27, v29
	v_sub_f32_e32 v27, v27, v32
	v_add_f32_e32 v29, v10, v29
	v_add_f32_e32 v10, v10, v27
	;; [unrolled: 1-line block ×3, first 2 shown]
	v_rcp_f32_e32 v32, v27
	v_add_f32_e32 v30, v28, v29
	v_sub_f32_e32 v28, v28, v30
	v_add_f32_e32 v28, v29, v28
	v_sub_f32_e32 v29, v31, v27
	v_add_f32_e32 v10, v10, v29
	v_mul_f32_e32 v29, v30, v32
	v_mul_f32_e32 v31, v27, v29
	v_fma_f32 v33, v29, v27, -v31
	v_fmac_f32_e32 v33, v29, v10
	v_add_f32_e32 v50, v31, v33
	v_sub_f32_e32 v51, v30, v50
	v_sub_f32_e32 v30, v30, v51
	;; [unrolled: 1-line block ×4, first 2 shown]
	v_add_f32_e32 v28, v28, v30
	v_sub_f32_e32 v30, v31, v33
	v_add_f32_e32 v28, v30, v28
	v_add_f32_e32 v30, v51, v28
	v_mul_f32_e32 v31, v32, v30
	v_mul_f32_e32 v33, v27, v31
	v_fma_f32 v27, v31, v27, -v33
	v_fmac_f32_e32 v27, v31, v10
	v_sub_f32_e32 v10, v51, v30
	v_add_f32_e32 v10, v28, v10
	v_add_f32_e32 v28, v33, v27
	v_sub_f32_e32 v50, v30, v28
	v_sub_f32_e32 v30, v30, v50
	v_sub_f32_e32 v33, v28, v33
	v_sub_f32_e32 v28, v30, v28
	v_add_f32_e32 v10, v10, v28
	v_sub_f32_e32 v27, v33, v27
	v_add_f32_e32 v10, v27, v10
	v_add_f32_e32 v27, v29, v31
	;; [unrolled: 1-line block ×3, first 2 shown]
	v_sub_f32_e32 v28, v27, v29
	v_mul_f32_e32 v10, v32, v10
	v_sub_f32_e32 v28, v31, v28
	v_add_f32_e32 v10, v28, v10
	v_cvt_f32_i32_e32 v9, v9
	v_add_f32_e32 v28, v27, v10
	v_mul_f32_e32 v29, v28, v28
	v_mov_b32_e32 v30, 0x3ecc95a3
	v_fmac_f32_e32 v30, 0x3e9b6dac, v29
	v_mov_b32_e32 v31, 0x3f2aaada
	v_fmac_f32_e32 v31, v29, v30
	v_mul_f32_e32 v30, 0x3f317218, v9
	v_fma_f32 v32, v9, s4, -v30
	v_fmac_f32_e32 v32, 0xb102e308, v9
	v_sub_f32_e32 v9, v28, v27
	v_sub_f32_e32 v9, v10, v9
	v_add_f32_e32 v10, v30, v32
	v_sub_f32_e32 v27, v10, v30
	v_ldexp_f32 v30, v28, 1
	v_mul_f32_e32 v28, v28, v29
	v_mul_f32_e32 v28, v28, v31
	v_add_f32_e32 v29, v30, v28
	v_sub_f32_e32 v30, v29, v30
	v_ldexp_f32 v9, v9, 1
	v_sub_f32_e32 v28, v28, v30
	v_add_f32_e32 v9, v9, v28
	v_add_f32_e32 v28, v29, v9
	v_sub_f32_e32 v29, v28, v29
	v_sub_f32_e32 v9, v9, v29
	v_add_f32_e32 v29, v10, v28
	v_sub_f32_e32 v30, v29, v10
	v_sub_f32_e32 v31, v29, v30
	;; [unrolled: 1-line block ×5, first 2 shown]
	v_add_f32_e32 v10, v28, v10
	v_add_f32_e32 v28, v27, v9
	v_sub_f32_e32 v30, v28, v27
	v_sub_f32_e32 v31, v28, v30
	;; [unrolled: 1-line block ×4, first 2 shown]
	v_add_f32_e32 v10, v28, v10
	v_add_f32_e32 v9, v9, v27
	;; [unrolled: 1-line block ×3, first 2 shown]
	v_sub_f32_e32 v28, v27, v29
	v_sub_f32_e32 v10, v10, v28
	v_add_f32_e32 v9, v9, v10
	v_add_f32_e32 v9, v27, v9
	v_cmp_neq_f32_e32 vcc, s2, v12
	s_mov_b32 s2, 0x33800000
	v_cndmask_b32_e32 v9, v11, v9, vcc
	v_cmp_lt_f32_e64 vcc, |v12|, s2
	v_cndmask_b32_e32 v9, v9, v12, vcc
	v_add_f32_e32 v9, v6, v9
.LBB442_384:
	s_or_b64 exec, exec, s[0:1]
	v_bfe_u32 v6, v9, 16, 1
	v_add3_u32 v6, v9, v6, s3
	v_cmp_o_f32_e32 vcc, v9, v9
	v_cndmask_b32_sdwa v27, v5, v6, vcc dst_sel:DWORD dst_unused:UNUSED_PAD src0_sel:DWORD src1_sel:WORD_1
	v_lshlrev_b32_e32 v6, 16, v27
	v_max_f32_e32 v5, v6, v6
	v_min_f32_e32 v9, v5, v35
	v_cmp_u_f32_e32 vcc, v6, v6
	v_max_f32_e32 v5, v5, v35
	v_cndmask_b32_e32 v9, v9, v6, vcc
	v_cndmask_b32_e32 v5, v5, v6, vcc
	v_cndmask_b32_e64 v9, v9, v7, s[26:27]
	v_cndmask_b32_e64 v5, v5, v7, s[26:27]
	s_movk_i32 s2, 0x1f8
	v_cmp_neq_f32_e32 vcc, v9, v5
	v_cmp_class_f32_e64 s[0:1], v9, s2
	s_or_b64 s[4:5], vcc, s[0:1]
	s_and_saveexec_b64 s[0:1], s[4:5]
	s_cbranch_execz .LBB442_386
; %bb.385:
	v_sub_f32_e32 v6, v9, v5
	s_mov_b32 s3, 0x3fb8aa3b
	v_mul_f32_e32 v7, 0x3fb8aa3b, v6
	v_fma_f32 v9, v6, s3, -v7
	v_rndne_f32_e32 v10, v7
	v_fmac_f32_e32 v9, 0x32a5705f, v6
	v_sub_f32_e32 v7, v7, v10
	v_add_f32_e32 v7, v7, v9
	v_exp_f32_e32 v7, v7
	v_cvt_i32_f32_e32 v9, v10
	s_mov_b32 s3, 0xc2ce8ed0
	v_cmp_ngt_f32_e32 vcc, s3, v6
	s_mov_b32 s3, 0x42b17218
	v_ldexp_f32 v7, v7, v9
	v_cndmask_b32_e32 v7, 0, v7, vcc
	v_mov_b32_e32 v9, 0x7f800000
	v_cmp_nlt_f32_e32 vcc, s3, v6
	v_cndmask_b32_e32 v10, v9, v7, vcc
	v_add_f32_e32 v11, 1.0, v10
	v_cvt_f64_f32_e32 v[6:7], v11
	v_add_f32_e32 v12, -1.0, v11
	v_sub_f32_e32 v28, v12, v11
	v_sub_f32_e32 v12, v10, v12
	v_frexp_exp_i32_f64_e32 v6, v[6:7]
	v_add_f32_e32 v7, 1.0, v28
	v_add_f32_e32 v7, v12, v7
	v_frexp_mant_f32_e32 v12, v11
	s_mov_b32 s4, 0x3f2aaaab
	v_cmp_gt_f32_e32 vcc, s4, v12
	s_mov_b32 s4, 0x3f317218
	s_mov_b32 s3, 0x7f800000
	v_subbrev_co_u32_e32 v6, vcc, 0, v6, vcc
	v_sub_u32_e32 v12, 0, v6
	v_ldexp_f32 v11, v11, v12
	v_ldexp_f32 v7, v7, v12
	v_add_f32_e32 v12, -1.0, v11
	v_add_f32_e32 v30, 1.0, v11
	v_add_f32_e32 v28, 1.0, v12
	v_add_f32_e32 v31, -1.0, v30
	v_sub_f32_e32 v28, v11, v28
	v_sub_f32_e32 v11, v11, v31
	v_add_f32_e32 v28, v7, v28
	v_add_f32_e32 v7, v7, v11
	;; [unrolled: 1-line block ×3, first 2 shown]
	v_rcp_f32_e32 v31, v11
	v_add_f32_e32 v29, v12, v28
	v_sub_f32_e32 v12, v12, v29
	v_add_f32_e32 v12, v28, v12
	v_sub_f32_e32 v28, v30, v11
	v_add_f32_e32 v7, v7, v28
	v_mul_f32_e32 v28, v29, v31
	v_mul_f32_e32 v30, v11, v28
	v_fma_f32 v32, v28, v11, -v30
	v_fmac_f32_e32 v32, v28, v7
	v_add_f32_e32 v33, v30, v32
	v_sub_f32_e32 v35, v29, v33
	v_sub_f32_e32 v29, v29, v35
	;; [unrolled: 1-line block ×4, first 2 shown]
	v_add_f32_e32 v12, v12, v29
	v_sub_f32_e32 v29, v30, v32
	v_add_f32_e32 v12, v29, v12
	v_add_f32_e32 v29, v35, v12
	v_mul_f32_e32 v30, v31, v29
	v_mul_f32_e32 v32, v11, v30
	v_fma_f32 v11, v30, v11, -v32
	v_fmac_f32_e32 v11, v30, v7
	v_sub_f32_e32 v7, v35, v29
	v_add_f32_e32 v7, v12, v7
	v_add_f32_e32 v12, v32, v11
	v_sub_f32_e32 v33, v29, v12
	v_sub_f32_e32 v29, v29, v33
	;; [unrolled: 1-line block ×4, first 2 shown]
	v_add_f32_e32 v7, v7, v12
	v_sub_f32_e32 v11, v32, v11
	v_add_f32_e32 v7, v11, v7
	v_add_f32_e32 v11, v28, v30
	;; [unrolled: 1-line block ×3, first 2 shown]
	v_sub_f32_e32 v12, v11, v28
	v_mul_f32_e32 v7, v31, v7
	v_sub_f32_e32 v12, v30, v12
	v_add_f32_e32 v7, v12, v7
	v_cvt_f32_i32_e32 v6, v6
	v_add_f32_e32 v12, v11, v7
	v_mul_f32_e32 v28, v12, v12
	v_mov_b32_e32 v29, 0x3ecc95a3
	v_fmac_f32_e32 v29, 0x3e9b6dac, v28
	v_mov_b32_e32 v30, 0x3f2aaada
	v_fmac_f32_e32 v30, v28, v29
	v_mul_f32_e32 v29, 0x3f317218, v6
	v_fma_f32 v31, v6, s4, -v29
	v_fmac_f32_e32 v31, 0xb102e308, v6
	v_sub_f32_e32 v6, v12, v11
	v_sub_f32_e32 v6, v7, v6
	v_add_f32_e32 v7, v29, v31
	v_sub_f32_e32 v11, v7, v29
	v_ldexp_f32 v29, v12, 1
	v_mul_f32_e32 v12, v12, v28
	v_mul_f32_e32 v12, v12, v30
	v_add_f32_e32 v28, v29, v12
	v_sub_f32_e32 v29, v28, v29
	v_ldexp_f32 v6, v6, 1
	v_sub_f32_e32 v12, v12, v29
	v_add_f32_e32 v6, v6, v12
	v_add_f32_e32 v12, v28, v6
	v_sub_f32_e32 v28, v12, v28
	v_sub_f32_e32 v6, v6, v28
	v_add_f32_e32 v28, v7, v12
	v_sub_f32_e32 v29, v28, v7
	v_sub_f32_e32 v30, v28, v29
	;; [unrolled: 1-line block ×5, first 2 shown]
	v_add_f32_e32 v7, v12, v7
	v_add_f32_e32 v12, v11, v6
	v_sub_f32_e32 v29, v12, v11
	v_sub_f32_e32 v30, v12, v29
	;; [unrolled: 1-line block ×4, first 2 shown]
	v_add_f32_e32 v7, v12, v7
	v_add_f32_e32 v6, v6, v11
	v_add_f32_e32 v11, v28, v7
	v_sub_f32_e32 v12, v11, v28
	v_sub_f32_e32 v7, v7, v12
	v_add_f32_e32 v6, v6, v7
	v_add_f32_e32 v6, v11, v6
	v_cmp_neq_f32_e32 vcc, s3, v10
	s_mov_b32 s3, 0x33800000
	v_cndmask_b32_e32 v6, v9, v6, vcc
	v_cmp_lt_f32_e64 vcc, |v10|, s3
	v_cndmask_b32_e32 v6, v6, v10, vcc
	v_add_f32_e32 v6, v5, v6
.LBB442_386:
	s_or_b64 exec, exec, s[0:1]
	v_bfe_u32 v5, v6, 16, 1
	s_movk_i32 s3, 0x7fff
	v_add3_u32 v7, v6, v5, s3
	v_cmp_o_f32_e32 vcc, v6, v6
	v_mov_b32_e32 v5, 0x7fc0
	v_cndmask_b32_sdwa v28, v5, v7, vcc dst_sel:DWORD dst_unused:UNUSED_PAD src0_sel:DWORD src1_sel:WORD_1
	v_lshlrev_b32_e32 v7, 16, v28
	v_max_f32_e32 v6, v7, v7
	v_min_f32_e32 v9, v6, v36
	v_cmp_u_f32_e32 vcc, v7, v7
	v_max_f32_e32 v6, v6, v36
	v_cndmask_b32_e32 v9, v9, v7, vcc
	v_cndmask_b32_e32 v6, v6, v7, vcc
	v_cndmask_b32_e64 v9, v9, v34, s[28:29]
	v_cndmask_b32_e64 v6, v6, v34, s[28:29]
	v_cmp_neq_f32_e32 vcc, v9, v6
	v_cmp_class_f32_e64 s[0:1], v9, s2
	s_or_b64 s[4:5], vcc, s[0:1]
	s_and_saveexec_b64 s[0:1], s[4:5]
	s_cbranch_execz .LBB442_388
; %bb.387:
	v_sub_f32_e32 v7, v9, v6
	s_mov_b32 s2, 0x3fb8aa3b
	v_mul_f32_e32 v9, 0x3fb8aa3b, v7
	v_fma_f32 v10, v7, s2, -v9
	v_rndne_f32_e32 v11, v9
	v_fmac_f32_e32 v10, 0x32a5705f, v7
	v_sub_f32_e32 v9, v9, v11
	v_add_f32_e32 v9, v9, v10
	v_exp_f32_e32 v9, v9
	v_cvt_i32_f32_e32 v10, v11
	s_mov_b32 s2, 0xc2ce8ed0
	v_cmp_ngt_f32_e32 vcc, s2, v7
	s_mov_b32 s2, 0x42b17218
	v_ldexp_f32 v9, v9, v10
	v_cndmask_b32_e32 v9, 0, v9, vcc
	v_mov_b32_e32 v11, 0x7f800000
	v_cmp_nlt_f32_e32 vcc, s2, v7
	v_cndmask_b32_e32 v7, v11, v9, vcc
	v_add_f32_e32 v12, 1.0, v7
	v_cvt_f64_f32_e32 v[9:10], v12
	v_add_f32_e32 v29, -1.0, v12
	v_sub_f32_e32 v30, v29, v12
	v_sub_f32_e32 v29, v7, v29
	v_frexp_exp_i32_f64_e32 v9, v[9:10]
	v_add_f32_e32 v10, 1.0, v30
	v_add_f32_e32 v10, v29, v10
	v_frexp_mant_f32_e32 v29, v12
	s_mov_b32 s4, 0x3f2aaaab
	v_cmp_gt_f32_e32 vcc, s4, v29
	s_mov_b32 s4, 0x3f317218
	s_mov_b32 s2, 0x7f800000
	v_subbrev_co_u32_e32 v9, vcc, 0, v9, vcc
	v_sub_u32_e32 v29, 0, v9
	v_ldexp_f32 v12, v12, v29
	v_ldexp_f32 v10, v10, v29
	v_add_f32_e32 v29, -1.0, v12
	v_add_f32_e32 v32, 1.0, v12
	v_add_f32_e32 v30, 1.0, v29
	v_add_f32_e32 v33, -1.0, v32
	v_sub_f32_e32 v30, v12, v30
	v_sub_f32_e32 v12, v12, v33
	v_add_f32_e32 v30, v10, v30
	v_add_f32_e32 v10, v10, v12
	;; [unrolled: 1-line block ×3, first 2 shown]
	v_rcp_f32_e32 v33, v12
	v_add_f32_e32 v31, v29, v30
	v_sub_f32_e32 v29, v29, v31
	v_add_f32_e32 v29, v30, v29
	v_sub_f32_e32 v30, v32, v12
	v_add_f32_e32 v10, v10, v30
	v_mul_f32_e32 v30, v31, v33
	v_mul_f32_e32 v32, v12, v30
	v_fma_f32 v34, v30, v12, -v32
	v_fmac_f32_e32 v34, v30, v10
	v_add_f32_e32 v35, v32, v34
	v_sub_f32_e32 v36, v31, v35
	v_sub_f32_e32 v31, v31, v36
	;; [unrolled: 1-line block ×4, first 2 shown]
	v_add_f32_e32 v29, v29, v31
	v_sub_f32_e32 v31, v32, v34
	v_add_f32_e32 v29, v31, v29
	v_add_f32_e32 v31, v36, v29
	v_mul_f32_e32 v32, v33, v31
	v_mul_f32_e32 v34, v12, v32
	v_fma_f32 v12, v32, v12, -v34
	v_fmac_f32_e32 v12, v32, v10
	v_sub_f32_e32 v10, v36, v31
	v_add_f32_e32 v10, v29, v10
	v_add_f32_e32 v29, v34, v12
	v_sub_f32_e32 v35, v31, v29
	v_sub_f32_e32 v31, v31, v35
	;; [unrolled: 1-line block ×4, first 2 shown]
	v_add_f32_e32 v10, v10, v29
	v_sub_f32_e32 v12, v34, v12
	v_add_f32_e32 v10, v12, v10
	v_add_f32_e32 v12, v30, v32
	;; [unrolled: 1-line block ×3, first 2 shown]
	v_sub_f32_e32 v29, v12, v30
	v_mul_f32_e32 v10, v33, v10
	v_sub_f32_e32 v29, v32, v29
	v_add_f32_e32 v10, v29, v10
	v_cvt_f32_i32_e32 v9, v9
	v_add_f32_e32 v29, v12, v10
	v_mul_f32_e32 v30, v29, v29
	v_mov_b32_e32 v31, 0x3ecc95a3
	v_fmac_f32_e32 v31, 0x3e9b6dac, v30
	v_mov_b32_e32 v32, 0x3f2aaada
	v_fmac_f32_e32 v32, v30, v31
	v_mul_f32_e32 v31, 0x3f317218, v9
	v_fma_f32 v33, v9, s4, -v31
	v_fmac_f32_e32 v33, 0xb102e308, v9
	v_sub_f32_e32 v9, v29, v12
	v_sub_f32_e32 v9, v10, v9
	v_add_f32_e32 v10, v31, v33
	v_sub_f32_e32 v12, v10, v31
	v_ldexp_f32 v31, v29, 1
	v_mul_f32_e32 v29, v29, v30
	v_mul_f32_e32 v29, v29, v32
	v_add_f32_e32 v30, v31, v29
	v_sub_f32_e32 v31, v30, v31
	v_ldexp_f32 v9, v9, 1
	v_sub_f32_e32 v29, v29, v31
	v_add_f32_e32 v9, v9, v29
	v_add_f32_e32 v29, v30, v9
	v_sub_f32_e32 v30, v29, v30
	v_sub_f32_e32 v9, v9, v30
	v_add_f32_e32 v30, v10, v29
	v_sub_f32_e32 v31, v30, v10
	v_sub_f32_e32 v32, v30, v31
	;; [unrolled: 1-line block ×5, first 2 shown]
	v_add_f32_e32 v10, v29, v10
	v_add_f32_e32 v29, v12, v9
	v_sub_f32_e32 v31, v29, v12
	v_sub_f32_e32 v32, v29, v31
	;; [unrolled: 1-line block ×4, first 2 shown]
	v_add_f32_e32 v10, v29, v10
	v_add_f32_e32 v9, v9, v12
	;; [unrolled: 1-line block ×3, first 2 shown]
	v_sub_f32_e32 v29, v12, v30
	v_sub_f32_e32 v10, v10, v29
	v_add_f32_e32 v9, v9, v10
	v_add_f32_e32 v9, v12, v9
	v_cmp_neq_f32_e32 vcc, s2, v7
	s_mov_b32 s2, 0x33800000
	v_cndmask_b32_e32 v9, v11, v9, vcc
	v_cmp_lt_f32_e64 vcc, |v7|, s2
	v_cndmask_b32_e32 v7, v9, v7, vcc
	v_add_f32_e32 v7, v6, v7
.LBB442_388:
	s_or_b64 exec, exec, s[0:1]
	v_bfe_u32 v6, v7, 16, 1
	v_add3_u32 v6, v7, v6, s3
	v_cmp_o_f32_e32 vcc, v7, v7
	v_cndmask_b32_sdwa v29, v5, v6, vcc dst_sel:DWORD dst_unused:UNUSED_PAD src0_sel:DWORD src1_sel:WORD_1
	v_lshlrev_b32_e32 v6, 16, v29
	v_max_f32_e32 v5, v6, v6
	v_min_f32_e32 v7, v5, v38
	v_cmp_u_f32_e32 vcc, v6, v6
	v_max_f32_e32 v5, v5, v38
	v_cndmask_b32_e32 v7, v7, v6, vcc
	v_cndmask_b32_e32 v5, v5, v6, vcc
	v_cndmask_b32_e64 v7, v7, v8, s[30:31]
	v_cndmask_b32_e64 v5, v5, v8, s[30:31]
	s_movk_i32 s2, 0x1f8
	v_cmp_neq_f32_e32 vcc, v7, v5
	v_cmp_class_f32_e64 s[0:1], v7, s2
	s_or_b64 s[4:5], vcc, s[0:1]
	s_and_saveexec_b64 s[0:1], s[4:5]
	s_cbranch_execz .LBB442_390
; %bb.389:
	v_sub_f32_e32 v6, v7, v5
	s_mov_b32 s3, 0x3fb8aa3b
	v_mul_f32_e32 v7, 0x3fb8aa3b, v6
	v_fma_f32 v8, v6, s3, -v7
	v_rndne_f32_e32 v9, v7
	v_fmac_f32_e32 v8, 0x32a5705f, v6
	v_sub_f32_e32 v7, v7, v9
	v_add_f32_e32 v7, v7, v8
	v_exp_f32_e32 v7, v7
	v_cvt_i32_f32_e32 v8, v9
	s_mov_b32 s3, 0xc2ce8ed0
	v_cmp_ngt_f32_e32 vcc, s3, v6
	s_mov_b32 s3, 0x42b17218
	v_ldexp_f32 v7, v7, v8
	v_cndmask_b32_e32 v7, 0, v7, vcc
	v_mov_b32_e32 v8, 0x7f800000
	v_cmp_nlt_f32_e32 vcc, s3, v6
	v_cndmask_b32_e32 v9, v8, v7, vcc
	v_add_f32_e32 v10, 1.0, v9
	v_cvt_f64_f32_e32 v[6:7], v10
	v_add_f32_e32 v11, -1.0, v10
	v_sub_f32_e32 v12, v11, v10
	v_sub_f32_e32 v11, v9, v11
	v_frexp_exp_i32_f64_e32 v6, v[6:7]
	v_add_f32_e32 v7, 1.0, v12
	v_add_f32_e32 v7, v11, v7
	v_frexp_mant_f32_e32 v11, v10
	s_mov_b32 s4, 0x3f2aaaab
	v_cmp_gt_f32_e32 vcc, s4, v11
	s_mov_b32 s4, 0x3f317218
	s_mov_b32 s3, 0x7f800000
	v_subbrev_co_u32_e32 v6, vcc, 0, v6, vcc
	v_sub_u32_e32 v11, 0, v6
	v_ldexp_f32 v10, v10, v11
	v_ldexp_f32 v7, v7, v11
	v_add_f32_e32 v11, -1.0, v10
	v_add_f32_e32 v31, 1.0, v10
	v_add_f32_e32 v12, 1.0, v11
	v_add_f32_e32 v32, -1.0, v31
	v_sub_f32_e32 v12, v10, v12
	v_sub_f32_e32 v10, v10, v32
	v_add_f32_e32 v12, v7, v12
	v_add_f32_e32 v7, v7, v10
	;; [unrolled: 1-line block ×3, first 2 shown]
	v_rcp_f32_e32 v32, v10
	v_add_f32_e32 v30, v11, v12
	v_sub_f32_e32 v11, v11, v30
	v_add_f32_e32 v11, v12, v11
	v_sub_f32_e32 v12, v31, v10
	v_add_f32_e32 v7, v7, v12
	v_mul_f32_e32 v12, v30, v32
	v_mul_f32_e32 v31, v10, v12
	v_fma_f32 v33, v12, v10, -v31
	v_fmac_f32_e32 v33, v12, v7
	v_add_f32_e32 v34, v31, v33
	v_sub_f32_e32 v35, v30, v34
	v_sub_f32_e32 v30, v30, v35
	;; [unrolled: 1-line block ×4, first 2 shown]
	v_add_f32_e32 v11, v11, v30
	v_sub_f32_e32 v30, v31, v33
	v_add_f32_e32 v11, v30, v11
	v_add_f32_e32 v30, v35, v11
	v_mul_f32_e32 v31, v32, v30
	v_mul_f32_e32 v33, v10, v31
	v_fma_f32 v10, v31, v10, -v33
	v_fmac_f32_e32 v10, v31, v7
	v_sub_f32_e32 v7, v35, v30
	v_add_f32_e32 v7, v11, v7
	v_add_f32_e32 v11, v33, v10
	v_sub_f32_e32 v34, v30, v11
	v_sub_f32_e32 v30, v30, v34
	;; [unrolled: 1-line block ×4, first 2 shown]
	v_add_f32_e32 v7, v7, v11
	v_sub_f32_e32 v10, v33, v10
	v_add_f32_e32 v7, v10, v7
	v_add_f32_e32 v10, v12, v31
	;; [unrolled: 1-line block ×3, first 2 shown]
	v_sub_f32_e32 v11, v10, v12
	v_mul_f32_e32 v7, v32, v7
	v_sub_f32_e32 v11, v31, v11
	v_add_f32_e32 v7, v11, v7
	v_cvt_f32_i32_e32 v6, v6
	v_add_f32_e32 v11, v10, v7
	v_mul_f32_e32 v12, v11, v11
	v_mov_b32_e32 v30, 0x3ecc95a3
	v_fmac_f32_e32 v30, 0x3e9b6dac, v12
	v_mov_b32_e32 v31, 0x3f2aaada
	v_fmac_f32_e32 v31, v12, v30
	v_mul_f32_e32 v30, 0x3f317218, v6
	v_fma_f32 v32, v6, s4, -v30
	v_fmac_f32_e32 v32, 0xb102e308, v6
	v_sub_f32_e32 v6, v11, v10
	v_sub_f32_e32 v6, v7, v6
	v_add_f32_e32 v7, v30, v32
	v_sub_f32_e32 v10, v7, v30
	v_ldexp_f32 v30, v11, 1
	v_mul_f32_e32 v11, v11, v12
	v_mul_f32_e32 v11, v11, v31
	v_add_f32_e32 v12, v30, v11
	v_sub_f32_e32 v30, v12, v30
	v_ldexp_f32 v6, v6, 1
	v_sub_f32_e32 v11, v11, v30
	v_add_f32_e32 v6, v6, v11
	v_add_f32_e32 v11, v12, v6
	v_sub_f32_e32 v12, v11, v12
	v_sub_f32_e32 v6, v6, v12
	v_add_f32_e32 v12, v7, v11
	v_sub_f32_e32 v30, v12, v7
	v_sub_f32_e32 v31, v12, v30
	;; [unrolled: 1-line block ×5, first 2 shown]
	v_add_f32_e32 v7, v11, v7
	v_add_f32_e32 v11, v10, v6
	v_sub_f32_e32 v30, v11, v10
	v_sub_f32_e32 v31, v11, v30
	;; [unrolled: 1-line block ×4, first 2 shown]
	v_add_f32_e32 v7, v11, v7
	v_add_f32_e32 v6, v6, v10
	v_add_f32_e32 v10, v12, v7
	v_sub_f32_e32 v11, v10, v12
	v_sub_f32_e32 v7, v7, v11
	v_add_f32_e32 v6, v6, v7
	v_add_f32_e32 v6, v10, v6
	v_cmp_neq_f32_e32 vcc, s3, v9
	s_mov_b32 s3, 0x33800000
	v_cndmask_b32_e32 v6, v8, v6, vcc
	v_cmp_lt_f32_e64 vcc, |v9|, s3
	v_cndmask_b32_e32 v6, v6, v9, vcc
	v_add_f32_e32 v6, v5, v6
.LBB442_390:
	s_or_b64 exec, exec, s[0:1]
	v_bfe_u32 v5, v6, 16, 1
	s_movk_i32 s3, 0x7fff
	v_add3_u32 v7, v6, v5, s3
	v_cmp_o_f32_e32 vcc, v6, v6
	v_mov_b32_e32 v5, 0x7fc0
	v_cndmask_b32_sdwa v30, v5, v7, vcc dst_sel:DWORD dst_unused:UNUSED_PAD src0_sel:DWORD src1_sel:WORD_1
	v_lshlrev_b32_e32 v7, 16, v30
	v_max_f32_e32 v6, v7, v7
	v_min_f32_e32 v8, v6, v39
	v_cmp_u_f32_e32 vcc, v7, v7
	v_max_f32_e32 v6, v6, v39
	v_cndmask_b32_e32 v8, v8, v7, vcc
	v_cndmask_b32_e32 v6, v6, v7, vcc
	v_cndmask_b32_e64 v8, v8, v37, s[34:35]
	v_cndmask_b32_e64 v6, v6, v37, s[34:35]
	v_cmp_neq_f32_e32 vcc, v8, v6
	v_cmp_class_f32_e64 s[0:1], v8, s2
	s_or_b64 s[4:5], vcc, s[0:1]
	s_and_saveexec_b64 s[0:1], s[4:5]
	s_cbranch_execz .LBB442_392
; %bb.391:
	v_sub_f32_e32 v7, v8, v6
	s_mov_b32 s2, 0x3fb8aa3b
	v_mul_f32_e32 v8, 0x3fb8aa3b, v7
	v_fma_f32 v9, v7, s2, -v8
	v_rndne_f32_e32 v10, v8
	v_fmac_f32_e32 v9, 0x32a5705f, v7
	v_sub_f32_e32 v8, v8, v10
	v_add_f32_e32 v8, v8, v9
	v_exp_f32_e32 v8, v8
	v_cvt_i32_f32_e32 v9, v10
	s_mov_b32 s2, 0xc2ce8ed0
	v_cmp_ngt_f32_e32 vcc, s2, v7
	s_mov_b32 s2, 0x42b17218
	v_ldexp_f32 v8, v8, v9
	v_cndmask_b32_e32 v8, 0, v8, vcc
	v_mov_b32_e32 v9, 0x7f800000
	v_cmp_nlt_f32_e32 vcc, s2, v7
	v_cndmask_b32_e32 v10, v9, v8, vcc
	v_add_f32_e32 v11, 1.0, v10
	v_cvt_f64_f32_e32 v[7:8], v11
	v_add_f32_e32 v12, -1.0, v11
	v_sub_f32_e32 v31, v12, v11
	v_sub_f32_e32 v12, v10, v12
	v_frexp_exp_i32_f64_e32 v7, v[7:8]
	v_add_f32_e32 v8, 1.0, v31
	v_add_f32_e32 v8, v12, v8
	v_frexp_mant_f32_e32 v12, v11
	s_mov_b32 s4, 0x3f2aaaab
	v_cmp_gt_f32_e32 vcc, s4, v12
	s_mov_b32 s4, 0x3f317218
	s_mov_b32 s2, 0x7f800000
	v_subbrev_co_u32_e32 v7, vcc, 0, v7, vcc
	v_sub_u32_e32 v12, 0, v7
	v_ldexp_f32 v11, v11, v12
	v_ldexp_f32 v8, v8, v12
	v_add_f32_e32 v12, -1.0, v11
	v_add_f32_e32 v33, 1.0, v11
	v_add_f32_e32 v31, 1.0, v12
	v_add_f32_e32 v34, -1.0, v33
	v_sub_f32_e32 v31, v11, v31
	v_sub_f32_e32 v11, v11, v34
	v_add_f32_e32 v31, v8, v31
	v_add_f32_e32 v8, v8, v11
	;; [unrolled: 1-line block ×3, first 2 shown]
	v_rcp_f32_e32 v34, v11
	v_add_f32_e32 v32, v12, v31
	v_sub_f32_e32 v12, v12, v32
	v_add_f32_e32 v12, v31, v12
	v_sub_f32_e32 v31, v33, v11
	v_add_f32_e32 v8, v8, v31
	v_mul_f32_e32 v31, v32, v34
	v_mul_f32_e32 v33, v11, v31
	v_fma_f32 v35, v31, v11, -v33
	v_fmac_f32_e32 v35, v31, v8
	v_add_f32_e32 v36, v33, v35
	v_sub_f32_e32 v37, v32, v36
	v_sub_f32_e32 v32, v32, v37
	;; [unrolled: 1-line block ×4, first 2 shown]
	v_add_f32_e32 v12, v12, v32
	v_sub_f32_e32 v32, v33, v35
	v_add_f32_e32 v12, v32, v12
	v_add_f32_e32 v32, v37, v12
	v_mul_f32_e32 v33, v34, v32
	v_mul_f32_e32 v35, v11, v33
	v_fma_f32 v11, v33, v11, -v35
	v_fmac_f32_e32 v11, v33, v8
	v_sub_f32_e32 v8, v37, v32
	v_add_f32_e32 v8, v12, v8
	v_add_f32_e32 v12, v35, v11
	v_sub_f32_e32 v36, v32, v12
	v_sub_f32_e32 v32, v32, v36
	;; [unrolled: 1-line block ×4, first 2 shown]
	v_add_f32_e32 v8, v8, v12
	v_sub_f32_e32 v11, v35, v11
	v_add_f32_e32 v8, v11, v8
	v_add_f32_e32 v11, v31, v33
	;; [unrolled: 1-line block ×3, first 2 shown]
	v_sub_f32_e32 v12, v11, v31
	v_mul_f32_e32 v8, v34, v8
	v_sub_f32_e32 v12, v33, v12
	v_add_f32_e32 v8, v12, v8
	v_cvt_f32_i32_e32 v7, v7
	v_add_f32_e32 v12, v11, v8
	v_mul_f32_e32 v31, v12, v12
	v_mov_b32_e32 v32, 0x3ecc95a3
	v_fmac_f32_e32 v32, 0x3e9b6dac, v31
	v_mov_b32_e32 v33, 0x3f2aaada
	v_fmac_f32_e32 v33, v31, v32
	v_mul_f32_e32 v32, 0x3f317218, v7
	v_fma_f32 v34, v7, s4, -v32
	v_fmac_f32_e32 v34, 0xb102e308, v7
	v_sub_f32_e32 v7, v12, v11
	v_sub_f32_e32 v7, v8, v7
	v_add_f32_e32 v8, v32, v34
	v_sub_f32_e32 v11, v8, v32
	v_ldexp_f32 v32, v12, 1
	v_mul_f32_e32 v12, v12, v31
	v_mul_f32_e32 v12, v12, v33
	v_add_f32_e32 v31, v32, v12
	v_sub_f32_e32 v32, v31, v32
	v_ldexp_f32 v7, v7, 1
	v_sub_f32_e32 v12, v12, v32
	v_add_f32_e32 v7, v7, v12
	v_add_f32_e32 v12, v31, v7
	v_sub_f32_e32 v31, v12, v31
	v_sub_f32_e32 v7, v7, v31
	v_add_f32_e32 v31, v8, v12
	v_sub_f32_e32 v32, v31, v8
	v_sub_f32_e32 v33, v31, v32
	;; [unrolled: 1-line block ×5, first 2 shown]
	v_add_f32_e32 v8, v12, v8
	v_add_f32_e32 v12, v11, v7
	v_sub_f32_e32 v32, v12, v11
	v_sub_f32_e32 v33, v12, v32
	;; [unrolled: 1-line block ×4, first 2 shown]
	v_add_f32_e32 v8, v12, v8
	v_add_f32_e32 v7, v7, v11
	;; [unrolled: 1-line block ×3, first 2 shown]
	v_sub_f32_e32 v12, v11, v31
	v_sub_f32_e32 v8, v8, v12
	v_add_f32_e32 v7, v7, v8
	v_add_f32_e32 v7, v11, v7
	v_cmp_neq_f32_e32 vcc, s2, v10
	s_mov_b32 s2, 0x33800000
	v_cndmask_b32_e32 v7, v9, v7, vcc
	v_cmp_lt_f32_e64 vcc, |v10|, s2
	v_cndmask_b32_e32 v7, v7, v10, vcc
	v_add_f32_e32 v7, v6, v7
.LBB442_392:
	s_or_b64 exec, exec, s[0:1]
	v_bfe_u32 v6, v7, 16, 1
	v_add3_u32 v6, v7, v6, s3
	v_cmp_o_f32_e32 vcc, v7, v7
	v_cndmask_b32_sdwa v31, v5, v6, vcc dst_sel:DWORD dst_unused:UNUSED_PAD src0_sel:DWORD src1_sel:WORD_1
	v_lshlrev_b32_e32 v5, 16, v31
	v_max_f32_e32 v7, v5, v5
	v_min_f32_e32 v6, v7, v41
	v_cmp_u_f32_e32 vcc, v5, v5
	v_max_f32_e32 v7, v7, v41
	v_cndmask_b32_e32 v6, v6, v5, vcc
	v_cndmask_b32_e32 v7, v7, v5, vcc
	v_cndmask_b32_e64 v6, v6, v1, s[36:37]
	v_cndmask_b32_e64 v1, v7, v1, s[36:37]
	s_movk_i32 s2, 0x1f8
	v_cmp_neq_f32_e32 vcc, v6, v1
	v_cmp_class_f32_e64 s[0:1], v6, s2
	s_or_b64 s[4:5], vcc, s[0:1]
	s_and_saveexec_b64 s[0:1], s[4:5]
	s_cbranch_execz .LBB442_394
; %bb.393:
	v_sub_f32_e32 v5, v6, v1
	s_mov_b32 s3, 0x3fb8aa3b
	v_mul_f32_e32 v6, 0x3fb8aa3b, v5
	v_fma_f32 v7, v5, s3, -v6
	v_rndne_f32_e32 v8, v6
	v_fmac_f32_e32 v7, 0x32a5705f, v5
	v_sub_f32_e32 v6, v6, v8
	v_add_f32_e32 v6, v6, v7
	v_exp_f32_e32 v6, v6
	v_cvt_i32_f32_e32 v7, v8
	s_mov_b32 s3, 0xc2ce8ed0
	v_cmp_ngt_f32_e32 vcc, s3, v5
	s_mov_b32 s3, 0x42b17218
	v_ldexp_f32 v6, v6, v7
	v_cndmask_b32_e32 v6, 0, v6, vcc
	v_mov_b32_e32 v7, 0x7f800000
	v_cmp_nlt_f32_e32 vcc, s3, v5
	v_cndmask_b32_e32 v8, v7, v6, vcc
	v_add_f32_e32 v9, 1.0, v8
	v_cvt_f64_f32_e32 v[5:6], v9
	v_add_f32_e32 v10, -1.0, v9
	v_sub_f32_e32 v11, v10, v9
	v_sub_f32_e32 v10, v8, v10
	v_frexp_exp_i32_f64_e32 v5, v[5:6]
	v_add_f32_e32 v6, 1.0, v11
	v_add_f32_e32 v6, v10, v6
	v_frexp_mant_f32_e32 v10, v9
	s_mov_b32 s4, 0x3f2aaaab
	v_cmp_gt_f32_e32 vcc, s4, v10
	s_mov_b32 s4, 0x3f317218
	s_mov_b32 s3, 0x7f800000
	v_subbrev_co_u32_e32 v5, vcc, 0, v5, vcc
	v_sub_u32_e32 v10, 0, v5
	v_ldexp_f32 v9, v9, v10
	v_ldexp_f32 v6, v6, v10
	v_add_f32_e32 v10, -1.0, v9
	v_add_f32_e32 v32, 1.0, v9
	v_add_f32_e32 v11, 1.0, v10
	v_add_f32_e32 v33, -1.0, v32
	v_sub_f32_e32 v11, v9, v11
	v_sub_f32_e32 v9, v9, v33
	v_add_f32_e32 v11, v6, v11
	v_add_f32_e32 v6, v6, v9
	;; [unrolled: 1-line block ×3, first 2 shown]
	v_rcp_f32_e32 v33, v9
	v_add_f32_e32 v12, v10, v11
	v_sub_f32_e32 v10, v10, v12
	v_add_f32_e32 v10, v11, v10
	v_sub_f32_e32 v11, v32, v9
	v_add_f32_e32 v6, v6, v11
	v_mul_f32_e32 v11, v12, v33
	v_mul_f32_e32 v32, v9, v11
	v_fma_f32 v34, v11, v9, -v32
	v_fmac_f32_e32 v34, v11, v6
	v_add_f32_e32 v35, v32, v34
	v_sub_f32_e32 v36, v12, v35
	v_sub_f32_e32 v12, v12, v36
	;; [unrolled: 1-line block ×4, first 2 shown]
	v_add_f32_e32 v10, v10, v12
	v_sub_f32_e32 v12, v32, v34
	v_add_f32_e32 v10, v12, v10
	v_add_f32_e32 v12, v36, v10
	v_mul_f32_e32 v32, v33, v12
	v_mul_f32_e32 v34, v9, v32
	v_fma_f32 v9, v32, v9, -v34
	v_fmac_f32_e32 v9, v32, v6
	v_sub_f32_e32 v6, v36, v12
	v_add_f32_e32 v6, v10, v6
	v_add_f32_e32 v10, v34, v9
	v_sub_f32_e32 v35, v12, v10
	v_sub_f32_e32 v12, v12, v35
	;; [unrolled: 1-line block ×4, first 2 shown]
	v_add_f32_e32 v6, v6, v10
	v_sub_f32_e32 v9, v34, v9
	v_add_f32_e32 v6, v9, v6
	v_add_f32_e32 v9, v11, v32
	;; [unrolled: 1-line block ×3, first 2 shown]
	v_sub_f32_e32 v10, v9, v11
	v_mul_f32_e32 v6, v33, v6
	v_sub_f32_e32 v10, v32, v10
	v_add_f32_e32 v6, v10, v6
	v_cvt_f32_i32_e32 v5, v5
	v_add_f32_e32 v10, v9, v6
	v_mul_f32_e32 v11, v10, v10
	v_mov_b32_e32 v12, 0x3ecc95a3
	v_fmac_f32_e32 v12, 0x3e9b6dac, v11
	v_mov_b32_e32 v32, 0x3f2aaada
	v_fmac_f32_e32 v32, v11, v12
	v_mul_f32_e32 v12, 0x3f317218, v5
	v_fma_f32 v33, v5, s4, -v12
	v_fmac_f32_e32 v33, 0xb102e308, v5
	v_sub_f32_e32 v5, v10, v9
	v_sub_f32_e32 v5, v6, v5
	v_add_f32_e32 v6, v12, v33
	v_sub_f32_e32 v9, v6, v12
	v_ldexp_f32 v12, v10, 1
	v_mul_f32_e32 v10, v10, v11
	v_mul_f32_e32 v10, v10, v32
	v_add_f32_e32 v11, v12, v10
	v_sub_f32_e32 v12, v11, v12
	v_ldexp_f32 v5, v5, 1
	v_sub_f32_e32 v10, v10, v12
	v_add_f32_e32 v5, v5, v10
	v_add_f32_e32 v10, v11, v5
	v_sub_f32_e32 v11, v10, v11
	v_sub_f32_e32 v5, v5, v11
	v_add_f32_e32 v11, v6, v10
	v_sub_f32_e32 v12, v11, v6
	v_sub_f32_e32 v32, v11, v12
	;; [unrolled: 1-line block ×5, first 2 shown]
	v_add_f32_e32 v6, v10, v6
	v_add_f32_e32 v10, v9, v5
	v_sub_f32_e32 v12, v10, v9
	v_sub_f32_e32 v32, v10, v12
	;; [unrolled: 1-line block ×4, first 2 shown]
	v_add_f32_e32 v6, v10, v6
	v_add_f32_e32 v5, v5, v9
	;; [unrolled: 1-line block ×3, first 2 shown]
	v_sub_f32_e32 v10, v9, v11
	v_sub_f32_e32 v6, v6, v10
	v_add_f32_e32 v5, v5, v6
	v_add_f32_e32 v5, v9, v5
	v_cmp_neq_f32_e32 vcc, s3, v8
	s_mov_b32 s3, 0x33800000
	v_cndmask_b32_e32 v5, v7, v5, vcc
	v_cmp_lt_f32_e64 vcc, |v8|, s3
	v_cndmask_b32_e32 v5, v5, v8, vcc
	v_add_f32_e32 v5, v1, v5
.LBB442_394:
	s_or_b64 exec, exec, s[0:1]
	v_bfe_u32 v1, v5, 16, 1
	s_movk_i32 s3, 0x7fff
	v_add3_u32 v6, v5, v1, s3
	v_cmp_o_f32_e32 vcc, v5, v5
	v_mov_b32_e32 v1, 0x7fc0
	v_cndmask_b32_sdwa v32, v1, v6, vcc dst_sel:DWORD dst_unused:UNUSED_PAD src0_sel:DWORD src1_sel:WORD_1
	v_lshlrev_b32_e32 v6, 16, v32
	v_max_f32_e32 v5, v6, v6
	v_min_f32_e32 v7, v5, v42
	v_cmp_u_f32_e32 vcc, v6, v6
	v_max_f32_e32 v5, v5, v42
	v_cndmask_b32_e32 v7, v7, v6, vcc
	v_cndmask_b32_e32 v5, v5, v6, vcc
	v_cndmask_b32_e64 v7, v7, v40, s[38:39]
	v_cndmask_b32_e64 v5, v5, v40, s[38:39]
	v_cmp_neq_f32_e32 vcc, v7, v5
	v_cmp_class_f32_e64 s[0:1], v7, s2
	s_or_b64 s[4:5], vcc, s[0:1]
	s_and_saveexec_b64 s[0:1], s[4:5]
	s_cbranch_execz .LBB442_396
; %bb.395:
	v_sub_f32_e32 v6, v7, v5
	s_mov_b32 s2, 0x3fb8aa3b
	v_mul_f32_e32 v7, 0x3fb8aa3b, v6
	v_fma_f32 v8, v6, s2, -v7
	v_rndne_f32_e32 v9, v7
	v_fmac_f32_e32 v8, 0x32a5705f, v6
	v_sub_f32_e32 v7, v7, v9
	v_add_f32_e32 v7, v7, v8
	v_exp_f32_e32 v7, v7
	v_cvt_i32_f32_e32 v8, v9
	s_mov_b32 s2, 0xc2ce8ed0
	v_cmp_ngt_f32_e32 vcc, s2, v6
	s_mov_b32 s2, 0x42b17218
	v_ldexp_f32 v7, v7, v8
	v_cndmask_b32_e32 v7, 0, v7, vcc
	v_mov_b32_e32 v8, 0x7f800000
	v_cmp_nlt_f32_e32 vcc, s2, v6
	v_cndmask_b32_e32 v9, v8, v7, vcc
	v_add_f32_e32 v10, 1.0, v9
	v_cvt_f64_f32_e32 v[6:7], v10
	v_add_f32_e32 v11, -1.0, v10
	v_sub_f32_e32 v12, v11, v10
	v_sub_f32_e32 v11, v9, v11
	v_frexp_exp_i32_f64_e32 v6, v[6:7]
	v_add_f32_e32 v7, 1.0, v12
	v_add_f32_e32 v7, v11, v7
	v_frexp_mant_f32_e32 v11, v10
	s_mov_b32 s4, 0x3f2aaaab
	v_cmp_gt_f32_e32 vcc, s4, v11
	s_mov_b32 s4, 0x3f317218
	s_mov_b32 s2, 0x7f800000
	v_subbrev_co_u32_e32 v6, vcc, 0, v6, vcc
	v_sub_u32_e32 v11, 0, v6
	v_ldexp_f32 v10, v10, v11
	v_ldexp_f32 v7, v7, v11
	v_add_f32_e32 v11, -1.0, v10
	v_add_f32_e32 v34, 1.0, v10
	v_add_f32_e32 v12, 1.0, v11
	v_add_f32_e32 v35, -1.0, v34
	v_sub_f32_e32 v12, v10, v12
	v_sub_f32_e32 v10, v10, v35
	v_add_f32_e32 v12, v7, v12
	v_add_f32_e32 v7, v7, v10
	;; [unrolled: 1-line block ×3, first 2 shown]
	v_rcp_f32_e32 v35, v10
	v_add_f32_e32 v33, v11, v12
	v_sub_f32_e32 v11, v11, v33
	v_add_f32_e32 v11, v12, v11
	v_sub_f32_e32 v12, v34, v10
	v_add_f32_e32 v7, v7, v12
	v_mul_f32_e32 v12, v33, v35
	v_mul_f32_e32 v34, v10, v12
	v_fma_f32 v36, v12, v10, -v34
	v_fmac_f32_e32 v36, v12, v7
	v_add_f32_e32 v37, v34, v36
	v_sub_f32_e32 v38, v33, v37
	v_sub_f32_e32 v33, v33, v38
	;; [unrolled: 1-line block ×4, first 2 shown]
	v_add_f32_e32 v11, v11, v33
	v_sub_f32_e32 v33, v34, v36
	v_add_f32_e32 v11, v33, v11
	v_add_f32_e32 v33, v38, v11
	v_mul_f32_e32 v34, v35, v33
	v_mul_f32_e32 v36, v10, v34
	v_fma_f32 v10, v34, v10, -v36
	v_fmac_f32_e32 v10, v34, v7
	v_sub_f32_e32 v7, v38, v33
	v_add_f32_e32 v7, v11, v7
	v_add_f32_e32 v11, v36, v10
	v_sub_f32_e32 v37, v33, v11
	v_sub_f32_e32 v33, v33, v37
	;; [unrolled: 1-line block ×4, first 2 shown]
	v_add_f32_e32 v7, v7, v11
	v_sub_f32_e32 v10, v36, v10
	v_add_f32_e32 v7, v10, v7
	v_add_f32_e32 v10, v12, v34
	;; [unrolled: 1-line block ×3, first 2 shown]
	v_sub_f32_e32 v11, v10, v12
	v_mul_f32_e32 v7, v35, v7
	v_sub_f32_e32 v11, v34, v11
	v_add_f32_e32 v7, v11, v7
	v_cvt_f32_i32_e32 v6, v6
	v_add_f32_e32 v11, v10, v7
	v_mul_f32_e32 v12, v11, v11
	v_mov_b32_e32 v33, 0x3ecc95a3
	v_fmac_f32_e32 v33, 0x3e9b6dac, v12
	v_mov_b32_e32 v34, 0x3f2aaada
	v_fmac_f32_e32 v34, v12, v33
	v_mul_f32_e32 v33, 0x3f317218, v6
	v_fma_f32 v35, v6, s4, -v33
	v_fmac_f32_e32 v35, 0xb102e308, v6
	v_sub_f32_e32 v6, v11, v10
	v_sub_f32_e32 v6, v7, v6
	v_add_f32_e32 v7, v33, v35
	v_sub_f32_e32 v10, v7, v33
	v_ldexp_f32 v33, v11, 1
	v_mul_f32_e32 v11, v11, v12
	v_mul_f32_e32 v11, v11, v34
	v_add_f32_e32 v12, v33, v11
	v_sub_f32_e32 v33, v12, v33
	v_ldexp_f32 v6, v6, 1
	v_sub_f32_e32 v11, v11, v33
	v_add_f32_e32 v6, v6, v11
	v_add_f32_e32 v11, v12, v6
	v_sub_f32_e32 v12, v11, v12
	v_sub_f32_e32 v6, v6, v12
	v_add_f32_e32 v12, v7, v11
	v_sub_f32_e32 v33, v12, v7
	v_sub_f32_e32 v34, v12, v33
	;; [unrolled: 1-line block ×5, first 2 shown]
	v_add_f32_e32 v7, v11, v7
	v_add_f32_e32 v11, v10, v6
	v_sub_f32_e32 v33, v11, v10
	v_sub_f32_e32 v34, v11, v33
	v_sub_f32_e32 v10, v10, v34
	v_sub_f32_e32 v6, v6, v33
	v_add_f32_e32 v7, v11, v7
	v_add_f32_e32 v6, v6, v10
	v_add_f32_e32 v10, v12, v7
	v_sub_f32_e32 v11, v10, v12
	v_sub_f32_e32 v7, v7, v11
	v_add_f32_e32 v6, v6, v7
	v_add_f32_e32 v6, v10, v6
	v_cmp_neq_f32_e32 vcc, s2, v9
	s_mov_b32 s2, 0x33800000
	v_cndmask_b32_e32 v6, v8, v6, vcc
	v_cmp_lt_f32_e64 vcc, |v9|, s2
	v_cndmask_b32_e32 v6, v6, v9, vcc
	v_add_f32_e32 v6, v5, v6
.LBB442_396:
	s_or_b64 exec, exec, s[0:1]
	v_bfe_u32 v5, v6, 16, 1
	v_add3_u32 v5, v6, v5, s3
	v_cmp_o_f32_e32 vcc, v6, v6
	v_cndmask_b32_sdwa v33, v1, v5, vcc dst_sel:DWORD dst_unused:UNUSED_PAD src0_sel:DWORD src1_sel:WORD_1
	v_lshlrev_b32_e32 v5, 16, v33
	v_max_f32_e32 v1, v5, v5
	v_min_f32_e32 v6, v1, v44
	v_cmp_u_f32_e32 vcc, v5, v5
	v_max_f32_e32 v1, v1, v44
	v_cndmask_b32_e32 v6, v6, v5, vcc
	v_cndmask_b32_e32 v1, v1, v5, vcc
	v_cndmask_b32_e64 v6, v6, v2, s[40:41]
	v_cndmask_b32_e64 v1, v1, v2, s[40:41]
	s_movk_i32 s2, 0x1f8
	v_cmp_neq_f32_e32 vcc, v6, v1
	v_cmp_class_f32_e64 s[0:1], v6, s2
	s_or_b64 s[4:5], vcc, s[0:1]
	s_and_saveexec_b64 s[0:1], s[4:5]
	s_cbranch_execz .LBB442_398
; %bb.397:
	v_sub_f32_e32 v2, v6, v1
	s_mov_b32 s3, 0x3fb8aa3b
	v_mul_f32_e32 v5, 0x3fb8aa3b, v2
	v_fma_f32 v6, v2, s3, -v5
	v_rndne_f32_e32 v7, v5
	v_fmac_f32_e32 v6, 0x32a5705f, v2
	v_sub_f32_e32 v5, v5, v7
	v_add_f32_e32 v5, v5, v6
	v_exp_f32_e32 v5, v5
	v_cvt_i32_f32_e32 v6, v7
	s_mov_b32 s3, 0xc2ce8ed0
	v_cmp_ngt_f32_e32 vcc, s3, v2
	s_mov_b32 s3, 0x42b17218
	v_ldexp_f32 v5, v5, v6
	v_cndmask_b32_e32 v5, 0, v5, vcc
	v_mov_b32_e32 v7, 0x7f800000
	v_cmp_nlt_f32_e32 vcc, s3, v2
	v_cndmask_b32_e32 v2, v7, v5, vcc
	v_add_f32_e32 v8, 1.0, v2
	v_cvt_f64_f32_e32 v[5:6], v8
	v_add_f32_e32 v9, -1.0, v8
	v_sub_f32_e32 v10, v9, v8
	v_sub_f32_e32 v9, v2, v9
	v_frexp_exp_i32_f64_e32 v5, v[5:6]
	v_add_f32_e32 v6, 1.0, v10
	v_add_f32_e32 v6, v9, v6
	v_frexp_mant_f32_e32 v9, v8
	s_mov_b32 s4, 0x3f2aaaab
	v_cmp_gt_f32_e32 vcc, s4, v9
	s_mov_b32 s4, 0x3f317218
	s_mov_b32 s3, 0x7f800000
	v_subbrev_co_u32_e32 v5, vcc, 0, v5, vcc
	v_sub_u32_e32 v9, 0, v5
	v_ldexp_f32 v8, v8, v9
	v_ldexp_f32 v6, v6, v9
	v_add_f32_e32 v9, -1.0, v8
	v_add_f32_e32 v12, 1.0, v8
	v_add_f32_e32 v10, 1.0, v9
	v_add_f32_e32 v34, -1.0, v12
	v_sub_f32_e32 v10, v8, v10
	v_sub_f32_e32 v8, v8, v34
	v_add_f32_e32 v10, v6, v10
	v_add_f32_e32 v6, v6, v8
	;; [unrolled: 1-line block ×3, first 2 shown]
	v_rcp_f32_e32 v34, v8
	v_add_f32_e32 v11, v9, v10
	v_sub_f32_e32 v9, v9, v11
	v_add_f32_e32 v9, v10, v9
	v_sub_f32_e32 v10, v12, v8
	v_add_f32_e32 v6, v6, v10
	v_mul_f32_e32 v10, v11, v34
	v_mul_f32_e32 v12, v8, v10
	v_fma_f32 v35, v10, v8, -v12
	v_fmac_f32_e32 v35, v10, v6
	v_add_f32_e32 v36, v12, v35
	v_sub_f32_e32 v37, v11, v36
	v_sub_f32_e32 v11, v11, v37
	;; [unrolled: 1-line block ×4, first 2 shown]
	v_add_f32_e32 v9, v9, v11
	v_sub_f32_e32 v11, v12, v35
	v_add_f32_e32 v9, v11, v9
	v_add_f32_e32 v11, v37, v9
	v_mul_f32_e32 v12, v34, v11
	v_mul_f32_e32 v35, v8, v12
	v_fma_f32 v8, v12, v8, -v35
	v_fmac_f32_e32 v8, v12, v6
	v_sub_f32_e32 v6, v37, v11
	v_add_f32_e32 v6, v9, v6
	v_add_f32_e32 v9, v35, v8
	v_sub_f32_e32 v36, v11, v9
	v_sub_f32_e32 v11, v11, v36
	;; [unrolled: 1-line block ×4, first 2 shown]
	v_add_f32_e32 v6, v6, v9
	v_sub_f32_e32 v8, v35, v8
	v_add_f32_e32 v6, v8, v6
	v_add_f32_e32 v8, v10, v12
	;; [unrolled: 1-line block ×3, first 2 shown]
	v_sub_f32_e32 v9, v8, v10
	v_mul_f32_e32 v6, v34, v6
	v_sub_f32_e32 v9, v12, v9
	v_add_f32_e32 v6, v9, v6
	v_cvt_f32_i32_e32 v5, v5
	v_add_f32_e32 v9, v8, v6
	v_mul_f32_e32 v10, v9, v9
	v_mov_b32_e32 v11, 0x3ecc95a3
	v_fmac_f32_e32 v11, 0x3e9b6dac, v10
	v_mov_b32_e32 v12, 0x3f2aaada
	v_fmac_f32_e32 v12, v10, v11
	v_mul_f32_e32 v11, 0x3f317218, v5
	v_fma_f32 v34, v5, s4, -v11
	v_fmac_f32_e32 v34, 0xb102e308, v5
	v_sub_f32_e32 v5, v9, v8
	v_sub_f32_e32 v5, v6, v5
	v_add_f32_e32 v6, v11, v34
	v_sub_f32_e32 v8, v6, v11
	v_ldexp_f32 v11, v9, 1
	v_mul_f32_e32 v9, v9, v10
	v_mul_f32_e32 v9, v9, v12
	v_add_f32_e32 v10, v11, v9
	v_sub_f32_e32 v11, v10, v11
	v_ldexp_f32 v5, v5, 1
	v_sub_f32_e32 v9, v9, v11
	v_add_f32_e32 v5, v5, v9
	v_add_f32_e32 v9, v10, v5
	v_sub_f32_e32 v10, v9, v10
	v_sub_f32_e32 v5, v5, v10
	v_add_f32_e32 v10, v6, v9
	v_sub_f32_e32 v11, v10, v6
	v_sub_f32_e32 v12, v10, v11
	;; [unrolled: 1-line block ×5, first 2 shown]
	v_add_f32_e32 v6, v9, v6
	v_add_f32_e32 v9, v8, v5
	v_sub_f32_e32 v11, v9, v8
	v_sub_f32_e32 v12, v9, v11
	;; [unrolled: 1-line block ×4, first 2 shown]
	v_add_f32_e32 v6, v9, v6
	v_add_f32_e32 v5, v5, v8
	v_add_f32_e32 v8, v10, v6
	v_sub_f32_e32 v9, v8, v10
	v_sub_f32_e32 v6, v6, v9
	v_add_f32_e32 v5, v5, v6
	v_add_f32_e32 v5, v8, v5
	v_cmp_neq_f32_e32 vcc, s3, v2
	s_mov_b32 s3, 0x33800000
	v_cndmask_b32_e32 v5, v7, v5, vcc
	v_cmp_lt_f32_e64 vcc, |v2|, s3
	v_cndmask_b32_e32 v2, v5, v2, vcc
	v_add_f32_e32 v5, v1, v2
.LBB442_398:
	s_or_b64 exec, exec, s[0:1]
	v_bfe_u32 v1, v5, 16, 1
	s_movk_i32 s3, 0x7fff
	v_add3_u32 v2, v5, v1, s3
	v_cmp_o_f32_e32 vcc, v5, v5
	v_mov_b32_e32 v1, 0x7fc0
	v_cndmask_b32_sdwa v34, v1, v2, vcc dst_sel:DWORD dst_unused:UNUSED_PAD src0_sel:DWORD src1_sel:WORD_1
	v_lshlrev_b32_e32 v5, 16, v34
	v_max_f32_e32 v2, v5, v5
	v_min_f32_e32 v6, v2, v45
	v_cmp_u_f32_e32 vcc, v5, v5
	v_max_f32_e32 v2, v2, v45
	v_cndmask_b32_e32 v6, v6, v5, vcc
	v_cndmask_b32_e32 v2, v2, v5, vcc
	v_cndmask_b32_e64 v6, v6, v43, s[42:43]
	v_cndmask_b32_e64 v2, v2, v43, s[42:43]
	v_cmp_neq_f32_e32 vcc, v6, v2
	v_cmp_class_f32_e64 s[0:1], v6, s2
	s_or_b64 s[4:5], vcc, s[0:1]
	s_and_saveexec_b64 s[0:1], s[4:5]
	s_cbranch_execz .LBB442_400
; %bb.399:
	v_sub_f32_e32 v5, v6, v2
	s_mov_b32 s2, 0x3fb8aa3b
	v_mul_f32_e32 v6, 0x3fb8aa3b, v5
	v_fma_f32 v7, v5, s2, -v6
	v_rndne_f32_e32 v8, v6
	v_fmac_f32_e32 v7, 0x32a5705f, v5
	v_sub_f32_e32 v6, v6, v8
	v_add_f32_e32 v6, v6, v7
	v_exp_f32_e32 v6, v6
	v_cvt_i32_f32_e32 v7, v8
	s_mov_b32 s2, 0xc2ce8ed0
	v_cmp_ngt_f32_e32 vcc, s2, v5
	s_mov_b32 s2, 0x42b17218
	v_ldexp_f32 v6, v6, v7
	v_cndmask_b32_e32 v6, 0, v6, vcc
	v_mov_b32_e32 v7, 0x7f800000
	v_cmp_nlt_f32_e32 vcc, s2, v5
	v_cndmask_b32_e32 v8, v7, v6, vcc
	v_add_f32_e32 v9, 1.0, v8
	v_cvt_f64_f32_e32 v[5:6], v9
	v_add_f32_e32 v10, -1.0, v9
	v_sub_f32_e32 v11, v10, v9
	v_sub_f32_e32 v10, v8, v10
	v_frexp_exp_i32_f64_e32 v5, v[5:6]
	v_add_f32_e32 v6, 1.0, v11
	v_add_f32_e32 v6, v10, v6
	v_frexp_mant_f32_e32 v10, v9
	s_mov_b32 s4, 0x3f2aaaab
	v_cmp_gt_f32_e32 vcc, s4, v10
	s_mov_b32 s4, 0x3f317218
	s_mov_b32 s2, 0x7f800000
	v_subbrev_co_u32_e32 v5, vcc, 0, v5, vcc
	v_sub_u32_e32 v10, 0, v5
	v_ldexp_f32 v9, v9, v10
	v_ldexp_f32 v6, v6, v10
	v_add_f32_e32 v10, -1.0, v9
	v_add_f32_e32 v35, 1.0, v9
	v_add_f32_e32 v11, 1.0, v10
	v_add_f32_e32 v36, -1.0, v35
	v_sub_f32_e32 v11, v9, v11
	v_sub_f32_e32 v9, v9, v36
	v_add_f32_e32 v11, v6, v11
	v_add_f32_e32 v6, v6, v9
	;; [unrolled: 1-line block ×3, first 2 shown]
	v_rcp_f32_e32 v36, v9
	v_add_f32_e32 v12, v10, v11
	v_sub_f32_e32 v10, v10, v12
	v_add_f32_e32 v10, v11, v10
	v_sub_f32_e32 v11, v35, v9
	v_add_f32_e32 v6, v6, v11
	v_mul_f32_e32 v11, v12, v36
	v_mul_f32_e32 v35, v9, v11
	v_fma_f32 v37, v11, v9, -v35
	v_fmac_f32_e32 v37, v11, v6
	v_add_f32_e32 v38, v35, v37
	v_sub_f32_e32 v39, v12, v38
	v_sub_f32_e32 v12, v12, v39
	;; [unrolled: 1-line block ×4, first 2 shown]
	v_add_f32_e32 v10, v10, v12
	v_sub_f32_e32 v12, v35, v37
	v_add_f32_e32 v10, v12, v10
	v_add_f32_e32 v12, v39, v10
	v_mul_f32_e32 v35, v36, v12
	v_mul_f32_e32 v37, v9, v35
	v_fma_f32 v9, v35, v9, -v37
	v_fmac_f32_e32 v9, v35, v6
	v_sub_f32_e32 v6, v39, v12
	v_add_f32_e32 v6, v10, v6
	v_add_f32_e32 v10, v37, v9
	v_sub_f32_e32 v38, v12, v10
	v_sub_f32_e32 v12, v12, v38
	;; [unrolled: 1-line block ×4, first 2 shown]
	v_add_f32_e32 v6, v6, v10
	v_sub_f32_e32 v9, v37, v9
	v_add_f32_e32 v6, v9, v6
	v_add_f32_e32 v9, v11, v35
	;; [unrolled: 1-line block ×3, first 2 shown]
	v_sub_f32_e32 v10, v9, v11
	v_mul_f32_e32 v6, v36, v6
	v_sub_f32_e32 v10, v35, v10
	v_add_f32_e32 v6, v10, v6
	v_cvt_f32_i32_e32 v5, v5
	v_add_f32_e32 v10, v9, v6
	v_mul_f32_e32 v11, v10, v10
	v_mov_b32_e32 v12, 0x3ecc95a3
	v_fmac_f32_e32 v12, 0x3e9b6dac, v11
	v_mov_b32_e32 v35, 0x3f2aaada
	v_fmac_f32_e32 v35, v11, v12
	v_mul_f32_e32 v12, 0x3f317218, v5
	v_fma_f32 v36, v5, s4, -v12
	v_fmac_f32_e32 v36, 0xb102e308, v5
	v_sub_f32_e32 v5, v10, v9
	v_sub_f32_e32 v5, v6, v5
	v_add_f32_e32 v6, v12, v36
	v_sub_f32_e32 v9, v6, v12
	v_ldexp_f32 v12, v10, 1
	v_mul_f32_e32 v10, v10, v11
	v_mul_f32_e32 v10, v10, v35
	v_add_f32_e32 v11, v12, v10
	v_sub_f32_e32 v12, v11, v12
	v_ldexp_f32 v5, v5, 1
	v_sub_f32_e32 v10, v10, v12
	v_add_f32_e32 v5, v5, v10
	v_add_f32_e32 v10, v11, v5
	v_sub_f32_e32 v11, v10, v11
	v_sub_f32_e32 v5, v5, v11
	v_add_f32_e32 v11, v6, v10
	v_sub_f32_e32 v12, v11, v6
	v_sub_f32_e32 v35, v11, v12
	;; [unrolled: 1-line block ×5, first 2 shown]
	v_add_f32_e32 v6, v10, v6
	v_add_f32_e32 v10, v9, v5
	v_sub_f32_e32 v12, v10, v9
	v_sub_f32_e32 v35, v10, v12
	v_sub_f32_e32 v9, v9, v35
	v_sub_f32_e32 v5, v5, v12
	v_add_f32_e32 v6, v10, v6
	v_add_f32_e32 v5, v5, v9
	v_add_f32_e32 v9, v11, v6
	v_sub_f32_e32 v10, v9, v11
	v_sub_f32_e32 v6, v6, v10
	v_add_f32_e32 v5, v5, v6
	v_add_f32_e32 v5, v9, v5
	v_cmp_neq_f32_e32 vcc, s2, v8
	s_mov_b32 s2, 0x33800000
	v_cndmask_b32_e32 v5, v7, v5, vcc
	v_cmp_lt_f32_e64 vcc, |v8|, s2
	v_cndmask_b32_e32 v5, v5, v8, vcc
	v_add_f32_e32 v5, v2, v5
.LBB442_400:
	s_or_b64 exec, exec, s[0:1]
	v_bfe_u32 v2, v5, 16, 1
	v_add3_u32 v2, v5, v2, s3
	v_cmp_o_f32_e32 vcc, v5, v5
	v_cndmask_b32_sdwa v35, v1, v2, vcc dst_sel:DWORD dst_unused:UNUSED_PAD src0_sel:DWORD src1_sel:WORD_1
	v_lshlrev_b32_e32 v2, 16, v35
	v_max_f32_e32 v1, v2, v2
	v_min_f32_e32 v5, v1, v47
	v_cmp_u_f32_e32 vcc, v2, v2
	v_max_f32_e32 v1, v1, v47
	v_cndmask_b32_e32 v5, v5, v2, vcc
	v_cndmask_b32_e32 v1, v1, v2, vcc
	v_cndmask_b32_e64 v5, v5, v3, s[44:45]
	v_cndmask_b32_e64 v1, v1, v3, s[44:45]
	s_movk_i32 s2, 0x1f8
	v_cmp_neq_f32_e32 vcc, v5, v1
	v_cmp_class_f32_e64 s[0:1], v5, s2
	s_or_b64 s[4:5], vcc, s[0:1]
	s_and_saveexec_b64 s[0:1], s[4:5]
	s_cbranch_execz .LBB442_402
; %bb.401:
	v_sub_f32_e32 v2, v5, v1
	s_mov_b32 s3, 0x3fb8aa3b
	v_mul_f32_e32 v3, 0x3fb8aa3b, v2
	v_fma_f32 v5, v2, s3, -v3
	v_rndne_f32_e32 v6, v3
	v_fmac_f32_e32 v5, 0x32a5705f, v2
	v_sub_f32_e32 v3, v3, v6
	v_add_f32_e32 v3, v3, v5
	v_exp_f32_e32 v3, v3
	v_cvt_i32_f32_e32 v5, v6
	s_mov_b32 s3, 0xc2ce8ed0
	v_cmp_ngt_f32_e32 vcc, s3, v2
	s_mov_b32 s3, 0x42b17218
	v_ldexp_f32 v3, v3, v5
	v_cndmask_b32_e32 v3, 0, v3, vcc
	v_mov_b32_e32 v5, 0x7f800000
	v_cmp_nlt_f32_e32 vcc, s3, v2
	v_cndmask_b32_e32 v6, v5, v3, vcc
	v_add_f32_e32 v7, 1.0, v6
	v_cvt_f64_f32_e32 v[2:3], v7
	v_add_f32_e32 v8, -1.0, v7
	v_sub_f32_e32 v9, v8, v7
	v_sub_f32_e32 v8, v6, v8
	v_frexp_exp_i32_f64_e32 v2, v[2:3]
	v_add_f32_e32 v3, 1.0, v9
	v_add_f32_e32 v3, v8, v3
	v_frexp_mant_f32_e32 v8, v7
	s_mov_b32 s4, 0x3f2aaaab
	v_cmp_gt_f32_e32 vcc, s4, v8
	s_mov_b32 s4, 0x3f317218
	s_mov_b32 s3, 0x7f800000
	v_subbrev_co_u32_e32 v2, vcc, 0, v2, vcc
	v_sub_u32_e32 v8, 0, v2
	v_ldexp_f32 v7, v7, v8
	v_ldexp_f32 v3, v3, v8
	v_add_f32_e32 v8, -1.0, v7
	v_add_f32_e32 v11, 1.0, v7
	v_add_f32_e32 v9, 1.0, v8
	v_add_f32_e32 v12, -1.0, v11
	v_sub_f32_e32 v9, v7, v9
	v_sub_f32_e32 v7, v7, v12
	v_add_f32_e32 v9, v3, v9
	v_add_f32_e32 v3, v3, v7
	;; [unrolled: 1-line block ×3, first 2 shown]
	v_rcp_f32_e32 v12, v7
	v_add_f32_e32 v10, v8, v9
	v_sub_f32_e32 v8, v8, v10
	v_add_f32_e32 v8, v9, v8
	v_sub_f32_e32 v9, v11, v7
	v_add_f32_e32 v3, v3, v9
	v_mul_f32_e32 v9, v10, v12
	v_mul_f32_e32 v11, v7, v9
	v_fma_f32 v36, v9, v7, -v11
	v_fmac_f32_e32 v36, v9, v3
	v_add_f32_e32 v37, v11, v36
	v_sub_f32_e32 v38, v10, v37
	v_sub_f32_e32 v10, v10, v38
	v_sub_f32_e32 v11, v37, v11
	v_sub_f32_e32 v10, v10, v37
	v_add_f32_e32 v8, v8, v10
	v_sub_f32_e32 v10, v11, v36
	v_add_f32_e32 v8, v10, v8
	v_add_f32_e32 v10, v38, v8
	v_mul_f32_e32 v11, v12, v10
	v_mul_f32_e32 v36, v7, v11
	v_fma_f32 v7, v11, v7, -v36
	v_fmac_f32_e32 v7, v11, v3
	v_sub_f32_e32 v3, v38, v10
	v_add_f32_e32 v3, v8, v3
	v_add_f32_e32 v8, v36, v7
	v_sub_f32_e32 v37, v10, v8
	v_sub_f32_e32 v10, v10, v37
	;; [unrolled: 1-line block ×4, first 2 shown]
	v_add_f32_e32 v3, v3, v8
	v_sub_f32_e32 v7, v36, v7
	v_add_f32_e32 v3, v7, v3
	v_add_f32_e32 v7, v9, v11
	;; [unrolled: 1-line block ×3, first 2 shown]
	v_sub_f32_e32 v8, v7, v9
	v_mul_f32_e32 v3, v12, v3
	v_sub_f32_e32 v8, v11, v8
	v_add_f32_e32 v3, v8, v3
	v_cvt_f32_i32_e32 v2, v2
	v_add_f32_e32 v8, v7, v3
	v_mul_f32_e32 v9, v8, v8
	v_mov_b32_e32 v10, 0x3ecc95a3
	v_fmac_f32_e32 v10, 0x3e9b6dac, v9
	v_mov_b32_e32 v11, 0x3f2aaada
	v_fmac_f32_e32 v11, v9, v10
	v_mul_f32_e32 v10, 0x3f317218, v2
	v_fma_f32 v12, v2, s4, -v10
	v_fmac_f32_e32 v12, 0xb102e308, v2
	v_sub_f32_e32 v2, v8, v7
	v_sub_f32_e32 v2, v3, v2
	v_add_f32_e32 v3, v10, v12
	v_sub_f32_e32 v7, v3, v10
	v_ldexp_f32 v10, v8, 1
	v_mul_f32_e32 v8, v8, v9
	v_mul_f32_e32 v8, v8, v11
	v_add_f32_e32 v9, v10, v8
	v_sub_f32_e32 v10, v9, v10
	v_ldexp_f32 v2, v2, 1
	v_sub_f32_e32 v8, v8, v10
	v_add_f32_e32 v2, v2, v8
	v_add_f32_e32 v8, v9, v2
	v_sub_f32_e32 v9, v8, v9
	v_sub_f32_e32 v2, v2, v9
	v_add_f32_e32 v9, v3, v8
	v_sub_f32_e32 v10, v9, v3
	v_sub_f32_e32 v11, v9, v10
	;; [unrolled: 1-line block ×5, first 2 shown]
	v_add_f32_e32 v3, v8, v3
	v_add_f32_e32 v8, v7, v2
	v_sub_f32_e32 v10, v8, v7
	v_sub_f32_e32 v11, v8, v10
	;; [unrolled: 1-line block ×4, first 2 shown]
	v_add_f32_e32 v3, v8, v3
	v_add_f32_e32 v2, v2, v7
	;; [unrolled: 1-line block ×3, first 2 shown]
	v_sub_f32_e32 v8, v7, v9
	v_sub_f32_e32 v3, v3, v8
	v_add_f32_e32 v2, v2, v3
	v_add_f32_e32 v2, v7, v2
	v_cmp_neq_f32_e32 vcc, s3, v6
	s_mov_b32 s3, 0x33800000
	v_cndmask_b32_e32 v2, v5, v2, vcc
	v_cmp_lt_f32_e64 vcc, |v6|, s3
	v_cndmask_b32_e32 v2, v2, v6, vcc
	v_add_f32_e32 v2, v1, v2
.LBB442_402:
	s_or_b64 exec, exec, s[0:1]
	v_bfe_u32 v1, v2, 16, 1
	s_movk_i32 s3, 0x7fff
	v_add3_u32 v3, v2, v1, s3
	v_cmp_o_f32_e32 vcc, v2, v2
	v_mov_b32_e32 v1, 0x7fc0
	v_cndmask_b32_sdwa v36, v1, v3, vcc dst_sel:DWORD dst_unused:UNUSED_PAD src0_sel:DWORD src1_sel:WORD_1
	v_lshlrev_b32_e32 v3, 16, v36
	v_max_f32_e32 v2, v3, v3
	v_min_f32_e32 v5, v2, v48
	v_cmp_u_f32_e32 vcc, v3, v3
	v_max_f32_e32 v2, v2, v48
	v_cndmask_b32_e32 v5, v5, v3, vcc
	v_cndmask_b32_e32 v2, v2, v3, vcc
	v_cndmask_b32_e64 v5, v5, v46, s[46:47]
	v_cndmask_b32_e64 v2, v2, v46, s[46:47]
	v_cmp_neq_f32_e32 vcc, v5, v2
	v_cmp_class_f32_e64 s[0:1], v5, s2
	s_or_b64 s[4:5], vcc, s[0:1]
	s_and_saveexec_b64 s[0:1], s[4:5]
	s_cbranch_execz .LBB442_404
; %bb.403:
	v_sub_f32_e32 v3, v5, v2
	s_mov_b32 s2, 0x3fb8aa3b
	v_mul_f32_e32 v5, 0x3fb8aa3b, v3
	v_fma_f32 v6, v3, s2, -v5
	v_rndne_f32_e32 v7, v5
	v_fmac_f32_e32 v6, 0x32a5705f, v3
	v_sub_f32_e32 v5, v5, v7
	v_add_f32_e32 v5, v5, v6
	v_exp_f32_e32 v5, v5
	v_cvt_i32_f32_e32 v6, v7
	s_mov_b32 s2, 0xc2ce8ed0
	v_cmp_ngt_f32_e32 vcc, s2, v3
	s_mov_b32 s2, 0x42b17218
	v_ldexp_f32 v5, v5, v6
	v_cndmask_b32_e32 v5, 0, v5, vcc
	v_mov_b32_e32 v7, 0x7f800000
	v_cmp_nlt_f32_e32 vcc, s2, v3
	v_cndmask_b32_e32 v3, v7, v5, vcc
	v_add_f32_e32 v8, 1.0, v3
	v_cvt_f64_f32_e32 v[5:6], v8
	v_add_f32_e32 v9, -1.0, v8
	v_sub_f32_e32 v10, v9, v8
	v_sub_f32_e32 v9, v3, v9
	v_frexp_exp_i32_f64_e32 v5, v[5:6]
	v_add_f32_e32 v6, 1.0, v10
	v_add_f32_e32 v6, v9, v6
	v_frexp_mant_f32_e32 v9, v8
	s_mov_b32 s4, 0x3f2aaaab
	v_cmp_gt_f32_e32 vcc, s4, v9
	s_mov_b32 s4, 0x3f317218
	s_mov_b32 s2, 0x7f800000
	v_subbrev_co_u32_e32 v5, vcc, 0, v5, vcc
	v_sub_u32_e32 v9, 0, v5
	v_ldexp_f32 v8, v8, v9
	v_ldexp_f32 v6, v6, v9
	v_add_f32_e32 v9, -1.0, v8
	v_add_f32_e32 v12, 1.0, v8
	v_add_f32_e32 v10, 1.0, v9
	v_add_f32_e32 v37, -1.0, v12
	v_sub_f32_e32 v10, v8, v10
	v_sub_f32_e32 v8, v8, v37
	v_add_f32_e32 v10, v6, v10
	v_add_f32_e32 v6, v6, v8
	;; [unrolled: 1-line block ×3, first 2 shown]
	v_rcp_f32_e32 v37, v8
	v_add_f32_e32 v11, v9, v10
	v_sub_f32_e32 v9, v9, v11
	v_add_f32_e32 v9, v10, v9
	v_sub_f32_e32 v10, v12, v8
	v_add_f32_e32 v6, v6, v10
	v_mul_f32_e32 v10, v11, v37
	v_mul_f32_e32 v12, v8, v10
	v_fma_f32 v38, v10, v8, -v12
	v_fmac_f32_e32 v38, v10, v6
	v_add_f32_e32 v39, v12, v38
	v_sub_f32_e32 v40, v11, v39
	v_sub_f32_e32 v11, v11, v40
	;; [unrolled: 1-line block ×4, first 2 shown]
	v_add_f32_e32 v9, v9, v11
	v_sub_f32_e32 v11, v12, v38
	v_add_f32_e32 v9, v11, v9
	v_add_f32_e32 v11, v40, v9
	v_mul_f32_e32 v12, v37, v11
	v_mul_f32_e32 v38, v8, v12
	v_fma_f32 v8, v12, v8, -v38
	v_fmac_f32_e32 v8, v12, v6
	v_sub_f32_e32 v6, v40, v11
	v_add_f32_e32 v6, v9, v6
	v_add_f32_e32 v9, v38, v8
	v_sub_f32_e32 v39, v11, v9
	v_sub_f32_e32 v11, v11, v39
	v_sub_f32_e32 v38, v9, v38
	v_sub_f32_e32 v9, v11, v9
	v_add_f32_e32 v6, v6, v9
	v_sub_f32_e32 v8, v38, v8
	v_add_f32_e32 v6, v8, v6
	v_add_f32_e32 v8, v10, v12
	;; [unrolled: 1-line block ×3, first 2 shown]
	v_sub_f32_e32 v9, v8, v10
	v_mul_f32_e32 v6, v37, v6
	v_sub_f32_e32 v9, v12, v9
	v_add_f32_e32 v6, v9, v6
	v_cvt_f32_i32_e32 v5, v5
	v_add_f32_e32 v9, v8, v6
	v_mul_f32_e32 v10, v9, v9
	v_mov_b32_e32 v11, 0x3ecc95a3
	v_fmac_f32_e32 v11, 0x3e9b6dac, v10
	v_mov_b32_e32 v12, 0x3f2aaada
	v_fmac_f32_e32 v12, v10, v11
	v_mul_f32_e32 v11, 0x3f317218, v5
	v_fma_f32 v37, v5, s4, -v11
	v_fmac_f32_e32 v37, 0xb102e308, v5
	v_sub_f32_e32 v5, v9, v8
	v_sub_f32_e32 v5, v6, v5
	v_add_f32_e32 v6, v11, v37
	v_sub_f32_e32 v8, v6, v11
	v_ldexp_f32 v11, v9, 1
	v_mul_f32_e32 v9, v9, v10
	v_mul_f32_e32 v9, v9, v12
	v_add_f32_e32 v10, v11, v9
	v_sub_f32_e32 v11, v10, v11
	v_ldexp_f32 v5, v5, 1
	v_sub_f32_e32 v9, v9, v11
	v_add_f32_e32 v5, v5, v9
	v_add_f32_e32 v9, v10, v5
	v_sub_f32_e32 v10, v9, v10
	v_sub_f32_e32 v5, v5, v10
	v_add_f32_e32 v10, v6, v9
	v_sub_f32_e32 v11, v10, v6
	v_sub_f32_e32 v12, v10, v11
	;; [unrolled: 1-line block ×5, first 2 shown]
	v_add_f32_e32 v6, v9, v6
	v_add_f32_e32 v9, v8, v5
	v_sub_f32_e32 v11, v9, v8
	v_sub_f32_e32 v12, v9, v11
	;; [unrolled: 1-line block ×4, first 2 shown]
	v_add_f32_e32 v6, v9, v6
	v_add_f32_e32 v5, v5, v8
	;; [unrolled: 1-line block ×3, first 2 shown]
	v_sub_f32_e32 v9, v8, v10
	v_sub_f32_e32 v6, v6, v9
	v_add_f32_e32 v5, v5, v6
	v_add_f32_e32 v5, v8, v5
	v_cmp_neq_f32_e32 vcc, s2, v3
	s_mov_b32 s2, 0x33800000
	v_cndmask_b32_e32 v5, v7, v5, vcc
	v_cmp_lt_f32_e64 vcc, |v3|, s2
	v_cndmask_b32_e32 v3, v5, v3, vcc
	v_add_f32_e32 v3, v2, v3
.LBB442_404:
	s_or_b64 exec, exec, s[0:1]
	v_bfe_u32 v2, v3, 16, 1
	v_add3_u32 v2, v3, v2, s3
	v_cmp_o_f32_e32 vcc, v3, v3
	v_cndmask_b32_sdwa v37, v1, v2, vcc dst_sel:DWORD dst_unused:UNUSED_PAD src0_sel:DWORD src1_sel:WORD_1
	v_lshlrev_b32_e32 v2, 16, v37
	v_max_f32_e32 v1, v2, v2
	v_min_f32_e32 v3, v1, v49
	v_cmp_u_f32_e32 vcc, v2, v2
	v_max_f32_e32 v1, v1, v49
	v_cndmask_b32_e32 v3, v3, v2, vcc
	v_cndmask_b32_e32 v1, v1, v2, vcc
	v_cndmask_b32_e64 v3, v3, v4, s[48:49]
	v_cndmask_b32_e64 v1, v1, v4, s[48:49]
	s_movk_i32 s0, 0x1f8
	v_cmp_neq_f32_e32 vcc, v3, v1
	v_cmp_class_f32_e64 s[0:1], v3, s0
	s_or_b64 s[2:3], vcc, s[0:1]
	s_and_saveexec_b64 s[0:1], s[2:3]
	s_cbranch_execz .LBB442_406
; %bb.405:
	v_sub_f32_e32 v2, v3, v1
	s_mov_b32 s2, 0x3fb8aa3b
	v_mul_f32_e32 v3, 0x3fb8aa3b, v2
	v_fma_f32 v4, v2, s2, -v3
	v_rndne_f32_e32 v5, v3
	v_fmac_f32_e32 v4, 0x32a5705f, v2
	v_sub_f32_e32 v3, v3, v5
	v_add_f32_e32 v3, v3, v4
	v_exp_f32_e32 v3, v3
	v_cvt_i32_f32_e32 v4, v5
	s_mov_b32 s2, 0xc2ce8ed0
	v_cmp_ngt_f32_e32 vcc, s2, v2
	s_mov_b32 s2, 0x42b17218
	v_ldexp_f32 v3, v3, v4
	v_cndmask_b32_e32 v3, 0, v3, vcc
	v_mov_b32_e32 v4, 0x7f800000
	v_cmp_nlt_f32_e32 vcc, s2, v2
	v_cndmask_b32_e32 v5, v4, v3, vcc
	v_add_f32_e32 v6, 1.0, v5
	v_cvt_f64_f32_e32 v[2:3], v6
	v_add_f32_e32 v7, -1.0, v6
	v_sub_f32_e32 v8, v7, v6
	v_sub_f32_e32 v7, v5, v7
	v_frexp_exp_i32_f64_e32 v2, v[2:3]
	v_add_f32_e32 v3, 1.0, v8
	v_add_f32_e32 v3, v7, v3
	v_frexp_mant_f32_e32 v7, v6
	s_mov_b32 s3, 0x3f2aaaab
	v_cmp_gt_f32_e32 vcc, s3, v7
	s_mov_b32 s3, 0x3f317218
	s_mov_b32 s2, 0x7f800000
	v_subbrev_co_u32_e32 v2, vcc, 0, v2, vcc
	v_sub_u32_e32 v7, 0, v2
	v_ldexp_f32 v6, v6, v7
	v_ldexp_f32 v3, v3, v7
	v_add_f32_e32 v7, -1.0, v6
	v_add_f32_e32 v10, 1.0, v6
	v_add_f32_e32 v8, 1.0, v7
	v_add_f32_e32 v11, -1.0, v10
	v_sub_f32_e32 v8, v6, v8
	v_sub_f32_e32 v6, v6, v11
	v_add_f32_e32 v8, v3, v8
	v_add_f32_e32 v3, v3, v6
	;; [unrolled: 1-line block ×3, first 2 shown]
	v_rcp_f32_e32 v11, v6
	v_add_f32_e32 v9, v7, v8
	v_sub_f32_e32 v7, v7, v9
	v_add_f32_e32 v7, v8, v7
	v_sub_f32_e32 v8, v10, v6
	v_add_f32_e32 v3, v3, v8
	v_mul_f32_e32 v8, v9, v11
	v_mul_f32_e32 v10, v6, v8
	v_fma_f32 v12, v8, v6, -v10
	v_fmac_f32_e32 v12, v8, v3
	v_add_f32_e32 v38, v10, v12
	v_sub_f32_e32 v39, v9, v38
	v_sub_f32_e32 v9, v9, v39
	;; [unrolled: 1-line block ×4, first 2 shown]
	v_add_f32_e32 v7, v7, v9
	v_sub_f32_e32 v9, v10, v12
	v_add_f32_e32 v7, v9, v7
	v_add_f32_e32 v9, v39, v7
	v_mul_f32_e32 v10, v11, v9
	v_mul_f32_e32 v12, v6, v10
	v_fma_f32 v6, v10, v6, -v12
	v_fmac_f32_e32 v6, v10, v3
	v_sub_f32_e32 v3, v39, v9
	v_add_f32_e32 v3, v7, v3
	v_add_f32_e32 v7, v12, v6
	v_sub_f32_e32 v38, v9, v7
	v_sub_f32_e32 v9, v9, v38
	v_sub_f32_e32 v12, v7, v12
	v_sub_f32_e32 v7, v9, v7
	v_add_f32_e32 v3, v3, v7
	v_sub_f32_e32 v6, v12, v6
	v_add_f32_e32 v3, v6, v3
	v_add_f32_e32 v6, v8, v10
	;; [unrolled: 1-line block ×3, first 2 shown]
	v_sub_f32_e32 v7, v6, v8
	v_mul_f32_e32 v3, v11, v3
	v_sub_f32_e32 v7, v10, v7
	v_add_f32_e32 v3, v7, v3
	v_cvt_f32_i32_e32 v2, v2
	v_add_f32_e32 v7, v6, v3
	v_mul_f32_e32 v8, v7, v7
	v_mov_b32_e32 v9, 0x3ecc95a3
	v_fmac_f32_e32 v9, 0x3e9b6dac, v8
	v_mov_b32_e32 v10, 0x3f2aaada
	v_fmac_f32_e32 v10, v8, v9
	v_mul_f32_e32 v9, 0x3f317218, v2
	v_fma_f32 v11, v2, s3, -v9
	v_fmac_f32_e32 v11, 0xb102e308, v2
	v_sub_f32_e32 v2, v7, v6
	v_sub_f32_e32 v2, v3, v2
	v_add_f32_e32 v3, v9, v11
	v_sub_f32_e32 v6, v3, v9
	v_ldexp_f32 v9, v7, 1
	v_mul_f32_e32 v7, v7, v8
	v_mul_f32_e32 v7, v7, v10
	v_add_f32_e32 v8, v9, v7
	v_sub_f32_e32 v9, v8, v9
	v_ldexp_f32 v2, v2, 1
	v_sub_f32_e32 v7, v7, v9
	v_add_f32_e32 v2, v2, v7
	v_add_f32_e32 v7, v8, v2
	v_sub_f32_e32 v8, v7, v8
	v_sub_f32_e32 v2, v2, v8
	v_add_f32_e32 v8, v3, v7
	v_sub_f32_e32 v9, v8, v3
	v_sub_f32_e32 v10, v8, v9
	;; [unrolled: 1-line block ×5, first 2 shown]
	v_add_f32_e32 v3, v7, v3
	v_add_f32_e32 v7, v6, v2
	v_sub_f32_e32 v9, v7, v6
	v_sub_f32_e32 v10, v7, v9
	;; [unrolled: 1-line block ×4, first 2 shown]
	v_add_f32_e32 v3, v7, v3
	v_add_f32_e32 v2, v2, v6
	;; [unrolled: 1-line block ×3, first 2 shown]
	v_sub_f32_e32 v7, v6, v8
	v_sub_f32_e32 v3, v3, v7
	v_add_f32_e32 v2, v2, v3
	v_add_f32_e32 v2, v6, v2
	v_cmp_neq_f32_e32 vcc, s2, v5
	s_mov_b32 s2, 0x33800000
	v_cndmask_b32_e32 v2, v4, v2, vcc
	v_cmp_lt_f32_e64 vcc, |v5|, s2
	v_cndmask_b32_e32 v2, v2, v5, vcc
	v_add_f32_e32 v2, v1, v2
.LBB442_406:
	s_or_b64 exec, exec, s[0:1]
	v_bfe_u32 v1, v2, 16, 1
	s_movk_i32 s0, 0x7fff
	v_add3_u32 v1, v2, v1, s0
	v_cmp_o_f32_e32 vcc, v2, v2
	v_mov_b32_e32 v2, 0x7fc0
	s_movk_i32 s0, 0xff
	v_cndmask_b32_sdwa v38, v2, v1, vcc dst_sel:DWORD dst_unused:UNUSED_PAD src0_sel:DWORD src1_sel:WORD_1
	v_cmp_eq_u32_e32 vcc, s0, v0
	s_and_saveexec_b64 s[0:1], vcc
	s_cbranch_execz .LBB442_408
; %bb.407:
	s_mov_b32 s2, 0x20000
	v_mov_b32_e32 v1, 0
	v_or_b32_sdwa v2, v38, s2 dst_sel:DWORD dst_unused:UNUSED_PAD src0_sel:WORD_0 src1_sel:DWORD
	global_store_dword v1, v2, s[72:73] offset:256
.LBB442_408:
	s_or_b64 exec, exec, s[0:1]
.LBB442_409:
	s_add_u32 s0, s64, s68
	s_addc_u32 s1, s65, s69
	s_add_u32 s0, s0, s70
	s_addc_u32 s1, s1, s71
	s_mov_b64 s[2:3], -1
	s_and_b64 vcc, exec, s[66:67]
	s_waitcnt vmcnt(0) lgkmcnt(0)
	s_barrier
	s_cbranch_vccz .LBB442_411
; %bb.410:
	s_mov_b32 s2, 0x5040100
	v_perm_b32 v4, v22, v21, s2
	v_perm_b32 v3, v18, v17, s2
	;; [unrolled: 1-line block ×4, first 2 shown]
	ds_write_b128 v20, v[1:4]
	v_perm_b32 v4, v30, v29, s2
	v_perm_b32 v3, v28, v27, s2
	;; [unrolled: 1-line block ×4, first 2 shown]
	ds_write_b128 v20, v[1:4] offset:16
	v_perm_b32 v4, v38, v37, s2
	v_perm_b32 v3, v36, v35, s2
	;; [unrolled: 1-line block ×4, first 2 shown]
	v_mov_b32_e32 v51, s1
	v_add_co_u32_e32 v52, vcc, s0, v19
	ds_write_b128 v20, v[1:4] offset:32
	s_waitcnt lgkmcnt(0)
	s_barrier
	ds_read_u16 v1, v19
	ds_read_u16 v2, v19 offset:512
	ds_read_u16 v3, v19 offset:1024
	;; [unrolled: 1-line block ×23, first 2 shown]
	v_addc_co_u32_e32 v51, vcc, 0, v51, vcc
	s_movk_i32 s2, 0x1000
	s_waitcnt lgkmcnt(14)
	global_store_short v19, v1, s[0:1]
	global_store_short v19, v2, s[0:1] offset:512
	global_store_short v19, v3, s[0:1] offset:1024
	;; [unrolled: 1-line block ×7, first 2 shown]
	v_add_co_u32_e32 v1, vcc, s2, v52
	v_addc_co_u32_e32 v2, vcc, 0, v51, vcc
	global_store_short v[1:2], v9, off
	global_store_short v[1:2], v10, off offset:512
	s_waitcnt lgkmcnt(13)
	global_store_short v[1:2], v11, off offset:1024
	s_waitcnt lgkmcnt(12)
	global_store_short v[1:2], v12, off offset:1536
	s_waitcnt lgkmcnt(11)
	global_store_short v[1:2], v39, off offset:2048
	s_waitcnt lgkmcnt(10)
	global_store_short v[1:2], v40, off offset:2560
	s_waitcnt lgkmcnt(9)
	global_store_short v[1:2], v41, off offset:3072
	s_waitcnt lgkmcnt(8)
	global_store_short v[1:2], v42, off offset:3584
	v_add_co_u32_e32 v1, vcc, 0x2000, v52
	v_addc_co_u32_e32 v2, vcc, 0, v51, vcc
	s_waitcnt lgkmcnt(7)
	global_store_short v[1:2], v43, off
	s_waitcnt lgkmcnt(6)
	global_store_short v[1:2], v44, off offset:512
	s_waitcnt lgkmcnt(5)
	global_store_short v[1:2], v45, off offset:1024
	;; [unrolled: 2-line block ×7, first 2 shown]
	s_mov_b64 s[2:3], 0
.LBB442_411:
	s_andn2_b64 vcc, exec, s[2:3]
	s_cbranch_vccnz .LBB442_468
; %bb.412:
	s_mov_b32 s2, 0x5040100
	v_perm_b32 v4, v22, v21, s2
	v_perm_b32 v3, v18, v17, s2
	v_perm_b32 v2, v16, v15, s2
	v_perm_b32 v1, v14, v13, s2
	ds_write_b128 v20, v[1:4]
	v_perm_b32 v4, v30, v29, s2
	v_perm_b32 v3, v28, v27, s2
	;; [unrolled: 1-line block ×4, first 2 shown]
	ds_write_b128 v20, v[1:4] offset:16
	v_perm_b32 v4, v38, v37, s2
	v_perm_b32 v3, v36, v35, s2
	;; [unrolled: 1-line block ×4, first 2 shown]
	ds_write_b128 v20, v[1:4] offset:32
	s_waitcnt vmcnt(0) lgkmcnt(0)
	s_barrier
	ds_read_u16 v5, v19
	ds_read_u16 v4, v19 offset:512
	ds_read_u16 v7, v19 offset:1024
	;; [unrolled: 1-line block ×23, first 2 shown]
	v_mov_b32_e32 v3, s1
	v_add_co_u32_e32 v2, vcc, s0, v19
	v_addc_co_u32_e32 v3, vcc, 0, v3, vcc
	v_mov_b32_e32 v1, 0
	v_cmp_gt_u32_e32 vcc, s33, v0
	s_and_saveexec_b64 s[0:1], vcc
	s_cbranch_execz .LBB442_414
; %bb.413:
	s_waitcnt lgkmcnt(14)
	global_store_short v[2:3], v5, off
.LBB442_414:
	s_or_b64 exec, exec, s[0:1]
	v_or_b32_e32 v19, 0x100, v0
	v_cmp_gt_u32_e32 vcc, s33, v19
	s_and_saveexec_b64 s[0:1], vcc
	s_cbranch_execz .LBB442_416
; %bb.415:
	s_waitcnt lgkmcnt(14)
	global_store_short v[2:3], v4, off offset:512
.LBB442_416:
	s_or_b64 exec, exec, s[0:1]
	v_or_b32_e32 v19, 0x200, v0
	v_cmp_gt_u32_e32 vcc, s33, v19
	s_and_saveexec_b64 s[0:1], vcc
	s_cbranch_execz .LBB442_418
; %bb.417:
	s_waitcnt lgkmcnt(14)
	global_store_short v[2:3], v7, off offset:1024
.LBB442_418:
	;; [unrolled: 9-line block ×7, first 2 shown]
	s_or_b64 exec, exec, s[0:1]
	v_or_b32_e32 v19, 0x800, v0
	v_cmp_gt_u32_e32 vcc, s33, v19
	s_and_saveexec_b64 s[0:1], vcc
	s_cbranch_execz .LBB442_430
; %bb.429:
	v_add_co_u32_e32 v29, vcc, 0x1000, v2
	v_addc_co_u32_e32 v30, vcc, 0, v3, vcc
	s_waitcnt lgkmcnt(14)
	global_store_short v[29:30], v18, off
.LBB442_430:
	s_or_b64 exec, exec, s[0:1]
	v_or_b32_e32 v19, 0x900, v0
	v_cmp_gt_u32_e32 vcc, s33, v19
	s_and_saveexec_b64 s[0:1], vcc
	s_cbranch_execz .LBB442_432
; %bb.431:
	v_add_co_u32_e32 v29, vcc, 0x1000, v2
	v_addc_co_u32_e32 v30, vcc, 0, v3, vcc
	s_waitcnt lgkmcnt(14)
	global_store_short v[29:30], v23, off offset:512
.LBB442_432:
	s_or_b64 exec, exec, s[0:1]
	v_or_b32_e32 v19, 0xa00, v0
	v_cmp_gt_u32_e32 vcc, s33, v19
	s_and_saveexec_b64 s[0:1], vcc
	s_cbranch_execz .LBB442_434
; %bb.433:
	v_add_co_u32_e32 v29, vcc, 0x1000, v2
	v_addc_co_u32_e32 v30, vcc, 0, v3, vcc
	s_waitcnt lgkmcnt(13)
	global_store_short v[29:30], v22, off offset:1024
.LBB442_434:
	;; [unrolled: 11-line block ×7, first 2 shown]
	s_or_b64 exec, exec, s[0:1]
	v_or_b32_e32 v19, 0x1000, v0
	v_cmp_gt_u32_e32 vcc, s33, v19
	s_and_saveexec_b64 s[0:1], vcc
	s_cbranch_execz .LBB442_446
; %bb.445:
	v_add_co_u32_e32 v29, vcc, 0x2000, v2
	v_addc_co_u32_e32 v30, vcc, 0, v3, vcc
	s_waitcnt lgkmcnt(7)
	global_store_short v[29:30], v24, off
.LBB442_446:
	s_or_b64 exec, exec, s[0:1]
	v_or_b32_e32 v19, 0x1100, v0
	v_cmp_gt_u32_e32 vcc, s33, v19
	s_and_saveexec_b64 s[0:1], vcc
	s_cbranch_execz .LBB442_448
; %bb.447:
	v_add_co_u32_e32 v29, vcc, 0x2000, v2
	v_addc_co_u32_e32 v30, vcc, 0, v3, vcc
	s_waitcnt lgkmcnt(6)
	global_store_short v[29:30], v26, off offset:512
.LBB442_448:
	s_or_b64 exec, exec, s[0:1]
	v_or_b32_e32 v19, 0x1200, v0
	v_cmp_gt_u32_e32 vcc, s33, v19
	s_and_saveexec_b64 s[0:1], vcc
	s_cbranch_execz .LBB442_450
; %bb.449:
	v_add_co_u32_e32 v29, vcc, 0x2000, v2
	v_addc_co_u32_e32 v30, vcc, 0, v3, vcc
	s_waitcnt lgkmcnt(5)
	global_store_short v[29:30], v27, off offset:1024
.LBB442_450:
	;; [unrolled: 11-line block ×7, first 2 shown]
	s_or_b64 exec, exec, s[0:1]
	v_cmp_lt_u64_e64 s[0:1], s[62:63], 2
	s_and_b64 vcc, exec, s[0:1]
	s_cbranch_vccnz .LBB442_468
; %bb.461:
	s_add_u32 s0, s33, -1
	s_addc_u32 s1, s76, -1
	s_mul_i32 s5, s1, 0xaaaaaaab
	s_mul_hi_u32 s6, s0, 0xaaaaaaab
	s_mul_hi_u32 s4, s1, 0xaaaaaaab
	s_add_u32 s5, s5, s6
	s_mul_i32 s3, s0, 0xaaaaaaaa
	s_addc_u32 s4, s4, 0
	s_mul_hi_u32 s2, s0, 0xaaaaaaaa
	s_add_u32 s3, s3, s5
	s_addc_u32 s2, s2, 0
	s_add_u32 s2, s4, s2
	s_addc_u32 s3, 0, 0
	s_mul_i32 s5, s1, 0xaaaaaaaa
	s_mul_hi_u32 s4, s1, 0xaaaaaaaa
	s_add_u32 s2, s5, s2
	s_addc_u32 s3, s4, s3
	s_lshr_b64 s[2:3], s[2:3], 4
	v_cmp_eq_u64_e32 vcc, s[2:3], v[0:1]
	s_and_saveexec_b64 s[2:3], vcc
	s_cbranch_execz .LBB442_468
; %bb.462:
	v_mul_hi_u32_u24_e32 v1, 24, v0
	v_mul_u32_u24_e32 v0, 24, v0
	v_mov_b32_e32 v2, s1
	v_sub_co_u32_e32 v0, vcc, s0, v0
	v_subb_co_u32_e32 v1, vcc, v2, v1, vcc
	v_cmp_lt_i64_e32 vcc, 11, v[0:1]
	s_mov_b64 s[0:1], 0
	s_mov_b64 s[8:9], 0
	s_mov_b64 s[6:7], 0
	s_mov_b64 s[4:5], 0
	s_and_saveexec_b64 s[2:3], vcc
	s_xor_b64 s[2:3], exec, s[2:3]
	s_cbranch_execnz .LBB442_469
; %bb.463:
	s_andn2_saveexec_b64 s[2:3], s[2:3]
	s_cbranch_execnz .LBB442_514
.LBB442_464:
	s_or_b64 exec, exec, s[2:3]
	s_and_saveexec_b64 s[2:3], s[8:9]
	s_cbranch_execnz .LBB442_531
.LBB442_465:
	s_or_b64 exec, exec, s[2:3]
	s_and_saveexec_b64 s[2:3], s[6:7]
	s_cbranch_execnz .LBB442_532
.LBB442_466:
	s_or_b64 exec, exec, s[2:3]
	s_and_saveexec_b64 s[2:3], s[4:5]
	s_xor_b64 s[2:3], exec, s[2:3]
	s_cbranch_execnz .LBB442_533
.LBB442_467:
	s_or_b64 exec, exec, s[2:3]
	s_and_b64 exec, exec, s[0:1]
	s_cbranch_execnz .LBB442_534
.LBB442_468:
	s_endpgm
.LBB442_469:
	v_cmp_lt_i64_e32 vcc, 17, v[0:1]
	s_and_saveexec_b64 s[10:11], vcc
	s_xor_b64 s[10:11], exec, s[10:11]
	s_cbranch_execz .LBB442_491
; %bb.470:
	v_cmp_lt_i64_e32 vcc, 20, v[0:1]
	s_and_saveexec_b64 s[12:13], vcc
	s_xor_b64 s[12:13], exec, s[12:13]
	s_cbranch_execz .LBB442_480
; %bb.471:
	v_cmp_lt_i64_e32 vcc, 21, v[0:1]
	s_mov_b64 s[14:15], 0
	s_and_saveexec_b64 s[4:5], vcc
	s_xor_b64 s[4:5], exec, s[4:5]
	s_cbranch_execz .LBB442_477
; %bb.472:
	v_cmp_lt_i64_e32 vcc, 22, v[0:1]
	s_and_saveexec_b64 s[14:15], vcc
	s_xor_b64 s[14:15], exec, s[14:15]
	s_cbranch_execz .LBB442_474
; %bb.473:
	v_mov_b32_e32 v2, 0
	s_waitcnt lgkmcnt(0)
	global_store_short v2, v28, s[58:59]
.LBB442_474:
	s_or_saveexec_b64 s[14:15], s[14:15]
	s_mov_b64 s[16:17], 0
	s_xor_b64 exec, exec, s[14:15]
; %bb.475:
	s_mov_b64 s[16:17], exec
; %bb.476:
	s_or_b64 exec, exec, s[14:15]
	s_and_b64 s[14:15], s[16:17], exec
.LBB442_477:
	s_andn2_saveexec_b64 s[4:5], s[4:5]
; %bb.478:
	s_mov_b64 s[6:7], exec
; %bb.479:
	s_or_b64 exec, exec, s[4:5]
	s_and_b64 s[4:5], s[14:15], exec
	s_and_b64 s[6:7], s[6:7], exec
                                        ; implicit-def: $vgpr27
                                        ; implicit-def: $vgpr25
.LBB442_480:
	s_andn2_saveexec_b64 s[12:13], s[12:13]
	s_cbranch_execz .LBB442_490
; %bb.481:
	v_cmp_lt_i64_e32 vcc, 18, v[0:1]
	s_mov_b64 s[14:15], 0
	s_and_saveexec_b64 s[8:9], vcc
	s_xor_b64 s[8:9], exec, s[8:9]
	s_cbranch_execz .LBB442_487
; %bb.482:
	v_cmp_lt_i64_e32 vcc, 19, v[0:1]
	s_and_saveexec_b64 s[16:17], vcc
	s_xor_b64 s[16:17], exec, s[16:17]
; %bb.483:
	s_mov_b64 s[14:15], exec
                                        ; implicit-def: $vgpr25
; %bb.484:
	s_andn2_saveexec_b64 s[16:17], s[16:17]
	s_cbranch_execz .LBB442_486
; %bb.485:
	v_mov_b32_e32 v2, 0
	s_waitcnt lgkmcnt(4)
	global_store_short v2, v25, s[58:59]
.LBB442_486:
	s_or_b64 exec, exec, s[16:17]
	s_and_b64 s[14:15], s[14:15], exec
                                        ; implicit-def: $vgpr27
.LBB442_487:
	s_andn2_saveexec_b64 s[8:9], s[8:9]
	s_cbranch_execz .LBB442_489
; %bb.488:
	v_mov_b32_e32 v2, 0
	s_waitcnt lgkmcnt(5)
	global_store_short v2, v27, s[58:59]
.LBB442_489:
	s_or_b64 exec, exec, s[8:9]
	s_and_b64 s[8:9], s[14:15], exec
.LBB442_490:
	s_or_b64 exec, exec, s[12:13]
	s_and_b64 s[4:5], s[4:5], exec
	s_and_b64 s[6:7], s[6:7], exec
	;; [unrolled: 1-line block ×3, first 2 shown]
                                        ; implicit-def: $vgpr17
                                        ; implicit-def: $vgpr15
                                        ; implicit-def: $vgpr16
                                        ; implicit-def: $vgpr21
                                        ; implicit-def: $vgpr24
                                        ; implicit-def: $vgpr26
.LBB442_491:
	s_andn2_saveexec_b64 s[10:11], s[10:11]
	s_cbranch_execz .LBB442_513
; %bb.492:
	v_cmp_lt_i64_e32 vcc, 14, v[0:1]
	s_mov_b64 s[12:13], s[4:5]
	s_and_saveexec_b64 s[14:15], vcc
	s_xor_b64 s[14:15], exec, s[14:15]
	s_cbranch_execz .LBB442_502
; %bb.493:
	v_cmp_lt_i64_e32 vcc, 15, v[0:1]
	s_and_saveexec_b64 s[12:13], vcc
	s_xor_b64 s[12:13], exec, s[12:13]
	s_cbranch_execz .LBB442_499
; %bb.494:
	v_cmp_lt_i64_e32 vcc, 16, v[0:1]
	s_and_saveexec_b64 s[16:17], vcc
	s_xor_b64 s[16:17], exec, s[16:17]
	s_cbranch_execz .LBB442_496
; %bb.495:
	v_mov_b32_e32 v2, 0
	s_waitcnt lgkmcnt(6)
	global_store_short v2, v26, s[58:59]
                                        ; implicit-def: $vgpr24
.LBB442_496:
	s_andn2_saveexec_b64 s[16:17], s[16:17]
	s_cbranch_execz .LBB442_498
; %bb.497:
	v_mov_b32_e32 v2, 0
	s_waitcnt lgkmcnt(7)
	global_store_short v2, v24, s[58:59]
.LBB442_498:
	s_or_b64 exec, exec, s[16:17]
.LBB442_499:
	s_or_saveexec_b64 s[12:13], s[12:13]
	s_mov_b64 s[16:17], s[4:5]
	s_xor_b64 exec, exec, s[12:13]
; %bb.500:
	s_or_b64 s[16:17], s[4:5], exec
; %bb.501:
	s_or_b64 exec, exec, s[12:13]
	s_andn2_b64 s[12:13], s[4:5], exec
	s_and_b64 s[16:17], s[16:17], exec
	s_or_b64 s[12:13], s[12:13], s[16:17]
                                        ; implicit-def: $vgpr16
                                        ; implicit-def: $vgpr21
                                        ; implicit-def: $vgpr15
.LBB442_502:
	s_or_saveexec_b64 s[14:15], s[14:15]
	s_mov_b64 s[16:17], s[6:7]
                                        ; implicit-def: $vgpr11
	s_xor_b64 exec, exec, s[14:15]
	s_cbranch_execz .LBB442_512
; %bb.503:
	v_cmp_lt_i64_e32 vcc, 12, v[0:1]
	s_mov_b64 s[18:19], s[6:7]
	s_mov_b64 s[20:21], s[12:13]
	s_and_saveexec_b64 s[16:17], vcc
	s_xor_b64 s[16:17], exec, s[16:17]
	s_cbranch_execz .LBB442_509
; %bb.504:
	v_cmp_lt_i64_e32 vcc, 13, v[0:1]
	s_mov_b64 s[18:19], s[12:13]
	s_and_saveexec_b64 s[20:21], vcc
	s_xor_b64 s[20:21], exec, s[20:21]
; %bb.505:
	s_or_b64 s[18:19], s[12:13], exec
; %bb.506:
	s_or_saveexec_b64 s[20:21], s[20:21]
	s_mov_b64 s[22:23], s[6:7]
	s_xor_b64 exec, exec, s[20:21]
; %bb.507:
	s_or_b64 s[22:23], s[6:7], exec
; %bb.508:
	s_or_b64 exec, exec, s[20:21]
	s_andn2_b64 s[20:21], s[12:13], exec
	s_and_b64 s[18:19], s[18:19], exec
	s_or_b64 s[20:21], s[20:21], s[18:19]
	s_andn2_b64 s[18:19], s[6:7], exec
	s_and_b64 s[22:23], s[22:23], exec
	s_or_b64 s[18:19], s[18:19], s[22:23]
                                        ; implicit-def: $vgpr21
.LBB442_509:
	s_andn2_saveexec_b64 s[16:17], s[16:17]
	s_cbranch_execz .LBB442_511
; %bb.510:
	s_or_b64 s[18:19], s[18:19], exec
	s_waitcnt lgkmcnt(10)
	v_mov_b32_e32 v16, v21
.LBB442_511:
	s_or_b64 exec, exec, s[16:17]
	s_andn2_b64 s[12:13], s[12:13], exec
	s_and_b64 s[16:17], s[20:21], exec
	s_or_b64 s[12:13], s[12:13], s[16:17]
	s_andn2_b64 s[16:17], s[6:7], exec
	s_and_b64 s[18:19], s[18:19], exec
	s_or_b64 s[16:17], s[16:17], s[18:19]
	s_waitcnt lgkmcnt(8)
	v_mov_b32_e32 v17, v15
	s_waitcnt lgkmcnt(2)
	v_mov_b32_e32 v11, v16
.LBB442_512:
	s_or_b64 exec, exec, s[14:15]
	s_andn2_b64 s[4:5], s[4:5], exec
	s_and_b64 s[12:13], s[12:13], exec
	s_or_b64 s[4:5], s[4:5], s[12:13]
	s_andn2_b64 s[6:7], s[6:7], exec
	s_and_b64 s[12:13], s[16:17], exec
	s_or_b64 s[6:7], s[6:7], s[12:13]
	s_waitcnt lgkmcnt(1)
	v_mov_b32_e32 v12, v17
.LBB442_513:
	s_or_b64 exec, exec, s[10:11]
	s_and_b64 s[4:5], s[4:5], exec
	s_and_b64 s[6:7], s[6:7], exec
	;; [unrolled: 1-line block ×3, first 2 shown]
                                        ; implicit-def: $vgpr18
                                        ; implicit-def: $vgpr23
                                        ; implicit-def: $vgpr20
                                        ; implicit-def: $vgpr22
                                        ; implicit-def: $vgpr13
                                        ; implicit-def: $vgpr14
	s_andn2_saveexec_b64 s[2:3], s[2:3]
	s_cbranch_execz .LBB442_464
.LBB442_514:
	v_cmp_lt_i64_e32 vcc, 5, v[0:1]
	s_mov_b64 s[12:13], -1
	s_mov_b64 s[10:11], s[8:9]
	s_mov_b64 s[14:15], s[6:7]
	;; [unrolled: 1-line block ×3, first 2 shown]
                                        ; implicit-def: $vgpr10
	s_and_saveexec_b64 s[0:1], vcc
	s_cbranch_execz .LBB442_530
; %bb.515:
	v_cmp_lt_i64_e32 vcc, 8, v[0:1]
	s_mov_b64 s[10:11], s[8:9]
                                        ; implicit-def: $vgpr10
	s_and_saveexec_b64 s[12:13], vcc
	s_xor_b64 s[12:13], exec, s[12:13]
	s_cbranch_execz .LBB442_525
; %bb.516:
	v_cmp_lt_i64_e32 vcc, 9, v[0:1]
	s_and_saveexec_b64 s[10:11], vcc
	s_xor_b64 s[10:11], exec, s[10:11]
	s_cbranch_execz .LBB442_522
; %bb.517:
	v_cmp_lt_i64_e32 vcc, 10, v[0:1]
	s_and_saveexec_b64 s[14:15], vcc
	s_xor_b64 s[14:15], exec, s[14:15]
; %bb.518:
                                        ; implicit-def: $vgpr22
; %bb.519:
	s_andn2_saveexec_b64 s[14:15], s[14:15]
	s_cbranch_execz .LBB442_521
; %bb.520:
	s_waitcnt lgkmcnt(12)
	v_mov_b32_e32 v20, v22
.LBB442_521:
	s_or_b64 exec, exec, s[14:15]
                                        ; implicit-def: $vgpr23
.LBB442_522:
	s_andn2_saveexec_b64 s[10:11], s[10:11]
	s_cbranch_execz .LBB442_524
; %bb.523:
	s_waitcnt lgkmcnt(12)
	v_mov_b32_e32 v20, v23
.LBB442_524:
	s_or_b64 exec, exec, s[10:11]
	s_or_b64 s[10:11], s[8:9], exec
	s_waitcnt lgkmcnt(3)
	v_mov_b32_e32 v10, v20
                                        ; implicit-def: $vgpr18
.LBB442_525:
	s_or_saveexec_b64 s[12:13], s[12:13]
	s_mov_b64 s[14:15], s[6:7]
	s_mov_b64 s[18:19], s[4:5]
	s_xor_b64 exec, exec, s[12:13]
	s_cbranch_execz .LBB442_529
; %bb.526:
	v_cmp_lt_i64_e32 vcc, 6, v[0:1]
	s_mov_b64 s[18:19], -1
	s_mov_b64 s[16:17], s[10:11]
	s_mov_b64 s[14:15], s[6:7]
	s_and_saveexec_b64 s[20:21], vcc
; %bb.527:
	v_cmp_lt_i64_e32 vcc, 7, v[0:1]
	s_andn2_b64 s[16:17], s[10:11], exec
	s_and_b64 s[22:23], vcc, exec
	s_xor_b64 s[18:19], exec, -1
	s_or_b64 s[14:15], s[6:7], exec
	s_or_b64 s[16:17], s[16:17], s[22:23]
; %bb.528:
	s_or_b64 exec, exec, s[20:21]
	s_andn2_b64 s[20:21], s[4:5], exec
	s_and_b64 s[18:19], s[18:19], exec
	s_or_b64 s[18:19], s[20:21], s[18:19]
	s_andn2_b64 s[20:21], s[6:7], exec
	s_and_b64 s[14:15], s[14:15], exec
	s_andn2_b64 s[10:11], s[10:11], exec
	s_and_b64 s[16:17], s[16:17], exec
	s_or_b64 s[14:15], s[20:21], s[14:15]
	s_or_b64 s[10:11], s[10:11], s[16:17]
	s_waitcnt lgkmcnt(3)
	v_mov_b32_e32 v10, v18
.LBB442_529:
	s_or_b64 exec, exec, s[12:13]
	s_andn2_b64 s[16:17], s[4:5], exec
	s_and_b64 s[18:19], s[18:19], exec
	s_or_b64 s[16:17], s[16:17], s[18:19]
	s_andn2_b64 s[18:19], s[6:7], exec
	s_and_b64 s[14:15], s[14:15], exec
	s_or_b64 s[14:15], s[18:19], s[14:15]
	s_andn2_b64 s[18:19], s[8:9], exec
	s_and_b64 s[10:11], s[10:11], exec
	s_xor_b64 s[12:13], exec, -1
	s_or_b64 s[10:11], s[18:19], s[10:11]
.LBB442_530:
	s_or_b64 exec, exec, s[0:1]
	s_and_b64 s[0:1], s[12:13], exec
	s_andn2_b64 s[4:5], s[4:5], exec
	s_and_b64 s[12:13], s[16:17], exec
	s_or_b64 s[4:5], s[4:5], s[12:13]
	s_andn2_b64 s[6:7], s[6:7], exec
	s_and_b64 s[12:13], s[14:15], exec
	s_andn2_b64 s[8:9], s[8:9], exec
	s_and_b64 s[10:11], s[10:11], exec
	s_or_b64 s[6:7], s[6:7], s[12:13]
	s_or_b64 s[8:9], s[8:9], s[10:11]
	s_waitcnt lgkmcnt(1)
	v_mov_b32_e32 v12, v13
	v_mov_b32_e32 v11, v14
	s_or_b64 exec, exec, s[2:3]
	s_and_saveexec_b64 s[2:3], s[8:9]
	s_cbranch_execz .LBB442_465
.LBB442_531:
	v_mov_b32_e32 v2, 0
	s_andn2_b64 s[6:7], s[6:7], exec
	s_waitcnt lgkmcnt(3)
	global_store_short v2, v10, s[58:59]
	s_or_b64 exec, exec, s[2:3]
	s_and_saveexec_b64 s[2:3], s[6:7]
	s_cbranch_execz .LBB442_466
.LBB442_532:
	v_mov_b32_e32 v2, 0
	s_waitcnt lgkmcnt(2)
	global_store_short v2, v11, s[58:59]
	s_or_b64 exec, exec, s[2:3]
	s_and_saveexec_b64 s[2:3], s[4:5]
	s_xor_b64 s[2:3], exec, s[2:3]
	s_cbranch_execz .LBB442_467
.LBB442_533:
	v_mov_b32_e32 v2, 0
	s_waitcnt lgkmcnt(1)
	global_store_short v2, v12, s[58:59]
	s_or_b64 exec, exec, s[2:3]
	s_and_b64 exec, exec, s[0:1]
	s_cbranch_execz .LBB442_468
.LBB442_534:
	v_cmp_lt_i64_e32 vcc, 2, v[0:1]
	s_and_saveexec_b64 s[0:1], vcc
	s_xor_b64 s[0:1], exec, s[0:1]
	s_cbranch_execz .LBB442_544
; %bb.535:
	v_cmp_lt_i64_e32 vcc, 3, v[0:1]
	s_and_saveexec_b64 s[2:3], vcc
	s_xor_b64 s[2:3], exec, s[2:3]
	s_cbranch_execz .LBB442_541
; %bb.536:
	;; [unrolled: 5-line block ×3, first 2 shown]
	v_mov_b32_e32 v0, 0
	s_waitcnt lgkmcnt(14)
	global_store_short v0, v9, s[58:59]
                                        ; implicit-def: $vgpr6
.LBB442_538:
	s_andn2_saveexec_b64 s[4:5], s[4:5]
	s_cbranch_execz .LBB442_540
; %bb.539:
	v_mov_b32_e32 v0, 0
	s_waitcnt lgkmcnt(14)
	global_store_short v0, v6, s[58:59]
.LBB442_540:
	s_or_b64 exec, exec, s[4:5]
                                        ; implicit-def: $vgpr8
.LBB442_541:
	s_andn2_saveexec_b64 s[2:3], s[2:3]
	s_cbranch_execz .LBB442_543
; %bb.542:
	v_mov_b32_e32 v0, 0
	s_waitcnt lgkmcnt(14)
	global_store_short v0, v8, s[58:59]
.LBB442_543:
	s_or_b64 exec, exec, s[2:3]
                                        ; implicit-def: $vgpr0_vgpr1
                                        ; implicit-def: $vgpr7
                                        ; implicit-def: $vgpr4
                                        ; implicit-def: $vgpr5
.LBB442_544:
	s_andn2_saveexec_b64 s[0:1], s[0:1]
	s_cbranch_execz .LBB442_468
; %bb.545:
	v_cmp_lt_i64_e32 vcc, 1, v[0:1]
	s_and_saveexec_b64 s[0:1], vcc
	s_xor_b64 s[0:1], exec, s[0:1]
	s_cbranch_execz .LBB442_547
; %bb.546:
	v_mov_b32_e32 v0, 0
	s_waitcnt lgkmcnt(14)
	global_store_short v0, v7, s[58:59]
                                        ; implicit-def: $vgpr4
                                        ; implicit-def: $vgpr0_vgpr1
                                        ; implicit-def: $vgpr5
.LBB442_547:
	s_andn2_saveexec_b64 s[0:1], s[0:1]
	s_cbranch_execz .LBB442_468
; %bb.548:
	v_cmp_ne_u64_e32 vcc, 1, v[0:1]
	s_and_saveexec_b64 s[0:1], vcc
	s_xor_b64 s[0:1], exec, s[0:1]
	s_cbranch_execz .LBB442_550
; %bb.549:
	v_mov_b32_e32 v0, 0
	s_waitcnt lgkmcnt(14)
	global_store_short v0, v5, s[58:59]
                                        ; implicit-def: $vgpr4
.LBB442_550:
	s_andn2_saveexec_b64 s[0:1], s[0:1]
	s_cbranch_execz .LBB442_468
; %bb.551:
	v_mov_b32_e32 v0, 0
	s_waitcnt lgkmcnt(14)
	global_store_short v0, v4, s[58:59]
	s_endpgm
	.section	.rodata,"a",@progbits
	.p2align	6, 0x0
	.amdhsa_kernel _ZN7rocprim17ROCPRIM_400000_NS6detail17trampoline_kernelINS0_14default_configENS1_20scan_config_selectorIN3c108BFloat16EEEZZNS1_9scan_implILNS1_25lookback_scan_determinismE0ELb0ELb0ES3_PKS6_PS6_S6_ZZZN2at6native31launch_logcumsumexp_cuda_kernelERKNSD_10TensorBaseESH_lENKUlvE_clEvENKUlvE4_clEvEUlS6_S6_E_S6_EEDaPvRmT3_T4_T5_mT6_P12ihipStream_tbENKUlT_T0_E_clISt17integral_constantIbLb0EESY_EEDaST_SU_EUlST_E_NS1_11comp_targetILNS1_3genE2ELNS1_11target_archE906ELNS1_3gpuE6ELNS1_3repE0EEENS1_30default_config_static_selectorELNS0_4arch9wavefront6targetE1EEEvT1_
		.amdhsa_group_segment_fixed_size 12288
		.amdhsa_private_segment_fixed_size 0
		.amdhsa_kernarg_size 96
		.amdhsa_user_sgpr_count 6
		.amdhsa_user_sgpr_private_segment_buffer 1
		.amdhsa_user_sgpr_dispatch_ptr 0
		.amdhsa_user_sgpr_queue_ptr 0
		.amdhsa_user_sgpr_kernarg_segment_ptr 1
		.amdhsa_user_sgpr_dispatch_id 0
		.amdhsa_user_sgpr_flat_scratch_init 0
		.amdhsa_user_sgpr_private_segment_size 0
		.amdhsa_uses_dynamic_stack 0
		.amdhsa_system_sgpr_private_segment_wavefront_offset 0
		.amdhsa_system_sgpr_workgroup_id_x 1
		.amdhsa_system_sgpr_workgroup_id_y 0
		.amdhsa_system_sgpr_workgroup_id_z 0
		.amdhsa_system_sgpr_workgroup_info 0
		.amdhsa_system_vgpr_workitem_id 0
		.amdhsa_next_free_vgpr 101
		.amdhsa_next_free_sgpr 98
		.amdhsa_reserve_vcc 1
		.amdhsa_reserve_flat_scratch 0
		.amdhsa_float_round_mode_32 0
		.amdhsa_float_round_mode_16_64 0
		.amdhsa_float_denorm_mode_32 3
		.amdhsa_float_denorm_mode_16_64 3
		.amdhsa_dx10_clamp 1
		.amdhsa_ieee_mode 1
		.amdhsa_fp16_overflow 0
		.amdhsa_exception_fp_ieee_invalid_op 0
		.amdhsa_exception_fp_denorm_src 0
		.amdhsa_exception_fp_ieee_div_zero 0
		.amdhsa_exception_fp_ieee_overflow 0
		.amdhsa_exception_fp_ieee_underflow 0
		.amdhsa_exception_fp_ieee_inexact 0
		.amdhsa_exception_int_div_zero 0
	.end_amdhsa_kernel
	.section	.text._ZN7rocprim17ROCPRIM_400000_NS6detail17trampoline_kernelINS0_14default_configENS1_20scan_config_selectorIN3c108BFloat16EEEZZNS1_9scan_implILNS1_25lookback_scan_determinismE0ELb0ELb0ES3_PKS6_PS6_S6_ZZZN2at6native31launch_logcumsumexp_cuda_kernelERKNSD_10TensorBaseESH_lENKUlvE_clEvENKUlvE4_clEvEUlS6_S6_E_S6_EEDaPvRmT3_T4_T5_mT6_P12ihipStream_tbENKUlT_T0_E_clISt17integral_constantIbLb0EESY_EEDaST_SU_EUlST_E_NS1_11comp_targetILNS1_3genE2ELNS1_11target_archE906ELNS1_3gpuE6ELNS1_3repE0EEENS1_30default_config_static_selectorELNS0_4arch9wavefront6targetE1EEEvT1_,"axG",@progbits,_ZN7rocprim17ROCPRIM_400000_NS6detail17trampoline_kernelINS0_14default_configENS1_20scan_config_selectorIN3c108BFloat16EEEZZNS1_9scan_implILNS1_25lookback_scan_determinismE0ELb0ELb0ES3_PKS6_PS6_S6_ZZZN2at6native31launch_logcumsumexp_cuda_kernelERKNSD_10TensorBaseESH_lENKUlvE_clEvENKUlvE4_clEvEUlS6_S6_E_S6_EEDaPvRmT3_T4_T5_mT6_P12ihipStream_tbENKUlT_T0_E_clISt17integral_constantIbLb0EESY_EEDaST_SU_EUlST_E_NS1_11comp_targetILNS1_3genE2ELNS1_11target_archE906ELNS1_3gpuE6ELNS1_3repE0EEENS1_30default_config_static_selectorELNS0_4arch9wavefront6targetE1EEEvT1_,comdat
.Lfunc_end442:
	.size	_ZN7rocprim17ROCPRIM_400000_NS6detail17trampoline_kernelINS0_14default_configENS1_20scan_config_selectorIN3c108BFloat16EEEZZNS1_9scan_implILNS1_25lookback_scan_determinismE0ELb0ELb0ES3_PKS6_PS6_S6_ZZZN2at6native31launch_logcumsumexp_cuda_kernelERKNSD_10TensorBaseESH_lENKUlvE_clEvENKUlvE4_clEvEUlS6_S6_E_S6_EEDaPvRmT3_T4_T5_mT6_P12ihipStream_tbENKUlT_T0_E_clISt17integral_constantIbLb0EESY_EEDaST_SU_EUlST_E_NS1_11comp_targetILNS1_3genE2ELNS1_11target_archE906ELNS1_3gpuE6ELNS1_3repE0EEENS1_30default_config_static_selectorELNS0_4arch9wavefront6targetE1EEEvT1_, .Lfunc_end442-_ZN7rocprim17ROCPRIM_400000_NS6detail17trampoline_kernelINS0_14default_configENS1_20scan_config_selectorIN3c108BFloat16EEEZZNS1_9scan_implILNS1_25lookback_scan_determinismE0ELb0ELb0ES3_PKS6_PS6_S6_ZZZN2at6native31launch_logcumsumexp_cuda_kernelERKNSD_10TensorBaseESH_lENKUlvE_clEvENKUlvE4_clEvEUlS6_S6_E_S6_EEDaPvRmT3_T4_T5_mT6_P12ihipStream_tbENKUlT_T0_E_clISt17integral_constantIbLb0EESY_EEDaST_SU_EUlST_E_NS1_11comp_targetILNS1_3genE2ELNS1_11target_archE906ELNS1_3gpuE6ELNS1_3repE0EEENS1_30default_config_static_selectorELNS0_4arch9wavefront6targetE1EEEvT1_
                                        ; -- End function
	.set _ZN7rocprim17ROCPRIM_400000_NS6detail17trampoline_kernelINS0_14default_configENS1_20scan_config_selectorIN3c108BFloat16EEEZZNS1_9scan_implILNS1_25lookback_scan_determinismE0ELb0ELb0ES3_PKS6_PS6_S6_ZZZN2at6native31launch_logcumsumexp_cuda_kernelERKNSD_10TensorBaseESH_lENKUlvE_clEvENKUlvE4_clEvEUlS6_S6_E_S6_EEDaPvRmT3_T4_T5_mT6_P12ihipStream_tbENKUlT_T0_E_clISt17integral_constantIbLb0EESY_EEDaST_SU_EUlST_E_NS1_11comp_targetILNS1_3genE2ELNS1_11target_archE906ELNS1_3gpuE6ELNS1_3repE0EEENS1_30default_config_static_selectorELNS0_4arch9wavefront6targetE1EEEvT1_.num_vgpr, 101
	.set _ZN7rocprim17ROCPRIM_400000_NS6detail17trampoline_kernelINS0_14default_configENS1_20scan_config_selectorIN3c108BFloat16EEEZZNS1_9scan_implILNS1_25lookback_scan_determinismE0ELb0ELb0ES3_PKS6_PS6_S6_ZZZN2at6native31launch_logcumsumexp_cuda_kernelERKNSD_10TensorBaseESH_lENKUlvE_clEvENKUlvE4_clEvEUlS6_S6_E_S6_EEDaPvRmT3_T4_T5_mT6_P12ihipStream_tbENKUlT_T0_E_clISt17integral_constantIbLb0EESY_EEDaST_SU_EUlST_E_NS1_11comp_targetILNS1_3genE2ELNS1_11target_archE906ELNS1_3gpuE6ELNS1_3repE0EEENS1_30default_config_static_selectorELNS0_4arch9wavefront6targetE1EEEvT1_.num_agpr, 0
	.set _ZN7rocprim17ROCPRIM_400000_NS6detail17trampoline_kernelINS0_14default_configENS1_20scan_config_selectorIN3c108BFloat16EEEZZNS1_9scan_implILNS1_25lookback_scan_determinismE0ELb0ELb0ES3_PKS6_PS6_S6_ZZZN2at6native31launch_logcumsumexp_cuda_kernelERKNSD_10TensorBaseESH_lENKUlvE_clEvENKUlvE4_clEvEUlS6_S6_E_S6_EEDaPvRmT3_T4_T5_mT6_P12ihipStream_tbENKUlT_T0_E_clISt17integral_constantIbLb0EESY_EEDaST_SU_EUlST_E_NS1_11comp_targetILNS1_3genE2ELNS1_11target_archE906ELNS1_3gpuE6ELNS1_3repE0EEENS1_30default_config_static_selectorELNS0_4arch9wavefront6targetE1EEEvT1_.numbered_sgpr, 88
	.set _ZN7rocprim17ROCPRIM_400000_NS6detail17trampoline_kernelINS0_14default_configENS1_20scan_config_selectorIN3c108BFloat16EEEZZNS1_9scan_implILNS1_25lookback_scan_determinismE0ELb0ELb0ES3_PKS6_PS6_S6_ZZZN2at6native31launch_logcumsumexp_cuda_kernelERKNSD_10TensorBaseESH_lENKUlvE_clEvENKUlvE4_clEvEUlS6_S6_E_S6_EEDaPvRmT3_T4_T5_mT6_P12ihipStream_tbENKUlT_T0_E_clISt17integral_constantIbLb0EESY_EEDaST_SU_EUlST_E_NS1_11comp_targetILNS1_3genE2ELNS1_11target_archE906ELNS1_3gpuE6ELNS1_3repE0EEENS1_30default_config_static_selectorELNS0_4arch9wavefront6targetE1EEEvT1_.num_named_barrier, 0
	.set _ZN7rocprim17ROCPRIM_400000_NS6detail17trampoline_kernelINS0_14default_configENS1_20scan_config_selectorIN3c108BFloat16EEEZZNS1_9scan_implILNS1_25lookback_scan_determinismE0ELb0ELb0ES3_PKS6_PS6_S6_ZZZN2at6native31launch_logcumsumexp_cuda_kernelERKNSD_10TensorBaseESH_lENKUlvE_clEvENKUlvE4_clEvEUlS6_S6_E_S6_EEDaPvRmT3_T4_T5_mT6_P12ihipStream_tbENKUlT_T0_E_clISt17integral_constantIbLb0EESY_EEDaST_SU_EUlST_E_NS1_11comp_targetILNS1_3genE2ELNS1_11target_archE906ELNS1_3gpuE6ELNS1_3repE0EEENS1_30default_config_static_selectorELNS0_4arch9wavefront6targetE1EEEvT1_.private_seg_size, 0
	.set _ZN7rocprim17ROCPRIM_400000_NS6detail17trampoline_kernelINS0_14default_configENS1_20scan_config_selectorIN3c108BFloat16EEEZZNS1_9scan_implILNS1_25lookback_scan_determinismE0ELb0ELb0ES3_PKS6_PS6_S6_ZZZN2at6native31launch_logcumsumexp_cuda_kernelERKNSD_10TensorBaseESH_lENKUlvE_clEvENKUlvE4_clEvEUlS6_S6_E_S6_EEDaPvRmT3_T4_T5_mT6_P12ihipStream_tbENKUlT_T0_E_clISt17integral_constantIbLb0EESY_EEDaST_SU_EUlST_E_NS1_11comp_targetILNS1_3genE2ELNS1_11target_archE906ELNS1_3gpuE6ELNS1_3repE0EEENS1_30default_config_static_selectorELNS0_4arch9wavefront6targetE1EEEvT1_.uses_vcc, 1
	.set _ZN7rocprim17ROCPRIM_400000_NS6detail17trampoline_kernelINS0_14default_configENS1_20scan_config_selectorIN3c108BFloat16EEEZZNS1_9scan_implILNS1_25lookback_scan_determinismE0ELb0ELb0ES3_PKS6_PS6_S6_ZZZN2at6native31launch_logcumsumexp_cuda_kernelERKNSD_10TensorBaseESH_lENKUlvE_clEvENKUlvE4_clEvEUlS6_S6_E_S6_EEDaPvRmT3_T4_T5_mT6_P12ihipStream_tbENKUlT_T0_E_clISt17integral_constantIbLb0EESY_EEDaST_SU_EUlST_E_NS1_11comp_targetILNS1_3genE2ELNS1_11target_archE906ELNS1_3gpuE6ELNS1_3repE0EEENS1_30default_config_static_selectorELNS0_4arch9wavefront6targetE1EEEvT1_.uses_flat_scratch, 0
	.set _ZN7rocprim17ROCPRIM_400000_NS6detail17trampoline_kernelINS0_14default_configENS1_20scan_config_selectorIN3c108BFloat16EEEZZNS1_9scan_implILNS1_25lookback_scan_determinismE0ELb0ELb0ES3_PKS6_PS6_S6_ZZZN2at6native31launch_logcumsumexp_cuda_kernelERKNSD_10TensorBaseESH_lENKUlvE_clEvENKUlvE4_clEvEUlS6_S6_E_S6_EEDaPvRmT3_T4_T5_mT6_P12ihipStream_tbENKUlT_T0_E_clISt17integral_constantIbLb0EESY_EEDaST_SU_EUlST_E_NS1_11comp_targetILNS1_3genE2ELNS1_11target_archE906ELNS1_3gpuE6ELNS1_3repE0EEENS1_30default_config_static_selectorELNS0_4arch9wavefront6targetE1EEEvT1_.has_dyn_sized_stack, 0
	.set _ZN7rocprim17ROCPRIM_400000_NS6detail17trampoline_kernelINS0_14default_configENS1_20scan_config_selectorIN3c108BFloat16EEEZZNS1_9scan_implILNS1_25lookback_scan_determinismE0ELb0ELb0ES3_PKS6_PS6_S6_ZZZN2at6native31launch_logcumsumexp_cuda_kernelERKNSD_10TensorBaseESH_lENKUlvE_clEvENKUlvE4_clEvEUlS6_S6_E_S6_EEDaPvRmT3_T4_T5_mT6_P12ihipStream_tbENKUlT_T0_E_clISt17integral_constantIbLb0EESY_EEDaST_SU_EUlST_E_NS1_11comp_targetILNS1_3genE2ELNS1_11target_archE906ELNS1_3gpuE6ELNS1_3repE0EEENS1_30default_config_static_selectorELNS0_4arch9wavefront6targetE1EEEvT1_.has_recursion, 0
	.set _ZN7rocprim17ROCPRIM_400000_NS6detail17trampoline_kernelINS0_14default_configENS1_20scan_config_selectorIN3c108BFloat16EEEZZNS1_9scan_implILNS1_25lookback_scan_determinismE0ELb0ELb0ES3_PKS6_PS6_S6_ZZZN2at6native31launch_logcumsumexp_cuda_kernelERKNSD_10TensorBaseESH_lENKUlvE_clEvENKUlvE4_clEvEUlS6_S6_E_S6_EEDaPvRmT3_T4_T5_mT6_P12ihipStream_tbENKUlT_T0_E_clISt17integral_constantIbLb0EESY_EEDaST_SU_EUlST_E_NS1_11comp_targetILNS1_3genE2ELNS1_11target_archE906ELNS1_3gpuE6ELNS1_3repE0EEENS1_30default_config_static_selectorELNS0_4arch9wavefront6targetE1EEEvT1_.has_indirect_call, 0
	.section	.AMDGPU.csdata,"",@progbits
; Kernel info:
; codeLenInByte = 109904
; TotalNumSgprs: 92
; NumVgprs: 101
; ScratchSize: 0
; MemoryBound: 0
; FloatMode: 240
; IeeeMode: 1
; LDSByteSize: 12288 bytes/workgroup (compile time only)
; SGPRBlocks: 12
; VGPRBlocks: 25
; NumSGPRsForWavesPerEU: 102
; NumVGPRsForWavesPerEU: 101
; Occupancy: 2
; WaveLimiterHint : 1
; COMPUTE_PGM_RSRC2:SCRATCH_EN: 0
; COMPUTE_PGM_RSRC2:USER_SGPR: 6
; COMPUTE_PGM_RSRC2:TRAP_HANDLER: 0
; COMPUTE_PGM_RSRC2:TGID_X_EN: 1
; COMPUTE_PGM_RSRC2:TGID_Y_EN: 0
; COMPUTE_PGM_RSRC2:TGID_Z_EN: 0
; COMPUTE_PGM_RSRC2:TIDIG_COMP_CNT: 0
	.section	.text._ZN7rocprim17ROCPRIM_400000_NS6detail17trampoline_kernelINS0_14default_configENS1_20scan_config_selectorIN3c108BFloat16EEEZZNS1_9scan_implILNS1_25lookback_scan_determinismE0ELb0ELb0ES3_PKS6_PS6_S6_ZZZN2at6native31launch_logcumsumexp_cuda_kernelERKNSD_10TensorBaseESH_lENKUlvE_clEvENKUlvE4_clEvEUlS6_S6_E_S6_EEDaPvRmT3_T4_T5_mT6_P12ihipStream_tbENKUlT_T0_E_clISt17integral_constantIbLb0EESY_EEDaST_SU_EUlST_E_NS1_11comp_targetILNS1_3genE10ELNS1_11target_archE1201ELNS1_3gpuE5ELNS1_3repE0EEENS1_30default_config_static_selectorELNS0_4arch9wavefront6targetE1EEEvT1_,"axG",@progbits,_ZN7rocprim17ROCPRIM_400000_NS6detail17trampoline_kernelINS0_14default_configENS1_20scan_config_selectorIN3c108BFloat16EEEZZNS1_9scan_implILNS1_25lookback_scan_determinismE0ELb0ELb0ES3_PKS6_PS6_S6_ZZZN2at6native31launch_logcumsumexp_cuda_kernelERKNSD_10TensorBaseESH_lENKUlvE_clEvENKUlvE4_clEvEUlS6_S6_E_S6_EEDaPvRmT3_T4_T5_mT6_P12ihipStream_tbENKUlT_T0_E_clISt17integral_constantIbLb0EESY_EEDaST_SU_EUlST_E_NS1_11comp_targetILNS1_3genE10ELNS1_11target_archE1201ELNS1_3gpuE5ELNS1_3repE0EEENS1_30default_config_static_selectorELNS0_4arch9wavefront6targetE1EEEvT1_,comdat
	.globl	_ZN7rocprim17ROCPRIM_400000_NS6detail17trampoline_kernelINS0_14default_configENS1_20scan_config_selectorIN3c108BFloat16EEEZZNS1_9scan_implILNS1_25lookback_scan_determinismE0ELb0ELb0ES3_PKS6_PS6_S6_ZZZN2at6native31launch_logcumsumexp_cuda_kernelERKNSD_10TensorBaseESH_lENKUlvE_clEvENKUlvE4_clEvEUlS6_S6_E_S6_EEDaPvRmT3_T4_T5_mT6_P12ihipStream_tbENKUlT_T0_E_clISt17integral_constantIbLb0EESY_EEDaST_SU_EUlST_E_NS1_11comp_targetILNS1_3genE10ELNS1_11target_archE1201ELNS1_3gpuE5ELNS1_3repE0EEENS1_30default_config_static_selectorELNS0_4arch9wavefront6targetE1EEEvT1_ ; -- Begin function _ZN7rocprim17ROCPRIM_400000_NS6detail17trampoline_kernelINS0_14default_configENS1_20scan_config_selectorIN3c108BFloat16EEEZZNS1_9scan_implILNS1_25lookback_scan_determinismE0ELb0ELb0ES3_PKS6_PS6_S6_ZZZN2at6native31launch_logcumsumexp_cuda_kernelERKNSD_10TensorBaseESH_lENKUlvE_clEvENKUlvE4_clEvEUlS6_S6_E_S6_EEDaPvRmT3_T4_T5_mT6_P12ihipStream_tbENKUlT_T0_E_clISt17integral_constantIbLb0EESY_EEDaST_SU_EUlST_E_NS1_11comp_targetILNS1_3genE10ELNS1_11target_archE1201ELNS1_3gpuE5ELNS1_3repE0EEENS1_30default_config_static_selectorELNS0_4arch9wavefront6targetE1EEEvT1_
	.p2align	8
	.type	_ZN7rocprim17ROCPRIM_400000_NS6detail17trampoline_kernelINS0_14default_configENS1_20scan_config_selectorIN3c108BFloat16EEEZZNS1_9scan_implILNS1_25lookback_scan_determinismE0ELb0ELb0ES3_PKS6_PS6_S6_ZZZN2at6native31launch_logcumsumexp_cuda_kernelERKNSD_10TensorBaseESH_lENKUlvE_clEvENKUlvE4_clEvEUlS6_S6_E_S6_EEDaPvRmT3_T4_T5_mT6_P12ihipStream_tbENKUlT_T0_E_clISt17integral_constantIbLb0EESY_EEDaST_SU_EUlST_E_NS1_11comp_targetILNS1_3genE10ELNS1_11target_archE1201ELNS1_3gpuE5ELNS1_3repE0EEENS1_30default_config_static_selectorELNS0_4arch9wavefront6targetE1EEEvT1_,@function
_ZN7rocprim17ROCPRIM_400000_NS6detail17trampoline_kernelINS0_14default_configENS1_20scan_config_selectorIN3c108BFloat16EEEZZNS1_9scan_implILNS1_25lookback_scan_determinismE0ELb0ELb0ES3_PKS6_PS6_S6_ZZZN2at6native31launch_logcumsumexp_cuda_kernelERKNSD_10TensorBaseESH_lENKUlvE_clEvENKUlvE4_clEvEUlS6_S6_E_S6_EEDaPvRmT3_T4_T5_mT6_P12ihipStream_tbENKUlT_T0_E_clISt17integral_constantIbLb0EESY_EEDaST_SU_EUlST_E_NS1_11comp_targetILNS1_3genE10ELNS1_11target_archE1201ELNS1_3gpuE5ELNS1_3repE0EEENS1_30default_config_static_selectorELNS0_4arch9wavefront6targetE1EEEvT1_: ; @_ZN7rocprim17ROCPRIM_400000_NS6detail17trampoline_kernelINS0_14default_configENS1_20scan_config_selectorIN3c108BFloat16EEEZZNS1_9scan_implILNS1_25lookback_scan_determinismE0ELb0ELb0ES3_PKS6_PS6_S6_ZZZN2at6native31launch_logcumsumexp_cuda_kernelERKNSD_10TensorBaseESH_lENKUlvE_clEvENKUlvE4_clEvEUlS6_S6_E_S6_EEDaPvRmT3_T4_T5_mT6_P12ihipStream_tbENKUlT_T0_E_clISt17integral_constantIbLb0EESY_EEDaST_SU_EUlST_E_NS1_11comp_targetILNS1_3genE10ELNS1_11target_archE1201ELNS1_3gpuE5ELNS1_3repE0EEENS1_30default_config_static_selectorELNS0_4arch9wavefront6targetE1EEEvT1_
; %bb.0:
	.section	.rodata,"a",@progbits
	.p2align	6, 0x0
	.amdhsa_kernel _ZN7rocprim17ROCPRIM_400000_NS6detail17trampoline_kernelINS0_14default_configENS1_20scan_config_selectorIN3c108BFloat16EEEZZNS1_9scan_implILNS1_25lookback_scan_determinismE0ELb0ELb0ES3_PKS6_PS6_S6_ZZZN2at6native31launch_logcumsumexp_cuda_kernelERKNSD_10TensorBaseESH_lENKUlvE_clEvENKUlvE4_clEvEUlS6_S6_E_S6_EEDaPvRmT3_T4_T5_mT6_P12ihipStream_tbENKUlT_T0_E_clISt17integral_constantIbLb0EESY_EEDaST_SU_EUlST_E_NS1_11comp_targetILNS1_3genE10ELNS1_11target_archE1201ELNS1_3gpuE5ELNS1_3repE0EEENS1_30default_config_static_selectorELNS0_4arch9wavefront6targetE1EEEvT1_
		.amdhsa_group_segment_fixed_size 0
		.amdhsa_private_segment_fixed_size 0
		.amdhsa_kernarg_size 96
		.amdhsa_user_sgpr_count 6
		.amdhsa_user_sgpr_private_segment_buffer 1
		.amdhsa_user_sgpr_dispatch_ptr 0
		.amdhsa_user_sgpr_queue_ptr 0
		.amdhsa_user_sgpr_kernarg_segment_ptr 1
		.amdhsa_user_sgpr_dispatch_id 0
		.amdhsa_user_sgpr_flat_scratch_init 0
		.amdhsa_user_sgpr_private_segment_size 0
		.amdhsa_uses_dynamic_stack 0
		.amdhsa_system_sgpr_private_segment_wavefront_offset 0
		.amdhsa_system_sgpr_workgroup_id_x 1
		.amdhsa_system_sgpr_workgroup_id_y 0
		.amdhsa_system_sgpr_workgroup_id_z 0
		.amdhsa_system_sgpr_workgroup_info 0
		.amdhsa_system_vgpr_workitem_id 0
		.amdhsa_next_free_vgpr 1
		.amdhsa_next_free_sgpr 0
		.amdhsa_reserve_vcc 0
		.amdhsa_reserve_flat_scratch 0
		.amdhsa_float_round_mode_32 0
		.amdhsa_float_round_mode_16_64 0
		.amdhsa_float_denorm_mode_32 3
		.amdhsa_float_denorm_mode_16_64 3
		.amdhsa_dx10_clamp 1
		.amdhsa_ieee_mode 1
		.amdhsa_fp16_overflow 0
		.amdhsa_exception_fp_ieee_invalid_op 0
		.amdhsa_exception_fp_denorm_src 0
		.amdhsa_exception_fp_ieee_div_zero 0
		.amdhsa_exception_fp_ieee_overflow 0
		.amdhsa_exception_fp_ieee_underflow 0
		.amdhsa_exception_fp_ieee_inexact 0
		.amdhsa_exception_int_div_zero 0
	.end_amdhsa_kernel
	.section	.text._ZN7rocprim17ROCPRIM_400000_NS6detail17trampoline_kernelINS0_14default_configENS1_20scan_config_selectorIN3c108BFloat16EEEZZNS1_9scan_implILNS1_25lookback_scan_determinismE0ELb0ELb0ES3_PKS6_PS6_S6_ZZZN2at6native31launch_logcumsumexp_cuda_kernelERKNSD_10TensorBaseESH_lENKUlvE_clEvENKUlvE4_clEvEUlS6_S6_E_S6_EEDaPvRmT3_T4_T5_mT6_P12ihipStream_tbENKUlT_T0_E_clISt17integral_constantIbLb0EESY_EEDaST_SU_EUlST_E_NS1_11comp_targetILNS1_3genE10ELNS1_11target_archE1201ELNS1_3gpuE5ELNS1_3repE0EEENS1_30default_config_static_selectorELNS0_4arch9wavefront6targetE1EEEvT1_,"axG",@progbits,_ZN7rocprim17ROCPRIM_400000_NS6detail17trampoline_kernelINS0_14default_configENS1_20scan_config_selectorIN3c108BFloat16EEEZZNS1_9scan_implILNS1_25lookback_scan_determinismE0ELb0ELb0ES3_PKS6_PS6_S6_ZZZN2at6native31launch_logcumsumexp_cuda_kernelERKNSD_10TensorBaseESH_lENKUlvE_clEvENKUlvE4_clEvEUlS6_S6_E_S6_EEDaPvRmT3_T4_T5_mT6_P12ihipStream_tbENKUlT_T0_E_clISt17integral_constantIbLb0EESY_EEDaST_SU_EUlST_E_NS1_11comp_targetILNS1_3genE10ELNS1_11target_archE1201ELNS1_3gpuE5ELNS1_3repE0EEENS1_30default_config_static_selectorELNS0_4arch9wavefront6targetE1EEEvT1_,comdat
.Lfunc_end443:
	.size	_ZN7rocprim17ROCPRIM_400000_NS6detail17trampoline_kernelINS0_14default_configENS1_20scan_config_selectorIN3c108BFloat16EEEZZNS1_9scan_implILNS1_25lookback_scan_determinismE0ELb0ELb0ES3_PKS6_PS6_S6_ZZZN2at6native31launch_logcumsumexp_cuda_kernelERKNSD_10TensorBaseESH_lENKUlvE_clEvENKUlvE4_clEvEUlS6_S6_E_S6_EEDaPvRmT3_T4_T5_mT6_P12ihipStream_tbENKUlT_T0_E_clISt17integral_constantIbLb0EESY_EEDaST_SU_EUlST_E_NS1_11comp_targetILNS1_3genE10ELNS1_11target_archE1201ELNS1_3gpuE5ELNS1_3repE0EEENS1_30default_config_static_selectorELNS0_4arch9wavefront6targetE1EEEvT1_, .Lfunc_end443-_ZN7rocprim17ROCPRIM_400000_NS6detail17trampoline_kernelINS0_14default_configENS1_20scan_config_selectorIN3c108BFloat16EEEZZNS1_9scan_implILNS1_25lookback_scan_determinismE0ELb0ELb0ES3_PKS6_PS6_S6_ZZZN2at6native31launch_logcumsumexp_cuda_kernelERKNSD_10TensorBaseESH_lENKUlvE_clEvENKUlvE4_clEvEUlS6_S6_E_S6_EEDaPvRmT3_T4_T5_mT6_P12ihipStream_tbENKUlT_T0_E_clISt17integral_constantIbLb0EESY_EEDaST_SU_EUlST_E_NS1_11comp_targetILNS1_3genE10ELNS1_11target_archE1201ELNS1_3gpuE5ELNS1_3repE0EEENS1_30default_config_static_selectorELNS0_4arch9wavefront6targetE1EEEvT1_
                                        ; -- End function
	.set _ZN7rocprim17ROCPRIM_400000_NS6detail17trampoline_kernelINS0_14default_configENS1_20scan_config_selectorIN3c108BFloat16EEEZZNS1_9scan_implILNS1_25lookback_scan_determinismE0ELb0ELb0ES3_PKS6_PS6_S6_ZZZN2at6native31launch_logcumsumexp_cuda_kernelERKNSD_10TensorBaseESH_lENKUlvE_clEvENKUlvE4_clEvEUlS6_S6_E_S6_EEDaPvRmT3_T4_T5_mT6_P12ihipStream_tbENKUlT_T0_E_clISt17integral_constantIbLb0EESY_EEDaST_SU_EUlST_E_NS1_11comp_targetILNS1_3genE10ELNS1_11target_archE1201ELNS1_3gpuE5ELNS1_3repE0EEENS1_30default_config_static_selectorELNS0_4arch9wavefront6targetE1EEEvT1_.num_vgpr, 0
	.set _ZN7rocprim17ROCPRIM_400000_NS6detail17trampoline_kernelINS0_14default_configENS1_20scan_config_selectorIN3c108BFloat16EEEZZNS1_9scan_implILNS1_25lookback_scan_determinismE0ELb0ELb0ES3_PKS6_PS6_S6_ZZZN2at6native31launch_logcumsumexp_cuda_kernelERKNSD_10TensorBaseESH_lENKUlvE_clEvENKUlvE4_clEvEUlS6_S6_E_S6_EEDaPvRmT3_T4_T5_mT6_P12ihipStream_tbENKUlT_T0_E_clISt17integral_constantIbLb0EESY_EEDaST_SU_EUlST_E_NS1_11comp_targetILNS1_3genE10ELNS1_11target_archE1201ELNS1_3gpuE5ELNS1_3repE0EEENS1_30default_config_static_selectorELNS0_4arch9wavefront6targetE1EEEvT1_.num_agpr, 0
	.set _ZN7rocprim17ROCPRIM_400000_NS6detail17trampoline_kernelINS0_14default_configENS1_20scan_config_selectorIN3c108BFloat16EEEZZNS1_9scan_implILNS1_25lookback_scan_determinismE0ELb0ELb0ES3_PKS6_PS6_S6_ZZZN2at6native31launch_logcumsumexp_cuda_kernelERKNSD_10TensorBaseESH_lENKUlvE_clEvENKUlvE4_clEvEUlS6_S6_E_S6_EEDaPvRmT3_T4_T5_mT6_P12ihipStream_tbENKUlT_T0_E_clISt17integral_constantIbLb0EESY_EEDaST_SU_EUlST_E_NS1_11comp_targetILNS1_3genE10ELNS1_11target_archE1201ELNS1_3gpuE5ELNS1_3repE0EEENS1_30default_config_static_selectorELNS0_4arch9wavefront6targetE1EEEvT1_.numbered_sgpr, 0
	.set _ZN7rocprim17ROCPRIM_400000_NS6detail17trampoline_kernelINS0_14default_configENS1_20scan_config_selectorIN3c108BFloat16EEEZZNS1_9scan_implILNS1_25lookback_scan_determinismE0ELb0ELb0ES3_PKS6_PS6_S6_ZZZN2at6native31launch_logcumsumexp_cuda_kernelERKNSD_10TensorBaseESH_lENKUlvE_clEvENKUlvE4_clEvEUlS6_S6_E_S6_EEDaPvRmT3_T4_T5_mT6_P12ihipStream_tbENKUlT_T0_E_clISt17integral_constantIbLb0EESY_EEDaST_SU_EUlST_E_NS1_11comp_targetILNS1_3genE10ELNS1_11target_archE1201ELNS1_3gpuE5ELNS1_3repE0EEENS1_30default_config_static_selectorELNS0_4arch9wavefront6targetE1EEEvT1_.num_named_barrier, 0
	.set _ZN7rocprim17ROCPRIM_400000_NS6detail17trampoline_kernelINS0_14default_configENS1_20scan_config_selectorIN3c108BFloat16EEEZZNS1_9scan_implILNS1_25lookback_scan_determinismE0ELb0ELb0ES3_PKS6_PS6_S6_ZZZN2at6native31launch_logcumsumexp_cuda_kernelERKNSD_10TensorBaseESH_lENKUlvE_clEvENKUlvE4_clEvEUlS6_S6_E_S6_EEDaPvRmT3_T4_T5_mT6_P12ihipStream_tbENKUlT_T0_E_clISt17integral_constantIbLb0EESY_EEDaST_SU_EUlST_E_NS1_11comp_targetILNS1_3genE10ELNS1_11target_archE1201ELNS1_3gpuE5ELNS1_3repE0EEENS1_30default_config_static_selectorELNS0_4arch9wavefront6targetE1EEEvT1_.private_seg_size, 0
	.set _ZN7rocprim17ROCPRIM_400000_NS6detail17trampoline_kernelINS0_14default_configENS1_20scan_config_selectorIN3c108BFloat16EEEZZNS1_9scan_implILNS1_25lookback_scan_determinismE0ELb0ELb0ES3_PKS6_PS6_S6_ZZZN2at6native31launch_logcumsumexp_cuda_kernelERKNSD_10TensorBaseESH_lENKUlvE_clEvENKUlvE4_clEvEUlS6_S6_E_S6_EEDaPvRmT3_T4_T5_mT6_P12ihipStream_tbENKUlT_T0_E_clISt17integral_constantIbLb0EESY_EEDaST_SU_EUlST_E_NS1_11comp_targetILNS1_3genE10ELNS1_11target_archE1201ELNS1_3gpuE5ELNS1_3repE0EEENS1_30default_config_static_selectorELNS0_4arch9wavefront6targetE1EEEvT1_.uses_vcc, 0
	.set _ZN7rocprim17ROCPRIM_400000_NS6detail17trampoline_kernelINS0_14default_configENS1_20scan_config_selectorIN3c108BFloat16EEEZZNS1_9scan_implILNS1_25lookback_scan_determinismE0ELb0ELb0ES3_PKS6_PS6_S6_ZZZN2at6native31launch_logcumsumexp_cuda_kernelERKNSD_10TensorBaseESH_lENKUlvE_clEvENKUlvE4_clEvEUlS6_S6_E_S6_EEDaPvRmT3_T4_T5_mT6_P12ihipStream_tbENKUlT_T0_E_clISt17integral_constantIbLb0EESY_EEDaST_SU_EUlST_E_NS1_11comp_targetILNS1_3genE10ELNS1_11target_archE1201ELNS1_3gpuE5ELNS1_3repE0EEENS1_30default_config_static_selectorELNS0_4arch9wavefront6targetE1EEEvT1_.uses_flat_scratch, 0
	.set _ZN7rocprim17ROCPRIM_400000_NS6detail17trampoline_kernelINS0_14default_configENS1_20scan_config_selectorIN3c108BFloat16EEEZZNS1_9scan_implILNS1_25lookback_scan_determinismE0ELb0ELb0ES3_PKS6_PS6_S6_ZZZN2at6native31launch_logcumsumexp_cuda_kernelERKNSD_10TensorBaseESH_lENKUlvE_clEvENKUlvE4_clEvEUlS6_S6_E_S6_EEDaPvRmT3_T4_T5_mT6_P12ihipStream_tbENKUlT_T0_E_clISt17integral_constantIbLb0EESY_EEDaST_SU_EUlST_E_NS1_11comp_targetILNS1_3genE10ELNS1_11target_archE1201ELNS1_3gpuE5ELNS1_3repE0EEENS1_30default_config_static_selectorELNS0_4arch9wavefront6targetE1EEEvT1_.has_dyn_sized_stack, 0
	.set _ZN7rocprim17ROCPRIM_400000_NS6detail17trampoline_kernelINS0_14default_configENS1_20scan_config_selectorIN3c108BFloat16EEEZZNS1_9scan_implILNS1_25lookback_scan_determinismE0ELb0ELb0ES3_PKS6_PS6_S6_ZZZN2at6native31launch_logcumsumexp_cuda_kernelERKNSD_10TensorBaseESH_lENKUlvE_clEvENKUlvE4_clEvEUlS6_S6_E_S6_EEDaPvRmT3_T4_T5_mT6_P12ihipStream_tbENKUlT_T0_E_clISt17integral_constantIbLb0EESY_EEDaST_SU_EUlST_E_NS1_11comp_targetILNS1_3genE10ELNS1_11target_archE1201ELNS1_3gpuE5ELNS1_3repE0EEENS1_30default_config_static_selectorELNS0_4arch9wavefront6targetE1EEEvT1_.has_recursion, 0
	.set _ZN7rocprim17ROCPRIM_400000_NS6detail17trampoline_kernelINS0_14default_configENS1_20scan_config_selectorIN3c108BFloat16EEEZZNS1_9scan_implILNS1_25lookback_scan_determinismE0ELb0ELb0ES3_PKS6_PS6_S6_ZZZN2at6native31launch_logcumsumexp_cuda_kernelERKNSD_10TensorBaseESH_lENKUlvE_clEvENKUlvE4_clEvEUlS6_S6_E_S6_EEDaPvRmT3_T4_T5_mT6_P12ihipStream_tbENKUlT_T0_E_clISt17integral_constantIbLb0EESY_EEDaST_SU_EUlST_E_NS1_11comp_targetILNS1_3genE10ELNS1_11target_archE1201ELNS1_3gpuE5ELNS1_3repE0EEENS1_30default_config_static_selectorELNS0_4arch9wavefront6targetE1EEEvT1_.has_indirect_call, 0
	.section	.AMDGPU.csdata,"",@progbits
; Kernel info:
; codeLenInByte = 0
; TotalNumSgprs: 4
; NumVgprs: 0
; ScratchSize: 0
; MemoryBound: 0
; FloatMode: 240
; IeeeMode: 1
; LDSByteSize: 0 bytes/workgroup (compile time only)
; SGPRBlocks: 0
; VGPRBlocks: 0
; NumSGPRsForWavesPerEU: 4
; NumVGPRsForWavesPerEU: 1
; Occupancy: 10
; WaveLimiterHint : 0
; COMPUTE_PGM_RSRC2:SCRATCH_EN: 0
; COMPUTE_PGM_RSRC2:USER_SGPR: 6
; COMPUTE_PGM_RSRC2:TRAP_HANDLER: 0
; COMPUTE_PGM_RSRC2:TGID_X_EN: 1
; COMPUTE_PGM_RSRC2:TGID_Y_EN: 0
; COMPUTE_PGM_RSRC2:TGID_Z_EN: 0
; COMPUTE_PGM_RSRC2:TIDIG_COMP_CNT: 0
	.section	.text._ZN7rocprim17ROCPRIM_400000_NS6detail17trampoline_kernelINS0_14default_configENS1_20scan_config_selectorIN3c108BFloat16EEEZZNS1_9scan_implILNS1_25lookback_scan_determinismE0ELb0ELb0ES3_PKS6_PS6_S6_ZZZN2at6native31launch_logcumsumexp_cuda_kernelERKNSD_10TensorBaseESH_lENKUlvE_clEvENKUlvE4_clEvEUlS6_S6_E_S6_EEDaPvRmT3_T4_T5_mT6_P12ihipStream_tbENKUlT_T0_E_clISt17integral_constantIbLb0EESY_EEDaST_SU_EUlST_E_NS1_11comp_targetILNS1_3genE10ELNS1_11target_archE1200ELNS1_3gpuE4ELNS1_3repE0EEENS1_30default_config_static_selectorELNS0_4arch9wavefront6targetE1EEEvT1_,"axG",@progbits,_ZN7rocprim17ROCPRIM_400000_NS6detail17trampoline_kernelINS0_14default_configENS1_20scan_config_selectorIN3c108BFloat16EEEZZNS1_9scan_implILNS1_25lookback_scan_determinismE0ELb0ELb0ES3_PKS6_PS6_S6_ZZZN2at6native31launch_logcumsumexp_cuda_kernelERKNSD_10TensorBaseESH_lENKUlvE_clEvENKUlvE4_clEvEUlS6_S6_E_S6_EEDaPvRmT3_T4_T5_mT6_P12ihipStream_tbENKUlT_T0_E_clISt17integral_constantIbLb0EESY_EEDaST_SU_EUlST_E_NS1_11comp_targetILNS1_3genE10ELNS1_11target_archE1200ELNS1_3gpuE4ELNS1_3repE0EEENS1_30default_config_static_selectorELNS0_4arch9wavefront6targetE1EEEvT1_,comdat
	.globl	_ZN7rocprim17ROCPRIM_400000_NS6detail17trampoline_kernelINS0_14default_configENS1_20scan_config_selectorIN3c108BFloat16EEEZZNS1_9scan_implILNS1_25lookback_scan_determinismE0ELb0ELb0ES3_PKS6_PS6_S6_ZZZN2at6native31launch_logcumsumexp_cuda_kernelERKNSD_10TensorBaseESH_lENKUlvE_clEvENKUlvE4_clEvEUlS6_S6_E_S6_EEDaPvRmT3_T4_T5_mT6_P12ihipStream_tbENKUlT_T0_E_clISt17integral_constantIbLb0EESY_EEDaST_SU_EUlST_E_NS1_11comp_targetILNS1_3genE10ELNS1_11target_archE1200ELNS1_3gpuE4ELNS1_3repE0EEENS1_30default_config_static_selectorELNS0_4arch9wavefront6targetE1EEEvT1_ ; -- Begin function _ZN7rocprim17ROCPRIM_400000_NS6detail17trampoline_kernelINS0_14default_configENS1_20scan_config_selectorIN3c108BFloat16EEEZZNS1_9scan_implILNS1_25lookback_scan_determinismE0ELb0ELb0ES3_PKS6_PS6_S6_ZZZN2at6native31launch_logcumsumexp_cuda_kernelERKNSD_10TensorBaseESH_lENKUlvE_clEvENKUlvE4_clEvEUlS6_S6_E_S6_EEDaPvRmT3_T4_T5_mT6_P12ihipStream_tbENKUlT_T0_E_clISt17integral_constantIbLb0EESY_EEDaST_SU_EUlST_E_NS1_11comp_targetILNS1_3genE10ELNS1_11target_archE1200ELNS1_3gpuE4ELNS1_3repE0EEENS1_30default_config_static_selectorELNS0_4arch9wavefront6targetE1EEEvT1_
	.p2align	8
	.type	_ZN7rocprim17ROCPRIM_400000_NS6detail17trampoline_kernelINS0_14default_configENS1_20scan_config_selectorIN3c108BFloat16EEEZZNS1_9scan_implILNS1_25lookback_scan_determinismE0ELb0ELb0ES3_PKS6_PS6_S6_ZZZN2at6native31launch_logcumsumexp_cuda_kernelERKNSD_10TensorBaseESH_lENKUlvE_clEvENKUlvE4_clEvEUlS6_S6_E_S6_EEDaPvRmT3_T4_T5_mT6_P12ihipStream_tbENKUlT_T0_E_clISt17integral_constantIbLb0EESY_EEDaST_SU_EUlST_E_NS1_11comp_targetILNS1_3genE10ELNS1_11target_archE1200ELNS1_3gpuE4ELNS1_3repE0EEENS1_30default_config_static_selectorELNS0_4arch9wavefront6targetE1EEEvT1_,@function
_ZN7rocprim17ROCPRIM_400000_NS6detail17trampoline_kernelINS0_14default_configENS1_20scan_config_selectorIN3c108BFloat16EEEZZNS1_9scan_implILNS1_25lookback_scan_determinismE0ELb0ELb0ES3_PKS6_PS6_S6_ZZZN2at6native31launch_logcumsumexp_cuda_kernelERKNSD_10TensorBaseESH_lENKUlvE_clEvENKUlvE4_clEvEUlS6_S6_E_S6_EEDaPvRmT3_T4_T5_mT6_P12ihipStream_tbENKUlT_T0_E_clISt17integral_constantIbLb0EESY_EEDaST_SU_EUlST_E_NS1_11comp_targetILNS1_3genE10ELNS1_11target_archE1200ELNS1_3gpuE4ELNS1_3repE0EEENS1_30default_config_static_selectorELNS0_4arch9wavefront6targetE1EEEvT1_: ; @_ZN7rocprim17ROCPRIM_400000_NS6detail17trampoline_kernelINS0_14default_configENS1_20scan_config_selectorIN3c108BFloat16EEEZZNS1_9scan_implILNS1_25lookback_scan_determinismE0ELb0ELb0ES3_PKS6_PS6_S6_ZZZN2at6native31launch_logcumsumexp_cuda_kernelERKNSD_10TensorBaseESH_lENKUlvE_clEvENKUlvE4_clEvEUlS6_S6_E_S6_EEDaPvRmT3_T4_T5_mT6_P12ihipStream_tbENKUlT_T0_E_clISt17integral_constantIbLb0EESY_EEDaST_SU_EUlST_E_NS1_11comp_targetILNS1_3genE10ELNS1_11target_archE1200ELNS1_3gpuE4ELNS1_3repE0EEENS1_30default_config_static_selectorELNS0_4arch9wavefront6targetE1EEEvT1_
; %bb.0:
	.section	.rodata,"a",@progbits
	.p2align	6, 0x0
	.amdhsa_kernel _ZN7rocprim17ROCPRIM_400000_NS6detail17trampoline_kernelINS0_14default_configENS1_20scan_config_selectorIN3c108BFloat16EEEZZNS1_9scan_implILNS1_25lookback_scan_determinismE0ELb0ELb0ES3_PKS6_PS6_S6_ZZZN2at6native31launch_logcumsumexp_cuda_kernelERKNSD_10TensorBaseESH_lENKUlvE_clEvENKUlvE4_clEvEUlS6_S6_E_S6_EEDaPvRmT3_T4_T5_mT6_P12ihipStream_tbENKUlT_T0_E_clISt17integral_constantIbLb0EESY_EEDaST_SU_EUlST_E_NS1_11comp_targetILNS1_3genE10ELNS1_11target_archE1200ELNS1_3gpuE4ELNS1_3repE0EEENS1_30default_config_static_selectorELNS0_4arch9wavefront6targetE1EEEvT1_
		.amdhsa_group_segment_fixed_size 0
		.amdhsa_private_segment_fixed_size 0
		.amdhsa_kernarg_size 96
		.amdhsa_user_sgpr_count 6
		.amdhsa_user_sgpr_private_segment_buffer 1
		.amdhsa_user_sgpr_dispatch_ptr 0
		.amdhsa_user_sgpr_queue_ptr 0
		.amdhsa_user_sgpr_kernarg_segment_ptr 1
		.amdhsa_user_sgpr_dispatch_id 0
		.amdhsa_user_sgpr_flat_scratch_init 0
		.amdhsa_user_sgpr_private_segment_size 0
		.amdhsa_uses_dynamic_stack 0
		.amdhsa_system_sgpr_private_segment_wavefront_offset 0
		.amdhsa_system_sgpr_workgroup_id_x 1
		.amdhsa_system_sgpr_workgroup_id_y 0
		.amdhsa_system_sgpr_workgroup_id_z 0
		.amdhsa_system_sgpr_workgroup_info 0
		.amdhsa_system_vgpr_workitem_id 0
		.amdhsa_next_free_vgpr 1
		.amdhsa_next_free_sgpr 0
		.amdhsa_reserve_vcc 0
		.amdhsa_reserve_flat_scratch 0
		.amdhsa_float_round_mode_32 0
		.amdhsa_float_round_mode_16_64 0
		.amdhsa_float_denorm_mode_32 3
		.amdhsa_float_denorm_mode_16_64 3
		.amdhsa_dx10_clamp 1
		.amdhsa_ieee_mode 1
		.amdhsa_fp16_overflow 0
		.amdhsa_exception_fp_ieee_invalid_op 0
		.amdhsa_exception_fp_denorm_src 0
		.amdhsa_exception_fp_ieee_div_zero 0
		.amdhsa_exception_fp_ieee_overflow 0
		.amdhsa_exception_fp_ieee_underflow 0
		.amdhsa_exception_fp_ieee_inexact 0
		.amdhsa_exception_int_div_zero 0
	.end_amdhsa_kernel
	.section	.text._ZN7rocprim17ROCPRIM_400000_NS6detail17trampoline_kernelINS0_14default_configENS1_20scan_config_selectorIN3c108BFloat16EEEZZNS1_9scan_implILNS1_25lookback_scan_determinismE0ELb0ELb0ES3_PKS6_PS6_S6_ZZZN2at6native31launch_logcumsumexp_cuda_kernelERKNSD_10TensorBaseESH_lENKUlvE_clEvENKUlvE4_clEvEUlS6_S6_E_S6_EEDaPvRmT3_T4_T5_mT6_P12ihipStream_tbENKUlT_T0_E_clISt17integral_constantIbLb0EESY_EEDaST_SU_EUlST_E_NS1_11comp_targetILNS1_3genE10ELNS1_11target_archE1200ELNS1_3gpuE4ELNS1_3repE0EEENS1_30default_config_static_selectorELNS0_4arch9wavefront6targetE1EEEvT1_,"axG",@progbits,_ZN7rocprim17ROCPRIM_400000_NS6detail17trampoline_kernelINS0_14default_configENS1_20scan_config_selectorIN3c108BFloat16EEEZZNS1_9scan_implILNS1_25lookback_scan_determinismE0ELb0ELb0ES3_PKS6_PS6_S6_ZZZN2at6native31launch_logcumsumexp_cuda_kernelERKNSD_10TensorBaseESH_lENKUlvE_clEvENKUlvE4_clEvEUlS6_S6_E_S6_EEDaPvRmT3_T4_T5_mT6_P12ihipStream_tbENKUlT_T0_E_clISt17integral_constantIbLb0EESY_EEDaST_SU_EUlST_E_NS1_11comp_targetILNS1_3genE10ELNS1_11target_archE1200ELNS1_3gpuE4ELNS1_3repE0EEENS1_30default_config_static_selectorELNS0_4arch9wavefront6targetE1EEEvT1_,comdat
.Lfunc_end444:
	.size	_ZN7rocprim17ROCPRIM_400000_NS6detail17trampoline_kernelINS0_14default_configENS1_20scan_config_selectorIN3c108BFloat16EEEZZNS1_9scan_implILNS1_25lookback_scan_determinismE0ELb0ELb0ES3_PKS6_PS6_S6_ZZZN2at6native31launch_logcumsumexp_cuda_kernelERKNSD_10TensorBaseESH_lENKUlvE_clEvENKUlvE4_clEvEUlS6_S6_E_S6_EEDaPvRmT3_T4_T5_mT6_P12ihipStream_tbENKUlT_T0_E_clISt17integral_constantIbLb0EESY_EEDaST_SU_EUlST_E_NS1_11comp_targetILNS1_3genE10ELNS1_11target_archE1200ELNS1_3gpuE4ELNS1_3repE0EEENS1_30default_config_static_selectorELNS0_4arch9wavefront6targetE1EEEvT1_, .Lfunc_end444-_ZN7rocprim17ROCPRIM_400000_NS6detail17trampoline_kernelINS0_14default_configENS1_20scan_config_selectorIN3c108BFloat16EEEZZNS1_9scan_implILNS1_25lookback_scan_determinismE0ELb0ELb0ES3_PKS6_PS6_S6_ZZZN2at6native31launch_logcumsumexp_cuda_kernelERKNSD_10TensorBaseESH_lENKUlvE_clEvENKUlvE4_clEvEUlS6_S6_E_S6_EEDaPvRmT3_T4_T5_mT6_P12ihipStream_tbENKUlT_T0_E_clISt17integral_constantIbLb0EESY_EEDaST_SU_EUlST_E_NS1_11comp_targetILNS1_3genE10ELNS1_11target_archE1200ELNS1_3gpuE4ELNS1_3repE0EEENS1_30default_config_static_selectorELNS0_4arch9wavefront6targetE1EEEvT1_
                                        ; -- End function
	.set _ZN7rocprim17ROCPRIM_400000_NS6detail17trampoline_kernelINS0_14default_configENS1_20scan_config_selectorIN3c108BFloat16EEEZZNS1_9scan_implILNS1_25lookback_scan_determinismE0ELb0ELb0ES3_PKS6_PS6_S6_ZZZN2at6native31launch_logcumsumexp_cuda_kernelERKNSD_10TensorBaseESH_lENKUlvE_clEvENKUlvE4_clEvEUlS6_S6_E_S6_EEDaPvRmT3_T4_T5_mT6_P12ihipStream_tbENKUlT_T0_E_clISt17integral_constantIbLb0EESY_EEDaST_SU_EUlST_E_NS1_11comp_targetILNS1_3genE10ELNS1_11target_archE1200ELNS1_3gpuE4ELNS1_3repE0EEENS1_30default_config_static_selectorELNS0_4arch9wavefront6targetE1EEEvT1_.num_vgpr, 0
	.set _ZN7rocprim17ROCPRIM_400000_NS6detail17trampoline_kernelINS0_14default_configENS1_20scan_config_selectorIN3c108BFloat16EEEZZNS1_9scan_implILNS1_25lookback_scan_determinismE0ELb0ELb0ES3_PKS6_PS6_S6_ZZZN2at6native31launch_logcumsumexp_cuda_kernelERKNSD_10TensorBaseESH_lENKUlvE_clEvENKUlvE4_clEvEUlS6_S6_E_S6_EEDaPvRmT3_T4_T5_mT6_P12ihipStream_tbENKUlT_T0_E_clISt17integral_constantIbLb0EESY_EEDaST_SU_EUlST_E_NS1_11comp_targetILNS1_3genE10ELNS1_11target_archE1200ELNS1_3gpuE4ELNS1_3repE0EEENS1_30default_config_static_selectorELNS0_4arch9wavefront6targetE1EEEvT1_.num_agpr, 0
	.set _ZN7rocprim17ROCPRIM_400000_NS6detail17trampoline_kernelINS0_14default_configENS1_20scan_config_selectorIN3c108BFloat16EEEZZNS1_9scan_implILNS1_25lookback_scan_determinismE0ELb0ELb0ES3_PKS6_PS6_S6_ZZZN2at6native31launch_logcumsumexp_cuda_kernelERKNSD_10TensorBaseESH_lENKUlvE_clEvENKUlvE4_clEvEUlS6_S6_E_S6_EEDaPvRmT3_T4_T5_mT6_P12ihipStream_tbENKUlT_T0_E_clISt17integral_constantIbLb0EESY_EEDaST_SU_EUlST_E_NS1_11comp_targetILNS1_3genE10ELNS1_11target_archE1200ELNS1_3gpuE4ELNS1_3repE0EEENS1_30default_config_static_selectorELNS0_4arch9wavefront6targetE1EEEvT1_.numbered_sgpr, 0
	.set _ZN7rocprim17ROCPRIM_400000_NS6detail17trampoline_kernelINS0_14default_configENS1_20scan_config_selectorIN3c108BFloat16EEEZZNS1_9scan_implILNS1_25lookback_scan_determinismE0ELb0ELb0ES3_PKS6_PS6_S6_ZZZN2at6native31launch_logcumsumexp_cuda_kernelERKNSD_10TensorBaseESH_lENKUlvE_clEvENKUlvE4_clEvEUlS6_S6_E_S6_EEDaPvRmT3_T4_T5_mT6_P12ihipStream_tbENKUlT_T0_E_clISt17integral_constantIbLb0EESY_EEDaST_SU_EUlST_E_NS1_11comp_targetILNS1_3genE10ELNS1_11target_archE1200ELNS1_3gpuE4ELNS1_3repE0EEENS1_30default_config_static_selectorELNS0_4arch9wavefront6targetE1EEEvT1_.num_named_barrier, 0
	.set _ZN7rocprim17ROCPRIM_400000_NS6detail17trampoline_kernelINS0_14default_configENS1_20scan_config_selectorIN3c108BFloat16EEEZZNS1_9scan_implILNS1_25lookback_scan_determinismE0ELb0ELb0ES3_PKS6_PS6_S6_ZZZN2at6native31launch_logcumsumexp_cuda_kernelERKNSD_10TensorBaseESH_lENKUlvE_clEvENKUlvE4_clEvEUlS6_S6_E_S6_EEDaPvRmT3_T4_T5_mT6_P12ihipStream_tbENKUlT_T0_E_clISt17integral_constantIbLb0EESY_EEDaST_SU_EUlST_E_NS1_11comp_targetILNS1_3genE10ELNS1_11target_archE1200ELNS1_3gpuE4ELNS1_3repE0EEENS1_30default_config_static_selectorELNS0_4arch9wavefront6targetE1EEEvT1_.private_seg_size, 0
	.set _ZN7rocprim17ROCPRIM_400000_NS6detail17trampoline_kernelINS0_14default_configENS1_20scan_config_selectorIN3c108BFloat16EEEZZNS1_9scan_implILNS1_25lookback_scan_determinismE0ELb0ELb0ES3_PKS6_PS6_S6_ZZZN2at6native31launch_logcumsumexp_cuda_kernelERKNSD_10TensorBaseESH_lENKUlvE_clEvENKUlvE4_clEvEUlS6_S6_E_S6_EEDaPvRmT3_T4_T5_mT6_P12ihipStream_tbENKUlT_T0_E_clISt17integral_constantIbLb0EESY_EEDaST_SU_EUlST_E_NS1_11comp_targetILNS1_3genE10ELNS1_11target_archE1200ELNS1_3gpuE4ELNS1_3repE0EEENS1_30default_config_static_selectorELNS0_4arch9wavefront6targetE1EEEvT1_.uses_vcc, 0
	.set _ZN7rocprim17ROCPRIM_400000_NS6detail17trampoline_kernelINS0_14default_configENS1_20scan_config_selectorIN3c108BFloat16EEEZZNS1_9scan_implILNS1_25lookback_scan_determinismE0ELb0ELb0ES3_PKS6_PS6_S6_ZZZN2at6native31launch_logcumsumexp_cuda_kernelERKNSD_10TensorBaseESH_lENKUlvE_clEvENKUlvE4_clEvEUlS6_S6_E_S6_EEDaPvRmT3_T4_T5_mT6_P12ihipStream_tbENKUlT_T0_E_clISt17integral_constantIbLb0EESY_EEDaST_SU_EUlST_E_NS1_11comp_targetILNS1_3genE10ELNS1_11target_archE1200ELNS1_3gpuE4ELNS1_3repE0EEENS1_30default_config_static_selectorELNS0_4arch9wavefront6targetE1EEEvT1_.uses_flat_scratch, 0
	.set _ZN7rocprim17ROCPRIM_400000_NS6detail17trampoline_kernelINS0_14default_configENS1_20scan_config_selectorIN3c108BFloat16EEEZZNS1_9scan_implILNS1_25lookback_scan_determinismE0ELb0ELb0ES3_PKS6_PS6_S6_ZZZN2at6native31launch_logcumsumexp_cuda_kernelERKNSD_10TensorBaseESH_lENKUlvE_clEvENKUlvE4_clEvEUlS6_S6_E_S6_EEDaPvRmT3_T4_T5_mT6_P12ihipStream_tbENKUlT_T0_E_clISt17integral_constantIbLb0EESY_EEDaST_SU_EUlST_E_NS1_11comp_targetILNS1_3genE10ELNS1_11target_archE1200ELNS1_3gpuE4ELNS1_3repE0EEENS1_30default_config_static_selectorELNS0_4arch9wavefront6targetE1EEEvT1_.has_dyn_sized_stack, 0
	.set _ZN7rocprim17ROCPRIM_400000_NS6detail17trampoline_kernelINS0_14default_configENS1_20scan_config_selectorIN3c108BFloat16EEEZZNS1_9scan_implILNS1_25lookback_scan_determinismE0ELb0ELb0ES3_PKS6_PS6_S6_ZZZN2at6native31launch_logcumsumexp_cuda_kernelERKNSD_10TensorBaseESH_lENKUlvE_clEvENKUlvE4_clEvEUlS6_S6_E_S6_EEDaPvRmT3_T4_T5_mT6_P12ihipStream_tbENKUlT_T0_E_clISt17integral_constantIbLb0EESY_EEDaST_SU_EUlST_E_NS1_11comp_targetILNS1_3genE10ELNS1_11target_archE1200ELNS1_3gpuE4ELNS1_3repE0EEENS1_30default_config_static_selectorELNS0_4arch9wavefront6targetE1EEEvT1_.has_recursion, 0
	.set _ZN7rocprim17ROCPRIM_400000_NS6detail17trampoline_kernelINS0_14default_configENS1_20scan_config_selectorIN3c108BFloat16EEEZZNS1_9scan_implILNS1_25lookback_scan_determinismE0ELb0ELb0ES3_PKS6_PS6_S6_ZZZN2at6native31launch_logcumsumexp_cuda_kernelERKNSD_10TensorBaseESH_lENKUlvE_clEvENKUlvE4_clEvEUlS6_S6_E_S6_EEDaPvRmT3_T4_T5_mT6_P12ihipStream_tbENKUlT_T0_E_clISt17integral_constantIbLb0EESY_EEDaST_SU_EUlST_E_NS1_11comp_targetILNS1_3genE10ELNS1_11target_archE1200ELNS1_3gpuE4ELNS1_3repE0EEENS1_30default_config_static_selectorELNS0_4arch9wavefront6targetE1EEEvT1_.has_indirect_call, 0
	.section	.AMDGPU.csdata,"",@progbits
; Kernel info:
; codeLenInByte = 0
; TotalNumSgprs: 4
; NumVgprs: 0
; ScratchSize: 0
; MemoryBound: 0
; FloatMode: 240
; IeeeMode: 1
; LDSByteSize: 0 bytes/workgroup (compile time only)
; SGPRBlocks: 0
; VGPRBlocks: 0
; NumSGPRsForWavesPerEU: 4
; NumVGPRsForWavesPerEU: 1
; Occupancy: 10
; WaveLimiterHint : 0
; COMPUTE_PGM_RSRC2:SCRATCH_EN: 0
; COMPUTE_PGM_RSRC2:USER_SGPR: 6
; COMPUTE_PGM_RSRC2:TRAP_HANDLER: 0
; COMPUTE_PGM_RSRC2:TGID_X_EN: 1
; COMPUTE_PGM_RSRC2:TGID_Y_EN: 0
; COMPUTE_PGM_RSRC2:TGID_Z_EN: 0
; COMPUTE_PGM_RSRC2:TIDIG_COMP_CNT: 0
	.section	.text._ZN7rocprim17ROCPRIM_400000_NS6detail17trampoline_kernelINS0_14default_configENS1_20scan_config_selectorIN3c108BFloat16EEEZZNS1_9scan_implILNS1_25lookback_scan_determinismE0ELb0ELb0ES3_PKS6_PS6_S6_ZZZN2at6native31launch_logcumsumexp_cuda_kernelERKNSD_10TensorBaseESH_lENKUlvE_clEvENKUlvE4_clEvEUlS6_S6_E_S6_EEDaPvRmT3_T4_T5_mT6_P12ihipStream_tbENKUlT_T0_E_clISt17integral_constantIbLb0EESY_EEDaST_SU_EUlST_E_NS1_11comp_targetILNS1_3genE9ELNS1_11target_archE1100ELNS1_3gpuE3ELNS1_3repE0EEENS1_30default_config_static_selectorELNS0_4arch9wavefront6targetE1EEEvT1_,"axG",@progbits,_ZN7rocprim17ROCPRIM_400000_NS6detail17trampoline_kernelINS0_14default_configENS1_20scan_config_selectorIN3c108BFloat16EEEZZNS1_9scan_implILNS1_25lookback_scan_determinismE0ELb0ELb0ES3_PKS6_PS6_S6_ZZZN2at6native31launch_logcumsumexp_cuda_kernelERKNSD_10TensorBaseESH_lENKUlvE_clEvENKUlvE4_clEvEUlS6_S6_E_S6_EEDaPvRmT3_T4_T5_mT6_P12ihipStream_tbENKUlT_T0_E_clISt17integral_constantIbLb0EESY_EEDaST_SU_EUlST_E_NS1_11comp_targetILNS1_3genE9ELNS1_11target_archE1100ELNS1_3gpuE3ELNS1_3repE0EEENS1_30default_config_static_selectorELNS0_4arch9wavefront6targetE1EEEvT1_,comdat
	.globl	_ZN7rocprim17ROCPRIM_400000_NS6detail17trampoline_kernelINS0_14default_configENS1_20scan_config_selectorIN3c108BFloat16EEEZZNS1_9scan_implILNS1_25lookback_scan_determinismE0ELb0ELb0ES3_PKS6_PS6_S6_ZZZN2at6native31launch_logcumsumexp_cuda_kernelERKNSD_10TensorBaseESH_lENKUlvE_clEvENKUlvE4_clEvEUlS6_S6_E_S6_EEDaPvRmT3_T4_T5_mT6_P12ihipStream_tbENKUlT_T0_E_clISt17integral_constantIbLb0EESY_EEDaST_SU_EUlST_E_NS1_11comp_targetILNS1_3genE9ELNS1_11target_archE1100ELNS1_3gpuE3ELNS1_3repE0EEENS1_30default_config_static_selectorELNS0_4arch9wavefront6targetE1EEEvT1_ ; -- Begin function _ZN7rocprim17ROCPRIM_400000_NS6detail17trampoline_kernelINS0_14default_configENS1_20scan_config_selectorIN3c108BFloat16EEEZZNS1_9scan_implILNS1_25lookback_scan_determinismE0ELb0ELb0ES3_PKS6_PS6_S6_ZZZN2at6native31launch_logcumsumexp_cuda_kernelERKNSD_10TensorBaseESH_lENKUlvE_clEvENKUlvE4_clEvEUlS6_S6_E_S6_EEDaPvRmT3_T4_T5_mT6_P12ihipStream_tbENKUlT_T0_E_clISt17integral_constantIbLb0EESY_EEDaST_SU_EUlST_E_NS1_11comp_targetILNS1_3genE9ELNS1_11target_archE1100ELNS1_3gpuE3ELNS1_3repE0EEENS1_30default_config_static_selectorELNS0_4arch9wavefront6targetE1EEEvT1_
	.p2align	8
	.type	_ZN7rocprim17ROCPRIM_400000_NS6detail17trampoline_kernelINS0_14default_configENS1_20scan_config_selectorIN3c108BFloat16EEEZZNS1_9scan_implILNS1_25lookback_scan_determinismE0ELb0ELb0ES3_PKS6_PS6_S6_ZZZN2at6native31launch_logcumsumexp_cuda_kernelERKNSD_10TensorBaseESH_lENKUlvE_clEvENKUlvE4_clEvEUlS6_S6_E_S6_EEDaPvRmT3_T4_T5_mT6_P12ihipStream_tbENKUlT_T0_E_clISt17integral_constantIbLb0EESY_EEDaST_SU_EUlST_E_NS1_11comp_targetILNS1_3genE9ELNS1_11target_archE1100ELNS1_3gpuE3ELNS1_3repE0EEENS1_30default_config_static_selectorELNS0_4arch9wavefront6targetE1EEEvT1_,@function
_ZN7rocprim17ROCPRIM_400000_NS6detail17trampoline_kernelINS0_14default_configENS1_20scan_config_selectorIN3c108BFloat16EEEZZNS1_9scan_implILNS1_25lookback_scan_determinismE0ELb0ELb0ES3_PKS6_PS6_S6_ZZZN2at6native31launch_logcumsumexp_cuda_kernelERKNSD_10TensorBaseESH_lENKUlvE_clEvENKUlvE4_clEvEUlS6_S6_E_S6_EEDaPvRmT3_T4_T5_mT6_P12ihipStream_tbENKUlT_T0_E_clISt17integral_constantIbLb0EESY_EEDaST_SU_EUlST_E_NS1_11comp_targetILNS1_3genE9ELNS1_11target_archE1100ELNS1_3gpuE3ELNS1_3repE0EEENS1_30default_config_static_selectorELNS0_4arch9wavefront6targetE1EEEvT1_: ; @_ZN7rocprim17ROCPRIM_400000_NS6detail17trampoline_kernelINS0_14default_configENS1_20scan_config_selectorIN3c108BFloat16EEEZZNS1_9scan_implILNS1_25lookback_scan_determinismE0ELb0ELb0ES3_PKS6_PS6_S6_ZZZN2at6native31launch_logcumsumexp_cuda_kernelERKNSD_10TensorBaseESH_lENKUlvE_clEvENKUlvE4_clEvEUlS6_S6_E_S6_EEDaPvRmT3_T4_T5_mT6_P12ihipStream_tbENKUlT_T0_E_clISt17integral_constantIbLb0EESY_EEDaST_SU_EUlST_E_NS1_11comp_targetILNS1_3genE9ELNS1_11target_archE1100ELNS1_3gpuE3ELNS1_3repE0EEENS1_30default_config_static_selectorELNS0_4arch9wavefront6targetE1EEEvT1_
; %bb.0:
	.section	.rodata,"a",@progbits
	.p2align	6, 0x0
	.amdhsa_kernel _ZN7rocprim17ROCPRIM_400000_NS6detail17trampoline_kernelINS0_14default_configENS1_20scan_config_selectorIN3c108BFloat16EEEZZNS1_9scan_implILNS1_25lookback_scan_determinismE0ELb0ELb0ES3_PKS6_PS6_S6_ZZZN2at6native31launch_logcumsumexp_cuda_kernelERKNSD_10TensorBaseESH_lENKUlvE_clEvENKUlvE4_clEvEUlS6_S6_E_S6_EEDaPvRmT3_T4_T5_mT6_P12ihipStream_tbENKUlT_T0_E_clISt17integral_constantIbLb0EESY_EEDaST_SU_EUlST_E_NS1_11comp_targetILNS1_3genE9ELNS1_11target_archE1100ELNS1_3gpuE3ELNS1_3repE0EEENS1_30default_config_static_selectorELNS0_4arch9wavefront6targetE1EEEvT1_
		.amdhsa_group_segment_fixed_size 0
		.amdhsa_private_segment_fixed_size 0
		.amdhsa_kernarg_size 96
		.amdhsa_user_sgpr_count 6
		.amdhsa_user_sgpr_private_segment_buffer 1
		.amdhsa_user_sgpr_dispatch_ptr 0
		.amdhsa_user_sgpr_queue_ptr 0
		.amdhsa_user_sgpr_kernarg_segment_ptr 1
		.amdhsa_user_sgpr_dispatch_id 0
		.amdhsa_user_sgpr_flat_scratch_init 0
		.amdhsa_user_sgpr_private_segment_size 0
		.amdhsa_uses_dynamic_stack 0
		.amdhsa_system_sgpr_private_segment_wavefront_offset 0
		.amdhsa_system_sgpr_workgroup_id_x 1
		.amdhsa_system_sgpr_workgroup_id_y 0
		.amdhsa_system_sgpr_workgroup_id_z 0
		.amdhsa_system_sgpr_workgroup_info 0
		.amdhsa_system_vgpr_workitem_id 0
		.amdhsa_next_free_vgpr 1
		.amdhsa_next_free_sgpr 0
		.amdhsa_reserve_vcc 0
		.amdhsa_reserve_flat_scratch 0
		.amdhsa_float_round_mode_32 0
		.amdhsa_float_round_mode_16_64 0
		.amdhsa_float_denorm_mode_32 3
		.amdhsa_float_denorm_mode_16_64 3
		.amdhsa_dx10_clamp 1
		.amdhsa_ieee_mode 1
		.amdhsa_fp16_overflow 0
		.amdhsa_exception_fp_ieee_invalid_op 0
		.amdhsa_exception_fp_denorm_src 0
		.amdhsa_exception_fp_ieee_div_zero 0
		.amdhsa_exception_fp_ieee_overflow 0
		.amdhsa_exception_fp_ieee_underflow 0
		.amdhsa_exception_fp_ieee_inexact 0
		.amdhsa_exception_int_div_zero 0
	.end_amdhsa_kernel
	.section	.text._ZN7rocprim17ROCPRIM_400000_NS6detail17trampoline_kernelINS0_14default_configENS1_20scan_config_selectorIN3c108BFloat16EEEZZNS1_9scan_implILNS1_25lookback_scan_determinismE0ELb0ELb0ES3_PKS6_PS6_S6_ZZZN2at6native31launch_logcumsumexp_cuda_kernelERKNSD_10TensorBaseESH_lENKUlvE_clEvENKUlvE4_clEvEUlS6_S6_E_S6_EEDaPvRmT3_T4_T5_mT6_P12ihipStream_tbENKUlT_T0_E_clISt17integral_constantIbLb0EESY_EEDaST_SU_EUlST_E_NS1_11comp_targetILNS1_3genE9ELNS1_11target_archE1100ELNS1_3gpuE3ELNS1_3repE0EEENS1_30default_config_static_selectorELNS0_4arch9wavefront6targetE1EEEvT1_,"axG",@progbits,_ZN7rocprim17ROCPRIM_400000_NS6detail17trampoline_kernelINS0_14default_configENS1_20scan_config_selectorIN3c108BFloat16EEEZZNS1_9scan_implILNS1_25lookback_scan_determinismE0ELb0ELb0ES3_PKS6_PS6_S6_ZZZN2at6native31launch_logcumsumexp_cuda_kernelERKNSD_10TensorBaseESH_lENKUlvE_clEvENKUlvE4_clEvEUlS6_S6_E_S6_EEDaPvRmT3_T4_T5_mT6_P12ihipStream_tbENKUlT_T0_E_clISt17integral_constantIbLb0EESY_EEDaST_SU_EUlST_E_NS1_11comp_targetILNS1_3genE9ELNS1_11target_archE1100ELNS1_3gpuE3ELNS1_3repE0EEENS1_30default_config_static_selectorELNS0_4arch9wavefront6targetE1EEEvT1_,comdat
.Lfunc_end445:
	.size	_ZN7rocprim17ROCPRIM_400000_NS6detail17trampoline_kernelINS0_14default_configENS1_20scan_config_selectorIN3c108BFloat16EEEZZNS1_9scan_implILNS1_25lookback_scan_determinismE0ELb0ELb0ES3_PKS6_PS6_S6_ZZZN2at6native31launch_logcumsumexp_cuda_kernelERKNSD_10TensorBaseESH_lENKUlvE_clEvENKUlvE4_clEvEUlS6_S6_E_S6_EEDaPvRmT3_T4_T5_mT6_P12ihipStream_tbENKUlT_T0_E_clISt17integral_constantIbLb0EESY_EEDaST_SU_EUlST_E_NS1_11comp_targetILNS1_3genE9ELNS1_11target_archE1100ELNS1_3gpuE3ELNS1_3repE0EEENS1_30default_config_static_selectorELNS0_4arch9wavefront6targetE1EEEvT1_, .Lfunc_end445-_ZN7rocprim17ROCPRIM_400000_NS6detail17trampoline_kernelINS0_14default_configENS1_20scan_config_selectorIN3c108BFloat16EEEZZNS1_9scan_implILNS1_25lookback_scan_determinismE0ELb0ELb0ES3_PKS6_PS6_S6_ZZZN2at6native31launch_logcumsumexp_cuda_kernelERKNSD_10TensorBaseESH_lENKUlvE_clEvENKUlvE4_clEvEUlS6_S6_E_S6_EEDaPvRmT3_T4_T5_mT6_P12ihipStream_tbENKUlT_T0_E_clISt17integral_constantIbLb0EESY_EEDaST_SU_EUlST_E_NS1_11comp_targetILNS1_3genE9ELNS1_11target_archE1100ELNS1_3gpuE3ELNS1_3repE0EEENS1_30default_config_static_selectorELNS0_4arch9wavefront6targetE1EEEvT1_
                                        ; -- End function
	.set _ZN7rocprim17ROCPRIM_400000_NS6detail17trampoline_kernelINS0_14default_configENS1_20scan_config_selectorIN3c108BFloat16EEEZZNS1_9scan_implILNS1_25lookback_scan_determinismE0ELb0ELb0ES3_PKS6_PS6_S6_ZZZN2at6native31launch_logcumsumexp_cuda_kernelERKNSD_10TensorBaseESH_lENKUlvE_clEvENKUlvE4_clEvEUlS6_S6_E_S6_EEDaPvRmT3_T4_T5_mT6_P12ihipStream_tbENKUlT_T0_E_clISt17integral_constantIbLb0EESY_EEDaST_SU_EUlST_E_NS1_11comp_targetILNS1_3genE9ELNS1_11target_archE1100ELNS1_3gpuE3ELNS1_3repE0EEENS1_30default_config_static_selectorELNS0_4arch9wavefront6targetE1EEEvT1_.num_vgpr, 0
	.set _ZN7rocprim17ROCPRIM_400000_NS6detail17trampoline_kernelINS0_14default_configENS1_20scan_config_selectorIN3c108BFloat16EEEZZNS1_9scan_implILNS1_25lookback_scan_determinismE0ELb0ELb0ES3_PKS6_PS6_S6_ZZZN2at6native31launch_logcumsumexp_cuda_kernelERKNSD_10TensorBaseESH_lENKUlvE_clEvENKUlvE4_clEvEUlS6_S6_E_S6_EEDaPvRmT3_T4_T5_mT6_P12ihipStream_tbENKUlT_T0_E_clISt17integral_constantIbLb0EESY_EEDaST_SU_EUlST_E_NS1_11comp_targetILNS1_3genE9ELNS1_11target_archE1100ELNS1_3gpuE3ELNS1_3repE0EEENS1_30default_config_static_selectorELNS0_4arch9wavefront6targetE1EEEvT1_.num_agpr, 0
	.set _ZN7rocprim17ROCPRIM_400000_NS6detail17trampoline_kernelINS0_14default_configENS1_20scan_config_selectorIN3c108BFloat16EEEZZNS1_9scan_implILNS1_25lookback_scan_determinismE0ELb0ELb0ES3_PKS6_PS6_S6_ZZZN2at6native31launch_logcumsumexp_cuda_kernelERKNSD_10TensorBaseESH_lENKUlvE_clEvENKUlvE4_clEvEUlS6_S6_E_S6_EEDaPvRmT3_T4_T5_mT6_P12ihipStream_tbENKUlT_T0_E_clISt17integral_constantIbLb0EESY_EEDaST_SU_EUlST_E_NS1_11comp_targetILNS1_3genE9ELNS1_11target_archE1100ELNS1_3gpuE3ELNS1_3repE0EEENS1_30default_config_static_selectorELNS0_4arch9wavefront6targetE1EEEvT1_.numbered_sgpr, 0
	.set _ZN7rocprim17ROCPRIM_400000_NS6detail17trampoline_kernelINS0_14default_configENS1_20scan_config_selectorIN3c108BFloat16EEEZZNS1_9scan_implILNS1_25lookback_scan_determinismE0ELb0ELb0ES3_PKS6_PS6_S6_ZZZN2at6native31launch_logcumsumexp_cuda_kernelERKNSD_10TensorBaseESH_lENKUlvE_clEvENKUlvE4_clEvEUlS6_S6_E_S6_EEDaPvRmT3_T4_T5_mT6_P12ihipStream_tbENKUlT_T0_E_clISt17integral_constantIbLb0EESY_EEDaST_SU_EUlST_E_NS1_11comp_targetILNS1_3genE9ELNS1_11target_archE1100ELNS1_3gpuE3ELNS1_3repE0EEENS1_30default_config_static_selectorELNS0_4arch9wavefront6targetE1EEEvT1_.num_named_barrier, 0
	.set _ZN7rocprim17ROCPRIM_400000_NS6detail17trampoline_kernelINS0_14default_configENS1_20scan_config_selectorIN3c108BFloat16EEEZZNS1_9scan_implILNS1_25lookback_scan_determinismE0ELb0ELb0ES3_PKS6_PS6_S6_ZZZN2at6native31launch_logcumsumexp_cuda_kernelERKNSD_10TensorBaseESH_lENKUlvE_clEvENKUlvE4_clEvEUlS6_S6_E_S6_EEDaPvRmT3_T4_T5_mT6_P12ihipStream_tbENKUlT_T0_E_clISt17integral_constantIbLb0EESY_EEDaST_SU_EUlST_E_NS1_11comp_targetILNS1_3genE9ELNS1_11target_archE1100ELNS1_3gpuE3ELNS1_3repE0EEENS1_30default_config_static_selectorELNS0_4arch9wavefront6targetE1EEEvT1_.private_seg_size, 0
	.set _ZN7rocprim17ROCPRIM_400000_NS6detail17trampoline_kernelINS0_14default_configENS1_20scan_config_selectorIN3c108BFloat16EEEZZNS1_9scan_implILNS1_25lookback_scan_determinismE0ELb0ELb0ES3_PKS6_PS6_S6_ZZZN2at6native31launch_logcumsumexp_cuda_kernelERKNSD_10TensorBaseESH_lENKUlvE_clEvENKUlvE4_clEvEUlS6_S6_E_S6_EEDaPvRmT3_T4_T5_mT6_P12ihipStream_tbENKUlT_T0_E_clISt17integral_constantIbLb0EESY_EEDaST_SU_EUlST_E_NS1_11comp_targetILNS1_3genE9ELNS1_11target_archE1100ELNS1_3gpuE3ELNS1_3repE0EEENS1_30default_config_static_selectorELNS0_4arch9wavefront6targetE1EEEvT1_.uses_vcc, 0
	.set _ZN7rocprim17ROCPRIM_400000_NS6detail17trampoline_kernelINS0_14default_configENS1_20scan_config_selectorIN3c108BFloat16EEEZZNS1_9scan_implILNS1_25lookback_scan_determinismE0ELb0ELb0ES3_PKS6_PS6_S6_ZZZN2at6native31launch_logcumsumexp_cuda_kernelERKNSD_10TensorBaseESH_lENKUlvE_clEvENKUlvE4_clEvEUlS6_S6_E_S6_EEDaPvRmT3_T4_T5_mT6_P12ihipStream_tbENKUlT_T0_E_clISt17integral_constantIbLb0EESY_EEDaST_SU_EUlST_E_NS1_11comp_targetILNS1_3genE9ELNS1_11target_archE1100ELNS1_3gpuE3ELNS1_3repE0EEENS1_30default_config_static_selectorELNS0_4arch9wavefront6targetE1EEEvT1_.uses_flat_scratch, 0
	.set _ZN7rocprim17ROCPRIM_400000_NS6detail17trampoline_kernelINS0_14default_configENS1_20scan_config_selectorIN3c108BFloat16EEEZZNS1_9scan_implILNS1_25lookback_scan_determinismE0ELb0ELb0ES3_PKS6_PS6_S6_ZZZN2at6native31launch_logcumsumexp_cuda_kernelERKNSD_10TensorBaseESH_lENKUlvE_clEvENKUlvE4_clEvEUlS6_S6_E_S6_EEDaPvRmT3_T4_T5_mT6_P12ihipStream_tbENKUlT_T0_E_clISt17integral_constantIbLb0EESY_EEDaST_SU_EUlST_E_NS1_11comp_targetILNS1_3genE9ELNS1_11target_archE1100ELNS1_3gpuE3ELNS1_3repE0EEENS1_30default_config_static_selectorELNS0_4arch9wavefront6targetE1EEEvT1_.has_dyn_sized_stack, 0
	.set _ZN7rocprim17ROCPRIM_400000_NS6detail17trampoline_kernelINS0_14default_configENS1_20scan_config_selectorIN3c108BFloat16EEEZZNS1_9scan_implILNS1_25lookback_scan_determinismE0ELb0ELb0ES3_PKS6_PS6_S6_ZZZN2at6native31launch_logcumsumexp_cuda_kernelERKNSD_10TensorBaseESH_lENKUlvE_clEvENKUlvE4_clEvEUlS6_S6_E_S6_EEDaPvRmT3_T4_T5_mT6_P12ihipStream_tbENKUlT_T0_E_clISt17integral_constantIbLb0EESY_EEDaST_SU_EUlST_E_NS1_11comp_targetILNS1_3genE9ELNS1_11target_archE1100ELNS1_3gpuE3ELNS1_3repE0EEENS1_30default_config_static_selectorELNS0_4arch9wavefront6targetE1EEEvT1_.has_recursion, 0
	.set _ZN7rocprim17ROCPRIM_400000_NS6detail17trampoline_kernelINS0_14default_configENS1_20scan_config_selectorIN3c108BFloat16EEEZZNS1_9scan_implILNS1_25lookback_scan_determinismE0ELb0ELb0ES3_PKS6_PS6_S6_ZZZN2at6native31launch_logcumsumexp_cuda_kernelERKNSD_10TensorBaseESH_lENKUlvE_clEvENKUlvE4_clEvEUlS6_S6_E_S6_EEDaPvRmT3_T4_T5_mT6_P12ihipStream_tbENKUlT_T0_E_clISt17integral_constantIbLb0EESY_EEDaST_SU_EUlST_E_NS1_11comp_targetILNS1_3genE9ELNS1_11target_archE1100ELNS1_3gpuE3ELNS1_3repE0EEENS1_30default_config_static_selectorELNS0_4arch9wavefront6targetE1EEEvT1_.has_indirect_call, 0
	.section	.AMDGPU.csdata,"",@progbits
; Kernel info:
; codeLenInByte = 0
; TotalNumSgprs: 4
; NumVgprs: 0
; ScratchSize: 0
; MemoryBound: 0
; FloatMode: 240
; IeeeMode: 1
; LDSByteSize: 0 bytes/workgroup (compile time only)
; SGPRBlocks: 0
; VGPRBlocks: 0
; NumSGPRsForWavesPerEU: 4
; NumVGPRsForWavesPerEU: 1
; Occupancy: 10
; WaveLimiterHint : 0
; COMPUTE_PGM_RSRC2:SCRATCH_EN: 0
; COMPUTE_PGM_RSRC2:USER_SGPR: 6
; COMPUTE_PGM_RSRC2:TRAP_HANDLER: 0
; COMPUTE_PGM_RSRC2:TGID_X_EN: 1
; COMPUTE_PGM_RSRC2:TGID_Y_EN: 0
; COMPUTE_PGM_RSRC2:TGID_Z_EN: 0
; COMPUTE_PGM_RSRC2:TIDIG_COMP_CNT: 0
	.section	.text._ZN7rocprim17ROCPRIM_400000_NS6detail17trampoline_kernelINS0_14default_configENS1_20scan_config_selectorIN3c108BFloat16EEEZZNS1_9scan_implILNS1_25lookback_scan_determinismE0ELb0ELb0ES3_PKS6_PS6_S6_ZZZN2at6native31launch_logcumsumexp_cuda_kernelERKNSD_10TensorBaseESH_lENKUlvE_clEvENKUlvE4_clEvEUlS6_S6_E_S6_EEDaPvRmT3_T4_T5_mT6_P12ihipStream_tbENKUlT_T0_E_clISt17integral_constantIbLb0EESY_EEDaST_SU_EUlST_E_NS1_11comp_targetILNS1_3genE8ELNS1_11target_archE1030ELNS1_3gpuE2ELNS1_3repE0EEENS1_30default_config_static_selectorELNS0_4arch9wavefront6targetE1EEEvT1_,"axG",@progbits,_ZN7rocprim17ROCPRIM_400000_NS6detail17trampoline_kernelINS0_14default_configENS1_20scan_config_selectorIN3c108BFloat16EEEZZNS1_9scan_implILNS1_25lookback_scan_determinismE0ELb0ELb0ES3_PKS6_PS6_S6_ZZZN2at6native31launch_logcumsumexp_cuda_kernelERKNSD_10TensorBaseESH_lENKUlvE_clEvENKUlvE4_clEvEUlS6_S6_E_S6_EEDaPvRmT3_T4_T5_mT6_P12ihipStream_tbENKUlT_T0_E_clISt17integral_constantIbLb0EESY_EEDaST_SU_EUlST_E_NS1_11comp_targetILNS1_3genE8ELNS1_11target_archE1030ELNS1_3gpuE2ELNS1_3repE0EEENS1_30default_config_static_selectorELNS0_4arch9wavefront6targetE1EEEvT1_,comdat
	.globl	_ZN7rocprim17ROCPRIM_400000_NS6detail17trampoline_kernelINS0_14default_configENS1_20scan_config_selectorIN3c108BFloat16EEEZZNS1_9scan_implILNS1_25lookback_scan_determinismE0ELb0ELb0ES3_PKS6_PS6_S6_ZZZN2at6native31launch_logcumsumexp_cuda_kernelERKNSD_10TensorBaseESH_lENKUlvE_clEvENKUlvE4_clEvEUlS6_S6_E_S6_EEDaPvRmT3_T4_T5_mT6_P12ihipStream_tbENKUlT_T0_E_clISt17integral_constantIbLb0EESY_EEDaST_SU_EUlST_E_NS1_11comp_targetILNS1_3genE8ELNS1_11target_archE1030ELNS1_3gpuE2ELNS1_3repE0EEENS1_30default_config_static_selectorELNS0_4arch9wavefront6targetE1EEEvT1_ ; -- Begin function _ZN7rocprim17ROCPRIM_400000_NS6detail17trampoline_kernelINS0_14default_configENS1_20scan_config_selectorIN3c108BFloat16EEEZZNS1_9scan_implILNS1_25lookback_scan_determinismE0ELb0ELb0ES3_PKS6_PS6_S6_ZZZN2at6native31launch_logcumsumexp_cuda_kernelERKNSD_10TensorBaseESH_lENKUlvE_clEvENKUlvE4_clEvEUlS6_S6_E_S6_EEDaPvRmT3_T4_T5_mT6_P12ihipStream_tbENKUlT_T0_E_clISt17integral_constantIbLb0EESY_EEDaST_SU_EUlST_E_NS1_11comp_targetILNS1_3genE8ELNS1_11target_archE1030ELNS1_3gpuE2ELNS1_3repE0EEENS1_30default_config_static_selectorELNS0_4arch9wavefront6targetE1EEEvT1_
	.p2align	8
	.type	_ZN7rocprim17ROCPRIM_400000_NS6detail17trampoline_kernelINS0_14default_configENS1_20scan_config_selectorIN3c108BFloat16EEEZZNS1_9scan_implILNS1_25lookback_scan_determinismE0ELb0ELb0ES3_PKS6_PS6_S6_ZZZN2at6native31launch_logcumsumexp_cuda_kernelERKNSD_10TensorBaseESH_lENKUlvE_clEvENKUlvE4_clEvEUlS6_S6_E_S6_EEDaPvRmT3_T4_T5_mT6_P12ihipStream_tbENKUlT_T0_E_clISt17integral_constantIbLb0EESY_EEDaST_SU_EUlST_E_NS1_11comp_targetILNS1_3genE8ELNS1_11target_archE1030ELNS1_3gpuE2ELNS1_3repE0EEENS1_30default_config_static_selectorELNS0_4arch9wavefront6targetE1EEEvT1_,@function
_ZN7rocprim17ROCPRIM_400000_NS6detail17trampoline_kernelINS0_14default_configENS1_20scan_config_selectorIN3c108BFloat16EEEZZNS1_9scan_implILNS1_25lookback_scan_determinismE0ELb0ELb0ES3_PKS6_PS6_S6_ZZZN2at6native31launch_logcumsumexp_cuda_kernelERKNSD_10TensorBaseESH_lENKUlvE_clEvENKUlvE4_clEvEUlS6_S6_E_S6_EEDaPvRmT3_T4_T5_mT6_P12ihipStream_tbENKUlT_T0_E_clISt17integral_constantIbLb0EESY_EEDaST_SU_EUlST_E_NS1_11comp_targetILNS1_3genE8ELNS1_11target_archE1030ELNS1_3gpuE2ELNS1_3repE0EEENS1_30default_config_static_selectorELNS0_4arch9wavefront6targetE1EEEvT1_: ; @_ZN7rocprim17ROCPRIM_400000_NS6detail17trampoline_kernelINS0_14default_configENS1_20scan_config_selectorIN3c108BFloat16EEEZZNS1_9scan_implILNS1_25lookback_scan_determinismE0ELb0ELb0ES3_PKS6_PS6_S6_ZZZN2at6native31launch_logcumsumexp_cuda_kernelERKNSD_10TensorBaseESH_lENKUlvE_clEvENKUlvE4_clEvEUlS6_S6_E_S6_EEDaPvRmT3_T4_T5_mT6_P12ihipStream_tbENKUlT_T0_E_clISt17integral_constantIbLb0EESY_EEDaST_SU_EUlST_E_NS1_11comp_targetILNS1_3genE8ELNS1_11target_archE1030ELNS1_3gpuE2ELNS1_3repE0EEENS1_30default_config_static_selectorELNS0_4arch9wavefront6targetE1EEEvT1_
; %bb.0:
	.section	.rodata,"a",@progbits
	.p2align	6, 0x0
	.amdhsa_kernel _ZN7rocprim17ROCPRIM_400000_NS6detail17trampoline_kernelINS0_14default_configENS1_20scan_config_selectorIN3c108BFloat16EEEZZNS1_9scan_implILNS1_25lookback_scan_determinismE0ELb0ELb0ES3_PKS6_PS6_S6_ZZZN2at6native31launch_logcumsumexp_cuda_kernelERKNSD_10TensorBaseESH_lENKUlvE_clEvENKUlvE4_clEvEUlS6_S6_E_S6_EEDaPvRmT3_T4_T5_mT6_P12ihipStream_tbENKUlT_T0_E_clISt17integral_constantIbLb0EESY_EEDaST_SU_EUlST_E_NS1_11comp_targetILNS1_3genE8ELNS1_11target_archE1030ELNS1_3gpuE2ELNS1_3repE0EEENS1_30default_config_static_selectorELNS0_4arch9wavefront6targetE1EEEvT1_
		.amdhsa_group_segment_fixed_size 0
		.amdhsa_private_segment_fixed_size 0
		.amdhsa_kernarg_size 96
		.amdhsa_user_sgpr_count 6
		.amdhsa_user_sgpr_private_segment_buffer 1
		.amdhsa_user_sgpr_dispatch_ptr 0
		.amdhsa_user_sgpr_queue_ptr 0
		.amdhsa_user_sgpr_kernarg_segment_ptr 1
		.amdhsa_user_sgpr_dispatch_id 0
		.amdhsa_user_sgpr_flat_scratch_init 0
		.amdhsa_user_sgpr_private_segment_size 0
		.amdhsa_uses_dynamic_stack 0
		.amdhsa_system_sgpr_private_segment_wavefront_offset 0
		.amdhsa_system_sgpr_workgroup_id_x 1
		.amdhsa_system_sgpr_workgroup_id_y 0
		.amdhsa_system_sgpr_workgroup_id_z 0
		.amdhsa_system_sgpr_workgroup_info 0
		.amdhsa_system_vgpr_workitem_id 0
		.amdhsa_next_free_vgpr 1
		.amdhsa_next_free_sgpr 0
		.amdhsa_reserve_vcc 0
		.amdhsa_reserve_flat_scratch 0
		.amdhsa_float_round_mode_32 0
		.amdhsa_float_round_mode_16_64 0
		.amdhsa_float_denorm_mode_32 3
		.amdhsa_float_denorm_mode_16_64 3
		.amdhsa_dx10_clamp 1
		.amdhsa_ieee_mode 1
		.amdhsa_fp16_overflow 0
		.amdhsa_exception_fp_ieee_invalid_op 0
		.amdhsa_exception_fp_denorm_src 0
		.amdhsa_exception_fp_ieee_div_zero 0
		.amdhsa_exception_fp_ieee_overflow 0
		.amdhsa_exception_fp_ieee_underflow 0
		.amdhsa_exception_fp_ieee_inexact 0
		.amdhsa_exception_int_div_zero 0
	.end_amdhsa_kernel
	.section	.text._ZN7rocprim17ROCPRIM_400000_NS6detail17trampoline_kernelINS0_14default_configENS1_20scan_config_selectorIN3c108BFloat16EEEZZNS1_9scan_implILNS1_25lookback_scan_determinismE0ELb0ELb0ES3_PKS6_PS6_S6_ZZZN2at6native31launch_logcumsumexp_cuda_kernelERKNSD_10TensorBaseESH_lENKUlvE_clEvENKUlvE4_clEvEUlS6_S6_E_S6_EEDaPvRmT3_T4_T5_mT6_P12ihipStream_tbENKUlT_T0_E_clISt17integral_constantIbLb0EESY_EEDaST_SU_EUlST_E_NS1_11comp_targetILNS1_3genE8ELNS1_11target_archE1030ELNS1_3gpuE2ELNS1_3repE0EEENS1_30default_config_static_selectorELNS0_4arch9wavefront6targetE1EEEvT1_,"axG",@progbits,_ZN7rocprim17ROCPRIM_400000_NS6detail17trampoline_kernelINS0_14default_configENS1_20scan_config_selectorIN3c108BFloat16EEEZZNS1_9scan_implILNS1_25lookback_scan_determinismE0ELb0ELb0ES3_PKS6_PS6_S6_ZZZN2at6native31launch_logcumsumexp_cuda_kernelERKNSD_10TensorBaseESH_lENKUlvE_clEvENKUlvE4_clEvEUlS6_S6_E_S6_EEDaPvRmT3_T4_T5_mT6_P12ihipStream_tbENKUlT_T0_E_clISt17integral_constantIbLb0EESY_EEDaST_SU_EUlST_E_NS1_11comp_targetILNS1_3genE8ELNS1_11target_archE1030ELNS1_3gpuE2ELNS1_3repE0EEENS1_30default_config_static_selectorELNS0_4arch9wavefront6targetE1EEEvT1_,comdat
.Lfunc_end446:
	.size	_ZN7rocprim17ROCPRIM_400000_NS6detail17trampoline_kernelINS0_14default_configENS1_20scan_config_selectorIN3c108BFloat16EEEZZNS1_9scan_implILNS1_25lookback_scan_determinismE0ELb0ELb0ES3_PKS6_PS6_S6_ZZZN2at6native31launch_logcumsumexp_cuda_kernelERKNSD_10TensorBaseESH_lENKUlvE_clEvENKUlvE4_clEvEUlS6_S6_E_S6_EEDaPvRmT3_T4_T5_mT6_P12ihipStream_tbENKUlT_T0_E_clISt17integral_constantIbLb0EESY_EEDaST_SU_EUlST_E_NS1_11comp_targetILNS1_3genE8ELNS1_11target_archE1030ELNS1_3gpuE2ELNS1_3repE0EEENS1_30default_config_static_selectorELNS0_4arch9wavefront6targetE1EEEvT1_, .Lfunc_end446-_ZN7rocprim17ROCPRIM_400000_NS6detail17trampoline_kernelINS0_14default_configENS1_20scan_config_selectorIN3c108BFloat16EEEZZNS1_9scan_implILNS1_25lookback_scan_determinismE0ELb0ELb0ES3_PKS6_PS6_S6_ZZZN2at6native31launch_logcumsumexp_cuda_kernelERKNSD_10TensorBaseESH_lENKUlvE_clEvENKUlvE4_clEvEUlS6_S6_E_S6_EEDaPvRmT3_T4_T5_mT6_P12ihipStream_tbENKUlT_T0_E_clISt17integral_constantIbLb0EESY_EEDaST_SU_EUlST_E_NS1_11comp_targetILNS1_3genE8ELNS1_11target_archE1030ELNS1_3gpuE2ELNS1_3repE0EEENS1_30default_config_static_selectorELNS0_4arch9wavefront6targetE1EEEvT1_
                                        ; -- End function
	.set _ZN7rocprim17ROCPRIM_400000_NS6detail17trampoline_kernelINS0_14default_configENS1_20scan_config_selectorIN3c108BFloat16EEEZZNS1_9scan_implILNS1_25lookback_scan_determinismE0ELb0ELb0ES3_PKS6_PS6_S6_ZZZN2at6native31launch_logcumsumexp_cuda_kernelERKNSD_10TensorBaseESH_lENKUlvE_clEvENKUlvE4_clEvEUlS6_S6_E_S6_EEDaPvRmT3_T4_T5_mT6_P12ihipStream_tbENKUlT_T0_E_clISt17integral_constantIbLb0EESY_EEDaST_SU_EUlST_E_NS1_11comp_targetILNS1_3genE8ELNS1_11target_archE1030ELNS1_3gpuE2ELNS1_3repE0EEENS1_30default_config_static_selectorELNS0_4arch9wavefront6targetE1EEEvT1_.num_vgpr, 0
	.set _ZN7rocprim17ROCPRIM_400000_NS6detail17trampoline_kernelINS0_14default_configENS1_20scan_config_selectorIN3c108BFloat16EEEZZNS1_9scan_implILNS1_25lookback_scan_determinismE0ELb0ELb0ES3_PKS6_PS6_S6_ZZZN2at6native31launch_logcumsumexp_cuda_kernelERKNSD_10TensorBaseESH_lENKUlvE_clEvENKUlvE4_clEvEUlS6_S6_E_S6_EEDaPvRmT3_T4_T5_mT6_P12ihipStream_tbENKUlT_T0_E_clISt17integral_constantIbLb0EESY_EEDaST_SU_EUlST_E_NS1_11comp_targetILNS1_3genE8ELNS1_11target_archE1030ELNS1_3gpuE2ELNS1_3repE0EEENS1_30default_config_static_selectorELNS0_4arch9wavefront6targetE1EEEvT1_.num_agpr, 0
	.set _ZN7rocprim17ROCPRIM_400000_NS6detail17trampoline_kernelINS0_14default_configENS1_20scan_config_selectorIN3c108BFloat16EEEZZNS1_9scan_implILNS1_25lookback_scan_determinismE0ELb0ELb0ES3_PKS6_PS6_S6_ZZZN2at6native31launch_logcumsumexp_cuda_kernelERKNSD_10TensorBaseESH_lENKUlvE_clEvENKUlvE4_clEvEUlS6_S6_E_S6_EEDaPvRmT3_T4_T5_mT6_P12ihipStream_tbENKUlT_T0_E_clISt17integral_constantIbLb0EESY_EEDaST_SU_EUlST_E_NS1_11comp_targetILNS1_3genE8ELNS1_11target_archE1030ELNS1_3gpuE2ELNS1_3repE0EEENS1_30default_config_static_selectorELNS0_4arch9wavefront6targetE1EEEvT1_.numbered_sgpr, 0
	.set _ZN7rocprim17ROCPRIM_400000_NS6detail17trampoline_kernelINS0_14default_configENS1_20scan_config_selectorIN3c108BFloat16EEEZZNS1_9scan_implILNS1_25lookback_scan_determinismE0ELb0ELb0ES3_PKS6_PS6_S6_ZZZN2at6native31launch_logcumsumexp_cuda_kernelERKNSD_10TensorBaseESH_lENKUlvE_clEvENKUlvE4_clEvEUlS6_S6_E_S6_EEDaPvRmT3_T4_T5_mT6_P12ihipStream_tbENKUlT_T0_E_clISt17integral_constantIbLb0EESY_EEDaST_SU_EUlST_E_NS1_11comp_targetILNS1_3genE8ELNS1_11target_archE1030ELNS1_3gpuE2ELNS1_3repE0EEENS1_30default_config_static_selectorELNS0_4arch9wavefront6targetE1EEEvT1_.num_named_barrier, 0
	.set _ZN7rocprim17ROCPRIM_400000_NS6detail17trampoline_kernelINS0_14default_configENS1_20scan_config_selectorIN3c108BFloat16EEEZZNS1_9scan_implILNS1_25lookback_scan_determinismE0ELb0ELb0ES3_PKS6_PS6_S6_ZZZN2at6native31launch_logcumsumexp_cuda_kernelERKNSD_10TensorBaseESH_lENKUlvE_clEvENKUlvE4_clEvEUlS6_S6_E_S6_EEDaPvRmT3_T4_T5_mT6_P12ihipStream_tbENKUlT_T0_E_clISt17integral_constantIbLb0EESY_EEDaST_SU_EUlST_E_NS1_11comp_targetILNS1_3genE8ELNS1_11target_archE1030ELNS1_3gpuE2ELNS1_3repE0EEENS1_30default_config_static_selectorELNS0_4arch9wavefront6targetE1EEEvT1_.private_seg_size, 0
	.set _ZN7rocprim17ROCPRIM_400000_NS6detail17trampoline_kernelINS0_14default_configENS1_20scan_config_selectorIN3c108BFloat16EEEZZNS1_9scan_implILNS1_25lookback_scan_determinismE0ELb0ELb0ES3_PKS6_PS6_S6_ZZZN2at6native31launch_logcumsumexp_cuda_kernelERKNSD_10TensorBaseESH_lENKUlvE_clEvENKUlvE4_clEvEUlS6_S6_E_S6_EEDaPvRmT3_T4_T5_mT6_P12ihipStream_tbENKUlT_T0_E_clISt17integral_constantIbLb0EESY_EEDaST_SU_EUlST_E_NS1_11comp_targetILNS1_3genE8ELNS1_11target_archE1030ELNS1_3gpuE2ELNS1_3repE0EEENS1_30default_config_static_selectorELNS0_4arch9wavefront6targetE1EEEvT1_.uses_vcc, 0
	.set _ZN7rocprim17ROCPRIM_400000_NS6detail17trampoline_kernelINS0_14default_configENS1_20scan_config_selectorIN3c108BFloat16EEEZZNS1_9scan_implILNS1_25lookback_scan_determinismE0ELb0ELb0ES3_PKS6_PS6_S6_ZZZN2at6native31launch_logcumsumexp_cuda_kernelERKNSD_10TensorBaseESH_lENKUlvE_clEvENKUlvE4_clEvEUlS6_S6_E_S6_EEDaPvRmT3_T4_T5_mT6_P12ihipStream_tbENKUlT_T0_E_clISt17integral_constantIbLb0EESY_EEDaST_SU_EUlST_E_NS1_11comp_targetILNS1_3genE8ELNS1_11target_archE1030ELNS1_3gpuE2ELNS1_3repE0EEENS1_30default_config_static_selectorELNS0_4arch9wavefront6targetE1EEEvT1_.uses_flat_scratch, 0
	.set _ZN7rocprim17ROCPRIM_400000_NS6detail17trampoline_kernelINS0_14default_configENS1_20scan_config_selectorIN3c108BFloat16EEEZZNS1_9scan_implILNS1_25lookback_scan_determinismE0ELb0ELb0ES3_PKS6_PS6_S6_ZZZN2at6native31launch_logcumsumexp_cuda_kernelERKNSD_10TensorBaseESH_lENKUlvE_clEvENKUlvE4_clEvEUlS6_S6_E_S6_EEDaPvRmT3_T4_T5_mT6_P12ihipStream_tbENKUlT_T0_E_clISt17integral_constantIbLb0EESY_EEDaST_SU_EUlST_E_NS1_11comp_targetILNS1_3genE8ELNS1_11target_archE1030ELNS1_3gpuE2ELNS1_3repE0EEENS1_30default_config_static_selectorELNS0_4arch9wavefront6targetE1EEEvT1_.has_dyn_sized_stack, 0
	.set _ZN7rocprim17ROCPRIM_400000_NS6detail17trampoline_kernelINS0_14default_configENS1_20scan_config_selectorIN3c108BFloat16EEEZZNS1_9scan_implILNS1_25lookback_scan_determinismE0ELb0ELb0ES3_PKS6_PS6_S6_ZZZN2at6native31launch_logcumsumexp_cuda_kernelERKNSD_10TensorBaseESH_lENKUlvE_clEvENKUlvE4_clEvEUlS6_S6_E_S6_EEDaPvRmT3_T4_T5_mT6_P12ihipStream_tbENKUlT_T0_E_clISt17integral_constantIbLb0EESY_EEDaST_SU_EUlST_E_NS1_11comp_targetILNS1_3genE8ELNS1_11target_archE1030ELNS1_3gpuE2ELNS1_3repE0EEENS1_30default_config_static_selectorELNS0_4arch9wavefront6targetE1EEEvT1_.has_recursion, 0
	.set _ZN7rocprim17ROCPRIM_400000_NS6detail17trampoline_kernelINS0_14default_configENS1_20scan_config_selectorIN3c108BFloat16EEEZZNS1_9scan_implILNS1_25lookback_scan_determinismE0ELb0ELb0ES3_PKS6_PS6_S6_ZZZN2at6native31launch_logcumsumexp_cuda_kernelERKNSD_10TensorBaseESH_lENKUlvE_clEvENKUlvE4_clEvEUlS6_S6_E_S6_EEDaPvRmT3_T4_T5_mT6_P12ihipStream_tbENKUlT_T0_E_clISt17integral_constantIbLb0EESY_EEDaST_SU_EUlST_E_NS1_11comp_targetILNS1_3genE8ELNS1_11target_archE1030ELNS1_3gpuE2ELNS1_3repE0EEENS1_30default_config_static_selectorELNS0_4arch9wavefront6targetE1EEEvT1_.has_indirect_call, 0
	.section	.AMDGPU.csdata,"",@progbits
; Kernel info:
; codeLenInByte = 0
; TotalNumSgprs: 4
; NumVgprs: 0
; ScratchSize: 0
; MemoryBound: 0
; FloatMode: 240
; IeeeMode: 1
; LDSByteSize: 0 bytes/workgroup (compile time only)
; SGPRBlocks: 0
; VGPRBlocks: 0
; NumSGPRsForWavesPerEU: 4
; NumVGPRsForWavesPerEU: 1
; Occupancy: 10
; WaveLimiterHint : 0
; COMPUTE_PGM_RSRC2:SCRATCH_EN: 0
; COMPUTE_PGM_RSRC2:USER_SGPR: 6
; COMPUTE_PGM_RSRC2:TRAP_HANDLER: 0
; COMPUTE_PGM_RSRC2:TGID_X_EN: 1
; COMPUTE_PGM_RSRC2:TGID_Y_EN: 0
; COMPUTE_PGM_RSRC2:TGID_Z_EN: 0
; COMPUTE_PGM_RSRC2:TIDIG_COMP_CNT: 0
	.section	.text._ZN7rocprim17ROCPRIM_400000_NS6detail17trampoline_kernelINS0_14default_configENS1_25transform_config_selectorIN3c108BFloat16ELb1EEEZNS1_14transform_implILb1ES3_S7_PS6_S9_NS0_8identityIS6_EEEE10hipError_tT2_T3_mT4_P12ihipStream_tbEUlT_E_NS1_11comp_targetILNS1_3genE0ELNS1_11target_archE4294967295ELNS1_3gpuE0ELNS1_3repE0EEENS1_30default_config_static_selectorELNS0_4arch9wavefront6targetE1EEEvT1_,"axG",@progbits,_ZN7rocprim17ROCPRIM_400000_NS6detail17trampoline_kernelINS0_14default_configENS1_25transform_config_selectorIN3c108BFloat16ELb1EEEZNS1_14transform_implILb1ES3_S7_PS6_S9_NS0_8identityIS6_EEEE10hipError_tT2_T3_mT4_P12ihipStream_tbEUlT_E_NS1_11comp_targetILNS1_3genE0ELNS1_11target_archE4294967295ELNS1_3gpuE0ELNS1_3repE0EEENS1_30default_config_static_selectorELNS0_4arch9wavefront6targetE1EEEvT1_,comdat
	.protected	_ZN7rocprim17ROCPRIM_400000_NS6detail17trampoline_kernelINS0_14default_configENS1_25transform_config_selectorIN3c108BFloat16ELb1EEEZNS1_14transform_implILb1ES3_S7_PS6_S9_NS0_8identityIS6_EEEE10hipError_tT2_T3_mT4_P12ihipStream_tbEUlT_E_NS1_11comp_targetILNS1_3genE0ELNS1_11target_archE4294967295ELNS1_3gpuE0ELNS1_3repE0EEENS1_30default_config_static_selectorELNS0_4arch9wavefront6targetE1EEEvT1_ ; -- Begin function _ZN7rocprim17ROCPRIM_400000_NS6detail17trampoline_kernelINS0_14default_configENS1_25transform_config_selectorIN3c108BFloat16ELb1EEEZNS1_14transform_implILb1ES3_S7_PS6_S9_NS0_8identityIS6_EEEE10hipError_tT2_T3_mT4_P12ihipStream_tbEUlT_E_NS1_11comp_targetILNS1_3genE0ELNS1_11target_archE4294967295ELNS1_3gpuE0ELNS1_3repE0EEENS1_30default_config_static_selectorELNS0_4arch9wavefront6targetE1EEEvT1_
	.globl	_ZN7rocprim17ROCPRIM_400000_NS6detail17trampoline_kernelINS0_14default_configENS1_25transform_config_selectorIN3c108BFloat16ELb1EEEZNS1_14transform_implILb1ES3_S7_PS6_S9_NS0_8identityIS6_EEEE10hipError_tT2_T3_mT4_P12ihipStream_tbEUlT_E_NS1_11comp_targetILNS1_3genE0ELNS1_11target_archE4294967295ELNS1_3gpuE0ELNS1_3repE0EEENS1_30default_config_static_selectorELNS0_4arch9wavefront6targetE1EEEvT1_
	.p2align	8
	.type	_ZN7rocprim17ROCPRIM_400000_NS6detail17trampoline_kernelINS0_14default_configENS1_25transform_config_selectorIN3c108BFloat16ELb1EEEZNS1_14transform_implILb1ES3_S7_PS6_S9_NS0_8identityIS6_EEEE10hipError_tT2_T3_mT4_P12ihipStream_tbEUlT_E_NS1_11comp_targetILNS1_3genE0ELNS1_11target_archE4294967295ELNS1_3gpuE0ELNS1_3repE0EEENS1_30default_config_static_selectorELNS0_4arch9wavefront6targetE1EEEvT1_,@function
_ZN7rocprim17ROCPRIM_400000_NS6detail17trampoline_kernelINS0_14default_configENS1_25transform_config_selectorIN3c108BFloat16ELb1EEEZNS1_14transform_implILb1ES3_S7_PS6_S9_NS0_8identityIS6_EEEE10hipError_tT2_T3_mT4_P12ihipStream_tbEUlT_E_NS1_11comp_targetILNS1_3genE0ELNS1_11target_archE4294967295ELNS1_3gpuE0ELNS1_3repE0EEENS1_30default_config_static_selectorELNS0_4arch9wavefront6targetE1EEEvT1_: ; @_ZN7rocprim17ROCPRIM_400000_NS6detail17trampoline_kernelINS0_14default_configENS1_25transform_config_selectorIN3c108BFloat16ELb1EEEZNS1_14transform_implILb1ES3_S7_PS6_S9_NS0_8identityIS6_EEEE10hipError_tT2_T3_mT4_P12ihipStream_tbEUlT_E_NS1_11comp_targetILNS1_3genE0ELNS1_11target_archE4294967295ELNS1_3gpuE0ELNS1_3repE0EEENS1_30default_config_static_selectorELNS0_4arch9wavefront6targetE1EEEvT1_
; %bb.0:
	.section	.rodata,"a",@progbits
	.p2align	6, 0x0
	.amdhsa_kernel _ZN7rocprim17ROCPRIM_400000_NS6detail17trampoline_kernelINS0_14default_configENS1_25transform_config_selectorIN3c108BFloat16ELb1EEEZNS1_14transform_implILb1ES3_S7_PS6_S9_NS0_8identityIS6_EEEE10hipError_tT2_T3_mT4_P12ihipStream_tbEUlT_E_NS1_11comp_targetILNS1_3genE0ELNS1_11target_archE4294967295ELNS1_3gpuE0ELNS1_3repE0EEENS1_30default_config_static_selectorELNS0_4arch9wavefront6targetE1EEEvT1_
		.amdhsa_group_segment_fixed_size 0
		.amdhsa_private_segment_fixed_size 0
		.amdhsa_kernarg_size 40
		.amdhsa_user_sgpr_count 6
		.amdhsa_user_sgpr_private_segment_buffer 1
		.amdhsa_user_sgpr_dispatch_ptr 0
		.amdhsa_user_sgpr_queue_ptr 0
		.amdhsa_user_sgpr_kernarg_segment_ptr 1
		.amdhsa_user_sgpr_dispatch_id 0
		.amdhsa_user_sgpr_flat_scratch_init 0
		.amdhsa_user_sgpr_private_segment_size 0
		.amdhsa_uses_dynamic_stack 0
		.amdhsa_system_sgpr_private_segment_wavefront_offset 0
		.amdhsa_system_sgpr_workgroup_id_x 1
		.amdhsa_system_sgpr_workgroup_id_y 0
		.amdhsa_system_sgpr_workgroup_id_z 0
		.amdhsa_system_sgpr_workgroup_info 0
		.amdhsa_system_vgpr_workitem_id 0
		.amdhsa_next_free_vgpr 1
		.amdhsa_next_free_sgpr 0
		.amdhsa_reserve_vcc 0
		.amdhsa_reserve_flat_scratch 0
		.amdhsa_float_round_mode_32 0
		.amdhsa_float_round_mode_16_64 0
		.amdhsa_float_denorm_mode_32 3
		.amdhsa_float_denorm_mode_16_64 3
		.amdhsa_dx10_clamp 1
		.amdhsa_ieee_mode 1
		.amdhsa_fp16_overflow 0
		.amdhsa_exception_fp_ieee_invalid_op 0
		.amdhsa_exception_fp_denorm_src 0
		.amdhsa_exception_fp_ieee_div_zero 0
		.amdhsa_exception_fp_ieee_overflow 0
		.amdhsa_exception_fp_ieee_underflow 0
		.amdhsa_exception_fp_ieee_inexact 0
		.amdhsa_exception_int_div_zero 0
	.end_amdhsa_kernel
	.section	.text._ZN7rocprim17ROCPRIM_400000_NS6detail17trampoline_kernelINS0_14default_configENS1_25transform_config_selectorIN3c108BFloat16ELb1EEEZNS1_14transform_implILb1ES3_S7_PS6_S9_NS0_8identityIS6_EEEE10hipError_tT2_T3_mT4_P12ihipStream_tbEUlT_E_NS1_11comp_targetILNS1_3genE0ELNS1_11target_archE4294967295ELNS1_3gpuE0ELNS1_3repE0EEENS1_30default_config_static_selectorELNS0_4arch9wavefront6targetE1EEEvT1_,"axG",@progbits,_ZN7rocprim17ROCPRIM_400000_NS6detail17trampoline_kernelINS0_14default_configENS1_25transform_config_selectorIN3c108BFloat16ELb1EEEZNS1_14transform_implILb1ES3_S7_PS6_S9_NS0_8identityIS6_EEEE10hipError_tT2_T3_mT4_P12ihipStream_tbEUlT_E_NS1_11comp_targetILNS1_3genE0ELNS1_11target_archE4294967295ELNS1_3gpuE0ELNS1_3repE0EEENS1_30default_config_static_selectorELNS0_4arch9wavefront6targetE1EEEvT1_,comdat
.Lfunc_end447:
	.size	_ZN7rocprim17ROCPRIM_400000_NS6detail17trampoline_kernelINS0_14default_configENS1_25transform_config_selectorIN3c108BFloat16ELb1EEEZNS1_14transform_implILb1ES3_S7_PS6_S9_NS0_8identityIS6_EEEE10hipError_tT2_T3_mT4_P12ihipStream_tbEUlT_E_NS1_11comp_targetILNS1_3genE0ELNS1_11target_archE4294967295ELNS1_3gpuE0ELNS1_3repE0EEENS1_30default_config_static_selectorELNS0_4arch9wavefront6targetE1EEEvT1_, .Lfunc_end447-_ZN7rocprim17ROCPRIM_400000_NS6detail17trampoline_kernelINS0_14default_configENS1_25transform_config_selectorIN3c108BFloat16ELb1EEEZNS1_14transform_implILb1ES3_S7_PS6_S9_NS0_8identityIS6_EEEE10hipError_tT2_T3_mT4_P12ihipStream_tbEUlT_E_NS1_11comp_targetILNS1_3genE0ELNS1_11target_archE4294967295ELNS1_3gpuE0ELNS1_3repE0EEENS1_30default_config_static_selectorELNS0_4arch9wavefront6targetE1EEEvT1_
                                        ; -- End function
	.set _ZN7rocprim17ROCPRIM_400000_NS6detail17trampoline_kernelINS0_14default_configENS1_25transform_config_selectorIN3c108BFloat16ELb1EEEZNS1_14transform_implILb1ES3_S7_PS6_S9_NS0_8identityIS6_EEEE10hipError_tT2_T3_mT4_P12ihipStream_tbEUlT_E_NS1_11comp_targetILNS1_3genE0ELNS1_11target_archE4294967295ELNS1_3gpuE0ELNS1_3repE0EEENS1_30default_config_static_selectorELNS0_4arch9wavefront6targetE1EEEvT1_.num_vgpr, 0
	.set _ZN7rocprim17ROCPRIM_400000_NS6detail17trampoline_kernelINS0_14default_configENS1_25transform_config_selectorIN3c108BFloat16ELb1EEEZNS1_14transform_implILb1ES3_S7_PS6_S9_NS0_8identityIS6_EEEE10hipError_tT2_T3_mT4_P12ihipStream_tbEUlT_E_NS1_11comp_targetILNS1_3genE0ELNS1_11target_archE4294967295ELNS1_3gpuE0ELNS1_3repE0EEENS1_30default_config_static_selectorELNS0_4arch9wavefront6targetE1EEEvT1_.num_agpr, 0
	.set _ZN7rocprim17ROCPRIM_400000_NS6detail17trampoline_kernelINS0_14default_configENS1_25transform_config_selectorIN3c108BFloat16ELb1EEEZNS1_14transform_implILb1ES3_S7_PS6_S9_NS0_8identityIS6_EEEE10hipError_tT2_T3_mT4_P12ihipStream_tbEUlT_E_NS1_11comp_targetILNS1_3genE0ELNS1_11target_archE4294967295ELNS1_3gpuE0ELNS1_3repE0EEENS1_30default_config_static_selectorELNS0_4arch9wavefront6targetE1EEEvT1_.numbered_sgpr, 0
	.set _ZN7rocprim17ROCPRIM_400000_NS6detail17trampoline_kernelINS0_14default_configENS1_25transform_config_selectorIN3c108BFloat16ELb1EEEZNS1_14transform_implILb1ES3_S7_PS6_S9_NS0_8identityIS6_EEEE10hipError_tT2_T3_mT4_P12ihipStream_tbEUlT_E_NS1_11comp_targetILNS1_3genE0ELNS1_11target_archE4294967295ELNS1_3gpuE0ELNS1_3repE0EEENS1_30default_config_static_selectorELNS0_4arch9wavefront6targetE1EEEvT1_.num_named_barrier, 0
	.set _ZN7rocprim17ROCPRIM_400000_NS6detail17trampoline_kernelINS0_14default_configENS1_25transform_config_selectorIN3c108BFloat16ELb1EEEZNS1_14transform_implILb1ES3_S7_PS6_S9_NS0_8identityIS6_EEEE10hipError_tT2_T3_mT4_P12ihipStream_tbEUlT_E_NS1_11comp_targetILNS1_3genE0ELNS1_11target_archE4294967295ELNS1_3gpuE0ELNS1_3repE0EEENS1_30default_config_static_selectorELNS0_4arch9wavefront6targetE1EEEvT1_.private_seg_size, 0
	.set _ZN7rocprim17ROCPRIM_400000_NS6detail17trampoline_kernelINS0_14default_configENS1_25transform_config_selectorIN3c108BFloat16ELb1EEEZNS1_14transform_implILb1ES3_S7_PS6_S9_NS0_8identityIS6_EEEE10hipError_tT2_T3_mT4_P12ihipStream_tbEUlT_E_NS1_11comp_targetILNS1_3genE0ELNS1_11target_archE4294967295ELNS1_3gpuE0ELNS1_3repE0EEENS1_30default_config_static_selectorELNS0_4arch9wavefront6targetE1EEEvT1_.uses_vcc, 0
	.set _ZN7rocprim17ROCPRIM_400000_NS6detail17trampoline_kernelINS0_14default_configENS1_25transform_config_selectorIN3c108BFloat16ELb1EEEZNS1_14transform_implILb1ES3_S7_PS6_S9_NS0_8identityIS6_EEEE10hipError_tT2_T3_mT4_P12ihipStream_tbEUlT_E_NS1_11comp_targetILNS1_3genE0ELNS1_11target_archE4294967295ELNS1_3gpuE0ELNS1_3repE0EEENS1_30default_config_static_selectorELNS0_4arch9wavefront6targetE1EEEvT1_.uses_flat_scratch, 0
	.set _ZN7rocprim17ROCPRIM_400000_NS6detail17trampoline_kernelINS0_14default_configENS1_25transform_config_selectorIN3c108BFloat16ELb1EEEZNS1_14transform_implILb1ES3_S7_PS6_S9_NS0_8identityIS6_EEEE10hipError_tT2_T3_mT4_P12ihipStream_tbEUlT_E_NS1_11comp_targetILNS1_3genE0ELNS1_11target_archE4294967295ELNS1_3gpuE0ELNS1_3repE0EEENS1_30default_config_static_selectorELNS0_4arch9wavefront6targetE1EEEvT1_.has_dyn_sized_stack, 0
	.set _ZN7rocprim17ROCPRIM_400000_NS6detail17trampoline_kernelINS0_14default_configENS1_25transform_config_selectorIN3c108BFloat16ELb1EEEZNS1_14transform_implILb1ES3_S7_PS6_S9_NS0_8identityIS6_EEEE10hipError_tT2_T3_mT4_P12ihipStream_tbEUlT_E_NS1_11comp_targetILNS1_3genE0ELNS1_11target_archE4294967295ELNS1_3gpuE0ELNS1_3repE0EEENS1_30default_config_static_selectorELNS0_4arch9wavefront6targetE1EEEvT1_.has_recursion, 0
	.set _ZN7rocprim17ROCPRIM_400000_NS6detail17trampoline_kernelINS0_14default_configENS1_25transform_config_selectorIN3c108BFloat16ELb1EEEZNS1_14transform_implILb1ES3_S7_PS6_S9_NS0_8identityIS6_EEEE10hipError_tT2_T3_mT4_P12ihipStream_tbEUlT_E_NS1_11comp_targetILNS1_3genE0ELNS1_11target_archE4294967295ELNS1_3gpuE0ELNS1_3repE0EEENS1_30default_config_static_selectorELNS0_4arch9wavefront6targetE1EEEvT1_.has_indirect_call, 0
	.section	.AMDGPU.csdata,"",@progbits
; Kernel info:
; codeLenInByte = 0
; TotalNumSgprs: 4
; NumVgprs: 0
; ScratchSize: 0
; MemoryBound: 0
; FloatMode: 240
; IeeeMode: 1
; LDSByteSize: 0 bytes/workgroup (compile time only)
; SGPRBlocks: 0
; VGPRBlocks: 0
; NumSGPRsForWavesPerEU: 4
; NumVGPRsForWavesPerEU: 1
; Occupancy: 10
; WaveLimiterHint : 0
; COMPUTE_PGM_RSRC2:SCRATCH_EN: 0
; COMPUTE_PGM_RSRC2:USER_SGPR: 6
; COMPUTE_PGM_RSRC2:TRAP_HANDLER: 0
; COMPUTE_PGM_RSRC2:TGID_X_EN: 1
; COMPUTE_PGM_RSRC2:TGID_Y_EN: 0
; COMPUTE_PGM_RSRC2:TGID_Z_EN: 0
; COMPUTE_PGM_RSRC2:TIDIG_COMP_CNT: 0
	.section	.text._ZN7rocprim17ROCPRIM_400000_NS6detail17trampoline_kernelINS0_14default_configENS1_25transform_config_selectorIN3c108BFloat16ELb1EEEZNS1_14transform_implILb1ES3_S7_PS6_S9_NS0_8identityIS6_EEEE10hipError_tT2_T3_mT4_P12ihipStream_tbEUlT_E_NS1_11comp_targetILNS1_3genE10ELNS1_11target_archE1201ELNS1_3gpuE5ELNS1_3repE0EEENS1_30default_config_static_selectorELNS0_4arch9wavefront6targetE1EEEvT1_,"axG",@progbits,_ZN7rocprim17ROCPRIM_400000_NS6detail17trampoline_kernelINS0_14default_configENS1_25transform_config_selectorIN3c108BFloat16ELb1EEEZNS1_14transform_implILb1ES3_S7_PS6_S9_NS0_8identityIS6_EEEE10hipError_tT2_T3_mT4_P12ihipStream_tbEUlT_E_NS1_11comp_targetILNS1_3genE10ELNS1_11target_archE1201ELNS1_3gpuE5ELNS1_3repE0EEENS1_30default_config_static_selectorELNS0_4arch9wavefront6targetE1EEEvT1_,comdat
	.protected	_ZN7rocprim17ROCPRIM_400000_NS6detail17trampoline_kernelINS0_14default_configENS1_25transform_config_selectorIN3c108BFloat16ELb1EEEZNS1_14transform_implILb1ES3_S7_PS6_S9_NS0_8identityIS6_EEEE10hipError_tT2_T3_mT4_P12ihipStream_tbEUlT_E_NS1_11comp_targetILNS1_3genE10ELNS1_11target_archE1201ELNS1_3gpuE5ELNS1_3repE0EEENS1_30default_config_static_selectorELNS0_4arch9wavefront6targetE1EEEvT1_ ; -- Begin function _ZN7rocprim17ROCPRIM_400000_NS6detail17trampoline_kernelINS0_14default_configENS1_25transform_config_selectorIN3c108BFloat16ELb1EEEZNS1_14transform_implILb1ES3_S7_PS6_S9_NS0_8identityIS6_EEEE10hipError_tT2_T3_mT4_P12ihipStream_tbEUlT_E_NS1_11comp_targetILNS1_3genE10ELNS1_11target_archE1201ELNS1_3gpuE5ELNS1_3repE0EEENS1_30default_config_static_selectorELNS0_4arch9wavefront6targetE1EEEvT1_
	.globl	_ZN7rocprim17ROCPRIM_400000_NS6detail17trampoline_kernelINS0_14default_configENS1_25transform_config_selectorIN3c108BFloat16ELb1EEEZNS1_14transform_implILb1ES3_S7_PS6_S9_NS0_8identityIS6_EEEE10hipError_tT2_T3_mT4_P12ihipStream_tbEUlT_E_NS1_11comp_targetILNS1_3genE10ELNS1_11target_archE1201ELNS1_3gpuE5ELNS1_3repE0EEENS1_30default_config_static_selectorELNS0_4arch9wavefront6targetE1EEEvT1_
	.p2align	8
	.type	_ZN7rocprim17ROCPRIM_400000_NS6detail17trampoline_kernelINS0_14default_configENS1_25transform_config_selectorIN3c108BFloat16ELb1EEEZNS1_14transform_implILb1ES3_S7_PS6_S9_NS0_8identityIS6_EEEE10hipError_tT2_T3_mT4_P12ihipStream_tbEUlT_E_NS1_11comp_targetILNS1_3genE10ELNS1_11target_archE1201ELNS1_3gpuE5ELNS1_3repE0EEENS1_30default_config_static_selectorELNS0_4arch9wavefront6targetE1EEEvT1_,@function
_ZN7rocprim17ROCPRIM_400000_NS6detail17trampoline_kernelINS0_14default_configENS1_25transform_config_selectorIN3c108BFloat16ELb1EEEZNS1_14transform_implILb1ES3_S7_PS6_S9_NS0_8identityIS6_EEEE10hipError_tT2_T3_mT4_P12ihipStream_tbEUlT_E_NS1_11comp_targetILNS1_3genE10ELNS1_11target_archE1201ELNS1_3gpuE5ELNS1_3repE0EEENS1_30default_config_static_selectorELNS0_4arch9wavefront6targetE1EEEvT1_: ; @_ZN7rocprim17ROCPRIM_400000_NS6detail17trampoline_kernelINS0_14default_configENS1_25transform_config_selectorIN3c108BFloat16ELb1EEEZNS1_14transform_implILb1ES3_S7_PS6_S9_NS0_8identityIS6_EEEE10hipError_tT2_T3_mT4_P12ihipStream_tbEUlT_E_NS1_11comp_targetILNS1_3genE10ELNS1_11target_archE1201ELNS1_3gpuE5ELNS1_3repE0EEENS1_30default_config_static_selectorELNS0_4arch9wavefront6targetE1EEEvT1_
; %bb.0:
	.section	.rodata,"a",@progbits
	.p2align	6, 0x0
	.amdhsa_kernel _ZN7rocprim17ROCPRIM_400000_NS6detail17trampoline_kernelINS0_14default_configENS1_25transform_config_selectorIN3c108BFloat16ELb1EEEZNS1_14transform_implILb1ES3_S7_PS6_S9_NS0_8identityIS6_EEEE10hipError_tT2_T3_mT4_P12ihipStream_tbEUlT_E_NS1_11comp_targetILNS1_3genE10ELNS1_11target_archE1201ELNS1_3gpuE5ELNS1_3repE0EEENS1_30default_config_static_selectorELNS0_4arch9wavefront6targetE1EEEvT1_
		.amdhsa_group_segment_fixed_size 0
		.amdhsa_private_segment_fixed_size 0
		.amdhsa_kernarg_size 40
		.amdhsa_user_sgpr_count 6
		.amdhsa_user_sgpr_private_segment_buffer 1
		.amdhsa_user_sgpr_dispatch_ptr 0
		.amdhsa_user_sgpr_queue_ptr 0
		.amdhsa_user_sgpr_kernarg_segment_ptr 1
		.amdhsa_user_sgpr_dispatch_id 0
		.amdhsa_user_sgpr_flat_scratch_init 0
		.amdhsa_user_sgpr_private_segment_size 0
		.amdhsa_uses_dynamic_stack 0
		.amdhsa_system_sgpr_private_segment_wavefront_offset 0
		.amdhsa_system_sgpr_workgroup_id_x 1
		.amdhsa_system_sgpr_workgroup_id_y 0
		.amdhsa_system_sgpr_workgroup_id_z 0
		.amdhsa_system_sgpr_workgroup_info 0
		.amdhsa_system_vgpr_workitem_id 0
		.amdhsa_next_free_vgpr 1
		.amdhsa_next_free_sgpr 0
		.amdhsa_reserve_vcc 0
		.amdhsa_reserve_flat_scratch 0
		.amdhsa_float_round_mode_32 0
		.amdhsa_float_round_mode_16_64 0
		.amdhsa_float_denorm_mode_32 3
		.amdhsa_float_denorm_mode_16_64 3
		.amdhsa_dx10_clamp 1
		.amdhsa_ieee_mode 1
		.amdhsa_fp16_overflow 0
		.amdhsa_exception_fp_ieee_invalid_op 0
		.amdhsa_exception_fp_denorm_src 0
		.amdhsa_exception_fp_ieee_div_zero 0
		.amdhsa_exception_fp_ieee_overflow 0
		.amdhsa_exception_fp_ieee_underflow 0
		.amdhsa_exception_fp_ieee_inexact 0
		.amdhsa_exception_int_div_zero 0
	.end_amdhsa_kernel
	.section	.text._ZN7rocprim17ROCPRIM_400000_NS6detail17trampoline_kernelINS0_14default_configENS1_25transform_config_selectorIN3c108BFloat16ELb1EEEZNS1_14transform_implILb1ES3_S7_PS6_S9_NS0_8identityIS6_EEEE10hipError_tT2_T3_mT4_P12ihipStream_tbEUlT_E_NS1_11comp_targetILNS1_3genE10ELNS1_11target_archE1201ELNS1_3gpuE5ELNS1_3repE0EEENS1_30default_config_static_selectorELNS0_4arch9wavefront6targetE1EEEvT1_,"axG",@progbits,_ZN7rocprim17ROCPRIM_400000_NS6detail17trampoline_kernelINS0_14default_configENS1_25transform_config_selectorIN3c108BFloat16ELb1EEEZNS1_14transform_implILb1ES3_S7_PS6_S9_NS0_8identityIS6_EEEE10hipError_tT2_T3_mT4_P12ihipStream_tbEUlT_E_NS1_11comp_targetILNS1_3genE10ELNS1_11target_archE1201ELNS1_3gpuE5ELNS1_3repE0EEENS1_30default_config_static_selectorELNS0_4arch9wavefront6targetE1EEEvT1_,comdat
.Lfunc_end448:
	.size	_ZN7rocprim17ROCPRIM_400000_NS6detail17trampoline_kernelINS0_14default_configENS1_25transform_config_selectorIN3c108BFloat16ELb1EEEZNS1_14transform_implILb1ES3_S7_PS6_S9_NS0_8identityIS6_EEEE10hipError_tT2_T3_mT4_P12ihipStream_tbEUlT_E_NS1_11comp_targetILNS1_3genE10ELNS1_11target_archE1201ELNS1_3gpuE5ELNS1_3repE0EEENS1_30default_config_static_selectorELNS0_4arch9wavefront6targetE1EEEvT1_, .Lfunc_end448-_ZN7rocprim17ROCPRIM_400000_NS6detail17trampoline_kernelINS0_14default_configENS1_25transform_config_selectorIN3c108BFloat16ELb1EEEZNS1_14transform_implILb1ES3_S7_PS6_S9_NS0_8identityIS6_EEEE10hipError_tT2_T3_mT4_P12ihipStream_tbEUlT_E_NS1_11comp_targetILNS1_3genE10ELNS1_11target_archE1201ELNS1_3gpuE5ELNS1_3repE0EEENS1_30default_config_static_selectorELNS0_4arch9wavefront6targetE1EEEvT1_
                                        ; -- End function
	.set _ZN7rocprim17ROCPRIM_400000_NS6detail17trampoline_kernelINS0_14default_configENS1_25transform_config_selectorIN3c108BFloat16ELb1EEEZNS1_14transform_implILb1ES3_S7_PS6_S9_NS0_8identityIS6_EEEE10hipError_tT2_T3_mT4_P12ihipStream_tbEUlT_E_NS1_11comp_targetILNS1_3genE10ELNS1_11target_archE1201ELNS1_3gpuE5ELNS1_3repE0EEENS1_30default_config_static_selectorELNS0_4arch9wavefront6targetE1EEEvT1_.num_vgpr, 0
	.set _ZN7rocprim17ROCPRIM_400000_NS6detail17trampoline_kernelINS0_14default_configENS1_25transform_config_selectorIN3c108BFloat16ELb1EEEZNS1_14transform_implILb1ES3_S7_PS6_S9_NS0_8identityIS6_EEEE10hipError_tT2_T3_mT4_P12ihipStream_tbEUlT_E_NS1_11comp_targetILNS1_3genE10ELNS1_11target_archE1201ELNS1_3gpuE5ELNS1_3repE0EEENS1_30default_config_static_selectorELNS0_4arch9wavefront6targetE1EEEvT1_.num_agpr, 0
	.set _ZN7rocprim17ROCPRIM_400000_NS6detail17trampoline_kernelINS0_14default_configENS1_25transform_config_selectorIN3c108BFloat16ELb1EEEZNS1_14transform_implILb1ES3_S7_PS6_S9_NS0_8identityIS6_EEEE10hipError_tT2_T3_mT4_P12ihipStream_tbEUlT_E_NS1_11comp_targetILNS1_3genE10ELNS1_11target_archE1201ELNS1_3gpuE5ELNS1_3repE0EEENS1_30default_config_static_selectorELNS0_4arch9wavefront6targetE1EEEvT1_.numbered_sgpr, 0
	.set _ZN7rocprim17ROCPRIM_400000_NS6detail17trampoline_kernelINS0_14default_configENS1_25transform_config_selectorIN3c108BFloat16ELb1EEEZNS1_14transform_implILb1ES3_S7_PS6_S9_NS0_8identityIS6_EEEE10hipError_tT2_T3_mT4_P12ihipStream_tbEUlT_E_NS1_11comp_targetILNS1_3genE10ELNS1_11target_archE1201ELNS1_3gpuE5ELNS1_3repE0EEENS1_30default_config_static_selectorELNS0_4arch9wavefront6targetE1EEEvT1_.num_named_barrier, 0
	.set _ZN7rocprim17ROCPRIM_400000_NS6detail17trampoline_kernelINS0_14default_configENS1_25transform_config_selectorIN3c108BFloat16ELb1EEEZNS1_14transform_implILb1ES3_S7_PS6_S9_NS0_8identityIS6_EEEE10hipError_tT2_T3_mT4_P12ihipStream_tbEUlT_E_NS1_11comp_targetILNS1_3genE10ELNS1_11target_archE1201ELNS1_3gpuE5ELNS1_3repE0EEENS1_30default_config_static_selectorELNS0_4arch9wavefront6targetE1EEEvT1_.private_seg_size, 0
	.set _ZN7rocprim17ROCPRIM_400000_NS6detail17trampoline_kernelINS0_14default_configENS1_25transform_config_selectorIN3c108BFloat16ELb1EEEZNS1_14transform_implILb1ES3_S7_PS6_S9_NS0_8identityIS6_EEEE10hipError_tT2_T3_mT4_P12ihipStream_tbEUlT_E_NS1_11comp_targetILNS1_3genE10ELNS1_11target_archE1201ELNS1_3gpuE5ELNS1_3repE0EEENS1_30default_config_static_selectorELNS0_4arch9wavefront6targetE1EEEvT1_.uses_vcc, 0
	.set _ZN7rocprim17ROCPRIM_400000_NS6detail17trampoline_kernelINS0_14default_configENS1_25transform_config_selectorIN3c108BFloat16ELb1EEEZNS1_14transform_implILb1ES3_S7_PS6_S9_NS0_8identityIS6_EEEE10hipError_tT2_T3_mT4_P12ihipStream_tbEUlT_E_NS1_11comp_targetILNS1_3genE10ELNS1_11target_archE1201ELNS1_3gpuE5ELNS1_3repE0EEENS1_30default_config_static_selectorELNS0_4arch9wavefront6targetE1EEEvT1_.uses_flat_scratch, 0
	.set _ZN7rocprim17ROCPRIM_400000_NS6detail17trampoline_kernelINS0_14default_configENS1_25transform_config_selectorIN3c108BFloat16ELb1EEEZNS1_14transform_implILb1ES3_S7_PS6_S9_NS0_8identityIS6_EEEE10hipError_tT2_T3_mT4_P12ihipStream_tbEUlT_E_NS1_11comp_targetILNS1_3genE10ELNS1_11target_archE1201ELNS1_3gpuE5ELNS1_3repE0EEENS1_30default_config_static_selectorELNS0_4arch9wavefront6targetE1EEEvT1_.has_dyn_sized_stack, 0
	.set _ZN7rocprim17ROCPRIM_400000_NS6detail17trampoline_kernelINS0_14default_configENS1_25transform_config_selectorIN3c108BFloat16ELb1EEEZNS1_14transform_implILb1ES3_S7_PS6_S9_NS0_8identityIS6_EEEE10hipError_tT2_T3_mT4_P12ihipStream_tbEUlT_E_NS1_11comp_targetILNS1_3genE10ELNS1_11target_archE1201ELNS1_3gpuE5ELNS1_3repE0EEENS1_30default_config_static_selectorELNS0_4arch9wavefront6targetE1EEEvT1_.has_recursion, 0
	.set _ZN7rocprim17ROCPRIM_400000_NS6detail17trampoline_kernelINS0_14default_configENS1_25transform_config_selectorIN3c108BFloat16ELb1EEEZNS1_14transform_implILb1ES3_S7_PS6_S9_NS0_8identityIS6_EEEE10hipError_tT2_T3_mT4_P12ihipStream_tbEUlT_E_NS1_11comp_targetILNS1_3genE10ELNS1_11target_archE1201ELNS1_3gpuE5ELNS1_3repE0EEENS1_30default_config_static_selectorELNS0_4arch9wavefront6targetE1EEEvT1_.has_indirect_call, 0
	.section	.AMDGPU.csdata,"",@progbits
; Kernel info:
; codeLenInByte = 0
; TotalNumSgprs: 4
; NumVgprs: 0
; ScratchSize: 0
; MemoryBound: 0
; FloatMode: 240
; IeeeMode: 1
; LDSByteSize: 0 bytes/workgroup (compile time only)
; SGPRBlocks: 0
; VGPRBlocks: 0
; NumSGPRsForWavesPerEU: 4
; NumVGPRsForWavesPerEU: 1
; Occupancy: 10
; WaveLimiterHint : 0
; COMPUTE_PGM_RSRC2:SCRATCH_EN: 0
; COMPUTE_PGM_RSRC2:USER_SGPR: 6
; COMPUTE_PGM_RSRC2:TRAP_HANDLER: 0
; COMPUTE_PGM_RSRC2:TGID_X_EN: 1
; COMPUTE_PGM_RSRC2:TGID_Y_EN: 0
; COMPUTE_PGM_RSRC2:TGID_Z_EN: 0
; COMPUTE_PGM_RSRC2:TIDIG_COMP_CNT: 0
	.section	.text._ZN7rocprim17ROCPRIM_400000_NS6detail17trampoline_kernelINS0_14default_configENS1_25transform_config_selectorIN3c108BFloat16ELb1EEEZNS1_14transform_implILb1ES3_S7_PS6_S9_NS0_8identityIS6_EEEE10hipError_tT2_T3_mT4_P12ihipStream_tbEUlT_E_NS1_11comp_targetILNS1_3genE5ELNS1_11target_archE942ELNS1_3gpuE9ELNS1_3repE0EEENS1_30default_config_static_selectorELNS0_4arch9wavefront6targetE1EEEvT1_,"axG",@progbits,_ZN7rocprim17ROCPRIM_400000_NS6detail17trampoline_kernelINS0_14default_configENS1_25transform_config_selectorIN3c108BFloat16ELb1EEEZNS1_14transform_implILb1ES3_S7_PS6_S9_NS0_8identityIS6_EEEE10hipError_tT2_T3_mT4_P12ihipStream_tbEUlT_E_NS1_11comp_targetILNS1_3genE5ELNS1_11target_archE942ELNS1_3gpuE9ELNS1_3repE0EEENS1_30default_config_static_selectorELNS0_4arch9wavefront6targetE1EEEvT1_,comdat
	.protected	_ZN7rocprim17ROCPRIM_400000_NS6detail17trampoline_kernelINS0_14default_configENS1_25transform_config_selectorIN3c108BFloat16ELb1EEEZNS1_14transform_implILb1ES3_S7_PS6_S9_NS0_8identityIS6_EEEE10hipError_tT2_T3_mT4_P12ihipStream_tbEUlT_E_NS1_11comp_targetILNS1_3genE5ELNS1_11target_archE942ELNS1_3gpuE9ELNS1_3repE0EEENS1_30default_config_static_selectorELNS0_4arch9wavefront6targetE1EEEvT1_ ; -- Begin function _ZN7rocprim17ROCPRIM_400000_NS6detail17trampoline_kernelINS0_14default_configENS1_25transform_config_selectorIN3c108BFloat16ELb1EEEZNS1_14transform_implILb1ES3_S7_PS6_S9_NS0_8identityIS6_EEEE10hipError_tT2_T3_mT4_P12ihipStream_tbEUlT_E_NS1_11comp_targetILNS1_3genE5ELNS1_11target_archE942ELNS1_3gpuE9ELNS1_3repE0EEENS1_30default_config_static_selectorELNS0_4arch9wavefront6targetE1EEEvT1_
	.globl	_ZN7rocprim17ROCPRIM_400000_NS6detail17trampoline_kernelINS0_14default_configENS1_25transform_config_selectorIN3c108BFloat16ELb1EEEZNS1_14transform_implILb1ES3_S7_PS6_S9_NS0_8identityIS6_EEEE10hipError_tT2_T3_mT4_P12ihipStream_tbEUlT_E_NS1_11comp_targetILNS1_3genE5ELNS1_11target_archE942ELNS1_3gpuE9ELNS1_3repE0EEENS1_30default_config_static_selectorELNS0_4arch9wavefront6targetE1EEEvT1_
	.p2align	8
	.type	_ZN7rocprim17ROCPRIM_400000_NS6detail17trampoline_kernelINS0_14default_configENS1_25transform_config_selectorIN3c108BFloat16ELb1EEEZNS1_14transform_implILb1ES3_S7_PS6_S9_NS0_8identityIS6_EEEE10hipError_tT2_T3_mT4_P12ihipStream_tbEUlT_E_NS1_11comp_targetILNS1_3genE5ELNS1_11target_archE942ELNS1_3gpuE9ELNS1_3repE0EEENS1_30default_config_static_selectorELNS0_4arch9wavefront6targetE1EEEvT1_,@function
_ZN7rocprim17ROCPRIM_400000_NS6detail17trampoline_kernelINS0_14default_configENS1_25transform_config_selectorIN3c108BFloat16ELb1EEEZNS1_14transform_implILb1ES3_S7_PS6_S9_NS0_8identityIS6_EEEE10hipError_tT2_T3_mT4_P12ihipStream_tbEUlT_E_NS1_11comp_targetILNS1_3genE5ELNS1_11target_archE942ELNS1_3gpuE9ELNS1_3repE0EEENS1_30default_config_static_selectorELNS0_4arch9wavefront6targetE1EEEvT1_: ; @_ZN7rocprim17ROCPRIM_400000_NS6detail17trampoline_kernelINS0_14default_configENS1_25transform_config_selectorIN3c108BFloat16ELb1EEEZNS1_14transform_implILb1ES3_S7_PS6_S9_NS0_8identityIS6_EEEE10hipError_tT2_T3_mT4_P12ihipStream_tbEUlT_E_NS1_11comp_targetILNS1_3genE5ELNS1_11target_archE942ELNS1_3gpuE9ELNS1_3repE0EEENS1_30default_config_static_selectorELNS0_4arch9wavefront6targetE1EEEvT1_
; %bb.0:
	.section	.rodata,"a",@progbits
	.p2align	6, 0x0
	.amdhsa_kernel _ZN7rocprim17ROCPRIM_400000_NS6detail17trampoline_kernelINS0_14default_configENS1_25transform_config_selectorIN3c108BFloat16ELb1EEEZNS1_14transform_implILb1ES3_S7_PS6_S9_NS0_8identityIS6_EEEE10hipError_tT2_T3_mT4_P12ihipStream_tbEUlT_E_NS1_11comp_targetILNS1_3genE5ELNS1_11target_archE942ELNS1_3gpuE9ELNS1_3repE0EEENS1_30default_config_static_selectorELNS0_4arch9wavefront6targetE1EEEvT1_
		.amdhsa_group_segment_fixed_size 0
		.amdhsa_private_segment_fixed_size 0
		.amdhsa_kernarg_size 40
		.amdhsa_user_sgpr_count 6
		.amdhsa_user_sgpr_private_segment_buffer 1
		.amdhsa_user_sgpr_dispatch_ptr 0
		.amdhsa_user_sgpr_queue_ptr 0
		.amdhsa_user_sgpr_kernarg_segment_ptr 1
		.amdhsa_user_sgpr_dispatch_id 0
		.amdhsa_user_sgpr_flat_scratch_init 0
		.amdhsa_user_sgpr_private_segment_size 0
		.amdhsa_uses_dynamic_stack 0
		.amdhsa_system_sgpr_private_segment_wavefront_offset 0
		.amdhsa_system_sgpr_workgroup_id_x 1
		.amdhsa_system_sgpr_workgroup_id_y 0
		.amdhsa_system_sgpr_workgroup_id_z 0
		.amdhsa_system_sgpr_workgroup_info 0
		.amdhsa_system_vgpr_workitem_id 0
		.amdhsa_next_free_vgpr 1
		.amdhsa_next_free_sgpr 0
		.amdhsa_reserve_vcc 0
		.amdhsa_reserve_flat_scratch 0
		.amdhsa_float_round_mode_32 0
		.amdhsa_float_round_mode_16_64 0
		.amdhsa_float_denorm_mode_32 3
		.amdhsa_float_denorm_mode_16_64 3
		.amdhsa_dx10_clamp 1
		.amdhsa_ieee_mode 1
		.amdhsa_fp16_overflow 0
		.amdhsa_exception_fp_ieee_invalid_op 0
		.amdhsa_exception_fp_denorm_src 0
		.amdhsa_exception_fp_ieee_div_zero 0
		.amdhsa_exception_fp_ieee_overflow 0
		.amdhsa_exception_fp_ieee_underflow 0
		.amdhsa_exception_fp_ieee_inexact 0
		.amdhsa_exception_int_div_zero 0
	.end_amdhsa_kernel
	.section	.text._ZN7rocprim17ROCPRIM_400000_NS6detail17trampoline_kernelINS0_14default_configENS1_25transform_config_selectorIN3c108BFloat16ELb1EEEZNS1_14transform_implILb1ES3_S7_PS6_S9_NS0_8identityIS6_EEEE10hipError_tT2_T3_mT4_P12ihipStream_tbEUlT_E_NS1_11comp_targetILNS1_3genE5ELNS1_11target_archE942ELNS1_3gpuE9ELNS1_3repE0EEENS1_30default_config_static_selectorELNS0_4arch9wavefront6targetE1EEEvT1_,"axG",@progbits,_ZN7rocprim17ROCPRIM_400000_NS6detail17trampoline_kernelINS0_14default_configENS1_25transform_config_selectorIN3c108BFloat16ELb1EEEZNS1_14transform_implILb1ES3_S7_PS6_S9_NS0_8identityIS6_EEEE10hipError_tT2_T3_mT4_P12ihipStream_tbEUlT_E_NS1_11comp_targetILNS1_3genE5ELNS1_11target_archE942ELNS1_3gpuE9ELNS1_3repE0EEENS1_30default_config_static_selectorELNS0_4arch9wavefront6targetE1EEEvT1_,comdat
.Lfunc_end449:
	.size	_ZN7rocprim17ROCPRIM_400000_NS6detail17trampoline_kernelINS0_14default_configENS1_25transform_config_selectorIN3c108BFloat16ELb1EEEZNS1_14transform_implILb1ES3_S7_PS6_S9_NS0_8identityIS6_EEEE10hipError_tT2_T3_mT4_P12ihipStream_tbEUlT_E_NS1_11comp_targetILNS1_3genE5ELNS1_11target_archE942ELNS1_3gpuE9ELNS1_3repE0EEENS1_30default_config_static_selectorELNS0_4arch9wavefront6targetE1EEEvT1_, .Lfunc_end449-_ZN7rocprim17ROCPRIM_400000_NS6detail17trampoline_kernelINS0_14default_configENS1_25transform_config_selectorIN3c108BFloat16ELb1EEEZNS1_14transform_implILb1ES3_S7_PS6_S9_NS0_8identityIS6_EEEE10hipError_tT2_T3_mT4_P12ihipStream_tbEUlT_E_NS1_11comp_targetILNS1_3genE5ELNS1_11target_archE942ELNS1_3gpuE9ELNS1_3repE0EEENS1_30default_config_static_selectorELNS0_4arch9wavefront6targetE1EEEvT1_
                                        ; -- End function
	.set _ZN7rocprim17ROCPRIM_400000_NS6detail17trampoline_kernelINS0_14default_configENS1_25transform_config_selectorIN3c108BFloat16ELb1EEEZNS1_14transform_implILb1ES3_S7_PS6_S9_NS0_8identityIS6_EEEE10hipError_tT2_T3_mT4_P12ihipStream_tbEUlT_E_NS1_11comp_targetILNS1_3genE5ELNS1_11target_archE942ELNS1_3gpuE9ELNS1_3repE0EEENS1_30default_config_static_selectorELNS0_4arch9wavefront6targetE1EEEvT1_.num_vgpr, 0
	.set _ZN7rocprim17ROCPRIM_400000_NS6detail17trampoline_kernelINS0_14default_configENS1_25transform_config_selectorIN3c108BFloat16ELb1EEEZNS1_14transform_implILb1ES3_S7_PS6_S9_NS0_8identityIS6_EEEE10hipError_tT2_T3_mT4_P12ihipStream_tbEUlT_E_NS1_11comp_targetILNS1_3genE5ELNS1_11target_archE942ELNS1_3gpuE9ELNS1_3repE0EEENS1_30default_config_static_selectorELNS0_4arch9wavefront6targetE1EEEvT1_.num_agpr, 0
	.set _ZN7rocprim17ROCPRIM_400000_NS6detail17trampoline_kernelINS0_14default_configENS1_25transform_config_selectorIN3c108BFloat16ELb1EEEZNS1_14transform_implILb1ES3_S7_PS6_S9_NS0_8identityIS6_EEEE10hipError_tT2_T3_mT4_P12ihipStream_tbEUlT_E_NS1_11comp_targetILNS1_3genE5ELNS1_11target_archE942ELNS1_3gpuE9ELNS1_3repE0EEENS1_30default_config_static_selectorELNS0_4arch9wavefront6targetE1EEEvT1_.numbered_sgpr, 0
	.set _ZN7rocprim17ROCPRIM_400000_NS6detail17trampoline_kernelINS0_14default_configENS1_25transform_config_selectorIN3c108BFloat16ELb1EEEZNS1_14transform_implILb1ES3_S7_PS6_S9_NS0_8identityIS6_EEEE10hipError_tT2_T3_mT4_P12ihipStream_tbEUlT_E_NS1_11comp_targetILNS1_3genE5ELNS1_11target_archE942ELNS1_3gpuE9ELNS1_3repE0EEENS1_30default_config_static_selectorELNS0_4arch9wavefront6targetE1EEEvT1_.num_named_barrier, 0
	.set _ZN7rocprim17ROCPRIM_400000_NS6detail17trampoline_kernelINS0_14default_configENS1_25transform_config_selectorIN3c108BFloat16ELb1EEEZNS1_14transform_implILb1ES3_S7_PS6_S9_NS0_8identityIS6_EEEE10hipError_tT2_T3_mT4_P12ihipStream_tbEUlT_E_NS1_11comp_targetILNS1_3genE5ELNS1_11target_archE942ELNS1_3gpuE9ELNS1_3repE0EEENS1_30default_config_static_selectorELNS0_4arch9wavefront6targetE1EEEvT1_.private_seg_size, 0
	.set _ZN7rocprim17ROCPRIM_400000_NS6detail17trampoline_kernelINS0_14default_configENS1_25transform_config_selectorIN3c108BFloat16ELb1EEEZNS1_14transform_implILb1ES3_S7_PS6_S9_NS0_8identityIS6_EEEE10hipError_tT2_T3_mT4_P12ihipStream_tbEUlT_E_NS1_11comp_targetILNS1_3genE5ELNS1_11target_archE942ELNS1_3gpuE9ELNS1_3repE0EEENS1_30default_config_static_selectorELNS0_4arch9wavefront6targetE1EEEvT1_.uses_vcc, 0
	.set _ZN7rocprim17ROCPRIM_400000_NS6detail17trampoline_kernelINS0_14default_configENS1_25transform_config_selectorIN3c108BFloat16ELb1EEEZNS1_14transform_implILb1ES3_S7_PS6_S9_NS0_8identityIS6_EEEE10hipError_tT2_T3_mT4_P12ihipStream_tbEUlT_E_NS1_11comp_targetILNS1_3genE5ELNS1_11target_archE942ELNS1_3gpuE9ELNS1_3repE0EEENS1_30default_config_static_selectorELNS0_4arch9wavefront6targetE1EEEvT1_.uses_flat_scratch, 0
	.set _ZN7rocprim17ROCPRIM_400000_NS6detail17trampoline_kernelINS0_14default_configENS1_25transform_config_selectorIN3c108BFloat16ELb1EEEZNS1_14transform_implILb1ES3_S7_PS6_S9_NS0_8identityIS6_EEEE10hipError_tT2_T3_mT4_P12ihipStream_tbEUlT_E_NS1_11comp_targetILNS1_3genE5ELNS1_11target_archE942ELNS1_3gpuE9ELNS1_3repE0EEENS1_30default_config_static_selectorELNS0_4arch9wavefront6targetE1EEEvT1_.has_dyn_sized_stack, 0
	.set _ZN7rocprim17ROCPRIM_400000_NS6detail17trampoline_kernelINS0_14default_configENS1_25transform_config_selectorIN3c108BFloat16ELb1EEEZNS1_14transform_implILb1ES3_S7_PS6_S9_NS0_8identityIS6_EEEE10hipError_tT2_T3_mT4_P12ihipStream_tbEUlT_E_NS1_11comp_targetILNS1_3genE5ELNS1_11target_archE942ELNS1_3gpuE9ELNS1_3repE0EEENS1_30default_config_static_selectorELNS0_4arch9wavefront6targetE1EEEvT1_.has_recursion, 0
	.set _ZN7rocprim17ROCPRIM_400000_NS6detail17trampoline_kernelINS0_14default_configENS1_25transform_config_selectorIN3c108BFloat16ELb1EEEZNS1_14transform_implILb1ES3_S7_PS6_S9_NS0_8identityIS6_EEEE10hipError_tT2_T3_mT4_P12ihipStream_tbEUlT_E_NS1_11comp_targetILNS1_3genE5ELNS1_11target_archE942ELNS1_3gpuE9ELNS1_3repE0EEENS1_30default_config_static_selectorELNS0_4arch9wavefront6targetE1EEEvT1_.has_indirect_call, 0
	.section	.AMDGPU.csdata,"",@progbits
; Kernel info:
; codeLenInByte = 0
; TotalNumSgprs: 4
; NumVgprs: 0
; ScratchSize: 0
; MemoryBound: 0
; FloatMode: 240
; IeeeMode: 1
; LDSByteSize: 0 bytes/workgroup (compile time only)
; SGPRBlocks: 0
; VGPRBlocks: 0
; NumSGPRsForWavesPerEU: 4
; NumVGPRsForWavesPerEU: 1
; Occupancy: 10
; WaveLimiterHint : 0
; COMPUTE_PGM_RSRC2:SCRATCH_EN: 0
; COMPUTE_PGM_RSRC2:USER_SGPR: 6
; COMPUTE_PGM_RSRC2:TRAP_HANDLER: 0
; COMPUTE_PGM_RSRC2:TGID_X_EN: 1
; COMPUTE_PGM_RSRC2:TGID_Y_EN: 0
; COMPUTE_PGM_RSRC2:TGID_Z_EN: 0
; COMPUTE_PGM_RSRC2:TIDIG_COMP_CNT: 0
	.section	.text._ZN7rocprim17ROCPRIM_400000_NS6detail17trampoline_kernelINS0_14default_configENS1_25transform_config_selectorIN3c108BFloat16ELb1EEEZNS1_14transform_implILb1ES3_S7_PS6_S9_NS0_8identityIS6_EEEE10hipError_tT2_T3_mT4_P12ihipStream_tbEUlT_E_NS1_11comp_targetILNS1_3genE4ELNS1_11target_archE910ELNS1_3gpuE8ELNS1_3repE0EEENS1_30default_config_static_selectorELNS0_4arch9wavefront6targetE1EEEvT1_,"axG",@progbits,_ZN7rocprim17ROCPRIM_400000_NS6detail17trampoline_kernelINS0_14default_configENS1_25transform_config_selectorIN3c108BFloat16ELb1EEEZNS1_14transform_implILb1ES3_S7_PS6_S9_NS0_8identityIS6_EEEE10hipError_tT2_T3_mT4_P12ihipStream_tbEUlT_E_NS1_11comp_targetILNS1_3genE4ELNS1_11target_archE910ELNS1_3gpuE8ELNS1_3repE0EEENS1_30default_config_static_selectorELNS0_4arch9wavefront6targetE1EEEvT1_,comdat
	.protected	_ZN7rocprim17ROCPRIM_400000_NS6detail17trampoline_kernelINS0_14default_configENS1_25transform_config_selectorIN3c108BFloat16ELb1EEEZNS1_14transform_implILb1ES3_S7_PS6_S9_NS0_8identityIS6_EEEE10hipError_tT2_T3_mT4_P12ihipStream_tbEUlT_E_NS1_11comp_targetILNS1_3genE4ELNS1_11target_archE910ELNS1_3gpuE8ELNS1_3repE0EEENS1_30default_config_static_selectorELNS0_4arch9wavefront6targetE1EEEvT1_ ; -- Begin function _ZN7rocprim17ROCPRIM_400000_NS6detail17trampoline_kernelINS0_14default_configENS1_25transform_config_selectorIN3c108BFloat16ELb1EEEZNS1_14transform_implILb1ES3_S7_PS6_S9_NS0_8identityIS6_EEEE10hipError_tT2_T3_mT4_P12ihipStream_tbEUlT_E_NS1_11comp_targetILNS1_3genE4ELNS1_11target_archE910ELNS1_3gpuE8ELNS1_3repE0EEENS1_30default_config_static_selectorELNS0_4arch9wavefront6targetE1EEEvT1_
	.globl	_ZN7rocprim17ROCPRIM_400000_NS6detail17trampoline_kernelINS0_14default_configENS1_25transform_config_selectorIN3c108BFloat16ELb1EEEZNS1_14transform_implILb1ES3_S7_PS6_S9_NS0_8identityIS6_EEEE10hipError_tT2_T3_mT4_P12ihipStream_tbEUlT_E_NS1_11comp_targetILNS1_3genE4ELNS1_11target_archE910ELNS1_3gpuE8ELNS1_3repE0EEENS1_30default_config_static_selectorELNS0_4arch9wavefront6targetE1EEEvT1_
	.p2align	8
	.type	_ZN7rocprim17ROCPRIM_400000_NS6detail17trampoline_kernelINS0_14default_configENS1_25transform_config_selectorIN3c108BFloat16ELb1EEEZNS1_14transform_implILb1ES3_S7_PS6_S9_NS0_8identityIS6_EEEE10hipError_tT2_T3_mT4_P12ihipStream_tbEUlT_E_NS1_11comp_targetILNS1_3genE4ELNS1_11target_archE910ELNS1_3gpuE8ELNS1_3repE0EEENS1_30default_config_static_selectorELNS0_4arch9wavefront6targetE1EEEvT1_,@function
_ZN7rocprim17ROCPRIM_400000_NS6detail17trampoline_kernelINS0_14default_configENS1_25transform_config_selectorIN3c108BFloat16ELb1EEEZNS1_14transform_implILb1ES3_S7_PS6_S9_NS0_8identityIS6_EEEE10hipError_tT2_T3_mT4_P12ihipStream_tbEUlT_E_NS1_11comp_targetILNS1_3genE4ELNS1_11target_archE910ELNS1_3gpuE8ELNS1_3repE0EEENS1_30default_config_static_selectorELNS0_4arch9wavefront6targetE1EEEvT1_: ; @_ZN7rocprim17ROCPRIM_400000_NS6detail17trampoline_kernelINS0_14default_configENS1_25transform_config_selectorIN3c108BFloat16ELb1EEEZNS1_14transform_implILb1ES3_S7_PS6_S9_NS0_8identityIS6_EEEE10hipError_tT2_T3_mT4_P12ihipStream_tbEUlT_E_NS1_11comp_targetILNS1_3genE4ELNS1_11target_archE910ELNS1_3gpuE8ELNS1_3repE0EEENS1_30default_config_static_selectorELNS0_4arch9wavefront6targetE1EEEvT1_
; %bb.0:
	.section	.rodata,"a",@progbits
	.p2align	6, 0x0
	.amdhsa_kernel _ZN7rocprim17ROCPRIM_400000_NS6detail17trampoline_kernelINS0_14default_configENS1_25transform_config_selectorIN3c108BFloat16ELb1EEEZNS1_14transform_implILb1ES3_S7_PS6_S9_NS0_8identityIS6_EEEE10hipError_tT2_T3_mT4_P12ihipStream_tbEUlT_E_NS1_11comp_targetILNS1_3genE4ELNS1_11target_archE910ELNS1_3gpuE8ELNS1_3repE0EEENS1_30default_config_static_selectorELNS0_4arch9wavefront6targetE1EEEvT1_
		.amdhsa_group_segment_fixed_size 0
		.amdhsa_private_segment_fixed_size 0
		.amdhsa_kernarg_size 40
		.amdhsa_user_sgpr_count 6
		.amdhsa_user_sgpr_private_segment_buffer 1
		.amdhsa_user_sgpr_dispatch_ptr 0
		.amdhsa_user_sgpr_queue_ptr 0
		.amdhsa_user_sgpr_kernarg_segment_ptr 1
		.amdhsa_user_sgpr_dispatch_id 0
		.amdhsa_user_sgpr_flat_scratch_init 0
		.amdhsa_user_sgpr_private_segment_size 0
		.amdhsa_uses_dynamic_stack 0
		.amdhsa_system_sgpr_private_segment_wavefront_offset 0
		.amdhsa_system_sgpr_workgroup_id_x 1
		.amdhsa_system_sgpr_workgroup_id_y 0
		.amdhsa_system_sgpr_workgroup_id_z 0
		.amdhsa_system_sgpr_workgroup_info 0
		.amdhsa_system_vgpr_workitem_id 0
		.amdhsa_next_free_vgpr 1
		.amdhsa_next_free_sgpr 0
		.amdhsa_reserve_vcc 0
		.amdhsa_reserve_flat_scratch 0
		.amdhsa_float_round_mode_32 0
		.amdhsa_float_round_mode_16_64 0
		.amdhsa_float_denorm_mode_32 3
		.amdhsa_float_denorm_mode_16_64 3
		.amdhsa_dx10_clamp 1
		.amdhsa_ieee_mode 1
		.amdhsa_fp16_overflow 0
		.amdhsa_exception_fp_ieee_invalid_op 0
		.amdhsa_exception_fp_denorm_src 0
		.amdhsa_exception_fp_ieee_div_zero 0
		.amdhsa_exception_fp_ieee_overflow 0
		.amdhsa_exception_fp_ieee_underflow 0
		.amdhsa_exception_fp_ieee_inexact 0
		.amdhsa_exception_int_div_zero 0
	.end_amdhsa_kernel
	.section	.text._ZN7rocprim17ROCPRIM_400000_NS6detail17trampoline_kernelINS0_14default_configENS1_25transform_config_selectorIN3c108BFloat16ELb1EEEZNS1_14transform_implILb1ES3_S7_PS6_S9_NS0_8identityIS6_EEEE10hipError_tT2_T3_mT4_P12ihipStream_tbEUlT_E_NS1_11comp_targetILNS1_3genE4ELNS1_11target_archE910ELNS1_3gpuE8ELNS1_3repE0EEENS1_30default_config_static_selectorELNS0_4arch9wavefront6targetE1EEEvT1_,"axG",@progbits,_ZN7rocprim17ROCPRIM_400000_NS6detail17trampoline_kernelINS0_14default_configENS1_25transform_config_selectorIN3c108BFloat16ELb1EEEZNS1_14transform_implILb1ES3_S7_PS6_S9_NS0_8identityIS6_EEEE10hipError_tT2_T3_mT4_P12ihipStream_tbEUlT_E_NS1_11comp_targetILNS1_3genE4ELNS1_11target_archE910ELNS1_3gpuE8ELNS1_3repE0EEENS1_30default_config_static_selectorELNS0_4arch9wavefront6targetE1EEEvT1_,comdat
.Lfunc_end450:
	.size	_ZN7rocprim17ROCPRIM_400000_NS6detail17trampoline_kernelINS0_14default_configENS1_25transform_config_selectorIN3c108BFloat16ELb1EEEZNS1_14transform_implILb1ES3_S7_PS6_S9_NS0_8identityIS6_EEEE10hipError_tT2_T3_mT4_P12ihipStream_tbEUlT_E_NS1_11comp_targetILNS1_3genE4ELNS1_11target_archE910ELNS1_3gpuE8ELNS1_3repE0EEENS1_30default_config_static_selectorELNS0_4arch9wavefront6targetE1EEEvT1_, .Lfunc_end450-_ZN7rocprim17ROCPRIM_400000_NS6detail17trampoline_kernelINS0_14default_configENS1_25transform_config_selectorIN3c108BFloat16ELb1EEEZNS1_14transform_implILb1ES3_S7_PS6_S9_NS0_8identityIS6_EEEE10hipError_tT2_T3_mT4_P12ihipStream_tbEUlT_E_NS1_11comp_targetILNS1_3genE4ELNS1_11target_archE910ELNS1_3gpuE8ELNS1_3repE0EEENS1_30default_config_static_selectorELNS0_4arch9wavefront6targetE1EEEvT1_
                                        ; -- End function
	.set _ZN7rocprim17ROCPRIM_400000_NS6detail17trampoline_kernelINS0_14default_configENS1_25transform_config_selectorIN3c108BFloat16ELb1EEEZNS1_14transform_implILb1ES3_S7_PS6_S9_NS0_8identityIS6_EEEE10hipError_tT2_T3_mT4_P12ihipStream_tbEUlT_E_NS1_11comp_targetILNS1_3genE4ELNS1_11target_archE910ELNS1_3gpuE8ELNS1_3repE0EEENS1_30default_config_static_selectorELNS0_4arch9wavefront6targetE1EEEvT1_.num_vgpr, 0
	.set _ZN7rocprim17ROCPRIM_400000_NS6detail17trampoline_kernelINS0_14default_configENS1_25transform_config_selectorIN3c108BFloat16ELb1EEEZNS1_14transform_implILb1ES3_S7_PS6_S9_NS0_8identityIS6_EEEE10hipError_tT2_T3_mT4_P12ihipStream_tbEUlT_E_NS1_11comp_targetILNS1_3genE4ELNS1_11target_archE910ELNS1_3gpuE8ELNS1_3repE0EEENS1_30default_config_static_selectorELNS0_4arch9wavefront6targetE1EEEvT1_.num_agpr, 0
	.set _ZN7rocprim17ROCPRIM_400000_NS6detail17trampoline_kernelINS0_14default_configENS1_25transform_config_selectorIN3c108BFloat16ELb1EEEZNS1_14transform_implILb1ES3_S7_PS6_S9_NS0_8identityIS6_EEEE10hipError_tT2_T3_mT4_P12ihipStream_tbEUlT_E_NS1_11comp_targetILNS1_3genE4ELNS1_11target_archE910ELNS1_3gpuE8ELNS1_3repE0EEENS1_30default_config_static_selectorELNS0_4arch9wavefront6targetE1EEEvT1_.numbered_sgpr, 0
	.set _ZN7rocprim17ROCPRIM_400000_NS6detail17trampoline_kernelINS0_14default_configENS1_25transform_config_selectorIN3c108BFloat16ELb1EEEZNS1_14transform_implILb1ES3_S7_PS6_S9_NS0_8identityIS6_EEEE10hipError_tT2_T3_mT4_P12ihipStream_tbEUlT_E_NS1_11comp_targetILNS1_3genE4ELNS1_11target_archE910ELNS1_3gpuE8ELNS1_3repE0EEENS1_30default_config_static_selectorELNS0_4arch9wavefront6targetE1EEEvT1_.num_named_barrier, 0
	.set _ZN7rocprim17ROCPRIM_400000_NS6detail17trampoline_kernelINS0_14default_configENS1_25transform_config_selectorIN3c108BFloat16ELb1EEEZNS1_14transform_implILb1ES3_S7_PS6_S9_NS0_8identityIS6_EEEE10hipError_tT2_T3_mT4_P12ihipStream_tbEUlT_E_NS1_11comp_targetILNS1_3genE4ELNS1_11target_archE910ELNS1_3gpuE8ELNS1_3repE0EEENS1_30default_config_static_selectorELNS0_4arch9wavefront6targetE1EEEvT1_.private_seg_size, 0
	.set _ZN7rocprim17ROCPRIM_400000_NS6detail17trampoline_kernelINS0_14default_configENS1_25transform_config_selectorIN3c108BFloat16ELb1EEEZNS1_14transform_implILb1ES3_S7_PS6_S9_NS0_8identityIS6_EEEE10hipError_tT2_T3_mT4_P12ihipStream_tbEUlT_E_NS1_11comp_targetILNS1_3genE4ELNS1_11target_archE910ELNS1_3gpuE8ELNS1_3repE0EEENS1_30default_config_static_selectorELNS0_4arch9wavefront6targetE1EEEvT1_.uses_vcc, 0
	.set _ZN7rocprim17ROCPRIM_400000_NS6detail17trampoline_kernelINS0_14default_configENS1_25transform_config_selectorIN3c108BFloat16ELb1EEEZNS1_14transform_implILb1ES3_S7_PS6_S9_NS0_8identityIS6_EEEE10hipError_tT2_T3_mT4_P12ihipStream_tbEUlT_E_NS1_11comp_targetILNS1_3genE4ELNS1_11target_archE910ELNS1_3gpuE8ELNS1_3repE0EEENS1_30default_config_static_selectorELNS0_4arch9wavefront6targetE1EEEvT1_.uses_flat_scratch, 0
	.set _ZN7rocprim17ROCPRIM_400000_NS6detail17trampoline_kernelINS0_14default_configENS1_25transform_config_selectorIN3c108BFloat16ELb1EEEZNS1_14transform_implILb1ES3_S7_PS6_S9_NS0_8identityIS6_EEEE10hipError_tT2_T3_mT4_P12ihipStream_tbEUlT_E_NS1_11comp_targetILNS1_3genE4ELNS1_11target_archE910ELNS1_3gpuE8ELNS1_3repE0EEENS1_30default_config_static_selectorELNS0_4arch9wavefront6targetE1EEEvT1_.has_dyn_sized_stack, 0
	.set _ZN7rocprim17ROCPRIM_400000_NS6detail17trampoline_kernelINS0_14default_configENS1_25transform_config_selectorIN3c108BFloat16ELb1EEEZNS1_14transform_implILb1ES3_S7_PS6_S9_NS0_8identityIS6_EEEE10hipError_tT2_T3_mT4_P12ihipStream_tbEUlT_E_NS1_11comp_targetILNS1_3genE4ELNS1_11target_archE910ELNS1_3gpuE8ELNS1_3repE0EEENS1_30default_config_static_selectorELNS0_4arch9wavefront6targetE1EEEvT1_.has_recursion, 0
	.set _ZN7rocprim17ROCPRIM_400000_NS6detail17trampoline_kernelINS0_14default_configENS1_25transform_config_selectorIN3c108BFloat16ELb1EEEZNS1_14transform_implILb1ES3_S7_PS6_S9_NS0_8identityIS6_EEEE10hipError_tT2_T3_mT4_P12ihipStream_tbEUlT_E_NS1_11comp_targetILNS1_3genE4ELNS1_11target_archE910ELNS1_3gpuE8ELNS1_3repE0EEENS1_30default_config_static_selectorELNS0_4arch9wavefront6targetE1EEEvT1_.has_indirect_call, 0
	.section	.AMDGPU.csdata,"",@progbits
; Kernel info:
; codeLenInByte = 0
; TotalNumSgprs: 4
; NumVgprs: 0
; ScratchSize: 0
; MemoryBound: 0
; FloatMode: 240
; IeeeMode: 1
; LDSByteSize: 0 bytes/workgroup (compile time only)
; SGPRBlocks: 0
; VGPRBlocks: 0
; NumSGPRsForWavesPerEU: 4
; NumVGPRsForWavesPerEU: 1
; Occupancy: 10
; WaveLimiterHint : 0
; COMPUTE_PGM_RSRC2:SCRATCH_EN: 0
; COMPUTE_PGM_RSRC2:USER_SGPR: 6
; COMPUTE_PGM_RSRC2:TRAP_HANDLER: 0
; COMPUTE_PGM_RSRC2:TGID_X_EN: 1
; COMPUTE_PGM_RSRC2:TGID_Y_EN: 0
; COMPUTE_PGM_RSRC2:TGID_Z_EN: 0
; COMPUTE_PGM_RSRC2:TIDIG_COMP_CNT: 0
	.section	.text._ZN7rocprim17ROCPRIM_400000_NS6detail17trampoline_kernelINS0_14default_configENS1_25transform_config_selectorIN3c108BFloat16ELb1EEEZNS1_14transform_implILb1ES3_S7_PS6_S9_NS0_8identityIS6_EEEE10hipError_tT2_T3_mT4_P12ihipStream_tbEUlT_E_NS1_11comp_targetILNS1_3genE3ELNS1_11target_archE908ELNS1_3gpuE7ELNS1_3repE0EEENS1_30default_config_static_selectorELNS0_4arch9wavefront6targetE1EEEvT1_,"axG",@progbits,_ZN7rocprim17ROCPRIM_400000_NS6detail17trampoline_kernelINS0_14default_configENS1_25transform_config_selectorIN3c108BFloat16ELb1EEEZNS1_14transform_implILb1ES3_S7_PS6_S9_NS0_8identityIS6_EEEE10hipError_tT2_T3_mT4_P12ihipStream_tbEUlT_E_NS1_11comp_targetILNS1_3genE3ELNS1_11target_archE908ELNS1_3gpuE7ELNS1_3repE0EEENS1_30default_config_static_selectorELNS0_4arch9wavefront6targetE1EEEvT1_,comdat
	.protected	_ZN7rocprim17ROCPRIM_400000_NS6detail17trampoline_kernelINS0_14default_configENS1_25transform_config_selectorIN3c108BFloat16ELb1EEEZNS1_14transform_implILb1ES3_S7_PS6_S9_NS0_8identityIS6_EEEE10hipError_tT2_T3_mT4_P12ihipStream_tbEUlT_E_NS1_11comp_targetILNS1_3genE3ELNS1_11target_archE908ELNS1_3gpuE7ELNS1_3repE0EEENS1_30default_config_static_selectorELNS0_4arch9wavefront6targetE1EEEvT1_ ; -- Begin function _ZN7rocprim17ROCPRIM_400000_NS6detail17trampoline_kernelINS0_14default_configENS1_25transform_config_selectorIN3c108BFloat16ELb1EEEZNS1_14transform_implILb1ES3_S7_PS6_S9_NS0_8identityIS6_EEEE10hipError_tT2_T3_mT4_P12ihipStream_tbEUlT_E_NS1_11comp_targetILNS1_3genE3ELNS1_11target_archE908ELNS1_3gpuE7ELNS1_3repE0EEENS1_30default_config_static_selectorELNS0_4arch9wavefront6targetE1EEEvT1_
	.globl	_ZN7rocprim17ROCPRIM_400000_NS6detail17trampoline_kernelINS0_14default_configENS1_25transform_config_selectorIN3c108BFloat16ELb1EEEZNS1_14transform_implILb1ES3_S7_PS6_S9_NS0_8identityIS6_EEEE10hipError_tT2_T3_mT4_P12ihipStream_tbEUlT_E_NS1_11comp_targetILNS1_3genE3ELNS1_11target_archE908ELNS1_3gpuE7ELNS1_3repE0EEENS1_30default_config_static_selectorELNS0_4arch9wavefront6targetE1EEEvT1_
	.p2align	8
	.type	_ZN7rocprim17ROCPRIM_400000_NS6detail17trampoline_kernelINS0_14default_configENS1_25transform_config_selectorIN3c108BFloat16ELb1EEEZNS1_14transform_implILb1ES3_S7_PS6_S9_NS0_8identityIS6_EEEE10hipError_tT2_T3_mT4_P12ihipStream_tbEUlT_E_NS1_11comp_targetILNS1_3genE3ELNS1_11target_archE908ELNS1_3gpuE7ELNS1_3repE0EEENS1_30default_config_static_selectorELNS0_4arch9wavefront6targetE1EEEvT1_,@function
_ZN7rocprim17ROCPRIM_400000_NS6detail17trampoline_kernelINS0_14default_configENS1_25transform_config_selectorIN3c108BFloat16ELb1EEEZNS1_14transform_implILb1ES3_S7_PS6_S9_NS0_8identityIS6_EEEE10hipError_tT2_T3_mT4_P12ihipStream_tbEUlT_E_NS1_11comp_targetILNS1_3genE3ELNS1_11target_archE908ELNS1_3gpuE7ELNS1_3repE0EEENS1_30default_config_static_selectorELNS0_4arch9wavefront6targetE1EEEvT1_: ; @_ZN7rocprim17ROCPRIM_400000_NS6detail17trampoline_kernelINS0_14default_configENS1_25transform_config_selectorIN3c108BFloat16ELb1EEEZNS1_14transform_implILb1ES3_S7_PS6_S9_NS0_8identityIS6_EEEE10hipError_tT2_T3_mT4_P12ihipStream_tbEUlT_E_NS1_11comp_targetILNS1_3genE3ELNS1_11target_archE908ELNS1_3gpuE7ELNS1_3repE0EEENS1_30default_config_static_selectorELNS0_4arch9wavefront6targetE1EEEvT1_
; %bb.0:
	.section	.rodata,"a",@progbits
	.p2align	6, 0x0
	.amdhsa_kernel _ZN7rocprim17ROCPRIM_400000_NS6detail17trampoline_kernelINS0_14default_configENS1_25transform_config_selectorIN3c108BFloat16ELb1EEEZNS1_14transform_implILb1ES3_S7_PS6_S9_NS0_8identityIS6_EEEE10hipError_tT2_T3_mT4_P12ihipStream_tbEUlT_E_NS1_11comp_targetILNS1_3genE3ELNS1_11target_archE908ELNS1_3gpuE7ELNS1_3repE0EEENS1_30default_config_static_selectorELNS0_4arch9wavefront6targetE1EEEvT1_
		.amdhsa_group_segment_fixed_size 0
		.amdhsa_private_segment_fixed_size 0
		.amdhsa_kernarg_size 40
		.amdhsa_user_sgpr_count 6
		.amdhsa_user_sgpr_private_segment_buffer 1
		.amdhsa_user_sgpr_dispatch_ptr 0
		.amdhsa_user_sgpr_queue_ptr 0
		.amdhsa_user_sgpr_kernarg_segment_ptr 1
		.amdhsa_user_sgpr_dispatch_id 0
		.amdhsa_user_sgpr_flat_scratch_init 0
		.amdhsa_user_sgpr_private_segment_size 0
		.amdhsa_uses_dynamic_stack 0
		.amdhsa_system_sgpr_private_segment_wavefront_offset 0
		.amdhsa_system_sgpr_workgroup_id_x 1
		.amdhsa_system_sgpr_workgroup_id_y 0
		.amdhsa_system_sgpr_workgroup_id_z 0
		.amdhsa_system_sgpr_workgroup_info 0
		.amdhsa_system_vgpr_workitem_id 0
		.amdhsa_next_free_vgpr 1
		.amdhsa_next_free_sgpr 0
		.amdhsa_reserve_vcc 0
		.amdhsa_reserve_flat_scratch 0
		.amdhsa_float_round_mode_32 0
		.amdhsa_float_round_mode_16_64 0
		.amdhsa_float_denorm_mode_32 3
		.amdhsa_float_denorm_mode_16_64 3
		.amdhsa_dx10_clamp 1
		.amdhsa_ieee_mode 1
		.amdhsa_fp16_overflow 0
		.amdhsa_exception_fp_ieee_invalid_op 0
		.amdhsa_exception_fp_denorm_src 0
		.amdhsa_exception_fp_ieee_div_zero 0
		.amdhsa_exception_fp_ieee_overflow 0
		.amdhsa_exception_fp_ieee_underflow 0
		.amdhsa_exception_fp_ieee_inexact 0
		.amdhsa_exception_int_div_zero 0
	.end_amdhsa_kernel
	.section	.text._ZN7rocprim17ROCPRIM_400000_NS6detail17trampoline_kernelINS0_14default_configENS1_25transform_config_selectorIN3c108BFloat16ELb1EEEZNS1_14transform_implILb1ES3_S7_PS6_S9_NS0_8identityIS6_EEEE10hipError_tT2_T3_mT4_P12ihipStream_tbEUlT_E_NS1_11comp_targetILNS1_3genE3ELNS1_11target_archE908ELNS1_3gpuE7ELNS1_3repE0EEENS1_30default_config_static_selectorELNS0_4arch9wavefront6targetE1EEEvT1_,"axG",@progbits,_ZN7rocprim17ROCPRIM_400000_NS6detail17trampoline_kernelINS0_14default_configENS1_25transform_config_selectorIN3c108BFloat16ELb1EEEZNS1_14transform_implILb1ES3_S7_PS6_S9_NS0_8identityIS6_EEEE10hipError_tT2_T3_mT4_P12ihipStream_tbEUlT_E_NS1_11comp_targetILNS1_3genE3ELNS1_11target_archE908ELNS1_3gpuE7ELNS1_3repE0EEENS1_30default_config_static_selectorELNS0_4arch9wavefront6targetE1EEEvT1_,comdat
.Lfunc_end451:
	.size	_ZN7rocprim17ROCPRIM_400000_NS6detail17trampoline_kernelINS0_14default_configENS1_25transform_config_selectorIN3c108BFloat16ELb1EEEZNS1_14transform_implILb1ES3_S7_PS6_S9_NS0_8identityIS6_EEEE10hipError_tT2_T3_mT4_P12ihipStream_tbEUlT_E_NS1_11comp_targetILNS1_3genE3ELNS1_11target_archE908ELNS1_3gpuE7ELNS1_3repE0EEENS1_30default_config_static_selectorELNS0_4arch9wavefront6targetE1EEEvT1_, .Lfunc_end451-_ZN7rocprim17ROCPRIM_400000_NS6detail17trampoline_kernelINS0_14default_configENS1_25transform_config_selectorIN3c108BFloat16ELb1EEEZNS1_14transform_implILb1ES3_S7_PS6_S9_NS0_8identityIS6_EEEE10hipError_tT2_T3_mT4_P12ihipStream_tbEUlT_E_NS1_11comp_targetILNS1_3genE3ELNS1_11target_archE908ELNS1_3gpuE7ELNS1_3repE0EEENS1_30default_config_static_selectorELNS0_4arch9wavefront6targetE1EEEvT1_
                                        ; -- End function
	.set _ZN7rocprim17ROCPRIM_400000_NS6detail17trampoline_kernelINS0_14default_configENS1_25transform_config_selectorIN3c108BFloat16ELb1EEEZNS1_14transform_implILb1ES3_S7_PS6_S9_NS0_8identityIS6_EEEE10hipError_tT2_T3_mT4_P12ihipStream_tbEUlT_E_NS1_11comp_targetILNS1_3genE3ELNS1_11target_archE908ELNS1_3gpuE7ELNS1_3repE0EEENS1_30default_config_static_selectorELNS0_4arch9wavefront6targetE1EEEvT1_.num_vgpr, 0
	.set _ZN7rocprim17ROCPRIM_400000_NS6detail17trampoline_kernelINS0_14default_configENS1_25transform_config_selectorIN3c108BFloat16ELb1EEEZNS1_14transform_implILb1ES3_S7_PS6_S9_NS0_8identityIS6_EEEE10hipError_tT2_T3_mT4_P12ihipStream_tbEUlT_E_NS1_11comp_targetILNS1_3genE3ELNS1_11target_archE908ELNS1_3gpuE7ELNS1_3repE0EEENS1_30default_config_static_selectorELNS0_4arch9wavefront6targetE1EEEvT1_.num_agpr, 0
	.set _ZN7rocprim17ROCPRIM_400000_NS6detail17trampoline_kernelINS0_14default_configENS1_25transform_config_selectorIN3c108BFloat16ELb1EEEZNS1_14transform_implILb1ES3_S7_PS6_S9_NS0_8identityIS6_EEEE10hipError_tT2_T3_mT4_P12ihipStream_tbEUlT_E_NS1_11comp_targetILNS1_3genE3ELNS1_11target_archE908ELNS1_3gpuE7ELNS1_3repE0EEENS1_30default_config_static_selectorELNS0_4arch9wavefront6targetE1EEEvT1_.numbered_sgpr, 0
	.set _ZN7rocprim17ROCPRIM_400000_NS6detail17trampoline_kernelINS0_14default_configENS1_25transform_config_selectorIN3c108BFloat16ELb1EEEZNS1_14transform_implILb1ES3_S7_PS6_S9_NS0_8identityIS6_EEEE10hipError_tT2_T3_mT4_P12ihipStream_tbEUlT_E_NS1_11comp_targetILNS1_3genE3ELNS1_11target_archE908ELNS1_3gpuE7ELNS1_3repE0EEENS1_30default_config_static_selectorELNS0_4arch9wavefront6targetE1EEEvT1_.num_named_barrier, 0
	.set _ZN7rocprim17ROCPRIM_400000_NS6detail17trampoline_kernelINS0_14default_configENS1_25transform_config_selectorIN3c108BFloat16ELb1EEEZNS1_14transform_implILb1ES3_S7_PS6_S9_NS0_8identityIS6_EEEE10hipError_tT2_T3_mT4_P12ihipStream_tbEUlT_E_NS1_11comp_targetILNS1_3genE3ELNS1_11target_archE908ELNS1_3gpuE7ELNS1_3repE0EEENS1_30default_config_static_selectorELNS0_4arch9wavefront6targetE1EEEvT1_.private_seg_size, 0
	.set _ZN7rocprim17ROCPRIM_400000_NS6detail17trampoline_kernelINS0_14default_configENS1_25transform_config_selectorIN3c108BFloat16ELb1EEEZNS1_14transform_implILb1ES3_S7_PS6_S9_NS0_8identityIS6_EEEE10hipError_tT2_T3_mT4_P12ihipStream_tbEUlT_E_NS1_11comp_targetILNS1_3genE3ELNS1_11target_archE908ELNS1_3gpuE7ELNS1_3repE0EEENS1_30default_config_static_selectorELNS0_4arch9wavefront6targetE1EEEvT1_.uses_vcc, 0
	.set _ZN7rocprim17ROCPRIM_400000_NS6detail17trampoline_kernelINS0_14default_configENS1_25transform_config_selectorIN3c108BFloat16ELb1EEEZNS1_14transform_implILb1ES3_S7_PS6_S9_NS0_8identityIS6_EEEE10hipError_tT2_T3_mT4_P12ihipStream_tbEUlT_E_NS1_11comp_targetILNS1_3genE3ELNS1_11target_archE908ELNS1_3gpuE7ELNS1_3repE0EEENS1_30default_config_static_selectorELNS0_4arch9wavefront6targetE1EEEvT1_.uses_flat_scratch, 0
	.set _ZN7rocprim17ROCPRIM_400000_NS6detail17trampoline_kernelINS0_14default_configENS1_25transform_config_selectorIN3c108BFloat16ELb1EEEZNS1_14transform_implILb1ES3_S7_PS6_S9_NS0_8identityIS6_EEEE10hipError_tT2_T3_mT4_P12ihipStream_tbEUlT_E_NS1_11comp_targetILNS1_3genE3ELNS1_11target_archE908ELNS1_3gpuE7ELNS1_3repE0EEENS1_30default_config_static_selectorELNS0_4arch9wavefront6targetE1EEEvT1_.has_dyn_sized_stack, 0
	.set _ZN7rocprim17ROCPRIM_400000_NS6detail17trampoline_kernelINS0_14default_configENS1_25transform_config_selectorIN3c108BFloat16ELb1EEEZNS1_14transform_implILb1ES3_S7_PS6_S9_NS0_8identityIS6_EEEE10hipError_tT2_T3_mT4_P12ihipStream_tbEUlT_E_NS1_11comp_targetILNS1_3genE3ELNS1_11target_archE908ELNS1_3gpuE7ELNS1_3repE0EEENS1_30default_config_static_selectorELNS0_4arch9wavefront6targetE1EEEvT1_.has_recursion, 0
	.set _ZN7rocprim17ROCPRIM_400000_NS6detail17trampoline_kernelINS0_14default_configENS1_25transform_config_selectorIN3c108BFloat16ELb1EEEZNS1_14transform_implILb1ES3_S7_PS6_S9_NS0_8identityIS6_EEEE10hipError_tT2_T3_mT4_P12ihipStream_tbEUlT_E_NS1_11comp_targetILNS1_3genE3ELNS1_11target_archE908ELNS1_3gpuE7ELNS1_3repE0EEENS1_30default_config_static_selectorELNS0_4arch9wavefront6targetE1EEEvT1_.has_indirect_call, 0
	.section	.AMDGPU.csdata,"",@progbits
; Kernel info:
; codeLenInByte = 0
; TotalNumSgprs: 4
; NumVgprs: 0
; ScratchSize: 0
; MemoryBound: 0
; FloatMode: 240
; IeeeMode: 1
; LDSByteSize: 0 bytes/workgroup (compile time only)
; SGPRBlocks: 0
; VGPRBlocks: 0
; NumSGPRsForWavesPerEU: 4
; NumVGPRsForWavesPerEU: 1
; Occupancy: 10
; WaveLimiterHint : 0
; COMPUTE_PGM_RSRC2:SCRATCH_EN: 0
; COMPUTE_PGM_RSRC2:USER_SGPR: 6
; COMPUTE_PGM_RSRC2:TRAP_HANDLER: 0
; COMPUTE_PGM_RSRC2:TGID_X_EN: 1
; COMPUTE_PGM_RSRC2:TGID_Y_EN: 0
; COMPUTE_PGM_RSRC2:TGID_Z_EN: 0
; COMPUTE_PGM_RSRC2:TIDIG_COMP_CNT: 0
	.section	.text._ZN7rocprim17ROCPRIM_400000_NS6detail17trampoline_kernelINS0_14default_configENS1_25transform_config_selectorIN3c108BFloat16ELb1EEEZNS1_14transform_implILb1ES3_S7_PS6_S9_NS0_8identityIS6_EEEE10hipError_tT2_T3_mT4_P12ihipStream_tbEUlT_E_NS1_11comp_targetILNS1_3genE2ELNS1_11target_archE906ELNS1_3gpuE6ELNS1_3repE0EEENS1_30default_config_static_selectorELNS0_4arch9wavefront6targetE1EEEvT1_,"axG",@progbits,_ZN7rocprim17ROCPRIM_400000_NS6detail17trampoline_kernelINS0_14default_configENS1_25transform_config_selectorIN3c108BFloat16ELb1EEEZNS1_14transform_implILb1ES3_S7_PS6_S9_NS0_8identityIS6_EEEE10hipError_tT2_T3_mT4_P12ihipStream_tbEUlT_E_NS1_11comp_targetILNS1_3genE2ELNS1_11target_archE906ELNS1_3gpuE6ELNS1_3repE0EEENS1_30default_config_static_selectorELNS0_4arch9wavefront6targetE1EEEvT1_,comdat
	.protected	_ZN7rocprim17ROCPRIM_400000_NS6detail17trampoline_kernelINS0_14default_configENS1_25transform_config_selectorIN3c108BFloat16ELb1EEEZNS1_14transform_implILb1ES3_S7_PS6_S9_NS0_8identityIS6_EEEE10hipError_tT2_T3_mT4_P12ihipStream_tbEUlT_E_NS1_11comp_targetILNS1_3genE2ELNS1_11target_archE906ELNS1_3gpuE6ELNS1_3repE0EEENS1_30default_config_static_selectorELNS0_4arch9wavefront6targetE1EEEvT1_ ; -- Begin function _ZN7rocprim17ROCPRIM_400000_NS6detail17trampoline_kernelINS0_14default_configENS1_25transform_config_selectorIN3c108BFloat16ELb1EEEZNS1_14transform_implILb1ES3_S7_PS6_S9_NS0_8identityIS6_EEEE10hipError_tT2_T3_mT4_P12ihipStream_tbEUlT_E_NS1_11comp_targetILNS1_3genE2ELNS1_11target_archE906ELNS1_3gpuE6ELNS1_3repE0EEENS1_30default_config_static_selectorELNS0_4arch9wavefront6targetE1EEEvT1_
	.globl	_ZN7rocprim17ROCPRIM_400000_NS6detail17trampoline_kernelINS0_14default_configENS1_25transform_config_selectorIN3c108BFloat16ELb1EEEZNS1_14transform_implILb1ES3_S7_PS6_S9_NS0_8identityIS6_EEEE10hipError_tT2_T3_mT4_P12ihipStream_tbEUlT_E_NS1_11comp_targetILNS1_3genE2ELNS1_11target_archE906ELNS1_3gpuE6ELNS1_3repE0EEENS1_30default_config_static_selectorELNS0_4arch9wavefront6targetE1EEEvT1_
	.p2align	8
	.type	_ZN7rocprim17ROCPRIM_400000_NS6detail17trampoline_kernelINS0_14default_configENS1_25transform_config_selectorIN3c108BFloat16ELb1EEEZNS1_14transform_implILb1ES3_S7_PS6_S9_NS0_8identityIS6_EEEE10hipError_tT2_T3_mT4_P12ihipStream_tbEUlT_E_NS1_11comp_targetILNS1_3genE2ELNS1_11target_archE906ELNS1_3gpuE6ELNS1_3repE0EEENS1_30default_config_static_selectorELNS0_4arch9wavefront6targetE1EEEvT1_,@function
_ZN7rocprim17ROCPRIM_400000_NS6detail17trampoline_kernelINS0_14default_configENS1_25transform_config_selectorIN3c108BFloat16ELb1EEEZNS1_14transform_implILb1ES3_S7_PS6_S9_NS0_8identityIS6_EEEE10hipError_tT2_T3_mT4_P12ihipStream_tbEUlT_E_NS1_11comp_targetILNS1_3genE2ELNS1_11target_archE906ELNS1_3gpuE6ELNS1_3repE0EEENS1_30default_config_static_selectorELNS0_4arch9wavefront6targetE1EEEvT1_: ; @_ZN7rocprim17ROCPRIM_400000_NS6detail17trampoline_kernelINS0_14default_configENS1_25transform_config_selectorIN3c108BFloat16ELb1EEEZNS1_14transform_implILb1ES3_S7_PS6_S9_NS0_8identityIS6_EEEE10hipError_tT2_T3_mT4_P12ihipStream_tbEUlT_E_NS1_11comp_targetILNS1_3genE2ELNS1_11target_archE906ELNS1_3gpuE6ELNS1_3repE0EEENS1_30default_config_static_selectorELNS0_4arch9wavefront6targetE1EEEvT1_
; %bb.0:
	s_load_dwordx8 s[8:15], s[4:5], 0x0
	s_load_dword s2, s[4:5], 0x28
	s_waitcnt lgkmcnt(0)
	s_lshl_b64 s[0:1], s[10:11], 1
	s_add_u32 s3, s8, s0
	s_addc_u32 s4, s9, s1
	s_add_u32 s20, s14, s0
	s_addc_u32 s21, s15, s1
	s_lshl_b32 s0, s6, 13
	s_mov_b32 s1, 0
	s_add_i32 s2, s2, -1
	s_lshl_b64 s[14:15], s[0:1], 1
	s_add_u32 s16, s3, s14
	s_addc_u32 s17, s4, s15
	s_cmp_lg_u32 s6, s2
	s_mov_b64 s[2:3], -1
	s_cbranch_scc0 .LBB452_2
; %bb.1:
	v_lshlrev_b32_e32 v5, 4, v0
	global_load_dwordx4 v[1:4], v5, s[16:17]
	s_add_u32 s2, s20, s14
	s_addc_u32 s3, s21, s15
	s_waitcnt vmcnt(0)
	global_store_dwordx4 v5, v[1:4], s[2:3]
	s_mov_b64 s[2:3], 0
.LBB452_2:
	s_andn2_b64 vcc, exec, s[2:3]
	s_cbranch_vccnz .LBB452_28
; %bb.3:
	s_sub_i32 s18, s12, s0
	v_cmp_gt_u32_e32 vcc, s18, v0
	v_lshlrev_b32_e32 v1, 1, v0
                                        ; implicit-def: $vgpr2
	s_and_saveexec_b64 s[0:1], vcc
	s_cbranch_execz .LBB452_5
; %bb.4:
	global_load_ushort v2, v1, s[16:17]
.LBB452_5:
	s_or_b64 exec, exec, s[0:1]
	v_or_b32_e32 v3, 0x400, v0
	v_cmp_gt_u32_e64 s[0:1], s18, v3
                                        ; implicit-def: $vgpr3
	s_and_saveexec_b64 s[2:3], s[0:1]
	s_cbranch_execz .LBB452_7
; %bb.6:
	global_load_ushort v3, v1, s[16:17] offset:2048
.LBB452_7:
	s_or_b64 exec, exec, s[2:3]
	v_or_b32_e32 v5, 0x800, v0
	v_cmp_gt_u32_e64 s[2:3], s18, v5
                                        ; implicit-def: $vgpr4
	s_and_saveexec_b64 s[4:5], s[2:3]
	s_cbranch_execz .LBB452_9
; %bb.8:
	v_lshlrev_b32_e32 v4, 1, v5
	global_load_ushort v4, v4, s[16:17]
.LBB452_9:
	s_or_b64 exec, exec, s[4:5]
	v_or_b32_e32 v6, 0xc00, v0
	v_cmp_gt_u32_e64 s[4:5], s18, v6
                                        ; implicit-def: $vgpr5
	s_and_saveexec_b64 s[6:7], s[4:5]
	s_cbranch_execz .LBB452_11
; %bb.10:
	v_lshlrev_b32_e32 v5, 1, v6
	global_load_ushort v5, v5, s[16:17]
.LBB452_11:
	s_or_b64 exec, exec, s[6:7]
	v_or_b32_e32 v7, 0x1000, v0
	v_cmp_gt_u32_e64 s[6:7], s18, v7
                                        ; implicit-def: $vgpr6
	s_and_saveexec_b64 s[8:9], s[6:7]
	s_cbranch_execz .LBB452_13
; %bb.12:
	v_lshlrev_b32_e32 v6, 1, v7
	global_load_ushort v6, v6, s[16:17]
.LBB452_13:
	s_or_b64 exec, exec, s[8:9]
	v_or_b32_e32 v8, 0x1400, v0
	v_cmp_gt_u32_e64 s[8:9], s18, v8
                                        ; implicit-def: $vgpr7
	s_and_saveexec_b64 s[10:11], s[8:9]
	s_cbranch_execz .LBB452_15
; %bb.14:
	v_lshlrev_b32_e32 v7, 1, v8
	global_load_ushort v7, v7, s[16:17]
.LBB452_15:
	s_or_b64 exec, exec, s[10:11]
	v_or_b32_e32 v9, 0x1800, v0
	v_cmp_gt_u32_e64 s[10:11], s18, v9
                                        ; implicit-def: $vgpr8
	s_and_saveexec_b64 s[12:13], s[10:11]
	s_cbranch_execz .LBB452_17
; %bb.16:
	v_lshlrev_b32_e32 v8, 1, v9
	global_load_ushort v8, v8, s[16:17]
.LBB452_17:
	s_or_b64 exec, exec, s[12:13]
	v_or_b32_e32 v0, 0x1c00, v0
	v_cmp_gt_u32_e64 s[12:13], s18, v0
                                        ; implicit-def: $vgpr9
	s_and_saveexec_b64 s[18:19], s[12:13]
	s_cbranch_execz .LBB452_19
; %bb.18:
	v_lshlrev_b32_e32 v0, 1, v0
	global_load_ushort v9, v0, s[16:17]
.LBB452_19:
	s_or_b64 exec, exec, s[18:19]
	s_add_u32 s14, s20, s14
	s_addc_u32 s15, s21, s15
	v_mov_b32_e32 v10, s15
	v_add_co_u32_e64 v0, s[14:15], s14, v1
	v_addc_co_u32_e64 v1, s[14:15], 0, v10, s[14:15]
	s_and_saveexec_b64 s[14:15], vcc
	s_cbranch_execnz .LBB452_29
; %bb.20:
	s_or_b64 exec, exec, s[14:15]
	s_and_saveexec_b64 s[14:15], s[0:1]
	s_cbranch_execnz .LBB452_30
.LBB452_21:
	s_or_b64 exec, exec, s[14:15]
	s_and_saveexec_b64 s[0:1], s[2:3]
	s_cbranch_execnz .LBB452_31
.LBB452_22:
	s_or_b64 exec, exec, s[0:1]
	s_and_saveexec_b64 s[0:1], s[4:5]
	s_cbranch_execnz .LBB452_32
.LBB452_23:
	s_or_b64 exec, exec, s[0:1]
	s_and_saveexec_b64 s[0:1], s[6:7]
	s_cbranch_execnz .LBB452_33
.LBB452_24:
	s_or_b64 exec, exec, s[0:1]
	s_and_saveexec_b64 s[0:1], s[8:9]
	s_cbranch_execnz .LBB452_34
.LBB452_25:
	s_or_b64 exec, exec, s[0:1]
	s_and_saveexec_b64 s[0:1], s[10:11]
	s_cbranch_execnz .LBB452_35
.LBB452_26:
	s_or_b64 exec, exec, s[0:1]
	s_and_saveexec_b64 s[0:1], s[12:13]
	s_cbranch_execz .LBB452_28
.LBB452_27:
	v_add_co_u32_e32 v0, vcc, 0x3000, v0
	v_addc_co_u32_e32 v1, vcc, 0, v1, vcc
	s_waitcnt vmcnt(0)
	global_store_short v[0:1], v9, off offset:2048
.LBB452_28:
	s_endpgm
.LBB452_29:
	s_waitcnt vmcnt(0)
	global_store_short v[0:1], v2, off
	s_or_b64 exec, exec, s[14:15]
	s_and_saveexec_b64 s[14:15], s[0:1]
	s_cbranch_execz .LBB452_21
.LBB452_30:
	s_waitcnt vmcnt(0)
	global_store_short v[0:1], v3, off offset:2048
	s_or_b64 exec, exec, s[14:15]
	s_and_saveexec_b64 s[0:1], s[2:3]
	s_cbranch_execz .LBB452_22
.LBB452_31:
	s_waitcnt vmcnt(0)
	v_add_co_u32_e32 v2, vcc, 0x1000, v0
	v_addc_co_u32_e32 v3, vcc, 0, v1, vcc
	global_store_short v[2:3], v4, off
	s_or_b64 exec, exec, s[0:1]
	s_and_saveexec_b64 s[0:1], s[4:5]
	s_cbranch_execz .LBB452_23
.LBB452_32:
	s_waitcnt vmcnt(0)
	v_add_co_u32_e32 v2, vcc, 0x1000, v0
	v_addc_co_u32_e32 v3, vcc, 0, v1, vcc
	global_store_short v[2:3], v5, off offset:2048
	s_or_b64 exec, exec, s[0:1]
	s_and_saveexec_b64 s[0:1], s[6:7]
	s_cbranch_execz .LBB452_24
.LBB452_33:
	s_waitcnt vmcnt(0)
	v_add_co_u32_e32 v2, vcc, 0x2000, v0
	v_addc_co_u32_e32 v3, vcc, 0, v1, vcc
	global_store_short v[2:3], v6, off
	s_or_b64 exec, exec, s[0:1]
	s_and_saveexec_b64 s[0:1], s[8:9]
	s_cbranch_execz .LBB452_25
.LBB452_34:
	s_waitcnt vmcnt(0)
	v_add_co_u32_e32 v2, vcc, 0x2000, v0
	v_addc_co_u32_e32 v3, vcc, 0, v1, vcc
	global_store_short v[2:3], v7, off offset:2048
	s_or_b64 exec, exec, s[0:1]
	s_and_saveexec_b64 s[0:1], s[10:11]
	s_cbranch_execz .LBB452_26
.LBB452_35:
	s_waitcnt vmcnt(0)
	v_add_co_u32_e32 v2, vcc, 0x3000, v0
	v_addc_co_u32_e32 v3, vcc, 0, v1, vcc
	global_store_short v[2:3], v8, off
	s_or_b64 exec, exec, s[0:1]
	s_and_saveexec_b64 s[0:1], s[12:13]
	s_cbranch_execnz .LBB452_27
	s_branch .LBB452_28
	.section	.rodata,"a",@progbits
	.p2align	6, 0x0
	.amdhsa_kernel _ZN7rocprim17ROCPRIM_400000_NS6detail17trampoline_kernelINS0_14default_configENS1_25transform_config_selectorIN3c108BFloat16ELb1EEEZNS1_14transform_implILb1ES3_S7_PS6_S9_NS0_8identityIS6_EEEE10hipError_tT2_T3_mT4_P12ihipStream_tbEUlT_E_NS1_11comp_targetILNS1_3genE2ELNS1_11target_archE906ELNS1_3gpuE6ELNS1_3repE0EEENS1_30default_config_static_selectorELNS0_4arch9wavefront6targetE1EEEvT1_
		.amdhsa_group_segment_fixed_size 0
		.amdhsa_private_segment_fixed_size 0
		.amdhsa_kernarg_size 296
		.amdhsa_user_sgpr_count 6
		.amdhsa_user_sgpr_private_segment_buffer 1
		.amdhsa_user_sgpr_dispatch_ptr 0
		.amdhsa_user_sgpr_queue_ptr 0
		.amdhsa_user_sgpr_kernarg_segment_ptr 1
		.amdhsa_user_sgpr_dispatch_id 0
		.amdhsa_user_sgpr_flat_scratch_init 0
		.amdhsa_user_sgpr_private_segment_size 0
		.amdhsa_uses_dynamic_stack 0
		.amdhsa_system_sgpr_private_segment_wavefront_offset 0
		.amdhsa_system_sgpr_workgroup_id_x 1
		.amdhsa_system_sgpr_workgroup_id_y 0
		.amdhsa_system_sgpr_workgroup_id_z 0
		.amdhsa_system_sgpr_workgroup_info 0
		.amdhsa_system_vgpr_workitem_id 0
		.amdhsa_next_free_vgpr 11
		.amdhsa_next_free_sgpr 22
		.amdhsa_reserve_vcc 1
		.amdhsa_reserve_flat_scratch 0
		.amdhsa_float_round_mode_32 0
		.amdhsa_float_round_mode_16_64 0
		.amdhsa_float_denorm_mode_32 3
		.amdhsa_float_denorm_mode_16_64 3
		.amdhsa_dx10_clamp 1
		.amdhsa_ieee_mode 1
		.amdhsa_fp16_overflow 0
		.amdhsa_exception_fp_ieee_invalid_op 0
		.amdhsa_exception_fp_denorm_src 0
		.amdhsa_exception_fp_ieee_div_zero 0
		.amdhsa_exception_fp_ieee_overflow 0
		.amdhsa_exception_fp_ieee_underflow 0
		.amdhsa_exception_fp_ieee_inexact 0
		.amdhsa_exception_int_div_zero 0
	.end_amdhsa_kernel
	.section	.text._ZN7rocprim17ROCPRIM_400000_NS6detail17trampoline_kernelINS0_14default_configENS1_25transform_config_selectorIN3c108BFloat16ELb1EEEZNS1_14transform_implILb1ES3_S7_PS6_S9_NS0_8identityIS6_EEEE10hipError_tT2_T3_mT4_P12ihipStream_tbEUlT_E_NS1_11comp_targetILNS1_3genE2ELNS1_11target_archE906ELNS1_3gpuE6ELNS1_3repE0EEENS1_30default_config_static_selectorELNS0_4arch9wavefront6targetE1EEEvT1_,"axG",@progbits,_ZN7rocprim17ROCPRIM_400000_NS6detail17trampoline_kernelINS0_14default_configENS1_25transform_config_selectorIN3c108BFloat16ELb1EEEZNS1_14transform_implILb1ES3_S7_PS6_S9_NS0_8identityIS6_EEEE10hipError_tT2_T3_mT4_P12ihipStream_tbEUlT_E_NS1_11comp_targetILNS1_3genE2ELNS1_11target_archE906ELNS1_3gpuE6ELNS1_3repE0EEENS1_30default_config_static_selectorELNS0_4arch9wavefront6targetE1EEEvT1_,comdat
.Lfunc_end452:
	.size	_ZN7rocprim17ROCPRIM_400000_NS6detail17trampoline_kernelINS0_14default_configENS1_25transform_config_selectorIN3c108BFloat16ELb1EEEZNS1_14transform_implILb1ES3_S7_PS6_S9_NS0_8identityIS6_EEEE10hipError_tT2_T3_mT4_P12ihipStream_tbEUlT_E_NS1_11comp_targetILNS1_3genE2ELNS1_11target_archE906ELNS1_3gpuE6ELNS1_3repE0EEENS1_30default_config_static_selectorELNS0_4arch9wavefront6targetE1EEEvT1_, .Lfunc_end452-_ZN7rocprim17ROCPRIM_400000_NS6detail17trampoline_kernelINS0_14default_configENS1_25transform_config_selectorIN3c108BFloat16ELb1EEEZNS1_14transform_implILb1ES3_S7_PS6_S9_NS0_8identityIS6_EEEE10hipError_tT2_T3_mT4_P12ihipStream_tbEUlT_E_NS1_11comp_targetILNS1_3genE2ELNS1_11target_archE906ELNS1_3gpuE6ELNS1_3repE0EEENS1_30default_config_static_selectorELNS0_4arch9wavefront6targetE1EEEvT1_
                                        ; -- End function
	.set _ZN7rocprim17ROCPRIM_400000_NS6detail17trampoline_kernelINS0_14default_configENS1_25transform_config_selectorIN3c108BFloat16ELb1EEEZNS1_14transform_implILb1ES3_S7_PS6_S9_NS0_8identityIS6_EEEE10hipError_tT2_T3_mT4_P12ihipStream_tbEUlT_E_NS1_11comp_targetILNS1_3genE2ELNS1_11target_archE906ELNS1_3gpuE6ELNS1_3repE0EEENS1_30default_config_static_selectorELNS0_4arch9wavefront6targetE1EEEvT1_.num_vgpr, 11
	.set _ZN7rocprim17ROCPRIM_400000_NS6detail17trampoline_kernelINS0_14default_configENS1_25transform_config_selectorIN3c108BFloat16ELb1EEEZNS1_14transform_implILb1ES3_S7_PS6_S9_NS0_8identityIS6_EEEE10hipError_tT2_T3_mT4_P12ihipStream_tbEUlT_E_NS1_11comp_targetILNS1_3genE2ELNS1_11target_archE906ELNS1_3gpuE6ELNS1_3repE0EEENS1_30default_config_static_selectorELNS0_4arch9wavefront6targetE1EEEvT1_.num_agpr, 0
	.set _ZN7rocprim17ROCPRIM_400000_NS6detail17trampoline_kernelINS0_14default_configENS1_25transform_config_selectorIN3c108BFloat16ELb1EEEZNS1_14transform_implILb1ES3_S7_PS6_S9_NS0_8identityIS6_EEEE10hipError_tT2_T3_mT4_P12ihipStream_tbEUlT_E_NS1_11comp_targetILNS1_3genE2ELNS1_11target_archE906ELNS1_3gpuE6ELNS1_3repE0EEENS1_30default_config_static_selectorELNS0_4arch9wavefront6targetE1EEEvT1_.numbered_sgpr, 22
	.set _ZN7rocprim17ROCPRIM_400000_NS6detail17trampoline_kernelINS0_14default_configENS1_25transform_config_selectorIN3c108BFloat16ELb1EEEZNS1_14transform_implILb1ES3_S7_PS6_S9_NS0_8identityIS6_EEEE10hipError_tT2_T3_mT4_P12ihipStream_tbEUlT_E_NS1_11comp_targetILNS1_3genE2ELNS1_11target_archE906ELNS1_3gpuE6ELNS1_3repE0EEENS1_30default_config_static_selectorELNS0_4arch9wavefront6targetE1EEEvT1_.num_named_barrier, 0
	.set _ZN7rocprim17ROCPRIM_400000_NS6detail17trampoline_kernelINS0_14default_configENS1_25transform_config_selectorIN3c108BFloat16ELb1EEEZNS1_14transform_implILb1ES3_S7_PS6_S9_NS0_8identityIS6_EEEE10hipError_tT2_T3_mT4_P12ihipStream_tbEUlT_E_NS1_11comp_targetILNS1_3genE2ELNS1_11target_archE906ELNS1_3gpuE6ELNS1_3repE0EEENS1_30default_config_static_selectorELNS0_4arch9wavefront6targetE1EEEvT1_.private_seg_size, 0
	.set _ZN7rocprim17ROCPRIM_400000_NS6detail17trampoline_kernelINS0_14default_configENS1_25transform_config_selectorIN3c108BFloat16ELb1EEEZNS1_14transform_implILb1ES3_S7_PS6_S9_NS0_8identityIS6_EEEE10hipError_tT2_T3_mT4_P12ihipStream_tbEUlT_E_NS1_11comp_targetILNS1_3genE2ELNS1_11target_archE906ELNS1_3gpuE6ELNS1_3repE0EEENS1_30default_config_static_selectorELNS0_4arch9wavefront6targetE1EEEvT1_.uses_vcc, 1
	.set _ZN7rocprim17ROCPRIM_400000_NS6detail17trampoline_kernelINS0_14default_configENS1_25transform_config_selectorIN3c108BFloat16ELb1EEEZNS1_14transform_implILb1ES3_S7_PS6_S9_NS0_8identityIS6_EEEE10hipError_tT2_T3_mT4_P12ihipStream_tbEUlT_E_NS1_11comp_targetILNS1_3genE2ELNS1_11target_archE906ELNS1_3gpuE6ELNS1_3repE0EEENS1_30default_config_static_selectorELNS0_4arch9wavefront6targetE1EEEvT1_.uses_flat_scratch, 0
	.set _ZN7rocprim17ROCPRIM_400000_NS6detail17trampoline_kernelINS0_14default_configENS1_25transform_config_selectorIN3c108BFloat16ELb1EEEZNS1_14transform_implILb1ES3_S7_PS6_S9_NS0_8identityIS6_EEEE10hipError_tT2_T3_mT4_P12ihipStream_tbEUlT_E_NS1_11comp_targetILNS1_3genE2ELNS1_11target_archE906ELNS1_3gpuE6ELNS1_3repE0EEENS1_30default_config_static_selectorELNS0_4arch9wavefront6targetE1EEEvT1_.has_dyn_sized_stack, 0
	.set _ZN7rocprim17ROCPRIM_400000_NS6detail17trampoline_kernelINS0_14default_configENS1_25transform_config_selectorIN3c108BFloat16ELb1EEEZNS1_14transform_implILb1ES3_S7_PS6_S9_NS0_8identityIS6_EEEE10hipError_tT2_T3_mT4_P12ihipStream_tbEUlT_E_NS1_11comp_targetILNS1_3genE2ELNS1_11target_archE906ELNS1_3gpuE6ELNS1_3repE0EEENS1_30default_config_static_selectorELNS0_4arch9wavefront6targetE1EEEvT1_.has_recursion, 0
	.set _ZN7rocprim17ROCPRIM_400000_NS6detail17trampoline_kernelINS0_14default_configENS1_25transform_config_selectorIN3c108BFloat16ELb1EEEZNS1_14transform_implILb1ES3_S7_PS6_S9_NS0_8identityIS6_EEEE10hipError_tT2_T3_mT4_P12ihipStream_tbEUlT_E_NS1_11comp_targetILNS1_3genE2ELNS1_11target_archE906ELNS1_3gpuE6ELNS1_3repE0EEENS1_30default_config_static_selectorELNS0_4arch9wavefront6targetE1EEEvT1_.has_indirect_call, 0
	.section	.AMDGPU.csdata,"",@progbits
; Kernel info:
; codeLenInByte = 808
; TotalNumSgprs: 26
; NumVgprs: 11
; ScratchSize: 0
; MemoryBound: 1
; FloatMode: 240
; IeeeMode: 1
; LDSByteSize: 0 bytes/workgroup (compile time only)
; SGPRBlocks: 3
; VGPRBlocks: 2
; NumSGPRsForWavesPerEU: 26
; NumVGPRsForWavesPerEU: 11
; Occupancy: 10
; WaveLimiterHint : 0
; COMPUTE_PGM_RSRC2:SCRATCH_EN: 0
; COMPUTE_PGM_RSRC2:USER_SGPR: 6
; COMPUTE_PGM_RSRC2:TRAP_HANDLER: 0
; COMPUTE_PGM_RSRC2:TGID_X_EN: 1
; COMPUTE_PGM_RSRC2:TGID_Y_EN: 0
; COMPUTE_PGM_RSRC2:TGID_Z_EN: 0
; COMPUTE_PGM_RSRC2:TIDIG_COMP_CNT: 0
	.section	.text._ZN7rocprim17ROCPRIM_400000_NS6detail17trampoline_kernelINS0_14default_configENS1_25transform_config_selectorIN3c108BFloat16ELb1EEEZNS1_14transform_implILb1ES3_S7_PS6_S9_NS0_8identityIS6_EEEE10hipError_tT2_T3_mT4_P12ihipStream_tbEUlT_E_NS1_11comp_targetILNS1_3genE9ELNS1_11target_archE1100ELNS1_3gpuE3ELNS1_3repE0EEENS1_30default_config_static_selectorELNS0_4arch9wavefront6targetE1EEEvT1_,"axG",@progbits,_ZN7rocprim17ROCPRIM_400000_NS6detail17trampoline_kernelINS0_14default_configENS1_25transform_config_selectorIN3c108BFloat16ELb1EEEZNS1_14transform_implILb1ES3_S7_PS6_S9_NS0_8identityIS6_EEEE10hipError_tT2_T3_mT4_P12ihipStream_tbEUlT_E_NS1_11comp_targetILNS1_3genE9ELNS1_11target_archE1100ELNS1_3gpuE3ELNS1_3repE0EEENS1_30default_config_static_selectorELNS0_4arch9wavefront6targetE1EEEvT1_,comdat
	.protected	_ZN7rocprim17ROCPRIM_400000_NS6detail17trampoline_kernelINS0_14default_configENS1_25transform_config_selectorIN3c108BFloat16ELb1EEEZNS1_14transform_implILb1ES3_S7_PS6_S9_NS0_8identityIS6_EEEE10hipError_tT2_T3_mT4_P12ihipStream_tbEUlT_E_NS1_11comp_targetILNS1_3genE9ELNS1_11target_archE1100ELNS1_3gpuE3ELNS1_3repE0EEENS1_30default_config_static_selectorELNS0_4arch9wavefront6targetE1EEEvT1_ ; -- Begin function _ZN7rocprim17ROCPRIM_400000_NS6detail17trampoline_kernelINS0_14default_configENS1_25transform_config_selectorIN3c108BFloat16ELb1EEEZNS1_14transform_implILb1ES3_S7_PS6_S9_NS0_8identityIS6_EEEE10hipError_tT2_T3_mT4_P12ihipStream_tbEUlT_E_NS1_11comp_targetILNS1_3genE9ELNS1_11target_archE1100ELNS1_3gpuE3ELNS1_3repE0EEENS1_30default_config_static_selectorELNS0_4arch9wavefront6targetE1EEEvT1_
	.globl	_ZN7rocprim17ROCPRIM_400000_NS6detail17trampoline_kernelINS0_14default_configENS1_25transform_config_selectorIN3c108BFloat16ELb1EEEZNS1_14transform_implILb1ES3_S7_PS6_S9_NS0_8identityIS6_EEEE10hipError_tT2_T3_mT4_P12ihipStream_tbEUlT_E_NS1_11comp_targetILNS1_3genE9ELNS1_11target_archE1100ELNS1_3gpuE3ELNS1_3repE0EEENS1_30default_config_static_selectorELNS0_4arch9wavefront6targetE1EEEvT1_
	.p2align	8
	.type	_ZN7rocprim17ROCPRIM_400000_NS6detail17trampoline_kernelINS0_14default_configENS1_25transform_config_selectorIN3c108BFloat16ELb1EEEZNS1_14transform_implILb1ES3_S7_PS6_S9_NS0_8identityIS6_EEEE10hipError_tT2_T3_mT4_P12ihipStream_tbEUlT_E_NS1_11comp_targetILNS1_3genE9ELNS1_11target_archE1100ELNS1_3gpuE3ELNS1_3repE0EEENS1_30default_config_static_selectorELNS0_4arch9wavefront6targetE1EEEvT1_,@function
_ZN7rocprim17ROCPRIM_400000_NS6detail17trampoline_kernelINS0_14default_configENS1_25transform_config_selectorIN3c108BFloat16ELb1EEEZNS1_14transform_implILb1ES3_S7_PS6_S9_NS0_8identityIS6_EEEE10hipError_tT2_T3_mT4_P12ihipStream_tbEUlT_E_NS1_11comp_targetILNS1_3genE9ELNS1_11target_archE1100ELNS1_3gpuE3ELNS1_3repE0EEENS1_30default_config_static_selectorELNS0_4arch9wavefront6targetE1EEEvT1_: ; @_ZN7rocprim17ROCPRIM_400000_NS6detail17trampoline_kernelINS0_14default_configENS1_25transform_config_selectorIN3c108BFloat16ELb1EEEZNS1_14transform_implILb1ES3_S7_PS6_S9_NS0_8identityIS6_EEEE10hipError_tT2_T3_mT4_P12ihipStream_tbEUlT_E_NS1_11comp_targetILNS1_3genE9ELNS1_11target_archE1100ELNS1_3gpuE3ELNS1_3repE0EEENS1_30default_config_static_selectorELNS0_4arch9wavefront6targetE1EEEvT1_
; %bb.0:
	.section	.rodata,"a",@progbits
	.p2align	6, 0x0
	.amdhsa_kernel _ZN7rocprim17ROCPRIM_400000_NS6detail17trampoline_kernelINS0_14default_configENS1_25transform_config_selectorIN3c108BFloat16ELb1EEEZNS1_14transform_implILb1ES3_S7_PS6_S9_NS0_8identityIS6_EEEE10hipError_tT2_T3_mT4_P12ihipStream_tbEUlT_E_NS1_11comp_targetILNS1_3genE9ELNS1_11target_archE1100ELNS1_3gpuE3ELNS1_3repE0EEENS1_30default_config_static_selectorELNS0_4arch9wavefront6targetE1EEEvT1_
		.amdhsa_group_segment_fixed_size 0
		.amdhsa_private_segment_fixed_size 0
		.amdhsa_kernarg_size 40
		.amdhsa_user_sgpr_count 6
		.amdhsa_user_sgpr_private_segment_buffer 1
		.amdhsa_user_sgpr_dispatch_ptr 0
		.amdhsa_user_sgpr_queue_ptr 0
		.amdhsa_user_sgpr_kernarg_segment_ptr 1
		.amdhsa_user_sgpr_dispatch_id 0
		.amdhsa_user_sgpr_flat_scratch_init 0
		.amdhsa_user_sgpr_private_segment_size 0
		.amdhsa_uses_dynamic_stack 0
		.amdhsa_system_sgpr_private_segment_wavefront_offset 0
		.amdhsa_system_sgpr_workgroup_id_x 1
		.amdhsa_system_sgpr_workgroup_id_y 0
		.amdhsa_system_sgpr_workgroup_id_z 0
		.amdhsa_system_sgpr_workgroup_info 0
		.amdhsa_system_vgpr_workitem_id 0
		.amdhsa_next_free_vgpr 1
		.amdhsa_next_free_sgpr 0
		.amdhsa_reserve_vcc 0
		.amdhsa_reserve_flat_scratch 0
		.amdhsa_float_round_mode_32 0
		.amdhsa_float_round_mode_16_64 0
		.amdhsa_float_denorm_mode_32 3
		.amdhsa_float_denorm_mode_16_64 3
		.amdhsa_dx10_clamp 1
		.amdhsa_ieee_mode 1
		.amdhsa_fp16_overflow 0
		.amdhsa_exception_fp_ieee_invalid_op 0
		.amdhsa_exception_fp_denorm_src 0
		.amdhsa_exception_fp_ieee_div_zero 0
		.amdhsa_exception_fp_ieee_overflow 0
		.amdhsa_exception_fp_ieee_underflow 0
		.amdhsa_exception_fp_ieee_inexact 0
		.amdhsa_exception_int_div_zero 0
	.end_amdhsa_kernel
	.section	.text._ZN7rocprim17ROCPRIM_400000_NS6detail17trampoline_kernelINS0_14default_configENS1_25transform_config_selectorIN3c108BFloat16ELb1EEEZNS1_14transform_implILb1ES3_S7_PS6_S9_NS0_8identityIS6_EEEE10hipError_tT2_T3_mT4_P12ihipStream_tbEUlT_E_NS1_11comp_targetILNS1_3genE9ELNS1_11target_archE1100ELNS1_3gpuE3ELNS1_3repE0EEENS1_30default_config_static_selectorELNS0_4arch9wavefront6targetE1EEEvT1_,"axG",@progbits,_ZN7rocprim17ROCPRIM_400000_NS6detail17trampoline_kernelINS0_14default_configENS1_25transform_config_selectorIN3c108BFloat16ELb1EEEZNS1_14transform_implILb1ES3_S7_PS6_S9_NS0_8identityIS6_EEEE10hipError_tT2_T3_mT4_P12ihipStream_tbEUlT_E_NS1_11comp_targetILNS1_3genE9ELNS1_11target_archE1100ELNS1_3gpuE3ELNS1_3repE0EEENS1_30default_config_static_selectorELNS0_4arch9wavefront6targetE1EEEvT1_,comdat
.Lfunc_end453:
	.size	_ZN7rocprim17ROCPRIM_400000_NS6detail17trampoline_kernelINS0_14default_configENS1_25transform_config_selectorIN3c108BFloat16ELb1EEEZNS1_14transform_implILb1ES3_S7_PS6_S9_NS0_8identityIS6_EEEE10hipError_tT2_T3_mT4_P12ihipStream_tbEUlT_E_NS1_11comp_targetILNS1_3genE9ELNS1_11target_archE1100ELNS1_3gpuE3ELNS1_3repE0EEENS1_30default_config_static_selectorELNS0_4arch9wavefront6targetE1EEEvT1_, .Lfunc_end453-_ZN7rocprim17ROCPRIM_400000_NS6detail17trampoline_kernelINS0_14default_configENS1_25transform_config_selectorIN3c108BFloat16ELb1EEEZNS1_14transform_implILb1ES3_S7_PS6_S9_NS0_8identityIS6_EEEE10hipError_tT2_T3_mT4_P12ihipStream_tbEUlT_E_NS1_11comp_targetILNS1_3genE9ELNS1_11target_archE1100ELNS1_3gpuE3ELNS1_3repE0EEENS1_30default_config_static_selectorELNS0_4arch9wavefront6targetE1EEEvT1_
                                        ; -- End function
	.set _ZN7rocprim17ROCPRIM_400000_NS6detail17trampoline_kernelINS0_14default_configENS1_25transform_config_selectorIN3c108BFloat16ELb1EEEZNS1_14transform_implILb1ES3_S7_PS6_S9_NS0_8identityIS6_EEEE10hipError_tT2_T3_mT4_P12ihipStream_tbEUlT_E_NS1_11comp_targetILNS1_3genE9ELNS1_11target_archE1100ELNS1_3gpuE3ELNS1_3repE0EEENS1_30default_config_static_selectorELNS0_4arch9wavefront6targetE1EEEvT1_.num_vgpr, 0
	.set _ZN7rocprim17ROCPRIM_400000_NS6detail17trampoline_kernelINS0_14default_configENS1_25transform_config_selectorIN3c108BFloat16ELb1EEEZNS1_14transform_implILb1ES3_S7_PS6_S9_NS0_8identityIS6_EEEE10hipError_tT2_T3_mT4_P12ihipStream_tbEUlT_E_NS1_11comp_targetILNS1_3genE9ELNS1_11target_archE1100ELNS1_3gpuE3ELNS1_3repE0EEENS1_30default_config_static_selectorELNS0_4arch9wavefront6targetE1EEEvT1_.num_agpr, 0
	.set _ZN7rocprim17ROCPRIM_400000_NS6detail17trampoline_kernelINS0_14default_configENS1_25transform_config_selectorIN3c108BFloat16ELb1EEEZNS1_14transform_implILb1ES3_S7_PS6_S9_NS0_8identityIS6_EEEE10hipError_tT2_T3_mT4_P12ihipStream_tbEUlT_E_NS1_11comp_targetILNS1_3genE9ELNS1_11target_archE1100ELNS1_3gpuE3ELNS1_3repE0EEENS1_30default_config_static_selectorELNS0_4arch9wavefront6targetE1EEEvT1_.numbered_sgpr, 0
	.set _ZN7rocprim17ROCPRIM_400000_NS6detail17trampoline_kernelINS0_14default_configENS1_25transform_config_selectorIN3c108BFloat16ELb1EEEZNS1_14transform_implILb1ES3_S7_PS6_S9_NS0_8identityIS6_EEEE10hipError_tT2_T3_mT4_P12ihipStream_tbEUlT_E_NS1_11comp_targetILNS1_3genE9ELNS1_11target_archE1100ELNS1_3gpuE3ELNS1_3repE0EEENS1_30default_config_static_selectorELNS0_4arch9wavefront6targetE1EEEvT1_.num_named_barrier, 0
	.set _ZN7rocprim17ROCPRIM_400000_NS6detail17trampoline_kernelINS0_14default_configENS1_25transform_config_selectorIN3c108BFloat16ELb1EEEZNS1_14transform_implILb1ES3_S7_PS6_S9_NS0_8identityIS6_EEEE10hipError_tT2_T3_mT4_P12ihipStream_tbEUlT_E_NS1_11comp_targetILNS1_3genE9ELNS1_11target_archE1100ELNS1_3gpuE3ELNS1_3repE0EEENS1_30default_config_static_selectorELNS0_4arch9wavefront6targetE1EEEvT1_.private_seg_size, 0
	.set _ZN7rocprim17ROCPRIM_400000_NS6detail17trampoline_kernelINS0_14default_configENS1_25transform_config_selectorIN3c108BFloat16ELb1EEEZNS1_14transform_implILb1ES3_S7_PS6_S9_NS0_8identityIS6_EEEE10hipError_tT2_T3_mT4_P12ihipStream_tbEUlT_E_NS1_11comp_targetILNS1_3genE9ELNS1_11target_archE1100ELNS1_3gpuE3ELNS1_3repE0EEENS1_30default_config_static_selectorELNS0_4arch9wavefront6targetE1EEEvT1_.uses_vcc, 0
	.set _ZN7rocprim17ROCPRIM_400000_NS6detail17trampoline_kernelINS0_14default_configENS1_25transform_config_selectorIN3c108BFloat16ELb1EEEZNS1_14transform_implILb1ES3_S7_PS6_S9_NS0_8identityIS6_EEEE10hipError_tT2_T3_mT4_P12ihipStream_tbEUlT_E_NS1_11comp_targetILNS1_3genE9ELNS1_11target_archE1100ELNS1_3gpuE3ELNS1_3repE0EEENS1_30default_config_static_selectorELNS0_4arch9wavefront6targetE1EEEvT1_.uses_flat_scratch, 0
	.set _ZN7rocprim17ROCPRIM_400000_NS6detail17trampoline_kernelINS0_14default_configENS1_25transform_config_selectorIN3c108BFloat16ELb1EEEZNS1_14transform_implILb1ES3_S7_PS6_S9_NS0_8identityIS6_EEEE10hipError_tT2_T3_mT4_P12ihipStream_tbEUlT_E_NS1_11comp_targetILNS1_3genE9ELNS1_11target_archE1100ELNS1_3gpuE3ELNS1_3repE0EEENS1_30default_config_static_selectorELNS0_4arch9wavefront6targetE1EEEvT1_.has_dyn_sized_stack, 0
	.set _ZN7rocprim17ROCPRIM_400000_NS6detail17trampoline_kernelINS0_14default_configENS1_25transform_config_selectorIN3c108BFloat16ELb1EEEZNS1_14transform_implILb1ES3_S7_PS6_S9_NS0_8identityIS6_EEEE10hipError_tT2_T3_mT4_P12ihipStream_tbEUlT_E_NS1_11comp_targetILNS1_3genE9ELNS1_11target_archE1100ELNS1_3gpuE3ELNS1_3repE0EEENS1_30default_config_static_selectorELNS0_4arch9wavefront6targetE1EEEvT1_.has_recursion, 0
	.set _ZN7rocprim17ROCPRIM_400000_NS6detail17trampoline_kernelINS0_14default_configENS1_25transform_config_selectorIN3c108BFloat16ELb1EEEZNS1_14transform_implILb1ES3_S7_PS6_S9_NS0_8identityIS6_EEEE10hipError_tT2_T3_mT4_P12ihipStream_tbEUlT_E_NS1_11comp_targetILNS1_3genE9ELNS1_11target_archE1100ELNS1_3gpuE3ELNS1_3repE0EEENS1_30default_config_static_selectorELNS0_4arch9wavefront6targetE1EEEvT1_.has_indirect_call, 0
	.section	.AMDGPU.csdata,"",@progbits
; Kernel info:
; codeLenInByte = 0
; TotalNumSgprs: 4
; NumVgprs: 0
; ScratchSize: 0
; MemoryBound: 0
; FloatMode: 240
; IeeeMode: 1
; LDSByteSize: 0 bytes/workgroup (compile time only)
; SGPRBlocks: 0
; VGPRBlocks: 0
; NumSGPRsForWavesPerEU: 4
; NumVGPRsForWavesPerEU: 1
; Occupancy: 10
; WaveLimiterHint : 0
; COMPUTE_PGM_RSRC2:SCRATCH_EN: 0
; COMPUTE_PGM_RSRC2:USER_SGPR: 6
; COMPUTE_PGM_RSRC2:TRAP_HANDLER: 0
; COMPUTE_PGM_RSRC2:TGID_X_EN: 1
; COMPUTE_PGM_RSRC2:TGID_Y_EN: 0
; COMPUTE_PGM_RSRC2:TGID_Z_EN: 0
; COMPUTE_PGM_RSRC2:TIDIG_COMP_CNT: 0
	.section	.text._ZN7rocprim17ROCPRIM_400000_NS6detail17trampoline_kernelINS0_14default_configENS1_25transform_config_selectorIN3c108BFloat16ELb1EEEZNS1_14transform_implILb1ES3_S7_PS6_S9_NS0_8identityIS6_EEEE10hipError_tT2_T3_mT4_P12ihipStream_tbEUlT_E_NS1_11comp_targetILNS1_3genE8ELNS1_11target_archE1030ELNS1_3gpuE2ELNS1_3repE0EEENS1_30default_config_static_selectorELNS0_4arch9wavefront6targetE1EEEvT1_,"axG",@progbits,_ZN7rocprim17ROCPRIM_400000_NS6detail17trampoline_kernelINS0_14default_configENS1_25transform_config_selectorIN3c108BFloat16ELb1EEEZNS1_14transform_implILb1ES3_S7_PS6_S9_NS0_8identityIS6_EEEE10hipError_tT2_T3_mT4_P12ihipStream_tbEUlT_E_NS1_11comp_targetILNS1_3genE8ELNS1_11target_archE1030ELNS1_3gpuE2ELNS1_3repE0EEENS1_30default_config_static_selectorELNS0_4arch9wavefront6targetE1EEEvT1_,comdat
	.protected	_ZN7rocprim17ROCPRIM_400000_NS6detail17trampoline_kernelINS0_14default_configENS1_25transform_config_selectorIN3c108BFloat16ELb1EEEZNS1_14transform_implILb1ES3_S7_PS6_S9_NS0_8identityIS6_EEEE10hipError_tT2_T3_mT4_P12ihipStream_tbEUlT_E_NS1_11comp_targetILNS1_3genE8ELNS1_11target_archE1030ELNS1_3gpuE2ELNS1_3repE0EEENS1_30default_config_static_selectorELNS0_4arch9wavefront6targetE1EEEvT1_ ; -- Begin function _ZN7rocprim17ROCPRIM_400000_NS6detail17trampoline_kernelINS0_14default_configENS1_25transform_config_selectorIN3c108BFloat16ELb1EEEZNS1_14transform_implILb1ES3_S7_PS6_S9_NS0_8identityIS6_EEEE10hipError_tT2_T3_mT4_P12ihipStream_tbEUlT_E_NS1_11comp_targetILNS1_3genE8ELNS1_11target_archE1030ELNS1_3gpuE2ELNS1_3repE0EEENS1_30default_config_static_selectorELNS0_4arch9wavefront6targetE1EEEvT1_
	.globl	_ZN7rocprim17ROCPRIM_400000_NS6detail17trampoline_kernelINS0_14default_configENS1_25transform_config_selectorIN3c108BFloat16ELb1EEEZNS1_14transform_implILb1ES3_S7_PS6_S9_NS0_8identityIS6_EEEE10hipError_tT2_T3_mT4_P12ihipStream_tbEUlT_E_NS1_11comp_targetILNS1_3genE8ELNS1_11target_archE1030ELNS1_3gpuE2ELNS1_3repE0EEENS1_30default_config_static_selectorELNS0_4arch9wavefront6targetE1EEEvT1_
	.p2align	8
	.type	_ZN7rocprim17ROCPRIM_400000_NS6detail17trampoline_kernelINS0_14default_configENS1_25transform_config_selectorIN3c108BFloat16ELb1EEEZNS1_14transform_implILb1ES3_S7_PS6_S9_NS0_8identityIS6_EEEE10hipError_tT2_T3_mT4_P12ihipStream_tbEUlT_E_NS1_11comp_targetILNS1_3genE8ELNS1_11target_archE1030ELNS1_3gpuE2ELNS1_3repE0EEENS1_30default_config_static_selectorELNS0_4arch9wavefront6targetE1EEEvT1_,@function
_ZN7rocprim17ROCPRIM_400000_NS6detail17trampoline_kernelINS0_14default_configENS1_25transform_config_selectorIN3c108BFloat16ELb1EEEZNS1_14transform_implILb1ES3_S7_PS6_S9_NS0_8identityIS6_EEEE10hipError_tT2_T3_mT4_P12ihipStream_tbEUlT_E_NS1_11comp_targetILNS1_3genE8ELNS1_11target_archE1030ELNS1_3gpuE2ELNS1_3repE0EEENS1_30default_config_static_selectorELNS0_4arch9wavefront6targetE1EEEvT1_: ; @_ZN7rocprim17ROCPRIM_400000_NS6detail17trampoline_kernelINS0_14default_configENS1_25transform_config_selectorIN3c108BFloat16ELb1EEEZNS1_14transform_implILb1ES3_S7_PS6_S9_NS0_8identityIS6_EEEE10hipError_tT2_T3_mT4_P12ihipStream_tbEUlT_E_NS1_11comp_targetILNS1_3genE8ELNS1_11target_archE1030ELNS1_3gpuE2ELNS1_3repE0EEENS1_30default_config_static_selectorELNS0_4arch9wavefront6targetE1EEEvT1_
; %bb.0:
	.section	.rodata,"a",@progbits
	.p2align	6, 0x0
	.amdhsa_kernel _ZN7rocprim17ROCPRIM_400000_NS6detail17trampoline_kernelINS0_14default_configENS1_25transform_config_selectorIN3c108BFloat16ELb1EEEZNS1_14transform_implILb1ES3_S7_PS6_S9_NS0_8identityIS6_EEEE10hipError_tT2_T3_mT4_P12ihipStream_tbEUlT_E_NS1_11comp_targetILNS1_3genE8ELNS1_11target_archE1030ELNS1_3gpuE2ELNS1_3repE0EEENS1_30default_config_static_selectorELNS0_4arch9wavefront6targetE1EEEvT1_
		.amdhsa_group_segment_fixed_size 0
		.amdhsa_private_segment_fixed_size 0
		.amdhsa_kernarg_size 40
		.amdhsa_user_sgpr_count 6
		.amdhsa_user_sgpr_private_segment_buffer 1
		.amdhsa_user_sgpr_dispatch_ptr 0
		.amdhsa_user_sgpr_queue_ptr 0
		.amdhsa_user_sgpr_kernarg_segment_ptr 1
		.amdhsa_user_sgpr_dispatch_id 0
		.amdhsa_user_sgpr_flat_scratch_init 0
		.amdhsa_user_sgpr_private_segment_size 0
		.amdhsa_uses_dynamic_stack 0
		.amdhsa_system_sgpr_private_segment_wavefront_offset 0
		.amdhsa_system_sgpr_workgroup_id_x 1
		.amdhsa_system_sgpr_workgroup_id_y 0
		.amdhsa_system_sgpr_workgroup_id_z 0
		.amdhsa_system_sgpr_workgroup_info 0
		.amdhsa_system_vgpr_workitem_id 0
		.amdhsa_next_free_vgpr 1
		.amdhsa_next_free_sgpr 0
		.amdhsa_reserve_vcc 0
		.amdhsa_reserve_flat_scratch 0
		.amdhsa_float_round_mode_32 0
		.amdhsa_float_round_mode_16_64 0
		.amdhsa_float_denorm_mode_32 3
		.amdhsa_float_denorm_mode_16_64 3
		.amdhsa_dx10_clamp 1
		.amdhsa_ieee_mode 1
		.amdhsa_fp16_overflow 0
		.amdhsa_exception_fp_ieee_invalid_op 0
		.amdhsa_exception_fp_denorm_src 0
		.amdhsa_exception_fp_ieee_div_zero 0
		.amdhsa_exception_fp_ieee_overflow 0
		.amdhsa_exception_fp_ieee_underflow 0
		.amdhsa_exception_fp_ieee_inexact 0
		.amdhsa_exception_int_div_zero 0
	.end_amdhsa_kernel
	.section	.text._ZN7rocprim17ROCPRIM_400000_NS6detail17trampoline_kernelINS0_14default_configENS1_25transform_config_selectorIN3c108BFloat16ELb1EEEZNS1_14transform_implILb1ES3_S7_PS6_S9_NS0_8identityIS6_EEEE10hipError_tT2_T3_mT4_P12ihipStream_tbEUlT_E_NS1_11comp_targetILNS1_3genE8ELNS1_11target_archE1030ELNS1_3gpuE2ELNS1_3repE0EEENS1_30default_config_static_selectorELNS0_4arch9wavefront6targetE1EEEvT1_,"axG",@progbits,_ZN7rocprim17ROCPRIM_400000_NS6detail17trampoline_kernelINS0_14default_configENS1_25transform_config_selectorIN3c108BFloat16ELb1EEEZNS1_14transform_implILb1ES3_S7_PS6_S9_NS0_8identityIS6_EEEE10hipError_tT2_T3_mT4_P12ihipStream_tbEUlT_E_NS1_11comp_targetILNS1_3genE8ELNS1_11target_archE1030ELNS1_3gpuE2ELNS1_3repE0EEENS1_30default_config_static_selectorELNS0_4arch9wavefront6targetE1EEEvT1_,comdat
.Lfunc_end454:
	.size	_ZN7rocprim17ROCPRIM_400000_NS6detail17trampoline_kernelINS0_14default_configENS1_25transform_config_selectorIN3c108BFloat16ELb1EEEZNS1_14transform_implILb1ES3_S7_PS6_S9_NS0_8identityIS6_EEEE10hipError_tT2_T3_mT4_P12ihipStream_tbEUlT_E_NS1_11comp_targetILNS1_3genE8ELNS1_11target_archE1030ELNS1_3gpuE2ELNS1_3repE0EEENS1_30default_config_static_selectorELNS0_4arch9wavefront6targetE1EEEvT1_, .Lfunc_end454-_ZN7rocprim17ROCPRIM_400000_NS6detail17trampoline_kernelINS0_14default_configENS1_25transform_config_selectorIN3c108BFloat16ELb1EEEZNS1_14transform_implILb1ES3_S7_PS6_S9_NS0_8identityIS6_EEEE10hipError_tT2_T3_mT4_P12ihipStream_tbEUlT_E_NS1_11comp_targetILNS1_3genE8ELNS1_11target_archE1030ELNS1_3gpuE2ELNS1_3repE0EEENS1_30default_config_static_selectorELNS0_4arch9wavefront6targetE1EEEvT1_
                                        ; -- End function
	.set _ZN7rocprim17ROCPRIM_400000_NS6detail17trampoline_kernelINS0_14default_configENS1_25transform_config_selectorIN3c108BFloat16ELb1EEEZNS1_14transform_implILb1ES3_S7_PS6_S9_NS0_8identityIS6_EEEE10hipError_tT2_T3_mT4_P12ihipStream_tbEUlT_E_NS1_11comp_targetILNS1_3genE8ELNS1_11target_archE1030ELNS1_3gpuE2ELNS1_3repE0EEENS1_30default_config_static_selectorELNS0_4arch9wavefront6targetE1EEEvT1_.num_vgpr, 0
	.set _ZN7rocprim17ROCPRIM_400000_NS6detail17trampoline_kernelINS0_14default_configENS1_25transform_config_selectorIN3c108BFloat16ELb1EEEZNS1_14transform_implILb1ES3_S7_PS6_S9_NS0_8identityIS6_EEEE10hipError_tT2_T3_mT4_P12ihipStream_tbEUlT_E_NS1_11comp_targetILNS1_3genE8ELNS1_11target_archE1030ELNS1_3gpuE2ELNS1_3repE0EEENS1_30default_config_static_selectorELNS0_4arch9wavefront6targetE1EEEvT1_.num_agpr, 0
	.set _ZN7rocprim17ROCPRIM_400000_NS6detail17trampoline_kernelINS0_14default_configENS1_25transform_config_selectorIN3c108BFloat16ELb1EEEZNS1_14transform_implILb1ES3_S7_PS6_S9_NS0_8identityIS6_EEEE10hipError_tT2_T3_mT4_P12ihipStream_tbEUlT_E_NS1_11comp_targetILNS1_3genE8ELNS1_11target_archE1030ELNS1_3gpuE2ELNS1_3repE0EEENS1_30default_config_static_selectorELNS0_4arch9wavefront6targetE1EEEvT1_.numbered_sgpr, 0
	.set _ZN7rocprim17ROCPRIM_400000_NS6detail17trampoline_kernelINS0_14default_configENS1_25transform_config_selectorIN3c108BFloat16ELb1EEEZNS1_14transform_implILb1ES3_S7_PS6_S9_NS0_8identityIS6_EEEE10hipError_tT2_T3_mT4_P12ihipStream_tbEUlT_E_NS1_11comp_targetILNS1_3genE8ELNS1_11target_archE1030ELNS1_3gpuE2ELNS1_3repE0EEENS1_30default_config_static_selectorELNS0_4arch9wavefront6targetE1EEEvT1_.num_named_barrier, 0
	.set _ZN7rocprim17ROCPRIM_400000_NS6detail17trampoline_kernelINS0_14default_configENS1_25transform_config_selectorIN3c108BFloat16ELb1EEEZNS1_14transform_implILb1ES3_S7_PS6_S9_NS0_8identityIS6_EEEE10hipError_tT2_T3_mT4_P12ihipStream_tbEUlT_E_NS1_11comp_targetILNS1_3genE8ELNS1_11target_archE1030ELNS1_3gpuE2ELNS1_3repE0EEENS1_30default_config_static_selectorELNS0_4arch9wavefront6targetE1EEEvT1_.private_seg_size, 0
	.set _ZN7rocprim17ROCPRIM_400000_NS6detail17trampoline_kernelINS0_14default_configENS1_25transform_config_selectorIN3c108BFloat16ELb1EEEZNS1_14transform_implILb1ES3_S7_PS6_S9_NS0_8identityIS6_EEEE10hipError_tT2_T3_mT4_P12ihipStream_tbEUlT_E_NS1_11comp_targetILNS1_3genE8ELNS1_11target_archE1030ELNS1_3gpuE2ELNS1_3repE0EEENS1_30default_config_static_selectorELNS0_4arch9wavefront6targetE1EEEvT1_.uses_vcc, 0
	.set _ZN7rocprim17ROCPRIM_400000_NS6detail17trampoline_kernelINS0_14default_configENS1_25transform_config_selectorIN3c108BFloat16ELb1EEEZNS1_14transform_implILb1ES3_S7_PS6_S9_NS0_8identityIS6_EEEE10hipError_tT2_T3_mT4_P12ihipStream_tbEUlT_E_NS1_11comp_targetILNS1_3genE8ELNS1_11target_archE1030ELNS1_3gpuE2ELNS1_3repE0EEENS1_30default_config_static_selectorELNS0_4arch9wavefront6targetE1EEEvT1_.uses_flat_scratch, 0
	.set _ZN7rocprim17ROCPRIM_400000_NS6detail17trampoline_kernelINS0_14default_configENS1_25transform_config_selectorIN3c108BFloat16ELb1EEEZNS1_14transform_implILb1ES3_S7_PS6_S9_NS0_8identityIS6_EEEE10hipError_tT2_T3_mT4_P12ihipStream_tbEUlT_E_NS1_11comp_targetILNS1_3genE8ELNS1_11target_archE1030ELNS1_3gpuE2ELNS1_3repE0EEENS1_30default_config_static_selectorELNS0_4arch9wavefront6targetE1EEEvT1_.has_dyn_sized_stack, 0
	.set _ZN7rocprim17ROCPRIM_400000_NS6detail17trampoline_kernelINS0_14default_configENS1_25transform_config_selectorIN3c108BFloat16ELb1EEEZNS1_14transform_implILb1ES3_S7_PS6_S9_NS0_8identityIS6_EEEE10hipError_tT2_T3_mT4_P12ihipStream_tbEUlT_E_NS1_11comp_targetILNS1_3genE8ELNS1_11target_archE1030ELNS1_3gpuE2ELNS1_3repE0EEENS1_30default_config_static_selectorELNS0_4arch9wavefront6targetE1EEEvT1_.has_recursion, 0
	.set _ZN7rocprim17ROCPRIM_400000_NS6detail17trampoline_kernelINS0_14default_configENS1_25transform_config_selectorIN3c108BFloat16ELb1EEEZNS1_14transform_implILb1ES3_S7_PS6_S9_NS0_8identityIS6_EEEE10hipError_tT2_T3_mT4_P12ihipStream_tbEUlT_E_NS1_11comp_targetILNS1_3genE8ELNS1_11target_archE1030ELNS1_3gpuE2ELNS1_3repE0EEENS1_30default_config_static_selectorELNS0_4arch9wavefront6targetE1EEEvT1_.has_indirect_call, 0
	.section	.AMDGPU.csdata,"",@progbits
; Kernel info:
; codeLenInByte = 0
; TotalNumSgprs: 4
; NumVgprs: 0
; ScratchSize: 0
; MemoryBound: 0
; FloatMode: 240
; IeeeMode: 1
; LDSByteSize: 0 bytes/workgroup (compile time only)
; SGPRBlocks: 0
; VGPRBlocks: 0
; NumSGPRsForWavesPerEU: 4
; NumVGPRsForWavesPerEU: 1
; Occupancy: 10
; WaveLimiterHint : 0
; COMPUTE_PGM_RSRC2:SCRATCH_EN: 0
; COMPUTE_PGM_RSRC2:USER_SGPR: 6
; COMPUTE_PGM_RSRC2:TRAP_HANDLER: 0
; COMPUTE_PGM_RSRC2:TGID_X_EN: 1
; COMPUTE_PGM_RSRC2:TGID_Y_EN: 0
; COMPUTE_PGM_RSRC2:TGID_Z_EN: 0
; COMPUTE_PGM_RSRC2:TIDIG_COMP_CNT: 0
	.section	.text._ZN7rocprim17ROCPRIM_400000_NS6detail17trampoline_kernelINS0_14default_configENS1_20scan_config_selectorIN3c108BFloat16EEEZZNS1_9scan_implILNS1_25lookback_scan_determinismE0ELb0ELb0ES3_PKS6_PS6_S6_ZZZN2at6native31launch_logcumsumexp_cuda_kernelERKNSD_10TensorBaseESH_lENKUlvE_clEvENKUlvE4_clEvEUlS6_S6_E_S6_EEDaPvRmT3_T4_T5_mT6_P12ihipStream_tbENKUlT_T0_E_clISt17integral_constantIbLb0EESY_EEDaST_SU_EUlST_E0_NS1_11comp_targetILNS1_3genE0ELNS1_11target_archE4294967295ELNS1_3gpuE0ELNS1_3repE0EEENS1_30default_config_static_selectorELNS0_4arch9wavefront6targetE1EEEvT1_,"axG",@progbits,_ZN7rocprim17ROCPRIM_400000_NS6detail17trampoline_kernelINS0_14default_configENS1_20scan_config_selectorIN3c108BFloat16EEEZZNS1_9scan_implILNS1_25lookback_scan_determinismE0ELb0ELb0ES3_PKS6_PS6_S6_ZZZN2at6native31launch_logcumsumexp_cuda_kernelERKNSD_10TensorBaseESH_lENKUlvE_clEvENKUlvE4_clEvEUlS6_S6_E_S6_EEDaPvRmT3_T4_T5_mT6_P12ihipStream_tbENKUlT_T0_E_clISt17integral_constantIbLb0EESY_EEDaST_SU_EUlST_E0_NS1_11comp_targetILNS1_3genE0ELNS1_11target_archE4294967295ELNS1_3gpuE0ELNS1_3repE0EEENS1_30default_config_static_selectorELNS0_4arch9wavefront6targetE1EEEvT1_,comdat
	.globl	_ZN7rocprim17ROCPRIM_400000_NS6detail17trampoline_kernelINS0_14default_configENS1_20scan_config_selectorIN3c108BFloat16EEEZZNS1_9scan_implILNS1_25lookback_scan_determinismE0ELb0ELb0ES3_PKS6_PS6_S6_ZZZN2at6native31launch_logcumsumexp_cuda_kernelERKNSD_10TensorBaseESH_lENKUlvE_clEvENKUlvE4_clEvEUlS6_S6_E_S6_EEDaPvRmT3_T4_T5_mT6_P12ihipStream_tbENKUlT_T0_E_clISt17integral_constantIbLb0EESY_EEDaST_SU_EUlST_E0_NS1_11comp_targetILNS1_3genE0ELNS1_11target_archE4294967295ELNS1_3gpuE0ELNS1_3repE0EEENS1_30default_config_static_selectorELNS0_4arch9wavefront6targetE1EEEvT1_ ; -- Begin function _ZN7rocprim17ROCPRIM_400000_NS6detail17trampoline_kernelINS0_14default_configENS1_20scan_config_selectorIN3c108BFloat16EEEZZNS1_9scan_implILNS1_25lookback_scan_determinismE0ELb0ELb0ES3_PKS6_PS6_S6_ZZZN2at6native31launch_logcumsumexp_cuda_kernelERKNSD_10TensorBaseESH_lENKUlvE_clEvENKUlvE4_clEvEUlS6_S6_E_S6_EEDaPvRmT3_T4_T5_mT6_P12ihipStream_tbENKUlT_T0_E_clISt17integral_constantIbLb0EESY_EEDaST_SU_EUlST_E0_NS1_11comp_targetILNS1_3genE0ELNS1_11target_archE4294967295ELNS1_3gpuE0ELNS1_3repE0EEENS1_30default_config_static_selectorELNS0_4arch9wavefront6targetE1EEEvT1_
	.p2align	8
	.type	_ZN7rocprim17ROCPRIM_400000_NS6detail17trampoline_kernelINS0_14default_configENS1_20scan_config_selectorIN3c108BFloat16EEEZZNS1_9scan_implILNS1_25lookback_scan_determinismE0ELb0ELb0ES3_PKS6_PS6_S6_ZZZN2at6native31launch_logcumsumexp_cuda_kernelERKNSD_10TensorBaseESH_lENKUlvE_clEvENKUlvE4_clEvEUlS6_S6_E_S6_EEDaPvRmT3_T4_T5_mT6_P12ihipStream_tbENKUlT_T0_E_clISt17integral_constantIbLb0EESY_EEDaST_SU_EUlST_E0_NS1_11comp_targetILNS1_3genE0ELNS1_11target_archE4294967295ELNS1_3gpuE0ELNS1_3repE0EEENS1_30default_config_static_selectorELNS0_4arch9wavefront6targetE1EEEvT1_,@function
_ZN7rocprim17ROCPRIM_400000_NS6detail17trampoline_kernelINS0_14default_configENS1_20scan_config_selectorIN3c108BFloat16EEEZZNS1_9scan_implILNS1_25lookback_scan_determinismE0ELb0ELb0ES3_PKS6_PS6_S6_ZZZN2at6native31launch_logcumsumexp_cuda_kernelERKNSD_10TensorBaseESH_lENKUlvE_clEvENKUlvE4_clEvEUlS6_S6_E_S6_EEDaPvRmT3_T4_T5_mT6_P12ihipStream_tbENKUlT_T0_E_clISt17integral_constantIbLb0EESY_EEDaST_SU_EUlST_E0_NS1_11comp_targetILNS1_3genE0ELNS1_11target_archE4294967295ELNS1_3gpuE0ELNS1_3repE0EEENS1_30default_config_static_selectorELNS0_4arch9wavefront6targetE1EEEvT1_: ; @_ZN7rocprim17ROCPRIM_400000_NS6detail17trampoline_kernelINS0_14default_configENS1_20scan_config_selectorIN3c108BFloat16EEEZZNS1_9scan_implILNS1_25lookback_scan_determinismE0ELb0ELb0ES3_PKS6_PS6_S6_ZZZN2at6native31launch_logcumsumexp_cuda_kernelERKNSD_10TensorBaseESH_lENKUlvE_clEvENKUlvE4_clEvEUlS6_S6_E_S6_EEDaPvRmT3_T4_T5_mT6_P12ihipStream_tbENKUlT_T0_E_clISt17integral_constantIbLb0EESY_EEDaST_SU_EUlST_E0_NS1_11comp_targetILNS1_3genE0ELNS1_11target_archE4294967295ELNS1_3gpuE0ELNS1_3repE0EEENS1_30default_config_static_selectorELNS0_4arch9wavefront6targetE1EEEvT1_
; %bb.0:
	.section	.rodata,"a",@progbits
	.p2align	6, 0x0
	.amdhsa_kernel _ZN7rocprim17ROCPRIM_400000_NS6detail17trampoline_kernelINS0_14default_configENS1_20scan_config_selectorIN3c108BFloat16EEEZZNS1_9scan_implILNS1_25lookback_scan_determinismE0ELb0ELb0ES3_PKS6_PS6_S6_ZZZN2at6native31launch_logcumsumexp_cuda_kernelERKNSD_10TensorBaseESH_lENKUlvE_clEvENKUlvE4_clEvEUlS6_S6_E_S6_EEDaPvRmT3_T4_T5_mT6_P12ihipStream_tbENKUlT_T0_E_clISt17integral_constantIbLb0EESY_EEDaST_SU_EUlST_E0_NS1_11comp_targetILNS1_3genE0ELNS1_11target_archE4294967295ELNS1_3gpuE0ELNS1_3repE0EEENS1_30default_config_static_selectorELNS0_4arch9wavefront6targetE1EEEvT1_
		.amdhsa_group_segment_fixed_size 0
		.amdhsa_private_segment_fixed_size 0
		.amdhsa_kernarg_size 32
		.amdhsa_user_sgpr_count 6
		.amdhsa_user_sgpr_private_segment_buffer 1
		.amdhsa_user_sgpr_dispatch_ptr 0
		.amdhsa_user_sgpr_queue_ptr 0
		.amdhsa_user_sgpr_kernarg_segment_ptr 1
		.amdhsa_user_sgpr_dispatch_id 0
		.amdhsa_user_sgpr_flat_scratch_init 0
		.amdhsa_user_sgpr_private_segment_size 0
		.amdhsa_uses_dynamic_stack 0
		.amdhsa_system_sgpr_private_segment_wavefront_offset 0
		.amdhsa_system_sgpr_workgroup_id_x 1
		.amdhsa_system_sgpr_workgroup_id_y 0
		.amdhsa_system_sgpr_workgroup_id_z 0
		.amdhsa_system_sgpr_workgroup_info 0
		.amdhsa_system_vgpr_workitem_id 0
		.amdhsa_next_free_vgpr 1
		.amdhsa_next_free_sgpr 0
		.amdhsa_reserve_vcc 0
		.amdhsa_reserve_flat_scratch 0
		.amdhsa_float_round_mode_32 0
		.amdhsa_float_round_mode_16_64 0
		.amdhsa_float_denorm_mode_32 3
		.amdhsa_float_denorm_mode_16_64 3
		.amdhsa_dx10_clamp 1
		.amdhsa_ieee_mode 1
		.amdhsa_fp16_overflow 0
		.amdhsa_exception_fp_ieee_invalid_op 0
		.amdhsa_exception_fp_denorm_src 0
		.amdhsa_exception_fp_ieee_div_zero 0
		.amdhsa_exception_fp_ieee_overflow 0
		.amdhsa_exception_fp_ieee_underflow 0
		.amdhsa_exception_fp_ieee_inexact 0
		.amdhsa_exception_int_div_zero 0
	.end_amdhsa_kernel
	.section	.text._ZN7rocprim17ROCPRIM_400000_NS6detail17trampoline_kernelINS0_14default_configENS1_20scan_config_selectorIN3c108BFloat16EEEZZNS1_9scan_implILNS1_25lookback_scan_determinismE0ELb0ELb0ES3_PKS6_PS6_S6_ZZZN2at6native31launch_logcumsumexp_cuda_kernelERKNSD_10TensorBaseESH_lENKUlvE_clEvENKUlvE4_clEvEUlS6_S6_E_S6_EEDaPvRmT3_T4_T5_mT6_P12ihipStream_tbENKUlT_T0_E_clISt17integral_constantIbLb0EESY_EEDaST_SU_EUlST_E0_NS1_11comp_targetILNS1_3genE0ELNS1_11target_archE4294967295ELNS1_3gpuE0ELNS1_3repE0EEENS1_30default_config_static_selectorELNS0_4arch9wavefront6targetE1EEEvT1_,"axG",@progbits,_ZN7rocprim17ROCPRIM_400000_NS6detail17trampoline_kernelINS0_14default_configENS1_20scan_config_selectorIN3c108BFloat16EEEZZNS1_9scan_implILNS1_25lookback_scan_determinismE0ELb0ELb0ES3_PKS6_PS6_S6_ZZZN2at6native31launch_logcumsumexp_cuda_kernelERKNSD_10TensorBaseESH_lENKUlvE_clEvENKUlvE4_clEvEUlS6_S6_E_S6_EEDaPvRmT3_T4_T5_mT6_P12ihipStream_tbENKUlT_T0_E_clISt17integral_constantIbLb0EESY_EEDaST_SU_EUlST_E0_NS1_11comp_targetILNS1_3genE0ELNS1_11target_archE4294967295ELNS1_3gpuE0ELNS1_3repE0EEENS1_30default_config_static_selectorELNS0_4arch9wavefront6targetE1EEEvT1_,comdat
.Lfunc_end455:
	.size	_ZN7rocprim17ROCPRIM_400000_NS6detail17trampoline_kernelINS0_14default_configENS1_20scan_config_selectorIN3c108BFloat16EEEZZNS1_9scan_implILNS1_25lookback_scan_determinismE0ELb0ELb0ES3_PKS6_PS6_S6_ZZZN2at6native31launch_logcumsumexp_cuda_kernelERKNSD_10TensorBaseESH_lENKUlvE_clEvENKUlvE4_clEvEUlS6_S6_E_S6_EEDaPvRmT3_T4_T5_mT6_P12ihipStream_tbENKUlT_T0_E_clISt17integral_constantIbLb0EESY_EEDaST_SU_EUlST_E0_NS1_11comp_targetILNS1_3genE0ELNS1_11target_archE4294967295ELNS1_3gpuE0ELNS1_3repE0EEENS1_30default_config_static_selectorELNS0_4arch9wavefront6targetE1EEEvT1_, .Lfunc_end455-_ZN7rocprim17ROCPRIM_400000_NS6detail17trampoline_kernelINS0_14default_configENS1_20scan_config_selectorIN3c108BFloat16EEEZZNS1_9scan_implILNS1_25lookback_scan_determinismE0ELb0ELb0ES3_PKS6_PS6_S6_ZZZN2at6native31launch_logcumsumexp_cuda_kernelERKNSD_10TensorBaseESH_lENKUlvE_clEvENKUlvE4_clEvEUlS6_S6_E_S6_EEDaPvRmT3_T4_T5_mT6_P12ihipStream_tbENKUlT_T0_E_clISt17integral_constantIbLb0EESY_EEDaST_SU_EUlST_E0_NS1_11comp_targetILNS1_3genE0ELNS1_11target_archE4294967295ELNS1_3gpuE0ELNS1_3repE0EEENS1_30default_config_static_selectorELNS0_4arch9wavefront6targetE1EEEvT1_
                                        ; -- End function
	.set _ZN7rocprim17ROCPRIM_400000_NS6detail17trampoline_kernelINS0_14default_configENS1_20scan_config_selectorIN3c108BFloat16EEEZZNS1_9scan_implILNS1_25lookback_scan_determinismE0ELb0ELb0ES3_PKS6_PS6_S6_ZZZN2at6native31launch_logcumsumexp_cuda_kernelERKNSD_10TensorBaseESH_lENKUlvE_clEvENKUlvE4_clEvEUlS6_S6_E_S6_EEDaPvRmT3_T4_T5_mT6_P12ihipStream_tbENKUlT_T0_E_clISt17integral_constantIbLb0EESY_EEDaST_SU_EUlST_E0_NS1_11comp_targetILNS1_3genE0ELNS1_11target_archE4294967295ELNS1_3gpuE0ELNS1_3repE0EEENS1_30default_config_static_selectorELNS0_4arch9wavefront6targetE1EEEvT1_.num_vgpr, 0
	.set _ZN7rocprim17ROCPRIM_400000_NS6detail17trampoline_kernelINS0_14default_configENS1_20scan_config_selectorIN3c108BFloat16EEEZZNS1_9scan_implILNS1_25lookback_scan_determinismE0ELb0ELb0ES3_PKS6_PS6_S6_ZZZN2at6native31launch_logcumsumexp_cuda_kernelERKNSD_10TensorBaseESH_lENKUlvE_clEvENKUlvE4_clEvEUlS6_S6_E_S6_EEDaPvRmT3_T4_T5_mT6_P12ihipStream_tbENKUlT_T0_E_clISt17integral_constantIbLb0EESY_EEDaST_SU_EUlST_E0_NS1_11comp_targetILNS1_3genE0ELNS1_11target_archE4294967295ELNS1_3gpuE0ELNS1_3repE0EEENS1_30default_config_static_selectorELNS0_4arch9wavefront6targetE1EEEvT1_.num_agpr, 0
	.set _ZN7rocprim17ROCPRIM_400000_NS6detail17trampoline_kernelINS0_14default_configENS1_20scan_config_selectorIN3c108BFloat16EEEZZNS1_9scan_implILNS1_25lookback_scan_determinismE0ELb0ELb0ES3_PKS6_PS6_S6_ZZZN2at6native31launch_logcumsumexp_cuda_kernelERKNSD_10TensorBaseESH_lENKUlvE_clEvENKUlvE4_clEvEUlS6_S6_E_S6_EEDaPvRmT3_T4_T5_mT6_P12ihipStream_tbENKUlT_T0_E_clISt17integral_constantIbLb0EESY_EEDaST_SU_EUlST_E0_NS1_11comp_targetILNS1_3genE0ELNS1_11target_archE4294967295ELNS1_3gpuE0ELNS1_3repE0EEENS1_30default_config_static_selectorELNS0_4arch9wavefront6targetE1EEEvT1_.numbered_sgpr, 0
	.set _ZN7rocprim17ROCPRIM_400000_NS6detail17trampoline_kernelINS0_14default_configENS1_20scan_config_selectorIN3c108BFloat16EEEZZNS1_9scan_implILNS1_25lookback_scan_determinismE0ELb0ELb0ES3_PKS6_PS6_S6_ZZZN2at6native31launch_logcumsumexp_cuda_kernelERKNSD_10TensorBaseESH_lENKUlvE_clEvENKUlvE4_clEvEUlS6_S6_E_S6_EEDaPvRmT3_T4_T5_mT6_P12ihipStream_tbENKUlT_T0_E_clISt17integral_constantIbLb0EESY_EEDaST_SU_EUlST_E0_NS1_11comp_targetILNS1_3genE0ELNS1_11target_archE4294967295ELNS1_3gpuE0ELNS1_3repE0EEENS1_30default_config_static_selectorELNS0_4arch9wavefront6targetE1EEEvT1_.num_named_barrier, 0
	.set _ZN7rocprim17ROCPRIM_400000_NS6detail17trampoline_kernelINS0_14default_configENS1_20scan_config_selectorIN3c108BFloat16EEEZZNS1_9scan_implILNS1_25lookback_scan_determinismE0ELb0ELb0ES3_PKS6_PS6_S6_ZZZN2at6native31launch_logcumsumexp_cuda_kernelERKNSD_10TensorBaseESH_lENKUlvE_clEvENKUlvE4_clEvEUlS6_S6_E_S6_EEDaPvRmT3_T4_T5_mT6_P12ihipStream_tbENKUlT_T0_E_clISt17integral_constantIbLb0EESY_EEDaST_SU_EUlST_E0_NS1_11comp_targetILNS1_3genE0ELNS1_11target_archE4294967295ELNS1_3gpuE0ELNS1_3repE0EEENS1_30default_config_static_selectorELNS0_4arch9wavefront6targetE1EEEvT1_.private_seg_size, 0
	.set _ZN7rocprim17ROCPRIM_400000_NS6detail17trampoline_kernelINS0_14default_configENS1_20scan_config_selectorIN3c108BFloat16EEEZZNS1_9scan_implILNS1_25lookback_scan_determinismE0ELb0ELb0ES3_PKS6_PS6_S6_ZZZN2at6native31launch_logcumsumexp_cuda_kernelERKNSD_10TensorBaseESH_lENKUlvE_clEvENKUlvE4_clEvEUlS6_S6_E_S6_EEDaPvRmT3_T4_T5_mT6_P12ihipStream_tbENKUlT_T0_E_clISt17integral_constantIbLb0EESY_EEDaST_SU_EUlST_E0_NS1_11comp_targetILNS1_3genE0ELNS1_11target_archE4294967295ELNS1_3gpuE0ELNS1_3repE0EEENS1_30default_config_static_selectorELNS0_4arch9wavefront6targetE1EEEvT1_.uses_vcc, 0
	.set _ZN7rocprim17ROCPRIM_400000_NS6detail17trampoline_kernelINS0_14default_configENS1_20scan_config_selectorIN3c108BFloat16EEEZZNS1_9scan_implILNS1_25lookback_scan_determinismE0ELb0ELb0ES3_PKS6_PS6_S6_ZZZN2at6native31launch_logcumsumexp_cuda_kernelERKNSD_10TensorBaseESH_lENKUlvE_clEvENKUlvE4_clEvEUlS6_S6_E_S6_EEDaPvRmT3_T4_T5_mT6_P12ihipStream_tbENKUlT_T0_E_clISt17integral_constantIbLb0EESY_EEDaST_SU_EUlST_E0_NS1_11comp_targetILNS1_3genE0ELNS1_11target_archE4294967295ELNS1_3gpuE0ELNS1_3repE0EEENS1_30default_config_static_selectorELNS0_4arch9wavefront6targetE1EEEvT1_.uses_flat_scratch, 0
	.set _ZN7rocprim17ROCPRIM_400000_NS6detail17trampoline_kernelINS0_14default_configENS1_20scan_config_selectorIN3c108BFloat16EEEZZNS1_9scan_implILNS1_25lookback_scan_determinismE0ELb0ELb0ES3_PKS6_PS6_S6_ZZZN2at6native31launch_logcumsumexp_cuda_kernelERKNSD_10TensorBaseESH_lENKUlvE_clEvENKUlvE4_clEvEUlS6_S6_E_S6_EEDaPvRmT3_T4_T5_mT6_P12ihipStream_tbENKUlT_T0_E_clISt17integral_constantIbLb0EESY_EEDaST_SU_EUlST_E0_NS1_11comp_targetILNS1_3genE0ELNS1_11target_archE4294967295ELNS1_3gpuE0ELNS1_3repE0EEENS1_30default_config_static_selectorELNS0_4arch9wavefront6targetE1EEEvT1_.has_dyn_sized_stack, 0
	.set _ZN7rocprim17ROCPRIM_400000_NS6detail17trampoline_kernelINS0_14default_configENS1_20scan_config_selectorIN3c108BFloat16EEEZZNS1_9scan_implILNS1_25lookback_scan_determinismE0ELb0ELb0ES3_PKS6_PS6_S6_ZZZN2at6native31launch_logcumsumexp_cuda_kernelERKNSD_10TensorBaseESH_lENKUlvE_clEvENKUlvE4_clEvEUlS6_S6_E_S6_EEDaPvRmT3_T4_T5_mT6_P12ihipStream_tbENKUlT_T0_E_clISt17integral_constantIbLb0EESY_EEDaST_SU_EUlST_E0_NS1_11comp_targetILNS1_3genE0ELNS1_11target_archE4294967295ELNS1_3gpuE0ELNS1_3repE0EEENS1_30default_config_static_selectorELNS0_4arch9wavefront6targetE1EEEvT1_.has_recursion, 0
	.set _ZN7rocprim17ROCPRIM_400000_NS6detail17trampoline_kernelINS0_14default_configENS1_20scan_config_selectorIN3c108BFloat16EEEZZNS1_9scan_implILNS1_25lookback_scan_determinismE0ELb0ELb0ES3_PKS6_PS6_S6_ZZZN2at6native31launch_logcumsumexp_cuda_kernelERKNSD_10TensorBaseESH_lENKUlvE_clEvENKUlvE4_clEvEUlS6_S6_E_S6_EEDaPvRmT3_T4_T5_mT6_P12ihipStream_tbENKUlT_T0_E_clISt17integral_constantIbLb0EESY_EEDaST_SU_EUlST_E0_NS1_11comp_targetILNS1_3genE0ELNS1_11target_archE4294967295ELNS1_3gpuE0ELNS1_3repE0EEENS1_30default_config_static_selectorELNS0_4arch9wavefront6targetE1EEEvT1_.has_indirect_call, 0
	.section	.AMDGPU.csdata,"",@progbits
; Kernel info:
; codeLenInByte = 0
; TotalNumSgprs: 4
; NumVgprs: 0
; ScratchSize: 0
; MemoryBound: 0
; FloatMode: 240
; IeeeMode: 1
; LDSByteSize: 0 bytes/workgroup (compile time only)
; SGPRBlocks: 0
; VGPRBlocks: 0
; NumSGPRsForWavesPerEU: 4
; NumVGPRsForWavesPerEU: 1
; Occupancy: 10
; WaveLimiterHint : 0
; COMPUTE_PGM_RSRC2:SCRATCH_EN: 0
; COMPUTE_PGM_RSRC2:USER_SGPR: 6
; COMPUTE_PGM_RSRC2:TRAP_HANDLER: 0
; COMPUTE_PGM_RSRC2:TGID_X_EN: 1
; COMPUTE_PGM_RSRC2:TGID_Y_EN: 0
; COMPUTE_PGM_RSRC2:TGID_Z_EN: 0
; COMPUTE_PGM_RSRC2:TIDIG_COMP_CNT: 0
	.section	.text._ZN7rocprim17ROCPRIM_400000_NS6detail17trampoline_kernelINS0_14default_configENS1_20scan_config_selectorIN3c108BFloat16EEEZZNS1_9scan_implILNS1_25lookback_scan_determinismE0ELb0ELb0ES3_PKS6_PS6_S6_ZZZN2at6native31launch_logcumsumexp_cuda_kernelERKNSD_10TensorBaseESH_lENKUlvE_clEvENKUlvE4_clEvEUlS6_S6_E_S6_EEDaPvRmT3_T4_T5_mT6_P12ihipStream_tbENKUlT_T0_E_clISt17integral_constantIbLb0EESY_EEDaST_SU_EUlST_E0_NS1_11comp_targetILNS1_3genE5ELNS1_11target_archE942ELNS1_3gpuE9ELNS1_3repE0EEENS1_30default_config_static_selectorELNS0_4arch9wavefront6targetE1EEEvT1_,"axG",@progbits,_ZN7rocprim17ROCPRIM_400000_NS6detail17trampoline_kernelINS0_14default_configENS1_20scan_config_selectorIN3c108BFloat16EEEZZNS1_9scan_implILNS1_25lookback_scan_determinismE0ELb0ELb0ES3_PKS6_PS6_S6_ZZZN2at6native31launch_logcumsumexp_cuda_kernelERKNSD_10TensorBaseESH_lENKUlvE_clEvENKUlvE4_clEvEUlS6_S6_E_S6_EEDaPvRmT3_T4_T5_mT6_P12ihipStream_tbENKUlT_T0_E_clISt17integral_constantIbLb0EESY_EEDaST_SU_EUlST_E0_NS1_11comp_targetILNS1_3genE5ELNS1_11target_archE942ELNS1_3gpuE9ELNS1_3repE0EEENS1_30default_config_static_selectorELNS0_4arch9wavefront6targetE1EEEvT1_,comdat
	.globl	_ZN7rocprim17ROCPRIM_400000_NS6detail17trampoline_kernelINS0_14default_configENS1_20scan_config_selectorIN3c108BFloat16EEEZZNS1_9scan_implILNS1_25lookback_scan_determinismE0ELb0ELb0ES3_PKS6_PS6_S6_ZZZN2at6native31launch_logcumsumexp_cuda_kernelERKNSD_10TensorBaseESH_lENKUlvE_clEvENKUlvE4_clEvEUlS6_S6_E_S6_EEDaPvRmT3_T4_T5_mT6_P12ihipStream_tbENKUlT_T0_E_clISt17integral_constantIbLb0EESY_EEDaST_SU_EUlST_E0_NS1_11comp_targetILNS1_3genE5ELNS1_11target_archE942ELNS1_3gpuE9ELNS1_3repE0EEENS1_30default_config_static_selectorELNS0_4arch9wavefront6targetE1EEEvT1_ ; -- Begin function _ZN7rocprim17ROCPRIM_400000_NS6detail17trampoline_kernelINS0_14default_configENS1_20scan_config_selectorIN3c108BFloat16EEEZZNS1_9scan_implILNS1_25lookback_scan_determinismE0ELb0ELb0ES3_PKS6_PS6_S6_ZZZN2at6native31launch_logcumsumexp_cuda_kernelERKNSD_10TensorBaseESH_lENKUlvE_clEvENKUlvE4_clEvEUlS6_S6_E_S6_EEDaPvRmT3_T4_T5_mT6_P12ihipStream_tbENKUlT_T0_E_clISt17integral_constantIbLb0EESY_EEDaST_SU_EUlST_E0_NS1_11comp_targetILNS1_3genE5ELNS1_11target_archE942ELNS1_3gpuE9ELNS1_3repE0EEENS1_30default_config_static_selectorELNS0_4arch9wavefront6targetE1EEEvT1_
	.p2align	8
	.type	_ZN7rocprim17ROCPRIM_400000_NS6detail17trampoline_kernelINS0_14default_configENS1_20scan_config_selectorIN3c108BFloat16EEEZZNS1_9scan_implILNS1_25lookback_scan_determinismE0ELb0ELb0ES3_PKS6_PS6_S6_ZZZN2at6native31launch_logcumsumexp_cuda_kernelERKNSD_10TensorBaseESH_lENKUlvE_clEvENKUlvE4_clEvEUlS6_S6_E_S6_EEDaPvRmT3_T4_T5_mT6_P12ihipStream_tbENKUlT_T0_E_clISt17integral_constantIbLb0EESY_EEDaST_SU_EUlST_E0_NS1_11comp_targetILNS1_3genE5ELNS1_11target_archE942ELNS1_3gpuE9ELNS1_3repE0EEENS1_30default_config_static_selectorELNS0_4arch9wavefront6targetE1EEEvT1_,@function
_ZN7rocprim17ROCPRIM_400000_NS6detail17trampoline_kernelINS0_14default_configENS1_20scan_config_selectorIN3c108BFloat16EEEZZNS1_9scan_implILNS1_25lookback_scan_determinismE0ELb0ELb0ES3_PKS6_PS6_S6_ZZZN2at6native31launch_logcumsumexp_cuda_kernelERKNSD_10TensorBaseESH_lENKUlvE_clEvENKUlvE4_clEvEUlS6_S6_E_S6_EEDaPvRmT3_T4_T5_mT6_P12ihipStream_tbENKUlT_T0_E_clISt17integral_constantIbLb0EESY_EEDaST_SU_EUlST_E0_NS1_11comp_targetILNS1_3genE5ELNS1_11target_archE942ELNS1_3gpuE9ELNS1_3repE0EEENS1_30default_config_static_selectorELNS0_4arch9wavefront6targetE1EEEvT1_: ; @_ZN7rocprim17ROCPRIM_400000_NS6detail17trampoline_kernelINS0_14default_configENS1_20scan_config_selectorIN3c108BFloat16EEEZZNS1_9scan_implILNS1_25lookback_scan_determinismE0ELb0ELb0ES3_PKS6_PS6_S6_ZZZN2at6native31launch_logcumsumexp_cuda_kernelERKNSD_10TensorBaseESH_lENKUlvE_clEvENKUlvE4_clEvEUlS6_S6_E_S6_EEDaPvRmT3_T4_T5_mT6_P12ihipStream_tbENKUlT_T0_E_clISt17integral_constantIbLb0EESY_EEDaST_SU_EUlST_E0_NS1_11comp_targetILNS1_3genE5ELNS1_11target_archE942ELNS1_3gpuE9ELNS1_3repE0EEENS1_30default_config_static_selectorELNS0_4arch9wavefront6targetE1EEEvT1_
; %bb.0:
	.section	.rodata,"a",@progbits
	.p2align	6, 0x0
	.amdhsa_kernel _ZN7rocprim17ROCPRIM_400000_NS6detail17trampoline_kernelINS0_14default_configENS1_20scan_config_selectorIN3c108BFloat16EEEZZNS1_9scan_implILNS1_25lookback_scan_determinismE0ELb0ELb0ES3_PKS6_PS6_S6_ZZZN2at6native31launch_logcumsumexp_cuda_kernelERKNSD_10TensorBaseESH_lENKUlvE_clEvENKUlvE4_clEvEUlS6_S6_E_S6_EEDaPvRmT3_T4_T5_mT6_P12ihipStream_tbENKUlT_T0_E_clISt17integral_constantIbLb0EESY_EEDaST_SU_EUlST_E0_NS1_11comp_targetILNS1_3genE5ELNS1_11target_archE942ELNS1_3gpuE9ELNS1_3repE0EEENS1_30default_config_static_selectorELNS0_4arch9wavefront6targetE1EEEvT1_
		.amdhsa_group_segment_fixed_size 0
		.amdhsa_private_segment_fixed_size 0
		.amdhsa_kernarg_size 32
		.amdhsa_user_sgpr_count 6
		.amdhsa_user_sgpr_private_segment_buffer 1
		.amdhsa_user_sgpr_dispatch_ptr 0
		.amdhsa_user_sgpr_queue_ptr 0
		.amdhsa_user_sgpr_kernarg_segment_ptr 1
		.amdhsa_user_sgpr_dispatch_id 0
		.amdhsa_user_sgpr_flat_scratch_init 0
		.amdhsa_user_sgpr_private_segment_size 0
		.amdhsa_uses_dynamic_stack 0
		.amdhsa_system_sgpr_private_segment_wavefront_offset 0
		.amdhsa_system_sgpr_workgroup_id_x 1
		.amdhsa_system_sgpr_workgroup_id_y 0
		.amdhsa_system_sgpr_workgroup_id_z 0
		.amdhsa_system_sgpr_workgroup_info 0
		.amdhsa_system_vgpr_workitem_id 0
		.amdhsa_next_free_vgpr 1
		.amdhsa_next_free_sgpr 0
		.amdhsa_reserve_vcc 0
		.amdhsa_reserve_flat_scratch 0
		.amdhsa_float_round_mode_32 0
		.amdhsa_float_round_mode_16_64 0
		.amdhsa_float_denorm_mode_32 3
		.amdhsa_float_denorm_mode_16_64 3
		.amdhsa_dx10_clamp 1
		.amdhsa_ieee_mode 1
		.amdhsa_fp16_overflow 0
		.amdhsa_exception_fp_ieee_invalid_op 0
		.amdhsa_exception_fp_denorm_src 0
		.amdhsa_exception_fp_ieee_div_zero 0
		.amdhsa_exception_fp_ieee_overflow 0
		.amdhsa_exception_fp_ieee_underflow 0
		.amdhsa_exception_fp_ieee_inexact 0
		.amdhsa_exception_int_div_zero 0
	.end_amdhsa_kernel
	.section	.text._ZN7rocprim17ROCPRIM_400000_NS6detail17trampoline_kernelINS0_14default_configENS1_20scan_config_selectorIN3c108BFloat16EEEZZNS1_9scan_implILNS1_25lookback_scan_determinismE0ELb0ELb0ES3_PKS6_PS6_S6_ZZZN2at6native31launch_logcumsumexp_cuda_kernelERKNSD_10TensorBaseESH_lENKUlvE_clEvENKUlvE4_clEvEUlS6_S6_E_S6_EEDaPvRmT3_T4_T5_mT6_P12ihipStream_tbENKUlT_T0_E_clISt17integral_constantIbLb0EESY_EEDaST_SU_EUlST_E0_NS1_11comp_targetILNS1_3genE5ELNS1_11target_archE942ELNS1_3gpuE9ELNS1_3repE0EEENS1_30default_config_static_selectorELNS0_4arch9wavefront6targetE1EEEvT1_,"axG",@progbits,_ZN7rocprim17ROCPRIM_400000_NS6detail17trampoline_kernelINS0_14default_configENS1_20scan_config_selectorIN3c108BFloat16EEEZZNS1_9scan_implILNS1_25lookback_scan_determinismE0ELb0ELb0ES3_PKS6_PS6_S6_ZZZN2at6native31launch_logcumsumexp_cuda_kernelERKNSD_10TensorBaseESH_lENKUlvE_clEvENKUlvE4_clEvEUlS6_S6_E_S6_EEDaPvRmT3_T4_T5_mT6_P12ihipStream_tbENKUlT_T0_E_clISt17integral_constantIbLb0EESY_EEDaST_SU_EUlST_E0_NS1_11comp_targetILNS1_3genE5ELNS1_11target_archE942ELNS1_3gpuE9ELNS1_3repE0EEENS1_30default_config_static_selectorELNS0_4arch9wavefront6targetE1EEEvT1_,comdat
.Lfunc_end456:
	.size	_ZN7rocprim17ROCPRIM_400000_NS6detail17trampoline_kernelINS0_14default_configENS1_20scan_config_selectorIN3c108BFloat16EEEZZNS1_9scan_implILNS1_25lookback_scan_determinismE0ELb0ELb0ES3_PKS6_PS6_S6_ZZZN2at6native31launch_logcumsumexp_cuda_kernelERKNSD_10TensorBaseESH_lENKUlvE_clEvENKUlvE4_clEvEUlS6_S6_E_S6_EEDaPvRmT3_T4_T5_mT6_P12ihipStream_tbENKUlT_T0_E_clISt17integral_constantIbLb0EESY_EEDaST_SU_EUlST_E0_NS1_11comp_targetILNS1_3genE5ELNS1_11target_archE942ELNS1_3gpuE9ELNS1_3repE0EEENS1_30default_config_static_selectorELNS0_4arch9wavefront6targetE1EEEvT1_, .Lfunc_end456-_ZN7rocprim17ROCPRIM_400000_NS6detail17trampoline_kernelINS0_14default_configENS1_20scan_config_selectorIN3c108BFloat16EEEZZNS1_9scan_implILNS1_25lookback_scan_determinismE0ELb0ELb0ES3_PKS6_PS6_S6_ZZZN2at6native31launch_logcumsumexp_cuda_kernelERKNSD_10TensorBaseESH_lENKUlvE_clEvENKUlvE4_clEvEUlS6_S6_E_S6_EEDaPvRmT3_T4_T5_mT6_P12ihipStream_tbENKUlT_T0_E_clISt17integral_constantIbLb0EESY_EEDaST_SU_EUlST_E0_NS1_11comp_targetILNS1_3genE5ELNS1_11target_archE942ELNS1_3gpuE9ELNS1_3repE0EEENS1_30default_config_static_selectorELNS0_4arch9wavefront6targetE1EEEvT1_
                                        ; -- End function
	.set _ZN7rocprim17ROCPRIM_400000_NS6detail17trampoline_kernelINS0_14default_configENS1_20scan_config_selectorIN3c108BFloat16EEEZZNS1_9scan_implILNS1_25lookback_scan_determinismE0ELb0ELb0ES3_PKS6_PS6_S6_ZZZN2at6native31launch_logcumsumexp_cuda_kernelERKNSD_10TensorBaseESH_lENKUlvE_clEvENKUlvE4_clEvEUlS6_S6_E_S6_EEDaPvRmT3_T4_T5_mT6_P12ihipStream_tbENKUlT_T0_E_clISt17integral_constantIbLb0EESY_EEDaST_SU_EUlST_E0_NS1_11comp_targetILNS1_3genE5ELNS1_11target_archE942ELNS1_3gpuE9ELNS1_3repE0EEENS1_30default_config_static_selectorELNS0_4arch9wavefront6targetE1EEEvT1_.num_vgpr, 0
	.set _ZN7rocprim17ROCPRIM_400000_NS6detail17trampoline_kernelINS0_14default_configENS1_20scan_config_selectorIN3c108BFloat16EEEZZNS1_9scan_implILNS1_25lookback_scan_determinismE0ELb0ELb0ES3_PKS6_PS6_S6_ZZZN2at6native31launch_logcumsumexp_cuda_kernelERKNSD_10TensorBaseESH_lENKUlvE_clEvENKUlvE4_clEvEUlS6_S6_E_S6_EEDaPvRmT3_T4_T5_mT6_P12ihipStream_tbENKUlT_T0_E_clISt17integral_constantIbLb0EESY_EEDaST_SU_EUlST_E0_NS1_11comp_targetILNS1_3genE5ELNS1_11target_archE942ELNS1_3gpuE9ELNS1_3repE0EEENS1_30default_config_static_selectorELNS0_4arch9wavefront6targetE1EEEvT1_.num_agpr, 0
	.set _ZN7rocprim17ROCPRIM_400000_NS6detail17trampoline_kernelINS0_14default_configENS1_20scan_config_selectorIN3c108BFloat16EEEZZNS1_9scan_implILNS1_25lookback_scan_determinismE0ELb0ELb0ES3_PKS6_PS6_S6_ZZZN2at6native31launch_logcumsumexp_cuda_kernelERKNSD_10TensorBaseESH_lENKUlvE_clEvENKUlvE4_clEvEUlS6_S6_E_S6_EEDaPvRmT3_T4_T5_mT6_P12ihipStream_tbENKUlT_T0_E_clISt17integral_constantIbLb0EESY_EEDaST_SU_EUlST_E0_NS1_11comp_targetILNS1_3genE5ELNS1_11target_archE942ELNS1_3gpuE9ELNS1_3repE0EEENS1_30default_config_static_selectorELNS0_4arch9wavefront6targetE1EEEvT1_.numbered_sgpr, 0
	.set _ZN7rocprim17ROCPRIM_400000_NS6detail17trampoline_kernelINS0_14default_configENS1_20scan_config_selectorIN3c108BFloat16EEEZZNS1_9scan_implILNS1_25lookback_scan_determinismE0ELb0ELb0ES3_PKS6_PS6_S6_ZZZN2at6native31launch_logcumsumexp_cuda_kernelERKNSD_10TensorBaseESH_lENKUlvE_clEvENKUlvE4_clEvEUlS6_S6_E_S6_EEDaPvRmT3_T4_T5_mT6_P12ihipStream_tbENKUlT_T0_E_clISt17integral_constantIbLb0EESY_EEDaST_SU_EUlST_E0_NS1_11comp_targetILNS1_3genE5ELNS1_11target_archE942ELNS1_3gpuE9ELNS1_3repE0EEENS1_30default_config_static_selectorELNS0_4arch9wavefront6targetE1EEEvT1_.num_named_barrier, 0
	.set _ZN7rocprim17ROCPRIM_400000_NS6detail17trampoline_kernelINS0_14default_configENS1_20scan_config_selectorIN3c108BFloat16EEEZZNS1_9scan_implILNS1_25lookback_scan_determinismE0ELb0ELb0ES3_PKS6_PS6_S6_ZZZN2at6native31launch_logcumsumexp_cuda_kernelERKNSD_10TensorBaseESH_lENKUlvE_clEvENKUlvE4_clEvEUlS6_S6_E_S6_EEDaPvRmT3_T4_T5_mT6_P12ihipStream_tbENKUlT_T0_E_clISt17integral_constantIbLb0EESY_EEDaST_SU_EUlST_E0_NS1_11comp_targetILNS1_3genE5ELNS1_11target_archE942ELNS1_3gpuE9ELNS1_3repE0EEENS1_30default_config_static_selectorELNS0_4arch9wavefront6targetE1EEEvT1_.private_seg_size, 0
	.set _ZN7rocprim17ROCPRIM_400000_NS6detail17trampoline_kernelINS0_14default_configENS1_20scan_config_selectorIN3c108BFloat16EEEZZNS1_9scan_implILNS1_25lookback_scan_determinismE0ELb0ELb0ES3_PKS6_PS6_S6_ZZZN2at6native31launch_logcumsumexp_cuda_kernelERKNSD_10TensorBaseESH_lENKUlvE_clEvENKUlvE4_clEvEUlS6_S6_E_S6_EEDaPvRmT3_T4_T5_mT6_P12ihipStream_tbENKUlT_T0_E_clISt17integral_constantIbLb0EESY_EEDaST_SU_EUlST_E0_NS1_11comp_targetILNS1_3genE5ELNS1_11target_archE942ELNS1_3gpuE9ELNS1_3repE0EEENS1_30default_config_static_selectorELNS0_4arch9wavefront6targetE1EEEvT1_.uses_vcc, 0
	.set _ZN7rocprim17ROCPRIM_400000_NS6detail17trampoline_kernelINS0_14default_configENS1_20scan_config_selectorIN3c108BFloat16EEEZZNS1_9scan_implILNS1_25lookback_scan_determinismE0ELb0ELb0ES3_PKS6_PS6_S6_ZZZN2at6native31launch_logcumsumexp_cuda_kernelERKNSD_10TensorBaseESH_lENKUlvE_clEvENKUlvE4_clEvEUlS6_S6_E_S6_EEDaPvRmT3_T4_T5_mT6_P12ihipStream_tbENKUlT_T0_E_clISt17integral_constantIbLb0EESY_EEDaST_SU_EUlST_E0_NS1_11comp_targetILNS1_3genE5ELNS1_11target_archE942ELNS1_3gpuE9ELNS1_3repE0EEENS1_30default_config_static_selectorELNS0_4arch9wavefront6targetE1EEEvT1_.uses_flat_scratch, 0
	.set _ZN7rocprim17ROCPRIM_400000_NS6detail17trampoline_kernelINS0_14default_configENS1_20scan_config_selectorIN3c108BFloat16EEEZZNS1_9scan_implILNS1_25lookback_scan_determinismE0ELb0ELb0ES3_PKS6_PS6_S6_ZZZN2at6native31launch_logcumsumexp_cuda_kernelERKNSD_10TensorBaseESH_lENKUlvE_clEvENKUlvE4_clEvEUlS6_S6_E_S6_EEDaPvRmT3_T4_T5_mT6_P12ihipStream_tbENKUlT_T0_E_clISt17integral_constantIbLb0EESY_EEDaST_SU_EUlST_E0_NS1_11comp_targetILNS1_3genE5ELNS1_11target_archE942ELNS1_3gpuE9ELNS1_3repE0EEENS1_30default_config_static_selectorELNS0_4arch9wavefront6targetE1EEEvT1_.has_dyn_sized_stack, 0
	.set _ZN7rocprim17ROCPRIM_400000_NS6detail17trampoline_kernelINS0_14default_configENS1_20scan_config_selectorIN3c108BFloat16EEEZZNS1_9scan_implILNS1_25lookback_scan_determinismE0ELb0ELb0ES3_PKS6_PS6_S6_ZZZN2at6native31launch_logcumsumexp_cuda_kernelERKNSD_10TensorBaseESH_lENKUlvE_clEvENKUlvE4_clEvEUlS6_S6_E_S6_EEDaPvRmT3_T4_T5_mT6_P12ihipStream_tbENKUlT_T0_E_clISt17integral_constantIbLb0EESY_EEDaST_SU_EUlST_E0_NS1_11comp_targetILNS1_3genE5ELNS1_11target_archE942ELNS1_3gpuE9ELNS1_3repE0EEENS1_30default_config_static_selectorELNS0_4arch9wavefront6targetE1EEEvT1_.has_recursion, 0
	.set _ZN7rocprim17ROCPRIM_400000_NS6detail17trampoline_kernelINS0_14default_configENS1_20scan_config_selectorIN3c108BFloat16EEEZZNS1_9scan_implILNS1_25lookback_scan_determinismE0ELb0ELb0ES3_PKS6_PS6_S6_ZZZN2at6native31launch_logcumsumexp_cuda_kernelERKNSD_10TensorBaseESH_lENKUlvE_clEvENKUlvE4_clEvEUlS6_S6_E_S6_EEDaPvRmT3_T4_T5_mT6_P12ihipStream_tbENKUlT_T0_E_clISt17integral_constantIbLb0EESY_EEDaST_SU_EUlST_E0_NS1_11comp_targetILNS1_3genE5ELNS1_11target_archE942ELNS1_3gpuE9ELNS1_3repE0EEENS1_30default_config_static_selectorELNS0_4arch9wavefront6targetE1EEEvT1_.has_indirect_call, 0
	.section	.AMDGPU.csdata,"",@progbits
; Kernel info:
; codeLenInByte = 0
; TotalNumSgprs: 4
; NumVgprs: 0
; ScratchSize: 0
; MemoryBound: 0
; FloatMode: 240
; IeeeMode: 1
; LDSByteSize: 0 bytes/workgroup (compile time only)
; SGPRBlocks: 0
; VGPRBlocks: 0
; NumSGPRsForWavesPerEU: 4
; NumVGPRsForWavesPerEU: 1
; Occupancy: 10
; WaveLimiterHint : 0
; COMPUTE_PGM_RSRC2:SCRATCH_EN: 0
; COMPUTE_PGM_RSRC2:USER_SGPR: 6
; COMPUTE_PGM_RSRC2:TRAP_HANDLER: 0
; COMPUTE_PGM_RSRC2:TGID_X_EN: 1
; COMPUTE_PGM_RSRC2:TGID_Y_EN: 0
; COMPUTE_PGM_RSRC2:TGID_Z_EN: 0
; COMPUTE_PGM_RSRC2:TIDIG_COMP_CNT: 0
	.section	.text._ZN7rocprim17ROCPRIM_400000_NS6detail17trampoline_kernelINS0_14default_configENS1_20scan_config_selectorIN3c108BFloat16EEEZZNS1_9scan_implILNS1_25lookback_scan_determinismE0ELb0ELb0ES3_PKS6_PS6_S6_ZZZN2at6native31launch_logcumsumexp_cuda_kernelERKNSD_10TensorBaseESH_lENKUlvE_clEvENKUlvE4_clEvEUlS6_S6_E_S6_EEDaPvRmT3_T4_T5_mT6_P12ihipStream_tbENKUlT_T0_E_clISt17integral_constantIbLb0EESY_EEDaST_SU_EUlST_E0_NS1_11comp_targetILNS1_3genE4ELNS1_11target_archE910ELNS1_3gpuE8ELNS1_3repE0EEENS1_30default_config_static_selectorELNS0_4arch9wavefront6targetE1EEEvT1_,"axG",@progbits,_ZN7rocprim17ROCPRIM_400000_NS6detail17trampoline_kernelINS0_14default_configENS1_20scan_config_selectorIN3c108BFloat16EEEZZNS1_9scan_implILNS1_25lookback_scan_determinismE0ELb0ELb0ES3_PKS6_PS6_S6_ZZZN2at6native31launch_logcumsumexp_cuda_kernelERKNSD_10TensorBaseESH_lENKUlvE_clEvENKUlvE4_clEvEUlS6_S6_E_S6_EEDaPvRmT3_T4_T5_mT6_P12ihipStream_tbENKUlT_T0_E_clISt17integral_constantIbLb0EESY_EEDaST_SU_EUlST_E0_NS1_11comp_targetILNS1_3genE4ELNS1_11target_archE910ELNS1_3gpuE8ELNS1_3repE0EEENS1_30default_config_static_selectorELNS0_4arch9wavefront6targetE1EEEvT1_,comdat
	.globl	_ZN7rocprim17ROCPRIM_400000_NS6detail17trampoline_kernelINS0_14default_configENS1_20scan_config_selectorIN3c108BFloat16EEEZZNS1_9scan_implILNS1_25lookback_scan_determinismE0ELb0ELb0ES3_PKS6_PS6_S6_ZZZN2at6native31launch_logcumsumexp_cuda_kernelERKNSD_10TensorBaseESH_lENKUlvE_clEvENKUlvE4_clEvEUlS6_S6_E_S6_EEDaPvRmT3_T4_T5_mT6_P12ihipStream_tbENKUlT_T0_E_clISt17integral_constantIbLb0EESY_EEDaST_SU_EUlST_E0_NS1_11comp_targetILNS1_3genE4ELNS1_11target_archE910ELNS1_3gpuE8ELNS1_3repE0EEENS1_30default_config_static_selectorELNS0_4arch9wavefront6targetE1EEEvT1_ ; -- Begin function _ZN7rocprim17ROCPRIM_400000_NS6detail17trampoline_kernelINS0_14default_configENS1_20scan_config_selectorIN3c108BFloat16EEEZZNS1_9scan_implILNS1_25lookback_scan_determinismE0ELb0ELb0ES3_PKS6_PS6_S6_ZZZN2at6native31launch_logcumsumexp_cuda_kernelERKNSD_10TensorBaseESH_lENKUlvE_clEvENKUlvE4_clEvEUlS6_S6_E_S6_EEDaPvRmT3_T4_T5_mT6_P12ihipStream_tbENKUlT_T0_E_clISt17integral_constantIbLb0EESY_EEDaST_SU_EUlST_E0_NS1_11comp_targetILNS1_3genE4ELNS1_11target_archE910ELNS1_3gpuE8ELNS1_3repE0EEENS1_30default_config_static_selectorELNS0_4arch9wavefront6targetE1EEEvT1_
	.p2align	8
	.type	_ZN7rocprim17ROCPRIM_400000_NS6detail17trampoline_kernelINS0_14default_configENS1_20scan_config_selectorIN3c108BFloat16EEEZZNS1_9scan_implILNS1_25lookback_scan_determinismE0ELb0ELb0ES3_PKS6_PS6_S6_ZZZN2at6native31launch_logcumsumexp_cuda_kernelERKNSD_10TensorBaseESH_lENKUlvE_clEvENKUlvE4_clEvEUlS6_S6_E_S6_EEDaPvRmT3_T4_T5_mT6_P12ihipStream_tbENKUlT_T0_E_clISt17integral_constantIbLb0EESY_EEDaST_SU_EUlST_E0_NS1_11comp_targetILNS1_3genE4ELNS1_11target_archE910ELNS1_3gpuE8ELNS1_3repE0EEENS1_30default_config_static_selectorELNS0_4arch9wavefront6targetE1EEEvT1_,@function
_ZN7rocprim17ROCPRIM_400000_NS6detail17trampoline_kernelINS0_14default_configENS1_20scan_config_selectorIN3c108BFloat16EEEZZNS1_9scan_implILNS1_25lookback_scan_determinismE0ELb0ELb0ES3_PKS6_PS6_S6_ZZZN2at6native31launch_logcumsumexp_cuda_kernelERKNSD_10TensorBaseESH_lENKUlvE_clEvENKUlvE4_clEvEUlS6_S6_E_S6_EEDaPvRmT3_T4_T5_mT6_P12ihipStream_tbENKUlT_T0_E_clISt17integral_constantIbLb0EESY_EEDaST_SU_EUlST_E0_NS1_11comp_targetILNS1_3genE4ELNS1_11target_archE910ELNS1_3gpuE8ELNS1_3repE0EEENS1_30default_config_static_selectorELNS0_4arch9wavefront6targetE1EEEvT1_: ; @_ZN7rocprim17ROCPRIM_400000_NS6detail17trampoline_kernelINS0_14default_configENS1_20scan_config_selectorIN3c108BFloat16EEEZZNS1_9scan_implILNS1_25lookback_scan_determinismE0ELb0ELb0ES3_PKS6_PS6_S6_ZZZN2at6native31launch_logcumsumexp_cuda_kernelERKNSD_10TensorBaseESH_lENKUlvE_clEvENKUlvE4_clEvEUlS6_S6_E_S6_EEDaPvRmT3_T4_T5_mT6_P12ihipStream_tbENKUlT_T0_E_clISt17integral_constantIbLb0EESY_EEDaST_SU_EUlST_E0_NS1_11comp_targetILNS1_3genE4ELNS1_11target_archE910ELNS1_3gpuE8ELNS1_3repE0EEENS1_30default_config_static_selectorELNS0_4arch9wavefront6targetE1EEEvT1_
; %bb.0:
	.section	.rodata,"a",@progbits
	.p2align	6, 0x0
	.amdhsa_kernel _ZN7rocprim17ROCPRIM_400000_NS6detail17trampoline_kernelINS0_14default_configENS1_20scan_config_selectorIN3c108BFloat16EEEZZNS1_9scan_implILNS1_25lookback_scan_determinismE0ELb0ELb0ES3_PKS6_PS6_S6_ZZZN2at6native31launch_logcumsumexp_cuda_kernelERKNSD_10TensorBaseESH_lENKUlvE_clEvENKUlvE4_clEvEUlS6_S6_E_S6_EEDaPvRmT3_T4_T5_mT6_P12ihipStream_tbENKUlT_T0_E_clISt17integral_constantIbLb0EESY_EEDaST_SU_EUlST_E0_NS1_11comp_targetILNS1_3genE4ELNS1_11target_archE910ELNS1_3gpuE8ELNS1_3repE0EEENS1_30default_config_static_selectorELNS0_4arch9wavefront6targetE1EEEvT1_
		.amdhsa_group_segment_fixed_size 0
		.amdhsa_private_segment_fixed_size 0
		.amdhsa_kernarg_size 32
		.amdhsa_user_sgpr_count 6
		.amdhsa_user_sgpr_private_segment_buffer 1
		.amdhsa_user_sgpr_dispatch_ptr 0
		.amdhsa_user_sgpr_queue_ptr 0
		.amdhsa_user_sgpr_kernarg_segment_ptr 1
		.amdhsa_user_sgpr_dispatch_id 0
		.amdhsa_user_sgpr_flat_scratch_init 0
		.amdhsa_user_sgpr_private_segment_size 0
		.amdhsa_uses_dynamic_stack 0
		.amdhsa_system_sgpr_private_segment_wavefront_offset 0
		.amdhsa_system_sgpr_workgroup_id_x 1
		.amdhsa_system_sgpr_workgroup_id_y 0
		.amdhsa_system_sgpr_workgroup_id_z 0
		.amdhsa_system_sgpr_workgroup_info 0
		.amdhsa_system_vgpr_workitem_id 0
		.amdhsa_next_free_vgpr 1
		.amdhsa_next_free_sgpr 0
		.amdhsa_reserve_vcc 0
		.amdhsa_reserve_flat_scratch 0
		.amdhsa_float_round_mode_32 0
		.amdhsa_float_round_mode_16_64 0
		.amdhsa_float_denorm_mode_32 3
		.amdhsa_float_denorm_mode_16_64 3
		.amdhsa_dx10_clamp 1
		.amdhsa_ieee_mode 1
		.amdhsa_fp16_overflow 0
		.amdhsa_exception_fp_ieee_invalid_op 0
		.amdhsa_exception_fp_denorm_src 0
		.amdhsa_exception_fp_ieee_div_zero 0
		.amdhsa_exception_fp_ieee_overflow 0
		.amdhsa_exception_fp_ieee_underflow 0
		.amdhsa_exception_fp_ieee_inexact 0
		.amdhsa_exception_int_div_zero 0
	.end_amdhsa_kernel
	.section	.text._ZN7rocprim17ROCPRIM_400000_NS6detail17trampoline_kernelINS0_14default_configENS1_20scan_config_selectorIN3c108BFloat16EEEZZNS1_9scan_implILNS1_25lookback_scan_determinismE0ELb0ELb0ES3_PKS6_PS6_S6_ZZZN2at6native31launch_logcumsumexp_cuda_kernelERKNSD_10TensorBaseESH_lENKUlvE_clEvENKUlvE4_clEvEUlS6_S6_E_S6_EEDaPvRmT3_T4_T5_mT6_P12ihipStream_tbENKUlT_T0_E_clISt17integral_constantIbLb0EESY_EEDaST_SU_EUlST_E0_NS1_11comp_targetILNS1_3genE4ELNS1_11target_archE910ELNS1_3gpuE8ELNS1_3repE0EEENS1_30default_config_static_selectorELNS0_4arch9wavefront6targetE1EEEvT1_,"axG",@progbits,_ZN7rocprim17ROCPRIM_400000_NS6detail17trampoline_kernelINS0_14default_configENS1_20scan_config_selectorIN3c108BFloat16EEEZZNS1_9scan_implILNS1_25lookback_scan_determinismE0ELb0ELb0ES3_PKS6_PS6_S6_ZZZN2at6native31launch_logcumsumexp_cuda_kernelERKNSD_10TensorBaseESH_lENKUlvE_clEvENKUlvE4_clEvEUlS6_S6_E_S6_EEDaPvRmT3_T4_T5_mT6_P12ihipStream_tbENKUlT_T0_E_clISt17integral_constantIbLb0EESY_EEDaST_SU_EUlST_E0_NS1_11comp_targetILNS1_3genE4ELNS1_11target_archE910ELNS1_3gpuE8ELNS1_3repE0EEENS1_30default_config_static_selectorELNS0_4arch9wavefront6targetE1EEEvT1_,comdat
.Lfunc_end457:
	.size	_ZN7rocprim17ROCPRIM_400000_NS6detail17trampoline_kernelINS0_14default_configENS1_20scan_config_selectorIN3c108BFloat16EEEZZNS1_9scan_implILNS1_25lookback_scan_determinismE0ELb0ELb0ES3_PKS6_PS6_S6_ZZZN2at6native31launch_logcumsumexp_cuda_kernelERKNSD_10TensorBaseESH_lENKUlvE_clEvENKUlvE4_clEvEUlS6_S6_E_S6_EEDaPvRmT3_T4_T5_mT6_P12ihipStream_tbENKUlT_T0_E_clISt17integral_constantIbLb0EESY_EEDaST_SU_EUlST_E0_NS1_11comp_targetILNS1_3genE4ELNS1_11target_archE910ELNS1_3gpuE8ELNS1_3repE0EEENS1_30default_config_static_selectorELNS0_4arch9wavefront6targetE1EEEvT1_, .Lfunc_end457-_ZN7rocprim17ROCPRIM_400000_NS6detail17trampoline_kernelINS0_14default_configENS1_20scan_config_selectorIN3c108BFloat16EEEZZNS1_9scan_implILNS1_25lookback_scan_determinismE0ELb0ELb0ES3_PKS6_PS6_S6_ZZZN2at6native31launch_logcumsumexp_cuda_kernelERKNSD_10TensorBaseESH_lENKUlvE_clEvENKUlvE4_clEvEUlS6_S6_E_S6_EEDaPvRmT3_T4_T5_mT6_P12ihipStream_tbENKUlT_T0_E_clISt17integral_constantIbLb0EESY_EEDaST_SU_EUlST_E0_NS1_11comp_targetILNS1_3genE4ELNS1_11target_archE910ELNS1_3gpuE8ELNS1_3repE0EEENS1_30default_config_static_selectorELNS0_4arch9wavefront6targetE1EEEvT1_
                                        ; -- End function
	.set _ZN7rocprim17ROCPRIM_400000_NS6detail17trampoline_kernelINS0_14default_configENS1_20scan_config_selectorIN3c108BFloat16EEEZZNS1_9scan_implILNS1_25lookback_scan_determinismE0ELb0ELb0ES3_PKS6_PS6_S6_ZZZN2at6native31launch_logcumsumexp_cuda_kernelERKNSD_10TensorBaseESH_lENKUlvE_clEvENKUlvE4_clEvEUlS6_S6_E_S6_EEDaPvRmT3_T4_T5_mT6_P12ihipStream_tbENKUlT_T0_E_clISt17integral_constantIbLb0EESY_EEDaST_SU_EUlST_E0_NS1_11comp_targetILNS1_3genE4ELNS1_11target_archE910ELNS1_3gpuE8ELNS1_3repE0EEENS1_30default_config_static_selectorELNS0_4arch9wavefront6targetE1EEEvT1_.num_vgpr, 0
	.set _ZN7rocprim17ROCPRIM_400000_NS6detail17trampoline_kernelINS0_14default_configENS1_20scan_config_selectorIN3c108BFloat16EEEZZNS1_9scan_implILNS1_25lookback_scan_determinismE0ELb0ELb0ES3_PKS6_PS6_S6_ZZZN2at6native31launch_logcumsumexp_cuda_kernelERKNSD_10TensorBaseESH_lENKUlvE_clEvENKUlvE4_clEvEUlS6_S6_E_S6_EEDaPvRmT3_T4_T5_mT6_P12ihipStream_tbENKUlT_T0_E_clISt17integral_constantIbLb0EESY_EEDaST_SU_EUlST_E0_NS1_11comp_targetILNS1_3genE4ELNS1_11target_archE910ELNS1_3gpuE8ELNS1_3repE0EEENS1_30default_config_static_selectorELNS0_4arch9wavefront6targetE1EEEvT1_.num_agpr, 0
	.set _ZN7rocprim17ROCPRIM_400000_NS6detail17trampoline_kernelINS0_14default_configENS1_20scan_config_selectorIN3c108BFloat16EEEZZNS1_9scan_implILNS1_25lookback_scan_determinismE0ELb0ELb0ES3_PKS6_PS6_S6_ZZZN2at6native31launch_logcumsumexp_cuda_kernelERKNSD_10TensorBaseESH_lENKUlvE_clEvENKUlvE4_clEvEUlS6_S6_E_S6_EEDaPvRmT3_T4_T5_mT6_P12ihipStream_tbENKUlT_T0_E_clISt17integral_constantIbLb0EESY_EEDaST_SU_EUlST_E0_NS1_11comp_targetILNS1_3genE4ELNS1_11target_archE910ELNS1_3gpuE8ELNS1_3repE0EEENS1_30default_config_static_selectorELNS0_4arch9wavefront6targetE1EEEvT1_.numbered_sgpr, 0
	.set _ZN7rocprim17ROCPRIM_400000_NS6detail17trampoline_kernelINS0_14default_configENS1_20scan_config_selectorIN3c108BFloat16EEEZZNS1_9scan_implILNS1_25lookback_scan_determinismE0ELb0ELb0ES3_PKS6_PS6_S6_ZZZN2at6native31launch_logcumsumexp_cuda_kernelERKNSD_10TensorBaseESH_lENKUlvE_clEvENKUlvE4_clEvEUlS6_S6_E_S6_EEDaPvRmT3_T4_T5_mT6_P12ihipStream_tbENKUlT_T0_E_clISt17integral_constantIbLb0EESY_EEDaST_SU_EUlST_E0_NS1_11comp_targetILNS1_3genE4ELNS1_11target_archE910ELNS1_3gpuE8ELNS1_3repE0EEENS1_30default_config_static_selectorELNS0_4arch9wavefront6targetE1EEEvT1_.num_named_barrier, 0
	.set _ZN7rocprim17ROCPRIM_400000_NS6detail17trampoline_kernelINS0_14default_configENS1_20scan_config_selectorIN3c108BFloat16EEEZZNS1_9scan_implILNS1_25lookback_scan_determinismE0ELb0ELb0ES3_PKS6_PS6_S6_ZZZN2at6native31launch_logcumsumexp_cuda_kernelERKNSD_10TensorBaseESH_lENKUlvE_clEvENKUlvE4_clEvEUlS6_S6_E_S6_EEDaPvRmT3_T4_T5_mT6_P12ihipStream_tbENKUlT_T0_E_clISt17integral_constantIbLb0EESY_EEDaST_SU_EUlST_E0_NS1_11comp_targetILNS1_3genE4ELNS1_11target_archE910ELNS1_3gpuE8ELNS1_3repE0EEENS1_30default_config_static_selectorELNS0_4arch9wavefront6targetE1EEEvT1_.private_seg_size, 0
	.set _ZN7rocprim17ROCPRIM_400000_NS6detail17trampoline_kernelINS0_14default_configENS1_20scan_config_selectorIN3c108BFloat16EEEZZNS1_9scan_implILNS1_25lookback_scan_determinismE0ELb0ELb0ES3_PKS6_PS6_S6_ZZZN2at6native31launch_logcumsumexp_cuda_kernelERKNSD_10TensorBaseESH_lENKUlvE_clEvENKUlvE4_clEvEUlS6_S6_E_S6_EEDaPvRmT3_T4_T5_mT6_P12ihipStream_tbENKUlT_T0_E_clISt17integral_constantIbLb0EESY_EEDaST_SU_EUlST_E0_NS1_11comp_targetILNS1_3genE4ELNS1_11target_archE910ELNS1_3gpuE8ELNS1_3repE0EEENS1_30default_config_static_selectorELNS0_4arch9wavefront6targetE1EEEvT1_.uses_vcc, 0
	.set _ZN7rocprim17ROCPRIM_400000_NS6detail17trampoline_kernelINS0_14default_configENS1_20scan_config_selectorIN3c108BFloat16EEEZZNS1_9scan_implILNS1_25lookback_scan_determinismE0ELb0ELb0ES3_PKS6_PS6_S6_ZZZN2at6native31launch_logcumsumexp_cuda_kernelERKNSD_10TensorBaseESH_lENKUlvE_clEvENKUlvE4_clEvEUlS6_S6_E_S6_EEDaPvRmT3_T4_T5_mT6_P12ihipStream_tbENKUlT_T0_E_clISt17integral_constantIbLb0EESY_EEDaST_SU_EUlST_E0_NS1_11comp_targetILNS1_3genE4ELNS1_11target_archE910ELNS1_3gpuE8ELNS1_3repE0EEENS1_30default_config_static_selectorELNS0_4arch9wavefront6targetE1EEEvT1_.uses_flat_scratch, 0
	.set _ZN7rocprim17ROCPRIM_400000_NS6detail17trampoline_kernelINS0_14default_configENS1_20scan_config_selectorIN3c108BFloat16EEEZZNS1_9scan_implILNS1_25lookback_scan_determinismE0ELb0ELb0ES3_PKS6_PS6_S6_ZZZN2at6native31launch_logcumsumexp_cuda_kernelERKNSD_10TensorBaseESH_lENKUlvE_clEvENKUlvE4_clEvEUlS6_S6_E_S6_EEDaPvRmT3_T4_T5_mT6_P12ihipStream_tbENKUlT_T0_E_clISt17integral_constantIbLb0EESY_EEDaST_SU_EUlST_E0_NS1_11comp_targetILNS1_3genE4ELNS1_11target_archE910ELNS1_3gpuE8ELNS1_3repE0EEENS1_30default_config_static_selectorELNS0_4arch9wavefront6targetE1EEEvT1_.has_dyn_sized_stack, 0
	.set _ZN7rocprim17ROCPRIM_400000_NS6detail17trampoline_kernelINS0_14default_configENS1_20scan_config_selectorIN3c108BFloat16EEEZZNS1_9scan_implILNS1_25lookback_scan_determinismE0ELb0ELb0ES3_PKS6_PS6_S6_ZZZN2at6native31launch_logcumsumexp_cuda_kernelERKNSD_10TensorBaseESH_lENKUlvE_clEvENKUlvE4_clEvEUlS6_S6_E_S6_EEDaPvRmT3_T4_T5_mT6_P12ihipStream_tbENKUlT_T0_E_clISt17integral_constantIbLb0EESY_EEDaST_SU_EUlST_E0_NS1_11comp_targetILNS1_3genE4ELNS1_11target_archE910ELNS1_3gpuE8ELNS1_3repE0EEENS1_30default_config_static_selectorELNS0_4arch9wavefront6targetE1EEEvT1_.has_recursion, 0
	.set _ZN7rocprim17ROCPRIM_400000_NS6detail17trampoline_kernelINS0_14default_configENS1_20scan_config_selectorIN3c108BFloat16EEEZZNS1_9scan_implILNS1_25lookback_scan_determinismE0ELb0ELb0ES3_PKS6_PS6_S6_ZZZN2at6native31launch_logcumsumexp_cuda_kernelERKNSD_10TensorBaseESH_lENKUlvE_clEvENKUlvE4_clEvEUlS6_S6_E_S6_EEDaPvRmT3_T4_T5_mT6_P12ihipStream_tbENKUlT_T0_E_clISt17integral_constantIbLb0EESY_EEDaST_SU_EUlST_E0_NS1_11comp_targetILNS1_3genE4ELNS1_11target_archE910ELNS1_3gpuE8ELNS1_3repE0EEENS1_30default_config_static_selectorELNS0_4arch9wavefront6targetE1EEEvT1_.has_indirect_call, 0
	.section	.AMDGPU.csdata,"",@progbits
; Kernel info:
; codeLenInByte = 0
; TotalNumSgprs: 4
; NumVgprs: 0
; ScratchSize: 0
; MemoryBound: 0
; FloatMode: 240
; IeeeMode: 1
; LDSByteSize: 0 bytes/workgroup (compile time only)
; SGPRBlocks: 0
; VGPRBlocks: 0
; NumSGPRsForWavesPerEU: 4
; NumVGPRsForWavesPerEU: 1
; Occupancy: 10
; WaveLimiterHint : 0
; COMPUTE_PGM_RSRC2:SCRATCH_EN: 0
; COMPUTE_PGM_RSRC2:USER_SGPR: 6
; COMPUTE_PGM_RSRC2:TRAP_HANDLER: 0
; COMPUTE_PGM_RSRC2:TGID_X_EN: 1
; COMPUTE_PGM_RSRC2:TGID_Y_EN: 0
; COMPUTE_PGM_RSRC2:TGID_Z_EN: 0
; COMPUTE_PGM_RSRC2:TIDIG_COMP_CNT: 0
	.section	.text._ZN7rocprim17ROCPRIM_400000_NS6detail17trampoline_kernelINS0_14default_configENS1_20scan_config_selectorIN3c108BFloat16EEEZZNS1_9scan_implILNS1_25lookback_scan_determinismE0ELb0ELb0ES3_PKS6_PS6_S6_ZZZN2at6native31launch_logcumsumexp_cuda_kernelERKNSD_10TensorBaseESH_lENKUlvE_clEvENKUlvE4_clEvEUlS6_S6_E_S6_EEDaPvRmT3_T4_T5_mT6_P12ihipStream_tbENKUlT_T0_E_clISt17integral_constantIbLb0EESY_EEDaST_SU_EUlST_E0_NS1_11comp_targetILNS1_3genE3ELNS1_11target_archE908ELNS1_3gpuE7ELNS1_3repE0EEENS1_30default_config_static_selectorELNS0_4arch9wavefront6targetE1EEEvT1_,"axG",@progbits,_ZN7rocprim17ROCPRIM_400000_NS6detail17trampoline_kernelINS0_14default_configENS1_20scan_config_selectorIN3c108BFloat16EEEZZNS1_9scan_implILNS1_25lookback_scan_determinismE0ELb0ELb0ES3_PKS6_PS6_S6_ZZZN2at6native31launch_logcumsumexp_cuda_kernelERKNSD_10TensorBaseESH_lENKUlvE_clEvENKUlvE4_clEvEUlS6_S6_E_S6_EEDaPvRmT3_T4_T5_mT6_P12ihipStream_tbENKUlT_T0_E_clISt17integral_constantIbLb0EESY_EEDaST_SU_EUlST_E0_NS1_11comp_targetILNS1_3genE3ELNS1_11target_archE908ELNS1_3gpuE7ELNS1_3repE0EEENS1_30default_config_static_selectorELNS0_4arch9wavefront6targetE1EEEvT1_,comdat
	.globl	_ZN7rocprim17ROCPRIM_400000_NS6detail17trampoline_kernelINS0_14default_configENS1_20scan_config_selectorIN3c108BFloat16EEEZZNS1_9scan_implILNS1_25lookback_scan_determinismE0ELb0ELb0ES3_PKS6_PS6_S6_ZZZN2at6native31launch_logcumsumexp_cuda_kernelERKNSD_10TensorBaseESH_lENKUlvE_clEvENKUlvE4_clEvEUlS6_S6_E_S6_EEDaPvRmT3_T4_T5_mT6_P12ihipStream_tbENKUlT_T0_E_clISt17integral_constantIbLb0EESY_EEDaST_SU_EUlST_E0_NS1_11comp_targetILNS1_3genE3ELNS1_11target_archE908ELNS1_3gpuE7ELNS1_3repE0EEENS1_30default_config_static_selectorELNS0_4arch9wavefront6targetE1EEEvT1_ ; -- Begin function _ZN7rocprim17ROCPRIM_400000_NS6detail17trampoline_kernelINS0_14default_configENS1_20scan_config_selectorIN3c108BFloat16EEEZZNS1_9scan_implILNS1_25lookback_scan_determinismE0ELb0ELb0ES3_PKS6_PS6_S6_ZZZN2at6native31launch_logcumsumexp_cuda_kernelERKNSD_10TensorBaseESH_lENKUlvE_clEvENKUlvE4_clEvEUlS6_S6_E_S6_EEDaPvRmT3_T4_T5_mT6_P12ihipStream_tbENKUlT_T0_E_clISt17integral_constantIbLb0EESY_EEDaST_SU_EUlST_E0_NS1_11comp_targetILNS1_3genE3ELNS1_11target_archE908ELNS1_3gpuE7ELNS1_3repE0EEENS1_30default_config_static_selectorELNS0_4arch9wavefront6targetE1EEEvT1_
	.p2align	8
	.type	_ZN7rocprim17ROCPRIM_400000_NS6detail17trampoline_kernelINS0_14default_configENS1_20scan_config_selectorIN3c108BFloat16EEEZZNS1_9scan_implILNS1_25lookback_scan_determinismE0ELb0ELb0ES3_PKS6_PS6_S6_ZZZN2at6native31launch_logcumsumexp_cuda_kernelERKNSD_10TensorBaseESH_lENKUlvE_clEvENKUlvE4_clEvEUlS6_S6_E_S6_EEDaPvRmT3_T4_T5_mT6_P12ihipStream_tbENKUlT_T0_E_clISt17integral_constantIbLb0EESY_EEDaST_SU_EUlST_E0_NS1_11comp_targetILNS1_3genE3ELNS1_11target_archE908ELNS1_3gpuE7ELNS1_3repE0EEENS1_30default_config_static_selectorELNS0_4arch9wavefront6targetE1EEEvT1_,@function
_ZN7rocprim17ROCPRIM_400000_NS6detail17trampoline_kernelINS0_14default_configENS1_20scan_config_selectorIN3c108BFloat16EEEZZNS1_9scan_implILNS1_25lookback_scan_determinismE0ELb0ELb0ES3_PKS6_PS6_S6_ZZZN2at6native31launch_logcumsumexp_cuda_kernelERKNSD_10TensorBaseESH_lENKUlvE_clEvENKUlvE4_clEvEUlS6_S6_E_S6_EEDaPvRmT3_T4_T5_mT6_P12ihipStream_tbENKUlT_T0_E_clISt17integral_constantIbLb0EESY_EEDaST_SU_EUlST_E0_NS1_11comp_targetILNS1_3genE3ELNS1_11target_archE908ELNS1_3gpuE7ELNS1_3repE0EEENS1_30default_config_static_selectorELNS0_4arch9wavefront6targetE1EEEvT1_: ; @_ZN7rocprim17ROCPRIM_400000_NS6detail17trampoline_kernelINS0_14default_configENS1_20scan_config_selectorIN3c108BFloat16EEEZZNS1_9scan_implILNS1_25lookback_scan_determinismE0ELb0ELb0ES3_PKS6_PS6_S6_ZZZN2at6native31launch_logcumsumexp_cuda_kernelERKNSD_10TensorBaseESH_lENKUlvE_clEvENKUlvE4_clEvEUlS6_S6_E_S6_EEDaPvRmT3_T4_T5_mT6_P12ihipStream_tbENKUlT_T0_E_clISt17integral_constantIbLb0EESY_EEDaST_SU_EUlST_E0_NS1_11comp_targetILNS1_3genE3ELNS1_11target_archE908ELNS1_3gpuE7ELNS1_3repE0EEENS1_30default_config_static_selectorELNS0_4arch9wavefront6targetE1EEEvT1_
; %bb.0:
	.section	.rodata,"a",@progbits
	.p2align	6, 0x0
	.amdhsa_kernel _ZN7rocprim17ROCPRIM_400000_NS6detail17trampoline_kernelINS0_14default_configENS1_20scan_config_selectorIN3c108BFloat16EEEZZNS1_9scan_implILNS1_25lookback_scan_determinismE0ELb0ELb0ES3_PKS6_PS6_S6_ZZZN2at6native31launch_logcumsumexp_cuda_kernelERKNSD_10TensorBaseESH_lENKUlvE_clEvENKUlvE4_clEvEUlS6_S6_E_S6_EEDaPvRmT3_T4_T5_mT6_P12ihipStream_tbENKUlT_T0_E_clISt17integral_constantIbLb0EESY_EEDaST_SU_EUlST_E0_NS1_11comp_targetILNS1_3genE3ELNS1_11target_archE908ELNS1_3gpuE7ELNS1_3repE0EEENS1_30default_config_static_selectorELNS0_4arch9wavefront6targetE1EEEvT1_
		.amdhsa_group_segment_fixed_size 0
		.amdhsa_private_segment_fixed_size 0
		.amdhsa_kernarg_size 32
		.amdhsa_user_sgpr_count 6
		.amdhsa_user_sgpr_private_segment_buffer 1
		.amdhsa_user_sgpr_dispatch_ptr 0
		.amdhsa_user_sgpr_queue_ptr 0
		.amdhsa_user_sgpr_kernarg_segment_ptr 1
		.amdhsa_user_sgpr_dispatch_id 0
		.amdhsa_user_sgpr_flat_scratch_init 0
		.amdhsa_user_sgpr_private_segment_size 0
		.amdhsa_uses_dynamic_stack 0
		.amdhsa_system_sgpr_private_segment_wavefront_offset 0
		.amdhsa_system_sgpr_workgroup_id_x 1
		.amdhsa_system_sgpr_workgroup_id_y 0
		.amdhsa_system_sgpr_workgroup_id_z 0
		.amdhsa_system_sgpr_workgroup_info 0
		.amdhsa_system_vgpr_workitem_id 0
		.amdhsa_next_free_vgpr 1
		.amdhsa_next_free_sgpr 0
		.amdhsa_reserve_vcc 0
		.amdhsa_reserve_flat_scratch 0
		.amdhsa_float_round_mode_32 0
		.amdhsa_float_round_mode_16_64 0
		.amdhsa_float_denorm_mode_32 3
		.amdhsa_float_denorm_mode_16_64 3
		.amdhsa_dx10_clamp 1
		.amdhsa_ieee_mode 1
		.amdhsa_fp16_overflow 0
		.amdhsa_exception_fp_ieee_invalid_op 0
		.amdhsa_exception_fp_denorm_src 0
		.amdhsa_exception_fp_ieee_div_zero 0
		.amdhsa_exception_fp_ieee_overflow 0
		.amdhsa_exception_fp_ieee_underflow 0
		.amdhsa_exception_fp_ieee_inexact 0
		.amdhsa_exception_int_div_zero 0
	.end_amdhsa_kernel
	.section	.text._ZN7rocprim17ROCPRIM_400000_NS6detail17trampoline_kernelINS0_14default_configENS1_20scan_config_selectorIN3c108BFloat16EEEZZNS1_9scan_implILNS1_25lookback_scan_determinismE0ELb0ELb0ES3_PKS6_PS6_S6_ZZZN2at6native31launch_logcumsumexp_cuda_kernelERKNSD_10TensorBaseESH_lENKUlvE_clEvENKUlvE4_clEvEUlS6_S6_E_S6_EEDaPvRmT3_T4_T5_mT6_P12ihipStream_tbENKUlT_T0_E_clISt17integral_constantIbLb0EESY_EEDaST_SU_EUlST_E0_NS1_11comp_targetILNS1_3genE3ELNS1_11target_archE908ELNS1_3gpuE7ELNS1_3repE0EEENS1_30default_config_static_selectorELNS0_4arch9wavefront6targetE1EEEvT1_,"axG",@progbits,_ZN7rocprim17ROCPRIM_400000_NS6detail17trampoline_kernelINS0_14default_configENS1_20scan_config_selectorIN3c108BFloat16EEEZZNS1_9scan_implILNS1_25lookback_scan_determinismE0ELb0ELb0ES3_PKS6_PS6_S6_ZZZN2at6native31launch_logcumsumexp_cuda_kernelERKNSD_10TensorBaseESH_lENKUlvE_clEvENKUlvE4_clEvEUlS6_S6_E_S6_EEDaPvRmT3_T4_T5_mT6_P12ihipStream_tbENKUlT_T0_E_clISt17integral_constantIbLb0EESY_EEDaST_SU_EUlST_E0_NS1_11comp_targetILNS1_3genE3ELNS1_11target_archE908ELNS1_3gpuE7ELNS1_3repE0EEENS1_30default_config_static_selectorELNS0_4arch9wavefront6targetE1EEEvT1_,comdat
.Lfunc_end458:
	.size	_ZN7rocprim17ROCPRIM_400000_NS6detail17trampoline_kernelINS0_14default_configENS1_20scan_config_selectorIN3c108BFloat16EEEZZNS1_9scan_implILNS1_25lookback_scan_determinismE0ELb0ELb0ES3_PKS6_PS6_S6_ZZZN2at6native31launch_logcumsumexp_cuda_kernelERKNSD_10TensorBaseESH_lENKUlvE_clEvENKUlvE4_clEvEUlS6_S6_E_S6_EEDaPvRmT3_T4_T5_mT6_P12ihipStream_tbENKUlT_T0_E_clISt17integral_constantIbLb0EESY_EEDaST_SU_EUlST_E0_NS1_11comp_targetILNS1_3genE3ELNS1_11target_archE908ELNS1_3gpuE7ELNS1_3repE0EEENS1_30default_config_static_selectorELNS0_4arch9wavefront6targetE1EEEvT1_, .Lfunc_end458-_ZN7rocprim17ROCPRIM_400000_NS6detail17trampoline_kernelINS0_14default_configENS1_20scan_config_selectorIN3c108BFloat16EEEZZNS1_9scan_implILNS1_25lookback_scan_determinismE0ELb0ELb0ES3_PKS6_PS6_S6_ZZZN2at6native31launch_logcumsumexp_cuda_kernelERKNSD_10TensorBaseESH_lENKUlvE_clEvENKUlvE4_clEvEUlS6_S6_E_S6_EEDaPvRmT3_T4_T5_mT6_P12ihipStream_tbENKUlT_T0_E_clISt17integral_constantIbLb0EESY_EEDaST_SU_EUlST_E0_NS1_11comp_targetILNS1_3genE3ELNS1_11target_archE908ELNS1_3gpuE7ELNS1_3repE0EEENS1_30default_config_static_selectorELNS0_4arch9wavefront6targetE1EEEvT1_
                                        ; -- End function
	.set _ZN7rocprim17ROCPRIM_400000_NS6detail17trampoline_kernelINS0_14default_configENS1_20scan_config_selectorIN3c108BFloat16EEEZZNS1_9scan_implILNS1_25lookback_scan_determinismE0ELb0ELb0ES3_PKS6_PS6_S6_ZZZN2at6native31launch_logcumsumexp_cuda_kernelERKNSD_10TensorBaseESH_lENKUlvE_clEvENKUlvE4_clEvEUlS6_S6_E_S6_EEDaPvRmT3_T4_T5_mT6_P12ihipStream_tbENKUlT_T0_E_clISt17integral_constantIbLb0EESY_EEDaST_SU_EUlST_E0_NS1_11comp_targetILNS1_3genE3ELNS1_11target_archE908ELNS1_3gpuE7ELNS1_3repE0EEENS1_30default_config_static_selectorELNS0_4arch9wavefront6targetE1EEEvT1_.num_vgpr, 0
	.set _ZN7rocprim17ROCPRIM_400000_NS6detail17trampoline_kernelINS0_14default_configENS1_20scan_config_selectorIN3c108BFloat16EEEZZNS1_9scan_implILNS1_25lookback_scan_determinismE0ELb0ELb0ES3_PKS6_PS6_S6_ZZZN2at6native31launch_logcumsumexp_cuda_kernelERKNSD_10TensorBaseESH_lENKUlvE_clEvENKUlvE4_clEvEUlS6_S6_E_S6_EEDaPvRmT3_T4_T5_mT6_P12ihipStream_tbENKUlT_T0_E_clISt17integral_constantIbLb0EESY_EEDaST_SU_EUlST_E0_NS1_11comp_targetILNS1_3genE3ELNS1_11target_archE908ELNS1_3gpuE7ELNS1_3repE0EEENS1_30default_config_static_selectorELNS0_4arch9wavefront6targetE1EEEvT1_.num_agpr, 0
	.set _ZN7rocprim17ROCPRIM_400000_NS6detail17trampoline_kernelINS0_14default_configENS1_20scan_config_selectorIN3c108BFloat16EEEZZNS1_9scan_implILNS1_25lookback_scan_determinismE0ELb0ELb0ES3_PKS6_PS6_S6_ZZZN2at6native31launch_logcumsumexp_cuda_kernelERKNSD_10TensorBaseESH_lENKUlvE_clEvENKUlvE4_clEvEUlS6_S6_E_S6_EEDaPvRmT3_T4_T5_mT6_P12ihipStream_tbENKUlT_T0_E_clISt17integral_constantIbLb0EESY_EEDaST_SU_EUlST_E0_NS1_11comp_targetILNS1_3genE3ELNS1_11target_archE908ELNS1_3gpuE7ELNS1_3repE0EEENS1_30default_config_static_selectorELNS0_4arch9wavefront6targetE1EEEvT1_.numbered_sgpr, 0
	.set _ZN7rocprim17ROCPRIM_400000_NS6detail17trampoline_kernelINS0_14default_configENS1_20scan_config_selectorIN3c108BFloat16EEEZZNS1_9scan_implILNS1_25lookback_scan_determinismE0ELb0ELb0ES3_PKS6_PS6_S6_ZZZN2at6native31launch_logcumsumexp_cuda_kernelERKNSD_10TensorBaseESH_lENKUlvE_clEvENKUlvE4_clEvEUlS6_S6_E_S6_EEDaPvRmT3_T4_T5_mT6_P12ihipStream_tbENKUlT_T0_E_clISt17integral_constantIbLb0EESY_EEDaST_SU_EUlST_E0_NS1_11comp_targetILNS1_3genE3ELNS1_11target_archE908ELNS1_3gpuE7ELNS1_3repE0EEENS1_30default_config_static_selectorELNS0_4arch9wavefront6targetE1EEEvT1_.num_named_barrier, 0
	.set _ZN7rocprim17ROCPRIM_400000_NS6detail17trampoline_kernelINS0_14default_configENS1_20scan_config_selectorIN3c108BFloat16EEEZZNS1_9scan_implILNS1_25lookback_scan_determinismE0ELb0ELb0ES3_PKS6_PS6_S6_ZZZN2at6native31launch_logcumsumexp_cuda_kernelERKNSD_10TensorBaseESH_lENKUlvE_clEvENKUlvE4_clEvEUlS6_S6_E_S6_EEDaPvRmT3_T4_T5_mT6_P12ihipStream_tbENKUlT_T0_E_clISt17integral_constantIbLb0EESY_EEDaST_SU_EUlST_E0_NS1_11comp_targetILNS1_3genE3ELNS1_11target_archE908ELNS1_3gpuE7ELNS1_3repE0EEENS1_30default_config_static_selectorELNS0_4arch9wavefront6targetE1EEEvT1_.private_seg_size, 0
	.set _ZN7rocprim17ROCPRIM_400000_NS6detail17trampoline_kernelINS0_14default_configENS1_20scan_config_selectorIN3c108BFloat16EEEZZNS1_9scan_implILNS1_25lookback_scan_determinismE0ELb0ELb0ES3_PKS6_PS6_S6_ZZZN2at6native31launch_logcumsumexp_cuda_kernelERKNSD_10TensorBaseESH_lENKUlvE_clEvENKUlvE4_clEvEUlS6_S6_E_S6_EEDaPvRmT3_T4_T5_mT6_P12ihipStream_tbENKUlT_T0_E_clISt17integral_constantIbLb0EESY_EEDaST_SU_EUlST_E0_NS1_11comp_targetILNS1_3genE3ELNS1_11target_archE908ELNS1_3gpuE7ELNS1_3repE0EEENS1_30default_config_static_selectorELNS0_4arch9wavefront6targetE1EEEvT1_.uses_vcc, 0
	.set _ZN7rocprim17ROCPRIM_400000_NS6detail17trampoline_kernelINS0_14default_configENS1_20scan_config_selectorIN3c108BFloat16EEEZZNS1_9scan_implILNS1_25lookback_scan_determinismE0ELb0ELb0ES3_PKS6_PS6_S6_ZZZN2at6native31launch_logcumsumexp_cuda_kernelERKNSD_10TensorBaseESH_lENKUlvE_clEvENKUlvE4_clEvEUlS6_S6_E_S6_EEDaPvRmT3_T4_T5_mT6_P12ihipStream_tbENKUlT_T0_E_clISt17integral_constantIbLb0EESY_EEDaST_SU_EUlST_E0_NS1_11comp_targetILNS1_3genE3ELNS1_11target_archE908ELNS1_3gpuE7ELNS1_3repE0EEENS1_30default_config_static_selectorELNS0_4arch9wavefront6targetE1EEEvT1_.uses_flat_scratch, 0
	.set _ZN7rocprim17ROCPRIM_400000_NS6detail17trampoline_kernelINS0_14default_configENS1_20scan_config_selectorIN3c108BFloat16EEEZZNS1_9scan_implILNS1_25lookback_scan_determinismE0ELb0ELb0ES3_PKS6_PS6_S6_ZZZN2at6native31launch_logcumsumexp_cuda_kernelERKNSD_10TensorBaseESH_lENKUlvE_clEvENKUlvE4_clEvEUlS6_S6_E_S6_EEDaPvRmT3_T4_T5_mT6_P12ihipStream_tbENKUlT_T0_E_clISt17integral_constantIbLb0EESY_EEDaST_SU_EUlST_E0_NS1_11comp_targetILNS1_3genE3ELNS1_11target_archE908ELNS1_3gpuE7ELNS1_3repE0EEENS1_30default_config_static_selectorELNS0_4arch9wavefront6targetE1EEEvT1_.has_dyn_sized_stack, 0
	.set _ZN7rocprim17ROCPRIM_400000_NS6detail17trampoline_kernelINS0_14default_configENS1_20scan_config_selectorIN3c108BFloat16EEEZZNS1_9scan_implILNS1_25lookback_scan_determinismE0ELb0ELb0ES3_PKS6_PS6_S6_ZZZN2at6native31launch_logcumsumexp_cuda_kernelERKNSD_10TensorBaseESH_lENKUlvE_clEvENKUlvE4_clEvEUlS6_S6_E_S6_EEDaPvRmT3_T4_T5_mT6_P12ihipStream_tbENKUlT_T0_E_clISt17integral_constantIbLb0EESY_EEDaST_SU_EUlST_E0_NS1_11comp_targetILNS1_3genE3ELNS1_11target_archE908ELNS1_3gpuE7ELNS1_3repE0EEENS1_30default_config_static_selectorELNS0_4arch9wavefront6targetE1EEEvT1_.has_recursion, 0
	.set _ZN7rocprim17ROCPRIM_400000_NS6detail17trampoline_kernelINS0_14default_configENS1_20scan_config_selectorIN3c108BFloat16EEEZZNS1_9scan_implILNS1_25lookback_scan_determinismE0ELb0ELb0ES3_PKS6_PS6_S6_ZZZN2at6native31launch_logcumsumexp_cuda_kernelERKNSD_10TensorBaseESH_lENKUlvE_clEvENKUlvE4_clEvEUlS6_S6_E_S6_EEDaPvRmT3_T4_T5_mT6_P12ihipStream_tbENKUlT_T0_E_clISt17integral_constantIbLb0EESY_EEDaST_SU_EUlST_E0_NS1_11comp_targetILNS1_3genE3ELNS1_11target_archE908ELNS1_3gpuE7ELNS1_3repE0EEENS1_30default_config_static_selectorELNS0_4arch9wavefront6targetE1EEEvT1_.has_indirect_call, 0
	.section	.AMDGPU.csdata,"",@progbits
; Kernel info:
; codeLenInByte = 0
; TotalNumSgprs: 4
; NumVgprs: 0
; ScratchSize: 0
; MemoryBound: 0
; FloatMode: 240
; IeeeMode: 1
; LDSByteSize: 0 bytes/workgroup (compile time only)
; SGPRBlocks: 0
; VGPRBlocks: 0
; NumSGPRsForWavesPerEU: 4
; NumVGPRsForWavesPerEU: 1
; Occupancy: 10
; WaveLimiterHint : 0
; COMPUTE_PGM_RSRC2:SCRATCH_EN: 0
; COMPUTE_PGM_RSRC2:USER_SGPR: 6
; COMPUTE_PGM_RSRC2:TRAP_HANDLER: 0
; COMPUTE_PGM_RSRC2:TGID_X_EN: 1
; COMPUTE_PGM_RSRC2:TGID_Y_EN: 0
; COMPUTE_PGM_RSRC2:TGID_Z_EN: 0
; COMPUTE_PGM_RSRC2:TIDIG_COMP_CNT: 0
	.section	.text._ZN7rocprim17ROCPRIM_400000_NS6detail17trampoline_kernelINS0_14default_configENS1_20scan_config_selectorIN3c108BFloat16EEEZZNS1_9scan_implILNS1_25lookback_scan_determinismE0ELb0ELb0ES3_PKS6_PS6_S6_ZZZN2at6native31launch_logcumsumexp_cuda_kernelERKNSD_10TensorBaseESH_lENKUlvE_clEvENKUlvE4_clEvEUlS6_S6_E_S6_EEDaPvRmT3_T4_T5_mT6_P12ihipStream_tbENKUlT_T0_E_clISt17integral_constantIbLb0EESY_EEDaST_SU_EUlST_E0_NS1_11comp_targetILNS1_3genE2ELNS1_11target_archE906ELNS1_3gpuE6ELNS1_3repE0EEENS1_30default_config_static_selectorELNS0_4arch9wavefront6targetE1EEEvT1_,"axG",@progbits,_ZN7rocprim17ROCPRIM_400000_NS6detail17trampoline_kernelINS0_14default_configENS1_20scan_config_selectorIN3c108BFloat16EEEZZNS1_9scan_implILNS1_25lookback_scan_determinismE0ELb0ELb0ES3_PKS6_PS6_S6_ZZZN2at6native31launch_logcumsumexp_cuda_kernelERKNSD_10TensorBaseESH_lENKUlvE_clEvENKUlvE4_clEvEUlS6_S6_E_S6_EEDaPvRmT3_T4_T5_mT6_P12ihipStream_tbENKUlT_T0_E_clISt17integral_constantIbLb0EESY_EEDaST_SU_EUlST_E0_NS1_11comp_targetILNS1_3genE2ELNS1_11target_archE906ELNS1_3gpuE6ELNS1_3repE0EEENS1_30default_config_static_selectorELNS0_4arch9wavefront6targetE1EEEvT1_,comdat
	.globl	_ZN7rocprim17ROCPRIM_400000_NS6detail17trampoline_kernelINS0_14default_configENS1_20scan_config_selectorIN3c108BFloat16EEEZZNS1_9scan_implILNS1_25lookback_scan_determinismE0ELb0ELb0ES3_PKS6_PS6_S6_ZZZN2at6native31launch_logcumsumexp_cuda_kernelERKNSD_10TensorBaseESH_lENKUlvE_clEvENKUlvE4_clEvEUlS6_S6_E_S6_EEDaPvRmT3_T4_T5_mT6_P12ihipStream_tbENKUlT_T0_E_clISt17integral_constantIbLb0EESY_EEDaST_SU_EUlST_E0_NS1_11comp_targetILNS1_3genE2ELNS1_11target_archE906ELNS1_3gpuE6ELNS1_3repE0EEENS1_30default_config_static_selectorELNS0_4arch9wavefront6targetE1EEEvT1_ ; -- Begin function _ZN7rocprim17ROCPRIM_400000_NS6detail17trampoline_kernelINS0_14default_configENS1_20scan_config_selectorIN3c108BFloat16EEEZZNS1_9scan_implILNS1_25lookback_scan_determinismE0ELb0ELb0ES3_PKS6_PS6_S6_ZZZN2at6native31launch_logcumsumexp_cuda_kernelERKNSD_10TensorBaseESH_lENKUlvE_clEvENKUlvE4_clEvEUlS6_S6_E_S6_EEDaPvRmT3_T4_T5_mT6_P12ihipStream_tbENKUlT_T0_E_clISt17integral_constantIbLb0EESY_EEDaST_SU_EUlST_E0_NS1_11comp_targetILNS1_3genE2ELNS1_11target_archE906ELNS1_3gpuE6ELNS1_3repE0EEENS1_30default_config_static_selectorELNS0_4arch9wavefront6targetE1EEEvT1_
	.p2align	8
	.type	_ZN7rocprim17ROCPRIM_400000_NS6detail17trampoline_kernelINS0_14default_configENS1_20scan_config_selectorIN3c108BFloat16EEEZZNS1_9scan_implILNS1_25lookback_scan_determinismE0ELb0ELb0ES3_PKS6_PS6_S6_ZZZN2at6native31launch_logcumsumexp_cuda_kernelERKNSD_10TensorBaseESH_lENKUlvE_clEvENKUlvE4_clEvEUlS6_S6_E_S6_EEDaPvRmT3_T4_T5_mT6_P12ihipStream_tbENKUlT_T0_E_clISt17integral_constantIbLb0EESY_EEDaST_SU_EUlST_E0_NS1_11comp_targetILNS1_3genE2ELNS1_11target_archE906ELNS1_3gpuE6ELNS1_3repE0EEENS1_30default_config_static_selectorELNS0_4arch9wavefront6targetE1EEEvT1_,@function
_ZN7rocprim17ROCPRIM_400000_NS6detail17trampoline_kernelINS0_14default_configENS1_20scan_config_selectorIN3c108BFloat16EEEZZNS1_9scan_implILNS1_25lookback_scan_determinismE0ELb0ELb0ES3_PKS6_PS6_S6_ZZZN2at6native31launch_logcumsumexp_cuda_kernelERKNSD_10TensorBaseESH_lENKUlvE_clEvENKUlvE4_clEvEUlS6_S6_E_S6_EEDaPvRmT3_T4_T5_mT6_P12ihipStream_tbENKUlT_T0_E_clISt17integral_constantIbLb0EESY_EEDaST_SU_EUlST_E0_NS1_11comp_targetILNS1_3genE2ELNS1_11target_archE906ELNS1_3gpuE6ELNS1_3repE0EEENS1_30default_config_static_selectorELNS0_4arch9wavefront6targetE1EEEvT1_: ; @_ZN7rocprim17ROCPRIM_400000_NS6detail17trampoline_kernelINS0_14default_configENS1_20scan_config_selectorIN3c108BFloat16EEEZZNS1_9scan_implILNS1_25lookback_scan_determinismE0ELb0ELb0ES3_PKS6_PS6_S6_ZZZN2at6native31launch_logcumsumexp_cuda_kernelERKNSD_10TensorBaseESH_lENKUlvE_clEvENKUlvE4_clEvEUlS6_S6_E_S6_EEDaPvRmT3_T4_T5_mT6_P12ihipStream_tbENKUlT_T0_E_clISt17integral_constantIbLb0EESY_EEDaST_SU_EUlST_E0_NS1_11comp_targetILNS1_3genE2ELNS1_11target_archE906ELNS1_3gpuE6ELNS1_3repE0EEENS1_30default_config_static_selectorELNS0_4arch9wavefront6targetE1EEEvT1_
; %bb.0:
	s_load_dwordx4 s[0:3], s[4:5], 0x0
	v_mov_b32_e32 v1, 0
	v_lshlrev_b32_e32 v13, 1, v0
	s_waitcnt lgkmcnt(0)
	global_load_ushort v1, v1, s[0:1]
	v_cmp_gt_u32_e64 s[8:9], s2, v0
	s_waitcnt vmcnt(0)
	v_mov_b32_e32 v2, v1
	s_mov_b64 s[6:7], exec
                                        ; implicit-def: $vgpr73 : SGPR spill to VGPR lane
	v_writelane_b32 v73, s8, 0
	v_writelane_b32 v73, s9, 1
	s_and_b64 s[8:9], s[6:7], s[8:9]
	s_mov_b64 exec, s[8:9]
	s_cbranch_execz .LBB459_2
; %bb.1:
	global_load_ushort v2, v13, s[0:1]
.LBB459_2:
	s_or_b64 exec, exec, s[6:7]
	v_or_b32_e32 v3, 0x100, v0
	v_cmp_gt_u32_e64 s[8:9], s2, v3
	v_mov_b32_e32 v3, v1
	s_mov_b64 s[6:7], exec
	v_writelane_b32 v73, s8, 2
	v_writelane_b32 v73, s9, 3
	s_and_b64 s[8:9], s[6:7], s[8:9]
	s_mov_b64 exec, s[8:9]
	s_cbranch_execz .LBB459_4
; %bb.3:
	global_load_ushort v3, v13, s[0:1] offset:512
.LBB459_4:
	s_or_b64 exec, exec, s[6:7]
	v_or_b32_e32 v4, 0x200, v0
	v_cmp_gt_u32_e64 s[8:9], s2, v4
	v_mov_b32_e32 v4, v1
	s_mov_b64 s[6:7], exec
	v_writelane_b32 v73, s8, 4
	v_writelane_b32 v73, s9, 5
	s_and_b64 s[8:9], s[6:7], s[8:9]
	s_mov_b64 exec, s[8:9]
	s_cbranch_execz .LBB459_6
; %bb.5:
	global_load_ushort v4, v13, s[0:1] offset:1024
.LBB459_6:
	;; [unrolled: 13-line block ×6, first 2 shown]
	s_or_b64 exec, exec, s[6:7]
	v_or_b32_e32 v9, 0x700, v0
	v_cmp_gt_u32_e64 s[14:15], s2, v9
	v_mov_b32_e32 v9, v1
	s_and_saveexec_b64 s[6:7], s[14:15]
	s_cbranch_execz .LBB459_16
; %bb.15:
	global_load_ushort v9, v13, s[0:1] offset:3584
.LBB459_16:
	s_or_b64 exec, exec, s[6:7]
	v_or_b32_e32 v11, 0x800, v0
	v_cmp_gt_u32_e64 s[16:17], s2, v11
	v_mov_b32_e32 v10, v1
	s_and_saveexec_b64 s[6:7], s[16:17]
	s_cbranch_execz .LBB459_18
; %bb.17:
	v_lshlrev_b32_e32 v10, 1, v11
	global_load_ushort v10, v10, s[0:1]
.LBB459_18:
	s_or_b64 exec, exec, s[6:7]
	v_or_b32_e32 v12, 0x900, v0
	v_cmp_gt_u32_e64 s[18:19], s2, v12
	v_mov_b32_e32 v11, v1
	s_and_saveexec_b64 s[6:7], s[18:19]
	s_cbranch_execz .LBB459_20
; %bb.19:
	v_lshlrev_b32_e32 v11, 1, v12
	global_load_ushort v11, v11, s[0:1]
.LBB459_20:
	;; [unrolled: 10-line block ×15, first 2 shown]
	s_or_b64 exec, exec, s[6:7]
	v_or_b32_e32 v26, 0x1700, v0
	v_cmp_gt_u32_e64 s[48:49], s2, v26
	s_and_saveexec_b64 s[2:3], s[48:49]
	s_cbranch_execz .LBB459_48
; %bb.47:
	v_lshlrev_b32_e32 v1, 1, v26
	global_load_ushort v1, v1, s[0:1]
.LBB459_48:
	s_or_b64 exec, exec, s[2:3]
	s_waitcnt vmcnt(0)
	ds_write_b16 v13, v2
	ds_write_b16 v13, v3 offset:512
	ds_write_b16 v13, v4 offset:1024
	;; [unrolled: 1-line block ×23, first 2 shown]
	v_mad_u32_u24 v5, v0, 46, v13
	s_waitcnt lgkmcnt(0)
	s_barrier
	ds_read_b128 v[1:4], v5
	ds_read_b128 v[9:12], v5 offset:16
	ds_read_b128 v[5:8], v5 offset:32
	s_movk_i32 s6, 0x1f8
	s_waitcnt lgkmcnt(0)
	v_lshlrev_b32_e32 v49, 16, v1
	v_and_b32_e32 v14, 0xffff0000, v1
	v_max_f32_e32 v22, v14, v14
	v_max_f32_e32 v50, v49, v49
	v_min_f32_e32 v51, v50, v22
	v_cmp_u_f32_e64 s[0:1], v49, v49
	v_cndmask_b32_e64 v15, v51, v49, s[0:1]
	v_cmp_u_f32_e64 s[50:51], v14, v14
	v_max_f32_e32 v52, v50, v22
	v_cndmask_b32_e64 v17, v15, v14, s[50:51]
	v_cndmask_b32_e64 v15, v52, v49, s[0:1]
	;; [unrolled: 1-line block ×3, first 2 shown]
	v_cmp_neq_f32_e32 vcc, v17, v15
	v_cmp_class_f32_e64 s[2:3], v17, s6
	s_or_b64 s[8:9], vcc, s[2:3]
	v_mov_b32_e32 v16, v49
	s_barrier
	s_and_saveexec_b64 s[2:3], s[8:9]
	s_cbranch_execz .LBB459_50
; %bb.49:
	v_sub_f32_e32 v16, v17, v15
	s_mov_b32 s7, 0x3fb8aa3b
	v_mul_f32_e32 v17, 0x3fb8aa3b, v16
	v_fma_f32 v18, v16, s7, -v17
	v_rndne_f32_e32 v19, v17
	v_fmac_f32_e32 v18, 0x32a5705f, v16
	v_sub_f32_e32 v17, v17, v19
	v_add_f32_e32 v17, v17, v18
	v_exp_f32_e32 v17, v17
	v_cvt_i32_f32_e32 v18, v19
	s_mov_b32 s7, 0xc2ce8ed0
	v_cmp_ngt_f32_e32 vcc, s7, v16
	s_mov_b32 s7, 0x42b17218
	v_ldexp_f32 v17, v17, v18
	v_cndmask_b32_e32 v17, 0, v17, vcc
	v_mov_b32_e32 v18, 0x7f800000
	v_cmp_nlt_f32_e32 vcc, s7, v16
	v_cndmask_b32_e32 v19, v18, v17, vcc
	v_add_f32_e32 v20, 1.0, v19
	v_cvt_f64_f32_e32 v[16:17], v20
	v_add_f32_e32 v21, -1.0, v20
	v_sub_f32_e32 v23, v21, v20
	v_sub_f32_e32 v21, v19, v21
	v_frexp_exp_i32_f64_e32 v16, v[16:17]
	v_add_f32_e32 v17, 1.0, v23
	v_add_f32_e32 v17, v21, v17
	v_frexp_mant_f32_e32 v21, v20
	s_mov_b32 s8, 0x3f2aaaab
	v_cmp_gt_f32_e32 vcc, s8, v21
	s_mov_b32 s8, 0x3f317218
	s_mov_b32 s7, 0x7f800000
	v_subbrev_co_u32_e32 v16, vcc, 0, v16, vcc
	v_sub_u32_e32 v21, 0, v16
	v_ldexp_f32 v20, v20, v21
	v_ldexp_f32 v17, v17, v21
	v_add_f32_e32 v21, -1.0, v20
	v_add_f32_e32 v25, 1.0, v20
	v_add_f32_e32 v23, 1.0, v21
	v_add_f32_e32 v26, -1.0, v25
	v_sub_f32_e32 v23, v20, v23
	v_sub_f32_e32 v20, v20, v26
	v_add_f32_e32 v23, v17, v23
	v_add_f32_e32 v17, v17, v20
	;; [unrolled: 1-line block ×3, first 2 shown]
	v_rcp_f32_e32 v26, v20
	v_add_f32_e32 v24, v21, v23
	v_sub_f32_e32 v21, v21, v24
	v_add_f32_e32 v21, v23, v21
	v_sub_f32_e32 v23, v25, v20
	v_add_f32_e32 v17, v17, v23
	v_mul_f32_e32 v23, v24, v26
	v_mul_f32_e32 v25, v20, v23
	v_fma_f32 v27, v23, v20, -v25
	v_fmac_f32_e32 v27, v23, v17
	v_add_f32_e32 v28, v25, v27
	v_sub_f32_e32 v29, v24, v28
	v_sub_f32_e32 v24, v24, v29
	;; [unrolled: 1-line block ×4, first 2 shown]
	v_add_f32_e32 v21, v21, v24
	v_sub_f32_e32 v24, v25, v27
	v_add_f32_e32 v21, v24, v21
	v_add_f32_e32 v24, v29, v21
	v_mul_f32_e32 v25, v26, v24
	v_mul_f32_e32 v27, v20, v25
	v_fma_f32 v20, v25, v20, -v27
	v_fmac_f32_e32 v20, v25, v17
	v_sub_f32_e32 v17, v29, v24
	v_add_f32_e32 v17, v21, v17
	v_add_f32_e32 v21, v27, v20
	v_sub_f32_e32 v28, v24, v21
	v_sub_f32_e32 v24, v24, v28
	;; [unrolled: 1-line block ×4, first 2 shown]
	v_add_f32_e32 v17, v17, v21
	v_sub_f32_e32 v20, v27, v20
	v_add_f32_e32 v17, v20, v17
	v_add_f32_e32 v20, v23, v25
	;; [unrolled: 1-line block ×3, first 2 shown]
	v_sub_f32_e32 v21, v20, v23
	v_mul_f32_e32 v17, v26, v17
	v_sub_f32_e32 v21, v25, v21
	v_add_f32_e32 v17, v21, v17
	v_cvt_f32_i32_e32 v16, v16
	v_add_f32_e32 v21, v20, v17
	v_mul_f32_e32 v23, v21, v21
	v_mov_b32_e32 v24, 0x3ecc95a3
	v_fmac_f32_e32 v24, 0x3e9b6dac, v23
	v_mov_b32_e32 v25, 0x3f2aaada
	v_fmac_f32_e32 v25, v23, v24
	v_mul_f32_e32 v24, 0x3f317218, v16
	v_fma_f32 v26, v16, s8, -v24
	v_fmac_f32_e32 v26, 0xb102e308, v16
	v_sub_f32_e32 v16, v21, v20
	v_sub_f32_e32 v16, v17, v16
	v_add_f32_e32 v17, v24, v26
	v_sub_f32_e32 v20, v17, v24
	v_ldexp_f32 v24, v21, 1
	v_mul_f32_e32 v21, v21, v23
	v_mul_f32_e32 v21, v21, v25
	v_add_f32_e32 v23, v24, v21
	v_sub_f32_e32 v24, v23, v24
	v_ldexp_f32 v16, v16, 1
	v_sub_f32_e32 v21, v21, v24
	v_add_f32_e32 v16, v16, v21
	v_add_f32_e32 v21, v23, v16
	v_sub_f32_e32 v23, v21, v23
	v_sub_f32_e32 v16, v16, v23
	v_add_f32_e32 v23, v17, v21
	v_sub_f32_e32 v24, v23, v17
	v_sub_f32_e32 v25, v23, v24
	;; [unrolled: 1-line block ×5, first 2 shown]
	v_add_f32_e32 v17, v21, v17
	v_add_f32_e32 v21, v20, v16
	v_sub_f32_e32 v24, v21, v20
	v_sub_f32_e32 v25, v21, v24
	;; [unrolled: 1-line block ×4, first 2 shown]
	v_add_f32_e32 v17, v21, v17
	v_add_f32_e32 v16, v16, v20
	;; [unrolled: 1-line block ×3, first 2 shown]
	v_sub_f32_e32 v21, v20, v23
	v_sub_f32_e32 v17, v17, v21
	v_add_f32_e32 v16, v16, v17
	v_add_f32_e32 v16, v20, v16
	v_cmp_neq_f32_e32 vcc, s7, v19
	s_mov_b32 s7, 0x33800000
	v_cndmask_b32_e32 v16, v18, v16, vcc
	v_cmp_lt_f32_e64 vcc, |v19|, s7
	v_cndmask_b32_e32 v16, v16, v19, vcc
	v_add_f32_e32 v16, v15, v16
.LBB459_50:
	s_or_b64 exec, exec, s[2:3]
	v_bfe_u32 v15, v16, 16, 1
	s_movk_i32 s7, 0x7fff
	v_add3_u32 v15, v16, v15, s7
	v_and_b32_e32 v15, 0xffff0000, v15
	v_mov_b32_e32 v17, 0x7fc00000
	v_cmp_o_f32_e32 vcc, v16, v16
	v_cndmask_b32_e32 v19, v17, v15, vcc
	v_lshlrev_b32_e32 v15, 16, v2
	v_max_f32_e32 v18, v19, v19
	v_max_f32_e32 v16, v15, v15
	v_min_f32_e32 v20, v18, v16
	v_cmp_u_f32_e32 vcc, v19, v19
	v_max_f32_e32 v18, v18, v16
	v_cndmask_b32_e32 v20, v20, v19, vcc
	v_cmp_u_f32_e64 s[52:53], v15, v15
	v_cndmask_b32_e32 v18, v18, v19, vcc
	v_cndmask_b32_e64 v20, v20, v15, s[52:53]
	v_cndmask_b32_e64 v18, v18, v15, s[52:53]
	v_cmp_neq_f32_e32 vcc, v20, v18
	v_cmp_class_f32_e64 s[2:3], v20, s6
	s_or_b64 s[8:9], vcc, s[2:3]
	s_and_saveexec_b64 s[2:3], s[8:9]
	s_cbranch_execz .LBB459_52
; %bb.51:
	v_sub_f32_e32 v19, v20, v18
	s_mov_b32 s6, 0x3fb8aa3b
	v_mul_f32_e32 v20, 0x3fb8aa3b, v19
	v_fma_f32 v21, v19, s6, -v20
	v_rndne_f32_e32 v23, v20
	v_fmac_f32_e32 v21, 0x32a5705f, v19
	v_sub_f32_e32 v20, v20, v23
	v_add_f32_e32 v20, v20, v21
	v_exp_f32_e32 v20, v20
	v_cvt_i32_f32_e32 v21, v23
	s_mov_b32 s6, 0xc2ce8ed0
	v_cmp_ngt_f32_e32 vcc, s6, v19
	s_mov_b32 s6, 0x42b17218
	v_ldexp_f32 v20, v20, v21
	v_cndmask_b32_e32 v20, 0, v20, vcc
	v_mov_b32_e32 v21, 0x7f800000
	v_cmp_nlt_f32_e32 vcc, s6, v19
	v_cndmask_b32_e32 v23, v21, v20, vcc
	v_add_f32_e32 v24, 1.0, v23
	v_cvt_f64_f32_e32 v[19:20], v24
	v_add_f32_e32 v25, -1.0, v24
	v_sub_f32_e32 v26, v25, v24
	v_sub_f32_e32 v25, v23, v25
	v_frexp_exp_i32_f64_e32 v19, v[19:20]
	v_add_f32_e32 v20, 1.0, v26
	v_add_f32_e32 v20, v25, v20
	v_frexp_mant_f32_e32 v25, v24
	s_mov_b32 s8, 0x3f2aaaab
	v_cmp_gt_f32_e32 vcc, s8, v25
	s_mov_b32 s8, 0x3f317218
	s_mov_b32 s6, 0x7f800000
	v_subbrev_co_u32_e32 v19, vcc, 0, v19, vcc
	v_sub_u32_e32 v25, 0, v19
	v_ldexp_f32 v24, v24, v25
	v_ldexp_f32 v20, v20, v25
	v_add_f32_e32 v25, -1.0, v24
	v_add_f32_e32 v28, 1.0, v24
	v_add_f32_e32 v26, 1.0, v25
	v_add_f32_e32 v29, -1.0, v28
	v_sub_f32_e32 v26, v24, v26
	v_sub_f32_e32 v24, v24, v29
	v_add_f32_e32 v26, v20, v26
	v_add_f32_e32 v20, v20, v24
	;; [unrolled: 1-line block ×3, first 2 shown]
	v_rcp_f32_e32 v29, v24
	v_add_f32_e32 v27, v25, v26
	v_sub_f32_e32 v25, v25, v27
	v_add_f32_e32 v25, v26, v25
	v_sub_f32_e32 v26, v28, v24
	v_add_f32_e32 v20, v20, v26
	v_mul_f32_e32 v26, v27, v29
	v_mul_f32_e32 v28, v24, v26
	v_fma_f32 v30, v26, v24, -v28
	v_fmac_f32_e32 v30, v26, v20
	v_add_f32_e32 v31, v28, v30
	v_sub_f32_e32 v32, v27, v31
	v_sub_f32_e32 v27, v27, v32
	;; [unrolled: 1-line block ×4, first 2 shown]
	v_add_f32_e32 v25, v25, v27
	v_sub_f32_e32 v27, v28, v30
	v_add_f32_e32 v25, v27, v25
	v_add_f32_e32 v27, v32, v25
	v_mul_f32_e32 v28, v29, v27
	v_mul_f32_e32 v30, v24, v28
	v_fma_f32 v24, v28, v24, -v30
	v_fmac_f32_e32 v24, v28, v20
	v_sub_f32_e32 v20, v32, v27
	v_add_f32_e32 v20, v25, v20
	v_add_f32_e32 v25, v30, v24
	v_sub_f32_e32 v31, v27, v25
	v_sub_f32_e32 v27, v27, v31
	;; [unrolled: 1-line block ×4, first 2 shown]
	v_add_f32_e32 v20, v20, v25
	v_sub_f32_e32 v24, v30, v24
	v_add_f32_e32 v20, v24, v20
	v_add_f32_e32 v24, v26, v28
	;; [unrolled: 1-line block ×3, first 2 shown]
	v_sub_f32_e32 v25, v24, v26
	v_mul_f32_e32 v20, v29, v20
	v_sub_f32_e32 v25, v28, v25
	v_add_f32_e32 v20, v25, v20
	v_cvt_f32_i32_e32 v19, v19
	v_add_f32_e32 v25, v24, v20
	v_mul_f32_e32 v26, v25, v25
	v_mov_b32_e32 v27, 0x3ecc95a3
	v_fmac_f32_e32 v27, 0x3e9b6dac, v26
	v_mov_b32_e32 v28, 0x3f2aaada
	v_fmac_f32_e32 v28, v26, v27
	v_mul_f32_e32 v27, 0x3f317218, v19
	v_fma_f32 v29, v19, s8, -v27
	v_fmac_f32_e32 v29, 0xb102e308, v19
	v_sub_f32_e32 v19, v25, v24
	v_sub_f32_e32 v19, v20, v19
	v_add_f32_e32 v20, v27, v29
	v_sub_f32_e32 v24, v20, v27
	v_ldexp_f32 v27, v25, 1
	v_mul_f32_e32 v25, v25, v26
	v_mul_f32_e32 v25, v25, v28
	v_add_f32_e32 v26, v27, v25
	v_sub_f32_e32 v27, v26, v27
	v_ldexp_f32 v19, v19, 1
	v_sub_f32_e32 v25, v25, v27
	v_add_f32_e32 v19, v19, v25
	v_add_f32_e32 v25, v26, v19
	v_sub_f32_e32 v26, v25, v26
	v_sub_f32_e32 v19, v19, v26
	v_add_f32_e32 v26, v20, v25
	v_sub_f32_e32 v27, v26, v20
	v_sub_f32_e32 v28, v26, v27
	;; [unrolled: 1-line block ×5, first 2 shown]
	v_add_f32_e32 v20, v25, v20
	v_add_f32_e32 v25, v24, v19
	v_sub_f32_e32 v27, v25, v24
	v_sub_f32_e32 v28, v25, v27
	;; [unrolled: 1-line block ×4, first 2 shown]
	v_add_f32_e32 v20, v25, v20
	v_add_f32_e32 v19, v19, v24
	;; [unrolled: 1-line block ×3, first 2 shown]
	v_sub_f32_e32 v25, v24, v26
	v_sub_f32_e32 v20, v20, v25
	v_add_f32_e32 v19, v19, v20
	v_add_f32_e32 v19, v24, v19
	v_cmp_neq_f32_e32 vcc, s6, v23
	s_mov_b32 s6, 0x33800000
	v_cndmask_b32_e32 v19, v21, v19, vcc
	v_cmp_lt_f32_e64 vcc, |v23|, s6
	v_cndmask_b32_e32 v19, v19, v23, vcc
	v_add_f32_e32 v19, v18, v19
.LBB459_52:
	s_or_b64 exec, exec, s[2:3]
	v_bfe_u32 v18, v19, 16, 1
	v_add3_u32 v18, v19, v18, s7
	v_and_b32_e32 v18, 0xffff0000, v18
	v_cmp_o_f32_e32 vcc, v19, v19
	v_cndmask_b32_e32 v19, v17, v18, vcc
	v_and_b32_e32 v2, 0xffff0000, v2
	v_max_f32_e32 v17, v19, v19
	v_max_f32_e32 v18, v2, v2
	v_min_f32_e32 v20, v17, v18
	v_cmp_u_f32_e32 vcc, v19, v19
	v_max_f32_e32 v17, v17, v18
	v_cndmask_b32_e32 v20, v20, v19, vcc
	v_cmp_u_f32_e64 s[54:55], v2, v2
	v_cndmask_b32_e32 v17, v17, v19, vcc
	v_cndmask_b32_e64 v20, v20, v2, s[54:55]
	v_cndmask_b32_e64 v17, v17, v2, s[54:55]
	s_movk_i32 s6, 0x1f8
	v_cmp_neq_f32_e32 vcc, v20, v17
	v_cmp_class_f32_e64 s[2:3], v20, s6
	s_or_b64 s[8:9], vcc, s[2:3]
	s_and_saveexec_b64 s[2:3], s[8:9]
	s_cbranch_execz .LBB459_54
; %bb.53:
	v_sub_f32_e32 v19, v20, v17
	s_mov_b32 s7, 0x3fb8aa3b
	v_mul_f32_e32 v20, 0x3fb8aa3b, v19
	v_fma_f32 v21, v19, s7, -v20
	v_rndne_f32_e32 v23, v20
	v_fmac_f32_e32 v21, 0x32a5705f, v19
	v_sub_f32_e32 v20, v20, v23
	v_add_f32_e32 v20, v20, v21
	v_exp_f32_e32 v20, v20
	v_cvt_i32_f32_e32 v21, v23
	s_mov_b32 s7, 0xc2ce8ed0
	v_cmp_ngt_f32_e32 vcc, s7, v19
	s_mov_b32 s7, 0x42b17218
	v_ldexp_f32 v20, v20, v21
	v_cndmask_b32_e32 v20, 0, v20, vcc
	v_mov_b32_e32 v21, 0x7f800000
	v_cmp_nlt_f32_e32 vcc, s7, v19
	v_cndmask_b32_e32 v23, v21, v20, vcc
	v_add_f32_e32 v24, 1.0, v23
	v_cvt_f64_f32_e32 v[19:20], v24
	v_add_f32_e32 v25, -1.0, v24
	v_sub_f32_e32 v26, v25, v24
	v_sub_f32_e32 v25, v23, v25
	v_frexp_exp_i32_f64_e32 v19, v[19:20]
	v_add_f32_e32 v20, 1.0, v26
	v_add_f32_e32 v20, v25, v20
	v_frexp_mant_f32_e32 v25, v24
	s_mov_b32 s8, 0x3f2aaaab
	v_cmp_gt_f32_e32 vcc, s8, v25
	s_mov_b32 s8, 0x3f317218
	s_mov_b32 s7, 0x7f800000
	v_subbrev_co_u32_e32 v19, vcc, 0, v19, vcc
	v_sub_u32_e32 v25, 0, v19
	v_ldexp_f32 v24, v24, v25
	v_ldexp_f32 v20, v20, v25
	v_add_f32_e32 v25, -1.0, v24
	v_add_f32_e32 v28, 1.0, v24
	v_add_f32_e32 v26, 1.0, v25
	v_add_f32_e32 v29, -1.0, v28
	v_sub_f32_e32 v26, v24, v26
	v_sub_f32_e32 v24, v24, v29
	v_add_f32_e32 v26, v20, v26
	v_add_f32_e32 v20, v20, v24
	;; [unrolled: 1-line block ×3, first 2 shown]
	v_rcp_f32_e32 v29, v24
	v_add_f32_e32 v27, v25, v26
	v_sub_f32_e32 v25, v25, v27
	v_add_f32_e32 v25, v26, v25
	v_sub_f32_e32 v26, v28, v24
	v_add_f32_e32 v20, v20, v26
	v_mul_f32_e32 v26, v27, v29
	v_mul_f32_e32 v28, v24, v26
	v_fma_f32 v30, v26, v24, -v28
	v_fmac_f32_e32 v30, v26, v20
	v_add_f32_e32 v31, v28, v30
	v_sub_f32_e32 v32, v27, v31
	v_sub_f32_e32 v27, v27, v32
	;; [unrolled: 1-line block ×4, first 2 shown]
	v_add_f32_e32 v25, v25, v27
	v_sub_f32_e32 v27, v28, v30
	v_add_f32_e32 v25, v27, v25
	v_add_f32_e32 v27, v32, v25
	v_mul_f32_e32 v28, v29, v27
	v_mul_f32_e32 v30, v24, v28
	v_fma_f32 v24, v28, v24, -v30
	v_fmac_f32_e32 v24, v28, v20
	v_sub_f32_e32 v20, v32, v27
	v_add_f32_e32 v20, v25, v20
	v_add_f32_e32 v25, v30, v24
	v_sub_f32_e32 v31, v27, v25
	v_sub_f32_e32 v27, v27, v31
	;; [unrolled: 1-line block ×4, first 2 shown]
	v_add_f32_e32 v20, v20, v25
	v_sub_f32_e32 v24, v30, v24
	v_add_f32_e32 v20, v24, v20
	v_add_f32_e32 v24, v26, v28
	;; [unrolled: 1-line block ×3, first 2 shown]
	v_sub_f32_e32 v25, v24, v26
	v_mul_f32_e32 v20, v29, v20
	v_sub_f32_e32 v25, v28, v25
	v_add_f32_e32 v20, v25, v20
	v_cvt_f32_i32_e32 v19, v19
	v_add_f32_e32 v25, v24, v20
	v_mul_f32_e32 v26, v25, v25
	v_mov_b32_e32 v27, 0x3ecc95a3
	v_fmac_f32_e32 v27, 0x3e9b6dac, v26
	v_mov_b32_e32 v28, 0x3f2aaada
	v_fmac_f32_e32 v28, v26, v27
	v_mul_f32_e32 v27, 0x3f317218, v19
	v_fma_f32 v29, v19, s8, -v27
	v_fmac_f32_e32 v29, 0xb102e308, v19
	v_sub_f32_e32 v19, v25, v24
	v_sub_f32_e32 v19, v20, v19
	v_add_f32_e32 v20, v27, v29
	v_sub_f32_e32 v24, v20, v27
	v_ldexp_f32 v27, v25, 1
	v_mul_f32_e32 v25, v25, v26
	v_mul_f32_e32 v25, v25, v28
	v_add_f32_e32 v26, v27, v25
	v_sub_f32_e32 v27, v26, v27
	v_ldexp_f32 v19, v19, 1
	v_sub_f32_e32 v25, v25, v27
	v_add_f32_e32 v19, v19, v25
	v_add_f32_e32 v25, v26, v19
	v_sub_f32_e32 v26, v25, v26
	v_sub_f32_e32 v19, v19, v26
	v_add_f32_e32 v26, v20, v25
	v_sub_f32_e32 v27, v26, v20
	v_sub_f32_e32 v28, v26, v27
	;; [unrolled: 1-line block ×5, first 2 shown]
	v_add_f32_e32 v20, v25, v20
	v_add_f32_e32 v25, v24, v19
	v_sub_f32_e32 v27, v25, v24
	v_sub_f32_e32 v28, v25, v27
	;; [unrolled: 1-line block ×4, first 2 shown]
	v_add_f32_e32 v20, v25, v20
	v_add_f32_e32 v19, v19, v24
	;; [unrolled: 1-line block ×3, first 2 shown]
	v_sub_f32_e32 v25, v24, v26
	v_sub_f32_e32 v20, v20, v25
	v_add_f32_e32 v19, v19, v20
	v_add_f32_e32 v19, v24, v19
	v_cmp_neq_f32_e32 vcc, s7, v23
	s_mov_b32 s7, 0x33800000
	v_cndmask_b32_e32 v19, v21, v19, vcc
	v_cmp_lt_f32_e64 vcc, |v23|, s7
	v_cndmask_b32_e32 v19, v19, v23, vcc
	v_add_f32_e32 v19, v17, v19
.LBB459_54:
	s_or_b64 exec, exec, s[2:3]
	v_bfe_u32 v17, v19, 16, 1
	s_movk_i32 s7, 0x7fff
	v_add3_u32 v17, v19, v17, s7
	v_and_b32_e32 v17, 0xffff0000, v17
	v_mov_b32_e32 v20, 0x7fc00000
	v_cmp_o_f32_e32 vcc, v19, v19
	v_cndmask_b32_e32 v23, v20, v17, vcc
	v_lshlrev_b32_e32 v17, 16, v3
	v_max_f32_e32 v21, v23, v23
	v_max_f32_e32 v19, v17, v17
	v_min_f32_e32 v24, v21, v19
	v_cmp_u_f32_e32 vcc, v23, v23
	v_max_f32_e32 v21, v21, v19
	v_cndmask_b32_e32 v24, v24, v23, vcc
	v_cmp_u_f32_e64 s[56:57], v17, v17
	v_cndmask_b32_e32 v21, v21, v23, vcc
	v_cndmask_b32_e64 v24, v24, v17, s[56:57]
	v_cndmask_b32_e64 v21, v21, v17, s[56:57]
	v_cmp_neq_f32_e32 vcc, v24, v21
	v_cmp_class_f32_e64 s[2:3], v24, s6
	s_or_b64 s[8:9], vcc, s[2:3]
	s_and_saveexec_b64 s[2:3], s[8:9]
	s_cbranch_execz .LBB459_56
; %bb.55:
	v_sub_f32_e32 v23, v24, v21
	s_mov_b32 s6, 0x3fb8aa3b
	v_mul_f32_e32 v24, 0x3fb8aa3b, v23
	v_fma_f32 v25, v23, s6, -v24
	v_rndne_f32_e32 v26, v24
	v_fmac_f32_e32 v25, 0x32a5705f, v23
	v_sub_f32_e32 v24, v24, v26
	v_add_f32_e32 v24, v24, v25
	v_exp_f32_e32 v24, v24
	v_cvt_i32_f32_e32 v25, v26
	s_mov_b32 s6, 0xc2ce8ed0
	v_cmp_ngt_f32_e32 vcc, s6, v23
	s_mov_b32 s6, 0x42b17218
	v_ldexp_f32 v24, v24, v25
	v_cndmask_b32_e32 v24, 0, v24, vcc
	v_mov_b32_e32 v25, 0x7f800000
	v_cmp_nlt_f32_e32 vcc, s6, v23
	v_cndmask_b32_e32 v26, v25, v24, vcc
	v_add_f32_e32 v27, 1.0, v26
	v_cvt_f64_f32_e32 v[23:24], v27
	v_add_f32_e32 v28, -1.0, v27
	v_sub_f32_e32 v29, v28, v27
	v_sub_f32_e32 v28, v26, v28
	v_frexp_exp_i32_f64_e32 v23, v[23:24]
	v_add_f32_e32 v24, 1.0, v29
	v_add_f32_e32 v24, v28, v24
	v_frexp_mant_f32_e32 v28, v27
	s_mov_b32 s8, 0x3f2aaaab
	v_cmp_gt_f32_e32 vcc, s8, v28
	s_mov_b32 s8, 0x3f317218
	s_mov_b32 s6, 0x7f800000
	v_subbrev_co_u32_e32 v23, vcc, 0, v23, vcc
	v_sub_u32_e32 v28, 0, v23
	v_ldexp_f32 v27, v27, v28
	v_ldexp_f32 v24, v24, v28
	v_add_f32_e32 v28, -1.0, v27
	v_add_f32_e32 v31, 1.0, v27
	v_add_f32_e32 v29, 1.0, v28
	v_add_f32_e32 v32, -1.0, v31
	v_sub_f32_e32 v29, v27, v29
	v_sub_f32_e32 v27, v27, v32
	v_add_f32_e32 v29, v24, v29
	v_add_f32_e32 v24, v24, v27
	;; [unrolled: 1-line block ×3, first 2 shown]
	v_rcp_f32_e32 v32, v27
	v_add_f32_e32 v30, v28, v29
	v_sub_f32_e32 v28, v28, v30
	v_add_f32_e32 v28, v29, v28
	v_sub_f32_e32 v29, v31, v27
	v_add_f32_e32 v24, v24, v29
	v_mul_f32_e32 v29, v30, v32
	v_mul_f32_e32 v31, v27, v29
	v_fma_f32 v33, v29, v27, -v31
	v_fmac_f32_e32 v33, v29, v24
	v_add_f32_e32 v34, v31, v33
	v_sub_f32_e32 v35, v30, v34
	v_sub_f32_e32 v30, v30, v35
	;; [unrolled: 1-line block ×4, first 2 shown]
	v_add_f32_e32 v28, v28, v30
	v_sub_f32_e32 v30, v31, v33
	v_add_f32_e32 v28, v30, v28
	v_add_f32_e32 v30, v35, v28
	v_mul_f32_e32 v31, v32, v30
	v_mul_f32_e32 v33, v27, v31
	v_fma_f32 v27, v31, v27, -v33
	v_fmac_f32_e32 v27, v31, v24
	v_sub_f32_e32 v24, v35, v30
	v_add_f32_e32 v24, v28, v24
	v_add_f32_e32 v28, v33, v27
	v_sub_f32_e32 v34, v30, v28
	v_sub_f32_e32 v30, v30, v34
	;; [unrolled: 1-line block ×4, first 2 shown]
	v_add_f32_e32 v24, v24, v28
	v_sub_f32_e32 v27, v33, v27
	v_add_f32_e32 v24, v27, v24
	v_add_f32_e32 v27, v29, v31
	;; [unrolled: 1-line block ×3, first 2 shown]
	v_sub_f32_e32 v28, v27, v29
	v_mul_f32_e32 v24, v32, v24
	v_sub_f32_e32 v28, v31, v28
	v_add_f32_e32 v24, v28, v24
	v_cvt_f32_i32_e32 v23, v23
	v_add_f32_e32 v28, v27, v24
	v_mul_f32_e32 v29, v28, v28
	v_mov_b32_e32 v30, 0x3ecc95a3
	v_fmac_f32_e32 v30, 0x3e9b6dac, v29
	v_mov_b32_e32 v31, 0x3f2aaada
	v_fmac_f32_e32 v31, v29, v30
	v_mul_f32_e32 v30, 0x3f317218, v23
	v_fma_f32 v32, v23, s8, -v30
	v_fmac_f32_e32 v32, 0xb102e308, v23
	v_sub_f32_e32 v23, v28, v27
	v_sub_f32_e32 v23, v24, v23
	v_add_f32_e32 v24, v30, v32
	v_sub_f32_e32 v27, v24, v30
	v_ldexp_f32 v30, v28, 1
	v_mul_f32_e32 v28, v28, v29
	v_mul_f32_e32 v28, v28, v31
	v_add_f32_e32 v29, v30, v28
	v_sub_f32_e32 v30, v29, v30
	v_ldexp_f32 v23, v23, 1
	v_sub_f32_e32 v28, v28, v30
	v_add_f32_e32 v23, v23, v28
	v_add_f32_e32 v28, v29, v23
	v_sub_f32_e32 v29, v28, v29
	v_sub_f32_e32 v23, v23, v29
	v_add_f32_e32 v29, v24, v28
	v_sub_f32_e32 v30, v29, v24
	v_sub_f32_e32 v31, v29, v30
	;; [unrolled: 1-line block ×5, first 2 shown]
	v_add_f32_e32 v24, v28, v24
	v_add_f32_e32 v28, v27, v23
	v_sub_f32_e32 v30, v28, v27
	v_sub_f32_e32 v31, v28, v30
	;; [unrolled: 1-line block ×4, first 2 shown]
	v_add_f32_e32 v24, v28, v24
	v_add_f32_e32 v23, v23, v27
	;; [unrolled: 1-line block ×3, first 2 shown]
	v_sub_f32_e32 v28, v27, v29
	v_sub_f32_e32 v24, v24, v28
	v_add_f32_e32 v23, v23, v24
	v_add_f32_e32 v23, v27, v23
	v_cmp_neq_f32_e32 vcc, s6, v26
	s_mov_b32 s6, 0x33800000
	v_cndmask_b32_e32 v23, v25, v23, vcc
	v_cmp_lt_f32_e64 vcc, |v26|, s6
	v_cndmask_b32_e32 v23, v23, v26, vcc
	v_add_f32_e32 v23, v21, v23
.LBB459_56:
	s_or_b64 exec, exec, s[2:3]
	v_bfe_u32 v21, v23, 16, 1
	v_add3_u32 v21, v23, v21, s7
	v_and_b32_e32 v21, 0xffff0000, v21
	v_cmp_o_f32_e32 vcc, v23, v23
	v_cndmask_b32_e32 v23, v20, v21, vcc
	v_and_b32_e32 v3, 0xffff0000, v3
	v_max_f32_e32 v20, v23, v23
	v_max_f32_e32 v21, v3, v3
	v_min_f32_e32 v24, v20, v21
	v_cmp_u_f32_e32 vcc, v23, v23
	v_max_f32_e32 v20, v20, v21
	v_cndmask_b32_e32 v24, v24, v23, vcc
	v_cmp_u_f32_e64 s[58:59], v3, v3
	v_cndmask_b32_e32 v20, v20, v23, vcc
	v_cndmask_b32_e64 v24, v24, v3, s[58:59]
	v_cndmask_b32_e64 v20, v20, v3, s[58:59]
	s_movk_i32 s6, 0x1f8
	v_cmp_neq_f32_e32 vcc, v24, v20
	v_cmp_class_f32_e64 s[2:3], v24, s6
	s_or_b64 s[8:9], vcc, s[2:3]
	s_and_saveexec_b64 s[2:3], s[8:9]
	s_cbranch_execz .LBB459_58
; %bb.57:
	v_sub_f32_e32 v23, v24, v20
	s_mov_b32 s7, 0x3fb8aa3b
	v_mul_f32_e32 v24, 0x3fb8aa3b, v23
	v_fma_f32 v25, v23, s7, -v24
	v_rndne_f32_e32 v26, v24
	v_fmac_f32_e32 v25, 0x32a5705f, v23
	v_sub_f32_e32 v24, v24, v26
	v_add_f32_e32 v24, v24, v25
	v_exp_f32_e32 v24, v24
	v_cvt_i32_f32_e32 v25, v26
	s_mov_b32 s7, 0xc2ce8ed0
	v_cmp_ngt_f32_e32 vcc, s7, v23
	s_mov_b32 s7, 0x42b17218
	v_ldexp_f32 v24, v24, v25
	v_cndmask_b32_e32 v24, 0, v24, vcc
	v_mov_b32_e32 v25, 0x7f800000
	v_cmp_nlt_f32_e32 vcc, s7, v23
	v_cndmask_b32_e32 v26, v25, v24, vcc
	v_add_f32_e32 v27, 1.0, v26
	v_cvt_f64_f32_e32 v[23:24], v27
	v_add_f32_e32 v28, -1.0, v27
	v_sub_f32_e32 v29, v28, v27
	v_sub_f32_e32 v28, v26, v28
	v_frexp_exp_i32_f64_e32 v23, v[23:24]
	v_add_f32_e32 v24, 1.0, v29
	v_add_f32_e32 v24, v28, v24
	v_frexp_mant_f32_e32 v28, v27
	s_mov_b32 s8, 0x3f2aaaab
	v_cmp_gt_f32_e32 vcc, s8, v28
	s_mov_b32 s8, 0x3f317218
	s_mov_b32 s7, 0x7f800000
	v_subbrev_co_u32_e32 v23, vcc, 0, v23, vcc
	v_sub_u32_e32 v28, 0, v23
	v_ldexp_f32 v27, v27, v28
	v_ldexp_f32 v24, v24, v28
	v_add_f32_e32 v28, -1.0, v27
	v_add_f32_e32 v31, 1.0, v27
	v_add_f32_e32 v29, 1.0, v28
	v_add_f32_e32 v32, -1.0, v31
	v_sub_f32_e32 v29, v27, v29
	v_sub_f32_e32 v27, v27, v32
	v_add_f32_e32 v29, v24, v29
	v_add_f32_e32 v24, v24, v27
	;; [unrolled: 1-line block ×3, first 2 shown]
	v_rcp_f32_e32 v32, v27
	v_add_f32_e32 v30, v28, v29
	v_sub_f32_e32 v28, v28, v30
	v_add_f32_e32 v28, v29, v28
	v_sub_f32_e32 v29, v31, v27
	v_add_f32_e32 v24, v24, v29
	v_mul_f32_e32 v29, v30, v32
	v_mul_f32_e32 v31, v27, v29
	v_fma_f32 v33, v29, v27, -v31
	v_fmac_f32_e32 v33, v29, v24
	v_add_f32_e32 v34, v31, v33
	v_sub_f32_e32 v35, v30, v34
	v_sub_f32_e32 v30, v30, v35
	;; [unrolled: 1-line block ×4, first 2 shown]
	v_add_f32_e32 v28, v28, v30
	v_sub_f32_e32 v30, v31, v33
	v_add_f32_e32 v28, v30, v28
	v_add_f32_e32 v30, v35, v28
	v_mul_f32_e32 v31, v32, v30
	v_mul_f32_e32 v33, v27, v31
	v_fma_f32 v27, v31, v27, -v33
	v_fmac_f32_e32 v27, v31, v24
	v_sub_f32_e32 v24, v35, v30
	v_add_f32_e32 v24, v28, v24
	v_add_f32_e32 v28, v33, v27
	v_sub_f32_e32 v34, v30, v28
	v_sub_f32_e32 v30, v30, v34
	;; [unrolled: 1-line block ×4, first 2 shown]
	v_add_f32_e32 v24, v24, v28
	v_sub_f32_e32 v27, v33, v27
	v_add_f32_e32 v24, v27, v24
	v_add_f32_e32 v27, v29, v31
	;; [unrolled: 1-line block ×3, first 2 shown]
	v_sub_f32_e32 v28, v27, v29
	v_mul_f32_e32 v24, v32, v24
	v_sub_f32_e32 v28, v31, v28
	v_add_f32_e32 v24, v28, v24
	v_cvt_f32_i32_e32 v23, v23
	v_add_f32_e32 v28, v27, v24
	v_mul_f32_e32 v29, v28, v28
	v_mov_b32_e32 v30, 0x3ecc95a3
	v_fmac_f32_e32 v30, 0x3e9b6dac, v29
	v_mov_b32_e32 v31, 0x3f2aaada
	v_fmac_f32_e32 v31, v29, v30
	v_mul_f32_e32 v30, 0x3f317218, v23
	v_fma_f32 v32, v23, s8, -v30
	v_fmac_f32_e32 v32, 0xb102e308, v23
	v_sub_f32_e32 v23, v28, v27
	v_sub_f32_e32 v23, v24, v23
	v_add_f32_e32 v24, v30, v32
	v_sub_f32_e32 v27, v24, v30
	v_ldexp_f32 v30, v28, 1
	v_mul_f32_e32 v28, v28, v29
	v_mul_f32_e32 v28, v28, v31
	v_add_f32_e32 v29, v30, v28
	v_sub_f32_e32 v30, v29, v30
	v_ldexp_f32 v23, v23, 1
	v_sub_f32_e32 v28, v28, v30
	v_add_f32_e32 v23, v23, v28
	v_add_f32_e32 v28, v29, v23
	v_sub_f32_e32 v29, v28, v29
	v_sub_f32_e32 v23, v23, v29
	v_add_f32_e32 v29, v24, v28
	v_sub_f32_e32 v30, v29, v24
	v_sub_f32_e32 v31, v29, v30
	;; [unrolled: 1-line block ×5, first 2 shown]
	v_add_f32_e32 v24, v28, v24
	v_add_f32_e32 v28, v27, v23
	v_sub_f32_e32 v30, v28, v27
	v_sub_f32_e32 v31, v28, v30
	;; [unrolled: 1-line block ×4, first 2 shown]
	v_add_f32_e32 v24, v28, v24
	v_add_f32_e32 v23, v23, v27
	;; [unrolled: 1-line block ×3, first 2 shown]
	v_sub_f32_e32 v28, v27, v29
	v_sub_f32_e32 v24, v24, v28
	v_add_f32_e32 v23, v23, v24
	v_add_f32_e32 v23, v27, v23
	v_cmp_neq_f32_e32 vcc, s7, v26
	s_mov_b32 s7, 0x33800000
	v_cndmask_b32_e32 v23, v25, v23, vcc
	v_cmp_lt_f32_e64 vcc, |v26|, s7
	v_cndmask_b32_e32 v23, v23, v26, vcc
	v_add_f32_e32 v23, v20, v23
.LBB459_58:
	s_or_b64 exec, exec, s[2:3]
	v_bfe_u32 v20, v23, 16, 1
	s_movk_i32 s7, 0x7fff
	v_add3_u32 v20, v23, v20, s7
	v_and_b32_e32 v20, 0xffff0000, v20
	v_mov_b32_e32 v24, 0x7fc00000
	v_cmp_o_f32_e32 vcc, v23, v23
	v_cndmask_b32_e32 v26, v24, v20, vcc
	v_lshlrev_b32_e32 v20, 16, v4
	v_max_f32_e32 v25, v26, v26
	v_max_f32_e32 v23, v20, v20
	v_min_f32_e32 v27, v25, v23
	v_cmp_u_f32_e32 vcc, v26, v26
	v_max_f32_e32 v25, v25, v23
	v_cndmask_b32_e32 v27, v27, v26, vcc
	v_cmp_u_f32_e64 s[60:61], v20, v20
	v_cndmask_b32_e32 v25, v25, v26, vcc
	v_cndmask_b32_e64 v27, v27, v20, s[60:61]
	v_cndmask_b32_e64 v25, v25, v20, s[60:61]
	v_cmp_neq_f32_e32 vcc, v27, v25
	v_cmp_class_f32_e64 s[2:3], v27, s6
	s_or_b64 s[8:9], vcc, s[2:3]
	s_and_saveexec_b64 s[2:3], s[8:9]
	s_cbranch_execz .LBB459_60
; %bb.59:
	v_sub_f32_e32 v26, v27, v25
	s_mov_b32 s6, 0x3fb8aa3b
	v_mul_f32_e32 v27, 0x3fb8aa3b, v26
	v_fma_f32 v28, v26, s6, -v27
	v_rndne_f32_e32 v29, v27
	v_fmac_f32_e32 v28, 0x32a5705f, v26
	v_sub_f32_e32 v27, v27, v29
	v_add_f32_e32 v27, v27, v28
	v_exp_f32_e32 v27, v27
	v_cvt_i32_f32_e32 v28, v29
	s_mov_b32 s6, 0xc2ce8ed0
	v_cmp_ngt_f32_e32 vcc, s6, v26
	s_mov_b32 s6, 0x42b17218
	v_ldexp_f32 v27, v27, v28
	v_cndmask_b32_e32 v27, 0, v27, vcc
	v_mov_b32_e32 v28, 0x7f800000
	v_cmp_nlt_f32_e32 vcc, s6, v26
	v_cndmask_b32_e32 v29, v28, v27, vcc
	v_add_f32_e32 v30, 1.0, v29
	v_cvt_f64_f32_e32 v[26:27], v30
	v_add_f32_e32 v31, -1.0, v30
	v_sub_f32_e32 v32, v31, v30
	v_sub_f32_e32 v31, v29, v31
	v_frexp_exp_i32_f64_e32 v26, v[26:27]
	v_add_f32_e32 v27, 1.0, v32
	v_add_f32_e32 v27, v31, v27
	v_frexp_mant_f32_e32 v31, v30
	s_mov_b32 s8, 0x3f2aaaab
	v_cmp_gt_f32_e32 vcc, s8, v31
	s_mov_b32 s8, 0x3f317218
	s_mov_b32 s6, 0x7f800000
	v_subbrev_co_u32_e32 v26, vcc, 0, v26, vcc
	v_sub_u32_e32 v31, 0, v26
	v_ldexp_f32 v30, v30, v31
	v_ldexp_f32 v27, v27, v31
	v_add_f32_e32 v31, -1.0, v30
	v_add_f32_e32 v34, 1.0, v30
	v_add_f32_e32 v32, 1.0, v31
	v_add_f32_e32 v35, -1.0, v34
	v_sub_f32_e32 v32, v30, v32
	v_sub_f32_e32 v30, v30, v35
	v_add_f32_e32 v32, v27, v32
	v_add_f32_e32 v27, v27, v30
	;; [unrolled: 1-line block ×3, first 2 shown]
	v_rcp_f32_e32 v35, v30
	v_add_f32_e32 v33, v31, v32
	v_sub_f32_e32 v31, v31, v33
	v_add_f32_e32 v31, v32, v31
	v_sub_f32_e32 v32, v34, v30
	v_add_f32_e32 v27, v27, v32
	v_mul_f32_e32 v32, v33, v35
	v_mul_f32_e32 v34, v30, v32
	v_fma_f32 v36, v32, v30, -v34
	v_fmac_f32_e32 v36, v32, v27
	v_add_f32_e32 v37, v34, v36
	v_sub_f32_e32 v38, v33, v37
	v_sub_f32_e32 v33, v33, v38
	;; [unrolled: 1-line block ×4, first 2 shown]
	v_add_f32_e32 v31, v31, v33
	v_sub_f32_e32 v33, v34, v36
	v_add_f32_e32 v31, v33, v31
	v_add_f32_e32 v33, v38, v31
	v_mul_f32_e32 v34, v35, v33
	v_mul_f32_e32 v36, v30, v34
	v_fma_f32 v30, v34, v30, -v36
	v_fmac_f32_e32 v30, v34, v27
	v_sub_f32_e32 v27, v38, v33
	v_add_f32_e32 v27, v31, v27
	v_add_f32_e32 v31, v36, v30
	v_sub_f32_e32 v37, v33, v31
	v_sub_f32_e32 v33, v33, v37
	;; [unrolled: 1-line block ×4, first 2 shown]
	v_add_f32_e32 v27, v27, v31
	v_sub_f32_e32 v30, v36, v30
	v_add_f32_e32 v27, v30, v27
	v_add_f32_e32 v30, v32, v34
	;; [unrolled: 1-line block ×3, first 2 shown]
	v_sub_f32_e32 v31, v30, v32
	v_mul_f32_e32 v27, v35, v27
	v_sub_f32_e32 v31, v34, v31
	v_add_f32_e32 v27, v31, v27
	v_cvt_f32_i32_e32 v26, v26
	v_add_f32_e32 v31, v30, v27
	v_mul_f32_e32 v32, v31, v31
	v_mov_b32_e32 v33, 0x3ecc95a3
	v_fmac_f32_e32 v33, 0x3e9b6dac, v32
	v_mov_b32_e32 v34, 0x3f2aaada
	v_fmac_f32_e32 v34, v32, v33
	v_mul_f32_e32 v33, 0x3f317218, v26
	v_fma_f32 v35, v26, s8, -v33
	v_fmac_f32_e32 v35, 0xb102e308, v26
	v_sub_f32_e32 v26, v31, v30
	v_sub_f32_e32 v26, v27, v26
	v_add_f32_e32 v27, v33, v35
	v_sub_f32_e32 v30, v27, v33
	v_ldexp_f32 v33, v31, 1
	v_mul_f32_e32 v31, v31, v32
	v_mul_f32_e32 v31, v31, v34
	v_add_f32_e32 v32, v33, v31
	v_sub_f32_e32 v33, v32, v33
	v_ldexp_f32 v26, v26, 1
	v_sub_f32_e32 v31, v31, v33
	v_add_f32_e32 v26, v26, v31
	v_add_f32_e32 v31, v32, v26
	v_sub_f32_e32 v32, v31, v32
	v_sub_f32_e32 v26, v26, v32
	v_add_f32_e32 v32, v27, v31
	v_sub_f32_e32 v33, v32, v27
	v_sub_f32_e32 v34, v32, v33
	;; [unrolled: 1-line block ×5, first 2 shown]
	v_add_f32_e32 v27, v31, v27
	v_add_f32_e32 v31, v30, v26
	v_sub_f32_e32 v33, v31, v30
	v_sub_f32_e32 v34, v31, v33
	;; [unrolled: 1-line block ×4, first 2 shown]
	v_add_f32_e32 v27, v31, v27
	v_add_f32_e32 v26, v26, v30
	;; [unrolled: 1-line block ×3, first 2 shown]
	v_sub_f32_e32 v31, v30, v32
	v_sub_f32_e32 v27, v27, v31
	v_add_f32_e32 v26, v26, v27
	v_add_f32_e32 v26, v30, v26
	v_cmp_neq_f32_e32 vcc, s6, v29
	s_mov_b32 s6, 0x33800000
	v_cndmask_b32_e32 v26, v28, v26, vcc
	v_cmp_lt_f32_e64 vcc, |v29|, s6
	v_cndmask_b32_e32 v26, v26, v29, vcc
	v_add_f32_e32 v26, v25, v26
.LBB459_60:
	s_or_b64 exec, exec, s[2:3]
	v_bfe_u32 v25, v26, 16, 1
	v_add3_u32 v25, v26, v25, s7
	v_and_b32_e32 v25, 0xffff0000, v25
	v_cmp_o_f32_e32 vcc, v26, v26
	v_cndmask_b32_e32 v26, v24, v25, vcc
	v_and_b32_e32 v4, 0xffff0000, v4
	v_max_f32_e32 v24, v26, v26
	v_max_f32_e32 v25, v4, v4
	v_min_f32_e32 v27, v24, v25
	v_cmp_u_f32_e32 vcc, v26, v26
	v_max_f32_e32 v24, v24, v25
	v_cndmask_b32_e32 v27, v27, v26, vcc
	v_cmp_u_f32_e64 s[62:63], v4, v4
	v_cndmask_b32_e32 v24, v24, v26, vcc
	v_cndmask_b32_e64 v27, v27, v4, s[62:63]
	v_cndmask_b32_e64 v24, v24, v4, s[62:63]
	s_movk_i32 s6, 0x1f8
	v_cmp_neq_f32_e32 vcc, v27, v24
	v_cmp_class_f32_e64 s[2:3], v27, s6
	s_or_b64 s[8:9], vcc, s[2:3]
	s_and_saveexec_b64 s[2:3], s[8:9]
	s_cbranch_execz .LBB459_62
; %bb.61:
	v_sub_f32_e32 v26, v27, v24
	s_mov_b32 s7, 0x3fb8aa3b
	v_mul_f32_e32 v27, 0x3fb8aa3b, v26
	v_fma_f32 v28, v26, s7, -v27
	v_rndne_f32_e32 v29, v27
	v_fmac_f32_e32 v28, 0x32a5705f, v26
	v_sub_f32_e32 v27, v27, v29
	v_add_f32_e32 v27, v27, v28
	v_exp_f32_e32 v27, v27
	v_cvt_i32_f32_e32 v28, v29
	s_mov_b32 s7, 0xc2ce8ed0
	v_cmp_ngt_f32_e32 vcc, s7, v26
	s_mov_b32 s7, 0x42b17218
	v_ldexp_f32 v27, v27, v28
	v_cndmask_b32_e32 v27, 0, v27, vcc
	v_mov_b32_e32 v28, 0x7f800000
	v_cmp_nlt_f32_e32 vcc, s7, v26
	v_cndmask_b32_e32 v29, v28, v27, vcc
	v_add_f32_e32 v30, 1.0, v29
	v_cvt_f64_f32_e32 v[26:27], v30
	v_add_f32_e32 v31, -1.0, v30
	v_sub_f32_e32 v32, v31, v30
	v_sub_f32_e32 v31, v29, v31
	v_frexp_exp_i32_f64_e32 v26, v[26:27]
	v_add_f32_e32 v27, 1.0, v32
	v_add_f32_e32 v27, v31, v27
	v_frexp_mant_f32_e32 v31, v30
	s_mov_b32 s8, 0x3f2aaaab
	v_cmp_gt_f32_e32 vcc, s8, v31
	s_mov_b32 s8, 0x3f317218
	s_mov_b32 s7, 0x7f800000
	v_subbrev_co_u32_e32 v26, vcc, 0, v26, vcc
	v_sub_u32_e32 v31, 0, v26
	v_ldexp_f32 v30, v30, v31
	v_ldexp_f32 v27, v27, v31
	v_add_f32_e32 v31, -1.0, v30
	v_add_f32_e32 v34, 1.0, v30
	v_add_f32_e32 v32, 1.0, v31
	v_add_f32_e32 v35, -1.0, v34
	v_sub_f32_e32 v32, v30, v32
	v_sub_f32_e32 v30, v30, v35
	v_add_f32_e32 v32, v27, v32
	v_add_f32_e32 v27, v27, v30
	;; [unrolled: 1-line block ×3, first 2 shown]
	v_rcp_f32_e32 v35, v30
	v_add_f32_e32 v33, v31, v32
	v_sub_f32_e32 v31, v31, v33
	v_add_f32_e32 v31, v32, v31
	v_sub_f32_e32 v32, v34, v30
	v_add_f32_e32 v27, v27, v32
	v_mul_f32_e32 v32, v33, v35
	v_mul_f32_e32 v34, v30, v32
	v_fma_f32 v36, v32, v30, -v34
	v_fmac_f32_e32 v36, v32, v27
	v_add_f32_e32 v37, v34, v36
	v_sub_f32_e32 v38, v33, v37
	v_sub_f32_e32 v33, v33, v38
	;; [unrolled: 1-line block ×4, first 2 shown]
	v_add_f32_e32 v31, v31, v33
	v_sub_f32_e32 v33, v34, v36
	v_add_f32_e32 v31, v33, v31
	v_add_f32_e32 v33, v38, v31
	v_mul_f32_e32 v34, v35, v33
	v_mul_f32_e32 v36, v30, v34
	v_fma_f32 v30, v34, v30, -v36
	v_fmac_f32_e32 v30, v34, v27
	v_sub_f32_e32 v27, v38, v33
	v_add_f32_e32 v27, v31, v27
	v_add_f32_e32 v31, v36, v30
	v_sub_f32_e32 v37, v33, v31
	v_sub_f32_e32 v33, v33, v37
	;; [unrolled: 1-line block ×4, first 2 shown]
	v_add_f32_e32 v27, v27, v31
	v_sub_f32_e32 v30, v36, v30
	v_add_f32_e32 v27, v30, v27
	v_add_f32_e32 v30, v32, v34
	;; [unrolled: 1-line block ×3, first 2 shown]
	v_sub_f32_e32 v31, v30, v32
	v_mul_f32_e32 v27, v35, v27
	v_sub_f32_e32 v31, v34, v31
	v_add_f32_e32 v27, v31, v27
	v_cvt_f32_i32_e32 v26, v26
	v_add_f32_e32 v31, v30, v27
	v_mul_f32_e32 v32, v31, v31
	v_mov_b32_e32 v33, 0x3ecc95a3
	v_fmac_f32_e32 v33, 0x3e9b6dac, v32
	v_mov_b32_e32 v34, 0x3f2aaada
	v_fmac_f32_e32 v34, v32, v33
	v_mul_f32_e32 v33, 0x3f317218, v26
	v_fma_f32 v35, v26, s8, -v33
	v_fmac_f32_e32 v35, 0xb102e308, v26
	v_sub_f32_e32 v26, v31, v30
	v_sub_f32_e32 v26, v27, v26
	v_add_f32_e32 v27, v33, v35
	v_sub_f32_e32 v30, v27, v33
	v_ldexp_f32 v33, v31, 1
	v_mul_f32_e32 v31, v31, v32
	v_mul_f32_e32 v31, v31, v34
	v_add_f32_e32 v32, v33, v31
	v_sub_f32_e32 v33, v32, v33
	v_ldexp_f32 v26, v26, 1
	v_sub_f32_e32 v31, v31, v33
	v_add_f32_e32 v26, v26, v31
	v_add_f32_e32 v31, v32, v26
	v_sub_f32_e32 v32, v31, v32
	v_sub_f32_e32 v26, v26, v32
	v_add_f32_e32 v32, v27, v31
	v_sub_f32_e32 v33, v32, v27
	v_sub_f32_e32 v34, v32, v33
	;; [unrolled: 1-line block ×5, first 2 shown]
	v_add_f32_e32 v27, v31, v27
	v_add_f32_e32 v31, v30, v26
	v_sub_f32_e32 v33, v31, v30
	v_sub_f32_e32 v34, v31, v33
	v_sub_f32_e32 v30, v30, v34
	v_sub_f32_e32 v26, v26, v33
	v_add_f32_e32 v27, v31, v27
	v_add_f32_e32 v26, v26, v30
	;; [unrolled: 1-line block ×3, first 2 shown]
	v_sub_f32_e32 v31, v30, v32
	v_sub_f32_e32 v27, v27, v31
	v_add_f32_e32 v26, v26, v27
	v_add_f32_e32 v26, v30, v26
	v_cmp_neq_f32_e32 vcc, s7, v29
	s_mov_b32 s7, 0x33800000
	v_cndmask_b32_e32 v26, v28, v26, vcc
	v_cmp_lt_f32_e64 vcc, |v29|, s7
	v_cndmask_b32_e32 v26, v26, v29, vcc
	v_add_f32_e32 v26, v24, v26
.LBB459_62:
	s_or_b64 exec, exec, s[2:3]
	v_bfe_u32 v24, v26, 16, 1
	s_movk_i32 s7, 0x7fff
	v_add3_u32 v24, v26, v24, s7
	v_and_b32_e32 v24, 0xffff0000, v24
	v_mov_b32_e32 v27, 0x7fc00000
	v_cmp_o_f32_e32 vcc, v26, v26
	v_cndmask_b32_e32 v29, v27, v24, vcc
	v_lshlrev_b32_e32 v24, 16, v9
	v_max_f32_e32 v28, v29, v29
	v_max_f32_e32 v26, v24, v24
	v_min_f32_e32 v30, v28, v26
	v_cmp_u_f32_e32 vcc, v29, v29
	v_max_f32_e32 v28, v28, v26
	v_cndmask_b32_e32 v30, v30, v29, vcc
	v_cmp_u_f32_e64 s[64:65], v24, v24
	v_cndmask_b32_e32 v28, v28, v29, vcc
	v_cndmask_b32_e64 v30, v30, v24, s[64:65]
	v_cndmask_b32_e64 v28, v28, v24, s[64:65]
	v_cmp_neq_f32_e32 vcc, v30, v28
	v_cmp_class_f32_e64 s[2:3], v30, s6
	s_or_b64 s[8:9], vcc, s[2:3]
	s_and_saveexec_b64 s[2:3], s[8:9]
	s_cbranch_execz .LBB459_64
; %bb.63:
	v_sub_f32_e32 v29, v30, v28
	s_mov_b32 s6, 0x3fb8aa3b
	v_mul_f32_e32 v30, 0x3fb8aa3b, v29
	v_fma_f32 v31, v29, s6, -v30
	v_rndne_f32_e32 v32, v30
	v_fmac_f32_e32 v31, 0x32a5705f, v29
	v_sub_f32_e32 v30, v30, v32
	v_add_f32_e32 v30, v30, v31
	v_exp_f32_e32 v30, v30
	v_cvt_i32_f32_e32 v31, v32
	s_mov_b32 s6, 0xc2ce8ed0
	v_cmp_ngt_f32_e32 vcc, s6, v29
	s_mov_b32 s6, 0x42b17218
	v_ldexp_f32 v30, v30, v31
	v_cndmask_b32_e32 v30, 0, v30, vcc
	v_mov_b32_e32 v31, 0x7f800000
	v_cmp_nlt_f32_e32 vcc, s6, v29
	v_cndmask_b32_e32 v32, v31, v30, vcc
	v_add_f32_e32 v33, 1.0, v32
	v_cvt_f64_f32_e32 v[29:30], v33
	v_add_f32_e32 v34, -1.0, v33
	v_sub_f32_e32 v35, v34, v33
	v_sub_f32_e32 v34, v32, v34
	v_frexp_exp_i32_f64_e32 v29, v[29:30]
	v_add_f32_e32 v30, 1.0, v35
	v_add_f32_e32 v30, v34, v30
	v_frexp_mant_f32_e32 v34, v33
	s_mov_b32 s8, 0x3f2aaaab
	v_cmp_gt_f32_e32 vcc, s8, v34
	s_mov_b32 s8, 0x3f317218
	s_mov_b32 s6, 0x7f800000
	v_subbrev_co_u32_e32 v29, vcc, 0, v29, vcc
	v_sub_u32_e32 v34, 0, v29
	v_ldexp_f32 v33, v33, v34
	v_ldexp_f32 v30, v30, v34
	v_add_f32_e32 v34, -1.0, v33
	v_add_f32_e32 v37, 1.0, v33
	v_add_f32_e32 v35, 1.0, v34
	v_add_f32_e32 v38, -1.0, v37
	v_sub_f32_e32 v35, v33, v35
	v_sub_f32_e32 v33, v33, v38
	v_add_f32_e32 v35, v30, v35
	v_add_f32_e32 v30, v30, v33
	v_add_f32_e32 v33, v37, v30
	v_rcp_f32_e32 v38, v33
	v_add_f32_e32 v36, v34, v35
	v_sub_f32_e32 v34, v34, v36
	v_add_f32_e32 v34, v35, v34
	v_sub_f32_e32 v35, v37, v33
	v_add_f32_e32 v30, v30, v35
	v_mul_f32_e32 v35, v36, v38
	v_mul_f32_e32 v37, v33, v35
	v_fma_f32 v39, v35, v33, -v37
	v_fmac_f32_e32 v39, v35, v30
	v_add_f32_e32 v40, v37, v39
	v_sub_f32_e32 v41, v36, v40
	v_sub_f32_e32 v36, v36, v41
	;; [unrolled: 1-line block ×4, first 2 shown]
	v_add_f32_e32 v34, v34, v36
	v_sub_f32_e32 v36, v37, v39
	v_add_f32_e32 v34, v36, v34
	v_add_f32_e32 v36, v41, v34
	v_mul_f32_e32 v37, v38, v36
	v_mul_f32_e32 v39, v33, v37
	v_fma_f32 v33, v37, v33, -v39
	v_fmac_f32_e32 v33, v37, v30
	v_sub_f32_e32 v30, v41, v36
	v_add_f32_e32 v30, v34, v30
	v_add_f32_e32 v34, v39, v33
	v_sub_f32_e32 v40, v36, v34
	v_sub_f32_e32 v36, v36, v40
	;; [unrolled: 1-line block ×4, first 2 shown]
	v_add_f32_e32 v30, v30, v34
	v_sub_f32_e32 v33, v39, v33
	v_add_f32_e32 v30, v33, v30
	v_add_f32_e32 v33, v35, v37
	;; [unrolled: 1-line block ×3, first 2 shown]
	v_sub_f32_e32 v34, v33, v35
	v_mul_f32_e32 v30, v38, v30
	v_sub_f32_e32 v34, v37, v34
	v_add_f32_e32 v30, v34, v30
	v_cvt_f32_i32_e32 v29, v29
	v_add_f32_e32 v34, v33, v30
	v_mul_f32_e32 v35, v34, v34
	v_mov_b32_e32 v36, 0x3ecc95a3
	v_fmac_f32_e32 v36, 0x3e9b6dac, v35
	v_mov_b32_e32 v37, 0x3f2aaada
	v_fmac_f32_e32 v37, v35, v36
	v_mul_f32_e32 v36, 0x3f317218, v29
	v_fma_f32 v38, v29, s8, -v36
	v_fmac_f32_e32 v38, 0xb102e308, v29
	v_sub_f32_e32 v29, v34, v33
	v_sub_f32_e32 v29, v30, v29
	v_add_f32_e32 v30, v36, v38
	v_sub_f32_e32 v33, v30, v36
	v_ldexp_f32 v36, v34, 1
	v_mul_f32_e32 v34, v34, v35
	v_mul_f32_e32 v34, v34, v37
	v_add_f32_e32 v35, v36, v34
	v_sub_f32_e32 v36, v35, v36
	v_ldexp_f32 v29, v29, 1
	v_sub_f32_e32 v34, v34, v36
	v_add_f32_e32 v29, v29, v34
	v_add_f32_e32 v34, v35, v29
	v_sub_f32_e32 v35, v34, v35
	v_sub_f32_e32 v29, v29, v35
	v_add_f32_e32 v35, v30, v34
	v_sub_f32_e32 v36, v35, v30
	v_sub_f32_e32 v37, v35, v36
	;; [unrolled: 1-line block ×5, first 2 shown]
	v_add_f32_e32 v30, v34, v30
	v_add_f32_e32 v34, v33, v29
	v_sub_f32_e32 v36, v34, v33
	v_sub_f32_e32 v37, v34, v36
	;; [unrolled: 1-line block ×4, first 2 shown]
	v_add_f32_e32 v30, v34, v30
	v_add_f32_e32 v29, v29, v33
	;; [unrolled: 1-line block ×3, first 2 shown]
	v_sub_f32_e32 v34, v33, v35
	v_sub_f32_e32 v30, v30, v34
	v_add_f32_e32 v29, v29, v30
	v_add_f32_e32 v29, v33, v29
	v_cmp_neq_f32_e32 vcc, s6, v32
	s_mov_b32 s6, 0x33800000
	v_cndmask_b32_e32 v29, v31, v29, vcc
	v_cmp_lt_f32_e64 vcc, |v32|, s6
	v_cndmask_b32_e32 v29, v29, v32, vcc
	v_add_f32_e32 v29, v28, v29
.LBB459_64:
	s_or_b64 exec, exec, s[2:3]
	v_bfe_u32 v28, v29, 16, 1
	v_add3_u32 v28, v29, v28, s7
	v_and_b32_e32 v28, 0xffff0000, v28
	v_cmp_o_f32_e32 vcc, v29, v29
	v_cndmask_b32_e32 v29, v27, v28, vcc
	v_and_b32_e32 v9, 0xffff0000, v9
	v_max_f32_e32 v27, v29, v29
	v_max_f32_e32 v28, v9, v9
	v_min_f32_e32 v30, v27, v28
	v_cmp_u_f32_e32 vcc, v29, v29
	v_max_f32_e32 v27, v27, v28
	v_cndmask_b32_e32 v30, v30, v29, vcc
	v_cmp_u_f32_e64 s[66:67], v9, v9
	v_cndmask_b32_e32 v27, v27, v29, vcc
	v_cndmask_b32_e64 v30, v30, v9, s[66:67]
	v_cndmask_b32_e64 v27, v27, v9, s[66:67]
	s_movk_i32 s6, 0x1f8
	v_cmp_neq_f32_e32 vcc, v30, v27
	v_cmp_class_f32_e64 s[2:3], v30, s6
	s_or_b64 s[8:9], vcc, s[2:3]
	s_and_saveexec_b64 s[2:3], s[8:9]
	s_cbranch_execz .LBB459_66
; %bb.65:
	v_sub_f32_e32 v29, v30, v27
	s_mov_b32 s7, 0x3fb8aa3b
	v_mul_f32_e32 v30, 0x3fb8aa3b, v29
	v_fma_f32 v31, v29, s7, -v30
	v_rndne_f32_e32 v32, v30
	v_fmac_f32_e32 v31, 0x32a5705f, v29
	v_sub_f32_e32 v30, v30, v32
	v_add_f32_e32 v30, v30, v31
	v_exp_f32_e32 v30, v30
	v_cvt_i32_f32_e32 v31, v32
	s_mov_b32 s7, 0xc2ce8ed0
	v_cmp_ngt_f32_e32 vcc, s7, v29
	s_mov_b32 s7, 0x42b17218
	v_ldexp_f32 v30, v30, v31
	v_cndmask_b32_e32 v30, 0, v30, vcc
	v_mov_b32_e32 v31, 0x7f800000
	v_cmp_nlt_f32_e32 vcc, s7, v29
	v_cndmask_b32_e32 v32, v31, v30, vcc
	v_add_f32_e32 v33, 1.0, v32
	v_cvt_f64_f32_e32 v[29:30], v33
	v_add_f32_e32 v34, -1.0, v33
	v_sub_f32_e32 v35, v34, v33
	v_sub_f32_e32 v34, v32, v34
	v_frexp_exp_i32_f64_e32 v29, v[29:30]
	v_add_f32_e32 v30, 1.0, v35
	v_add_f32_e32 v30, v34, v30
	v_frexp_mant_f32_e32 v34, v33
	s_mov_b32 s8, 0x3f2aaaab
	v_cmp_gt_f32_e32 vcc, s8, v34
	s_mov_b32 s8, 0x3f317218
	s_mov_b32 s7, 0x7f800000
	v_subbrev_co_u32_e32 v29, vcc, 0, v29, vcc
	v_sub_u32_e32 v34, 0, v29
	v_ldexp_f32 v33, v33, v34
	v_ldexp_f32 v30, v30, v34
	v_add_f32_e32 v34, -1.0, v33
	v_add_f32_e32 v37, 1.0, v33
	v_add_f32_e32 v35, 1.0, v34
	v_add_f32_e32 v38, -1.0, v37
	v_sub_f32_e32 v35, v33, v35
	v_sub_f32_e32 v33, v33, v38
	v_add_f32_e32 v35, v30, v35
	v_add_f32_e32 v30, v30, v33
	;; [unrolled: 1-line block ×3, first 2 shown]
	v_rcp_f32_e32 v38, v33
	v_add_f32_e32 v36, v34, v35
	v_sub_f32_e32 v34, v34, v36
	v_add_f32_e32 v34, v35, v34
	v_sub_f32_e32 v35, v37, v33
	v_add_f32_e32 v30, v30, v35
	v_mul_f32_e32 v35, v36, v38
	v_mul_f32_e32 v37, v33, v35
	v_fma_f32 v39, v35, v33, -v37
	v_fmac_f32_e32 v39, v35, v30
	v_add_f32_e32 v40, v37, v39
	v_sub_f32_e32 v41, v36, v40
	v_sub_f32_e32 v36, v36, v41
	;; [unrolled: 1-line block ×4, first 2 shown]
	v_add_f32_e32 v34, v34, v36
	v_sub_f32_e32 v36, v37, v39
	v_add_f32_e32 v34, v36, v34
	v_add_f32_e32 v36, v41, v34
	v_mul_f32_e32 v37, v38, v36
	v_mul_f32_e32 v39, v33, v37
	v_fma_f32 v33, v37, v33, -v39
	v_fmac_f32_e32 v33, v37, v30
	v_sub_f32_e32 v30, v41, v36
	v_add_f32_e32 v30, v34, v30
	v_add_f32_e32 v34, v39, v33
	v_sub_f32_e32 v40, v36, v34
	v_sub_f32_e32 v36, v36, v40
	;; [unrolled: 1-line block ×4, first 2 shown]
	v_add_f32_e32 v30, v30, v34
	v_sub_f32_e32 v33, v39, v33
	v_add_f32_e32 v30, v33, v30
	v_add_f32_e32 v33, v35, v37
	;; [unrolled: 1-line block ×3, first 2 shown]
	v_sub_f32_e32 v34, v33, v35
	v_mul_f32_e32 v30, v38, v30
	v_sub_f32_e32 v34, v37, v34
	v_add_f32_e32 v30, v34, v30
	v_cvt_f32_i32_e32 v29, v29
	v_add_f32_e32 v34, v33, v30
	v_mul_f32_e32 v35, v34, v34
	v_mov_b32_e32 v36, 0x3ecc95a3
	v_fmac_f32_e32 v36, 0x3e9b6dac, v35
	v_mov_b32_e32 v37, 0x3f2aaada
	v_fmac_f32_e32 v37, v35, v36
	v_mul_f32_e32 v36, 0x3f317218, v29
	v_fma_f32 v38, v29, s8, -v36
	v_fmac_f32_e32 v38, 0xb102e308, v29
	v_sub_f32_e32 v29, v34, v33
	v_sub_f32_e32 v29, v30, v29
	v_add_f32_e32 v30, v36, v38
	v_sub_f32_e32 v33, v30, v36
	v_ldexp_f32 v36, v34, 1
	v_mul_f32_e32 v34, v34, v35
	v_mul_f32_e32 v34, v34, v37
	v_add_f32_e32 v35, v36, v34
	v_sub_f32_e32 v36, v35, v36
	v_ldexp_f32 v29, v29, 1
	v_sub_f32_e32 v34, v34, v36
	v_add_f32_e32 v29, v29, v34
	v_add_f32_e32 v34, v35, v29
	v_sub_f32_e32 v35, v34, v35
	v_sub_f32_e32 v29, v29, v35
	v_add_f32_e32 v35, v30, v34
	v_sub_f32_e32 v36, v35, v30
	v_sub_f32_e32 v37, v35, v36
	;; [unrolled: 1-line block ×5, first 2 shown]
	v_add_f32_e32 v30, v34, v30
	v_add_f32_e32 v34, v33, v29
	v_sub_f32_e32 v36, v34, v33
	v_sub_f32_e32 v37, v34, v36
	;; [unrolled: 1-line block ×4, first 2 shown]
	v_add_f32_e32 v30, v34, v30
	v_add_f32_e32 v29, v29, v33
	;; [unrolled: 1-line block ×3, first 2 shown]
	v_sub_f32_e32 v34, v33, v35
	v_sub_f32_e32 v30, v30, v34
	v_add_f32_e32 v29, v29, v30
	v_add_f32_e32 v29, v33, v29
	v_cmp_neq_f32_e32 vcc, s7, v32
	s_mov_b32 s7, 0x33800000
	v_cndmask_b32_e32 v29, v31, v29, vcc
	v_cmp_lt_f32_e64 vcc, |v32|, s7
	v_cndmask_b32_e32 v29, v29, v32, vcc
	v_add_f32_e32 v29, v27, v29
.LBB459_66:
	s_or_b64 exec, exec, s[2:3]
	v_bfe_u32 v27, v29, 16, 1
	s_movk_i32 s7, 0x7fff
	v_add3_u32 v27, v29, v27, s7
	v_and_b32_e32 v27, 0xffff0000, v27
	v_mov_b32_e32 v30, 0x7fc00000
	v_cmp_o_f32_e32 vcc, v29, v29
	v_cndmask_b32_e32 v32, v30, v27, vcc
	v_lshlrev_b32_e32 v27, 16, v10
	v_max_f32_e32 v31, v32, v32
	v_max_f32_e32 v29, v27, v27
	v_min_f32_e32 v33, v31, v29
	v_cmp_u_f32_e32 vcc, v32, v32
	v_max_f32_e32 v31, v31, v29
	v_cndmask_b32_e32 v33, v33, v32, vcc
	v_cmp_u_f32_e64 s[68:69], v27, v27
	v_cndmask_b32_e32 v31, v31, v32, vcc
	v_cndmask_b32_e64 v33, v33, v27, s[68:69]
	v_cndmask_b32_e64 v31, v31, v27, s[68:69]
	v_cmp_neq_f32_e32 vcc, v33, v31
	v_cmp_class_f32_e64 s[2:3], v33, s6
	s_or_b64 s[8:9], vcc, s[2:3]
	s_and_saveexec_b64 s[2:3], s[8:9]
	s_cbranch_execz .LBB459_68
; %bb.67:
	v_sub_f32_e32 v32, v33, v31
	s_mov_b32 s6, 0x3fb8aa3b
	v_mul_f32_e32 v33, 0x3fb8aa3b, v32
	v_fma_f32 v34, v32, s6, -v33
	v_rndne_f32_e32 v35, v33
	v_fmac_f32_e32 v34, 0x32a5705f, v32
	v_sub_f32_e32 v33, v33, v35
	v_add_f32_e32 v33, v33, v34
	v_exp_f32_e32 v33, v33
	v_cvt_i32_f32_e32 v34, v35
	s_mov_b32 s6, 0xc2ce8ed0
	v_cmp_ngt_f32_e32 vcc, s6, v32
	s_mov_b32 s6, 0x42b17218
	v_ldexp_f32 v33, v33, v34
	v_cndmask_b32_e32 v33, 0, v33, vcc
	v_mov_b32_e32 v34, 0x7f800000
	v_cmp_nlt_f32_e32 vcc, s6, v32
	v_cndmask_b32_e32 v35, v34, v33, vcc
	v_add_f32_e32 v36, 1.0, v35
	v_cvt_f64_f32_e32 v[32:33], v36
	v_add_f32_e32 v37, -1.0, v36
	v_sub_f32_e32 v38, v37, v36
	v_sub_f32_e32 v37, v35, v37
	v_frexp_exp_i32_f64_e32 v32, v[32:33]
	v_add_f32_e32 v33, 1.0, v38
	v_add_f32_e32 v33, v37, v33
	v_frexp_mant_f32_e32 v37, v36
	s_mov_b32 s8, 0x3f2aaaab
	v_cmp_gt_f32_e32 vcc, s8, v37
	s_mov_b32 s8, 0x3f317218
	s_mov_b32 s6, 0x7f800000
	v_subbrev_co_u32_e32 v32, vcc, 0, v32, vcc
	v_sub_u32_e32 v37, 0, v32
	v_ldexp_f32 v36, v36, v37
	v_ldexp_f32 v33, v33, v37
	v_add_f32_e32 v37, -1.0, v36
	v_add_f32_e32 v40, 1.0, v36
	v_add_f32_e32 v38, 1.0, v37
	v_add_f32_e32 v41, -1.0, v40
	v_sub_f32_e32 v38, v36, v38
	v_sub_f32_e32 v36, v36, v41
	v_add_f32_e32 v38, v33, v38
	v_add_f32_e32 v33, v33, v36
	v_add_f32_e32 v36, v40, v33
	v_rcp_f32_e32 v41, v36
	v_add_f32_e32 v39, v37, v38
	v_sub_f32_e32 v37, v37, v39
	v_add_f32_e32 v37, v38, v37
	v_sub_f32_e32 v38, v40, v36
	v_add_f32_e32 v33, v33, v38
	v_mul_f32_e32 v38, v39, v41
	v_mul_f32_e32 v40, v36, v38
	v_fma_f32 v42, v38, v36, -v40
	v_fmac_f32_e32 v42, v38, v33
	v_add_f32_e32 v43, v40, v42
	v_sub_f32_e32 v44, v39, v43
	v_sub_f32_e32 v39, v39, v44
	v_sub_f32_e32 v40, v43, v40
	v_sub_f32_e32 v39, v39, v43
	v_add_f32_e32 v37, v37, v39
	v_sub_f32_e32 v39, v40, v42
	v_add_f32_e32 v37, v39, v37
	v_add_f32_e32 v39, v44, v37
	v_mul_f32_e32 v40, v41, v39
	v_mul_f32_e32 v42, v36, v40
	v_fma_f32 v36, v40, v36, -v42
	v_fmac_f32_e32 v36, v40, v33
	v_sub_f32_e32 v33, v44, v39
	v_add_f32_e32 v33, v37, v33
	v_add_f32_e32 v37, v42, v36
	v_sub_f32_e32 v43, v39, v37
	v_sub_f32_e32 v39, v39, v43
	;; [unrolled: 1-line block ×4, first 2 shown]
	v_add_f32_e32 v33, v33, v37
	v_sub_f32_e32 v36, v42, v36
	v_add_f32_e32 v33, v36, v33
	v_add_f32_e32 v36, v38, v40
	;; [unrolled: 1-line block ×3, first 2 shown]
	v_sub_f32_e32 v37, v36, v38
	v_mul_f32_e32 v33, v41, v33
	v_sub_f32_e32 v37, v40, v37
	v_add_f32_e32 v33, v37, v33
	v_cvt_f32_i32_e32 v32, v32
	v_add_f32_e32 v37, v36, v33
	v_mul_f32_e32 v38, v37, v37
	v_mov_b32_e32 v39, 0x3ecc95a3
	v_fmac_f32_e32 v39, 0x3e9b6dac, v38
	v_mov_b32_e32 v40, 0x3f2aaada
	v_fmac_f32_e32 v40, v38, v39
	v_mul_f32_e32 v39, 0x3f317218, v32
	v_fma_f32 v41, v32, s8, -v39
	v_fmac_f32_e32 v41, 0xb102e308, v32
	v_sub_f32_e32 v32, v37, v36
	v_sub_f32_e32 v32, v33, v32
	v_add_f32_e32 v33, v39, v41
	v_sub_f32_e32 v36, v33, v39
	v_ldexp_f32 v39, v37, 1
	v_mul_f32_e32 v37, v37, v38
	v_mul_f32_e32 v37, v37, v40
	v_add_f32_e32 v38, v39, v37
	v_sub_f32_e32 v39, v38, v39
	v_ldexp_f32 v32, v32, 1
	v_sub_f32_e32 v37, v37, v39
	v_add_f32_e32 v32, v32, v37
	v_add_f32_e32 v37, v38, v32
	v_sub_f32_e32 v38, v37, v38
	v_sub_f32_e32 v32, v32, v38
	v_add_f32_e32 v38, v33, v37
	v_sub_f32_e32 v39, v38, v33
	v_sub_f32_e32 v40, v38, v39
	;; [unrolled: 1-line block ×5, first 2 shown]
	v_add_f32_e32 v33, v37, v33
	v_add_f32_e32 v37, v36, v32
	v_sub_f32_e32 v39, v37, v36
	v_sub_f32_e32 v40, v37, v39
	;; [unrolled: 1-line block ×4, first 2 shown]
	v_add_f32_e32 v33, v37, v33
	v_add_f32_e32 v32, v32, v36
	;; [unrolled: 1-line block ×3, first 2 shown]
	v_sub_f32_e32 v37, v36, v38
	v_sub_f32_e32 v33, v33, v37
	v_add_f32_e32 v32, v32, v33
	v_add_f32_e32 v32, v36, v32
	v_cmp_neq_f32_e32 vcc, s6, v35
	s_mov_b32 s6, 0x33800000
	v_cndmask_b32_e32 v32, v34, v32, vcc
	v_cmp_lt_f32_e64 vcc, |v35|, s6
	v_cndmask_b32_e32 v32, v32, v35, vcc
	v_add_f32_e32 v32, v31, v32
.LBB459_68:
	s_or_b64 exec, exec, s[2:3]
	v_bfe_u32 v31, v32, 16, 1
	v_add3_u32 v31, v32, v31, s7
	v_and_b32_e32 v31, 0xffff0000, v31
	v_cmp_o_f32_e32 vcc, v32, v32
	v_cndmask_b32_e32 v32, v30, v31, vcc
	v_and_b32_e32 v10, 0xffff0000, v10
	v_max_f32_e32 v30, v32, v32
	v_max_f32_e32 v31, v10, v10
	v_min_f32_e32 v33, v30, v31
	v_cmp_u_f32_e32 vcc, v32, v32
	v_max_f32_e32 v30, v30, v31
	v_cndmask_b32_e32 v33, v33, v32, vcc
	v_cmp_u_f32_e64 s[70:71], v10, v10
	v_cndmask_b32_e32 v30, v30, v32, vcc
	v_cndmask_b32_e64 v33, v33, v10, s[70:71]
	v_cndmask_b32_e64 v30, v30, v10, s[70:71]
	s_movk_i32 s6, 0x1f8
	v_cmp_neq_f32_e32 vcc, v33, v30
	v_cmp_class_f32_e64 s[2:3], v33, s6
	s_or_b64 s[8:9], vcc, s[2:3]
	s_and_saveexec_b64 s[2:3], s[8:9]
	s_cbranch_execz .LBB459_70
; %bb.69:
	v_sub_f32_e32 v32, v33, v30
	s_mov_b32 s7, 0x3fb8aa3b
	v_mul_f32_e32 v33, 0x3fb8aa3b, v32
	v_fma_f32 v34, v32, s7, -v33
	v_rndne_f32_e32 v35, v33
	v_fmac_f32_e32 v34, 0x32a5705f, v32
	v_sub_f32_e32 v33, v33, v35
	v_add_f32_e32 v33, v33, v34
	v_exp_f32_e32 v33, v33
	v_cvt_i32_f32_e32 v34, v35
	s_mov_b32 s7, 0xc2ce8ed0
	v_cmp_ngt_f32_e32 vcc, s7, v32
	s_mov_b32 s7, 0x42b17218
	v_ldexp_f32 v33, v33, v34
	v_cndmask_b32_e32 v33, 0, v33, vcc
	v_mov_b32_e32 v34, 0x7f800000
	v_cmp_nlt_f32_e32 vcc, s7, v32
	v_cndmask_b32_e32 v35, v34, v33, vcc
	v_add_f32_e32 v36, 1.0, v35
	v_cvt_f64_f32_e32 v[32:33], v36
	v_add_f32_e32 v37, -1.0, v36
	v_sub_f32_e32 v38, v37, v36
	v_sub_f32_e32 v37, v35, v37
	v_frexp_exp_i32_f64_e32 v32, v[32:33]
	v_add_f32_e32 v33, 1.0, v38
	v_add_f32_e32 v33, v37, v33
	v_frexp_mant_f32_e32 v37, v36
	s_mov_b32 s8, 0x3f2aaaab
	v_cmp_gt_f32_e32 vcc, s8, v37
	s_mov_b32 s8, 0x3f317218
	s_mov_b32 s7, 0x7f800000
	v_subbrev_co_u32_e32 v32, vcc, 0, v32, vcc
	v_sub_u32_e32 v37, 0, v32
	v_ldexp_f32 v36, v36, v37
	v_ldexp_f32 v33, v33, v37
	v_add_f32_e32 v37, -1.0, v36
	v_add_f32_e32 v40, 1.0, v36
	v_add_f32_e32 v38, 1.0, v37
	v_add_f32_e32 v41, -1.0, v40
	v_sub_f32_e32 v38, v36, v38
	v_sub_f32_e32 v36, v36, v41
	v_add_f32_e32 v38, v33, v38
	v_add_f32_e32 v33, v33, v36
	;; [unrolled: 1-line block ×3, first 2 shown]
	v_rcp_f32_e32 v41, v36
	v_add_f32_e32 v39, v37, v38
	v_sub_f32_e32 v37, v37, v39
	v_add_f32_e32 v37, v38, v37
	v_sub_f32_e32 v38, v40, v36
	v_add_f32_e32 v33, v33, v38
	v_mul_f32_e32 v38, v39, v41
	v_mul_f32_e32 v40, v36, v38
	v_fma_f32 v42, v38, v36, -v40
	v_fmac_f32_e32 v42, v38, v33
	v_add_f32_e32 v43, v40, v42
	v_sub_f32_e32 v44, v39, v43
	v_sub_f32_e32 v39, v39, v44
	;; [unrolled: 1-line block ×4, first 2 shown]
	v_add_f32_e32 v37, v37, v39
	v_sub_f32_e32 v39, v40, v42
	v_add_f32_e32 v37, v39, v37
	v_add_f32_e32 v39, v44, v37
	v_mul_f32_e32 v40, v41, v39
	v_mul_f32_e32 v42, v36, v40
	v_fma_f32 v36, v40, v36, -v42
	v_fmac_f32_e32 v36, v40, v33
	v_sub_f32_e32 v33, v44, v39
	v_add_f32_e32 v33, v37, v33
	v_add_f32_e32 v37, v42, v36
	v_sub_f32_e32 v43, v39, v37
	v_sub_f32_e32 v39, v39, v43
	;; [unrolled: 1-line block ×4, first 2 shown]
	v_add_f32_e32 v33, v33, v37
	v_sub_f32_e32 v36, v42, v36
	v_add_f32_e32 v33, v36, v33
	v_add_f32_e32 v36, v38, v40
	;; [unrolled: 1-line block ×3, first 2 shown]
	v_sub_f32_e32 v37, v36, v38
	v_mul_f32_e32 v33, v41, v33
	v_sub_f32_e32 v37, v40, v37
	v_add_f32_e32 v33, v37, v33
	v_cvt_f32_i32_e32 v32, v32
	v_add_f32_e32 v37, v36, v33
	v_mul_f32_e32 v38, v37, v37
	v_mov_b32_e32 v39, 0x3ecc95a3
	v_fmac_f32_e32 v39, 0x3e9b6dac, v38
	v_mov_b32_e32 v40, 0x3f2aaada
	v_fmac_f32_e32 v40, v38, v39
	v_mul_f32_e32 v39, 0x3f317218, v32
	v_fma_f32 v41, v32, s8, -v39
	v_fmac_f32_e32 v41, 0xb102e308, v32
	v_sub_f32_e32 v32, v37, v36
	v_sub_f32_e32 v32, v33, v32
	v_add_f32_e32 v33, v39, v41
	v_sub_f32_e32 v36, v33, v39
	v_ldexp_f32 v39, v37, 1
	v_mul_f32_e32 v37, v37, v38
	v_mul_f32_e32 v37, v37, v40
	v_add_f32_e32 v38, v39, v37
	v_sub_f32_e32 v39, v38, v39
	v_ldexp_f32 v32, v32, 1
	v_sub_f32_e32 v37, v37, v39
	v_add_f32_e32 v32, v32, v37
	v_add_f32_e32 v37, v38, v32
	v_sub_f32_e32 v38, v37, v38
	v_sub_f32_e32 v32, v32, v38
	v_add_f32_e32 v38, v33, v37
	v_sub_f32_e32 v39, v38, v33
	v_sub_f32_e32 v40, v38, v39
	;; [unrolled: 1-line block ×5, first 2 shown]
	v_add_f32_e32 v33, v37, v33
	v_add_f32_e32 v37, v36, v32
	v_sub_f32_e32 v39, v37, v36
	v_sub_f32_e32 v40, v37, v39
	v_sub_f32_e32 v36, v36, v40
	v_sub_f32_e32 v32, v32, v39
	v_add_f32_e32 v33, v37, v33
	v_add_f32_e32 v32, v32, v36
	;; [unrolled: 1-line block ×3, first 2 shown]
	v_sub_f32_e32 v37, v36, v38
	v_sub_f32_e32 v33, v33, v37
	v_add_f32_e32 v32, v32, v33
	v_add_f32_e32 v32, v36, v32
	v_cmp_neq_f32_e32 vcc, s7, v35
	s_mov_b32 s7, 0x33800000
	v_cndmask_b32_e32 v32, v34, v32, vcc
	v_cmp_lt_f32_e64 vcc, |v35|, s7
	v_cndmask_b32_e32 v32, v32, v35, vcc
	v_add_f32_e32 v32, v30, v32
.LBB459_70:
	s_or_b64 exec, exec, s[2:3]
	v_bfe_u32 v30, v32, 16, 1
	s_movk_i32 s7, 0x7fff
	v_add3_u32 v30, v32, v30, s7
	v_and_b32_e32 v30, 0xffff0000, v30
	v_mov_b32_e32 v33, 0x7fc00000
	v_cmp_o_f32_e32 vcc, v32, v32
	v_cndmask_b32_e32 v35, v33, v30, vcc
	v_lshlrev_b32_e32 v30, 16, v11
	v_max_f32_e32 v34, v35, v35
	v_max_f32_e32 v32, v30, v30
	v_min_f32_e32 v36, v34, v32
	v_cmp_u_f32_e32 vcc, v35, v35
	v_max_f32_e32 v34, v34, v32
	v_cndmask_b32_e32 v36, v36, v35, vcc
	v_cmp_u_f32_e64 s[72:73], v30, v30
	v_cndmask_b32_e32 v34, v34, v35, vcc
	v_cndmask_b32_e64 v36, v36, v30, s[72:73]
	v_cndmask_b32_e64 v34, v34, v30, s[72:73]
	v_cmp_neq_f32_e32 vcc, v36, v34
	v_cmp_class_f32_e64 s[2:3], v36, s6
	s_or_b64 s[8:9], vcc, s[2:3]
	s_and_saveexec_b64 s[2:3], s[8:9]
	s_cbranch_execz .LBB459_72
; %bb.71:
	v_sub_f32_e32 v35, v36, v34
	s_mov_b32 s6, 0x3fb8aa3b
	v_mul_f32_e32 v36, 0x3fb8aa3b, v35
	v_fma_f32 v37, v35, s6, -v36
	v_rndne_f32_e32 v38, v36
	v_fmac_f32_e32 v37, 0x32a5705f, v35
	v_sub_f32_e32 v36, v36, v38
	v_add_f32_e32 v36, v36, v37
	v_exp_f32_e32 v36, v36
	v_cvt_i32_f32_e32 v37, v38
	s_mov_b32 s6, 0xc2ce8ed0
	v_cmp_ngt_f32_e32 vcc, s6, v35
	s_mov_b32 s6, 0x42b17218
	v_ldexp_f32 v36, v36, v37
	v_cndmask_b32_e32 v36, 0, v36, vcc
	v_mov_b32_e32 v37, 0x7f800000
	v_cmp_nlt_f32_e32 vcc, s6, v35
	v_cndmask_b32_e32 v38, v37, v36, vcc
	v_add_f32_e32 v39, 1.0, v38
	v_cvt_f64_f32_e32 v[35:36], v39
	v_add_f32_e32 v40, -1.0, v39
	v_sub_f32_e32 v41, v40, v39
	v_sub_f32_e32 v40, v38, v40
	v_frexp_exp_i32_f64_e32 v35, v[35:36]
	v_add_f32_e32 v36, 1.0, v41
	v_add_f32_e32 v36, v40, v36
	v_frexp_mant_f32_e32 v40, v39
	s_mov_b32 s8, 0x3f2aaaab
	v_cmp_gt_f32_e32 vcc, s8, v40
	s_mov_b32 s8, 0x3f317218
	s_mov_b32 s6, 0x7f800000
	v_subbrev_co_u32_e32 v35, vcc, 0, v35, vcc
	v_sub_u32_e32 v40, 0, v35
	v_ldexp_f32 v39, v39, v40
	v_ldexp_f32 v36, v36, v40
	v_add_f32_e32 v40, -1.0, v39
	v_add_f32_e32 v43, 1.0, v39
	v_add_f32_e32 v41, 1.0, v40
	v_add_f32_e32 v44, -1.0, v43
	v_sub_f32_e32 v41, v39, v41
	v_sub_f32_e32 v39, v39, v44
	v_add_f32_e32 v41, v36, v41
	v_add_f32_e32 v36, v36, v39
	;; [unrolled: 1-line block ×3, first 2 shown]
	v_rcp_f32_e32 v44, v39
	v_add_f32_e32 v42, v40, v41
	v_sub_f32_e32 v40, v40, v42
	v_add_f32_e32 v40, v41, v40
	v_sub_f32_e32 v41, v43, v39
	v_add_f32_e32 v36, v36, v41
	v_mul_f32_e32 v41, v42, v44
	v_mul_f32_e32 v43, v39, v41
	v_fma_f32 v45, v41, v39, -v43
	v_fmac_f32_e32 v45, v41, v36
	v_add_f32_e32 v46, v43, v45
	v_sub_f32_e32 v47, v42, v46
	v_sub_f32_e32 v42, v42, v47
	;; [unrolled: 1-line block ×4, first 2 shown]
	v_add_f32_e32 v40, v40, v42
	v_sub_f32_e32 v42, v43, v45
	v_add_f32_e32 v40, v42, v40
	v_add_f32_e32 v42, v47, v40
	v_mul_f32_e32 v43, v44, v42
	v_mul_f32_e32 v45, v39, v43
	v_fma_f32 v39, v43, v39, -v45
	v_fmac_f32_e32 v39, v43, v36
	v_sub_f32_e32 v36, v47, v42
	v_add_f32_e32 v36, v40, v36
	v_add_f32_e32 v40, v45, v39
	v_sub_f32_e32 v46, v42, v40
	v_sub_f32_e32 v42, v42, v46
	;; [unrolled: 1-line block ×4, first 2 shown]
	v_add_f32_e32 v36, v36, v40
	v_sub_f32_e32 v39, v45, v39
	v_add_f32_e32 v36, v39, v36
	v_add_f32_e32 v39, v41, v43
	v_add_f32_e32 v36, v46, v36
	v_sub_f32_e32 v40, v39, v41
	v_mul_f32_e32 v36, v44, v36
	v_sub_f32_e32 v40, v43, v40
	v_add_f32_e32 v36, v40, v36
	v_cvt_f32_i32_e32 v35, v35
	v_add_f32_e32 v40, v39, v36
	v_mul_f32_e32 v41, v40, v40
	v_mov_b32_e32 v42, 0x3ecc95a3
	v_fmac_f32_e32 v42, 0x3e9b6dac, v41
	v_mov_b32_e32 v43, 0x3f2aaada
	v_fmac_f32_e32 v43, v41, v42
	v_mul_f32_e32 v42, 0x3f317218, v35
	v_fma_f32 v44, v35, s8, -v42
	v_fmac_f32_e32 v44, 0xb102e308, v35
	v_sub_f32_e32 v35, v40, v39
	v_sub_f32_e32 v35, v36, v35
	v_add_f32_e32 v36, v42, v44
	v_sub_f32_e32 v39, v36, v42
	v_ldexp_f32 v42, v40, 1
	v_mul_f32_e32 v40, v40, v41
	v_mul_f32_e32 v40, v40, v43
	v_add_f32_e32 v41, v42, v40
	v_sub_f32_e32 v42, v41, v42
	v_ldexp_f32 v35, v35, 1
	v_sub_f32_e32 v40, v40, v42
	v_add_f32_e32 v35, v35, v40
	v_add_f32_e32 v40, v41, v35
	v_sub_f32_e32 v41, v40, v41
	v_sub_f32_e32 v35, v35, v41
	v_add_f32_e32 v41, v36, v40
	v_sub_f32_e32 v42, v41, v36
	v_sub_f32_e32 v43, v41, v42
	;; [unrolled: 1-line block ×5, first 2 shown]
	v_add_f32_e32 v36, v40, v36
	v_add_f32_e32 v40, v39, v35
	v_sub_f32_e32 v42, v40, v39
	v_sub_f32_e32 v43, v40, v42
	;; [unrolled: 1-line block ×4, first 2 shown]
	v_add_f32_e32 v36, v40, v36
	v_add_f32_e32 v35, v35, v39
	;; [unrolled: 1-line block ×3, first 2 shown]
	v_sub_f32_e32 v40, v39, v41
	v_sub_f32_e32 v36, v36, v40
	v_add_f32_e32 v35, v35, v36
	v_add_f32_e32 v35, v39, v35
	v_cmp_neq_f32_e32 vcc, s6, v38
	s_mov_b32 s6, 0x33800000
	v_cndmask_b32_e32 v35, v37, v35, vcc
	v_cmp_lt_f32_e64 vcc, |v38|, s6
	v_cndmask_b32_e32 v35, v35, v38, vcc
	v_add_f32_e32 v35, v34, v35
.LBB459_72:
	s_or_b64 exec, exec, s[2:3]
	v_bfe_u32 v34, v35, 16, 1
	v_add3_u32 v34, v35, v34, s7
	v_and_b32_e32 v34, 0xffff0000, v34
	v_cmp_o_f32_e32 vcc, v35, v35
	v_cndmask_b32_e32 v35, v33, v34, vcc
	v_and_b32_e32 v11, 0xffff0000, v11
	v_max_f32_e32 v33, v35, v35
	v_max_f32_e32 v34, v11, v11
	v_min_f32_e32 v36, v33, v34
	v_cmp_u_f32_e32 vcc, v35, v35
	v_max_f32_e32 v33, v33, v34
	v_cndmask_b32_e32 v36, v36, v35, vcc
	v_cmp_u_f32_e64 s[74:75], v11, v11
	v_cndmask_b32_e32 v33, v33, v35, vcc
	v_cndmask_b32_e64 v36, v36, v11, s[74:75]
	v_cndmask_b32_e64 v33, v33, v11, s[74:75]
	s_movk_i32 s6, 0x1f8
	v_cmp_neq_f32_e32 vcc, v36, v33
	v_cmp_class_f32_e64 s[2:3], v36, s6
	s_or_b64 s[8:9], vcc, s[2:3]
	s_and_saveexec_b64 s[2:3], s[8:9]
	s_cbranch_execz .LBB459_74
; %bb.73:
	v_sub_f32_e32 v35, v36, v33
	s_mov_b32 s7, 0x3fb8aa3b
	v_mul_f32_e32 v36, 0x3fb8aa3b, v35
	v_fma_f32 v37, v35, s7, -v36
	v_rndne_f32_e32 v38, v36
	v_fmac_f32_e32 v37, 0x32a5705f, v35
	v_sub_f32_e32 v36, v36, v38
	v_add_f32_e32 v36, v36, v37
	v_exp_f32_e32 v36, v36
	v_cvt_i32_f32_e32 v37, v38
	s_mov_b32 s7, 0xc2ce8ed0
	v_cmp_ngt_f32_e32 vcc, s7, v35
	s_mov_b32 s7, 0x42b17218
	v_ldexp_f32 v36, v36, v37
	v_cndmask_b32_e32 v36, 0, v36, vcc
	v_mov_b32_e32 v37, 0x7f800000
	v_cmp_nlt_f32_e32 vcc, s7, v35
	v_cndmask_b32_e32 v38, v37, v36, vcc
	v_add_f32_e32 v39, 1.0, v38
	v_cvt_f64_f32_e32 v[35:36], v39
	v_add_f32_e32 v40, -1.0, v39
	v_sub_f32_e32 v41, v40, v39
	v_sub_f32_e32 v40, v38, v40
	v_frexp_exp_i32_f64_e32 v35, v[35:36]
	v_add_f32_e32 v36, 1.0, v41
	v_add_f32_e32 v36, v40, v36
	v_frexp_mant_f32_e32 v40, v39
	s_mov_b32 s8, 0x3f2aaaab
	v_cmp_gt_f32_e32 vcc, s8, v40
	s_mov_b32 s8, 0x3f317218
	s_mov_b32 s7, 0x7f800000
	v_subbrev_co_u32_e32 v35, vcc, 0, v35, vcc
	v_sub_u32_e32 v40, 0, v35
	v_ldexp_f32 v39, v39, v40
	v_ldexp_f32 v36, v36, v40
	v_add_f32_e32 v40, -1.0, v39
	v_add_f32_e32 v43, 1.0, v39
	v_add_f32_e32 v41, 1.0, v40
	v_add_f32_e32 v44, -1.0, v43
	v_sub_f32_e32 v41, v39, v41
	v_sub_f32_e32 v39, v39, v44
	v_add_f32_e32 v41, v36, v41
	v_add_f32_e32 v36, v36, v39
	;; [unrolled: 1-line block ×3, first 2 shown]
	v_rcp_f32_e32 v44, v39
	v_add_f32_e32 v42, v40, v41
	v_sub_f32_e32 v40, v40, v42
	v_add_f32_e32 v40, v41, v40
	v_sub_f32_e32 v41, v43, v39
	v_add_f32_e32 v36, v36, v41
	v_mul_f32_e32 v41, v42, v44
	v_mul_f32_e32 v43, v39, v41
	v_fma_f32 v45, v41, v39, -v43
	v_fmac_f32_e32 v45, v41, v36
	v_add_f32_e32 v46, v43, v45
	v_sub_f32_e32 v47, v42, v46
	v_sub_f32_e32 v42, v42, v47
	;; [unrolled: 1-line block ×4, first 2 shown]
	v_add_f32_e32 v40, v40, v42
	v_sub_f32_e32 v42, v43, v45
	v_add_f32_e32 v40, v42, v40
	v_add_f32_e32 v42, v47, v40
	v_mul_f32_e32 v43, v44, v42
	v_mul_f32_e32 v45, v39, v43
	v_fma_f32 v39, v43, v39, -v45
	v_fmac_f32_e32 v39, v43, v36
	v_sub_f32_e32 v36, v47, v42
	v_add_f32_e32 v36, v40, v36
	v_add_f32_e32 v40, v45, v39
	v_sub_f32_e32 v46, v42, v40
	v_sub_f32_e32 v42, v42, v46
	;; [unrolled: 1-line block ×4, first 2 shown]
	v_add_f32_e32 v36, v36, v40
	v_sub_f32_e32 v39, v45, v39
	v_add_f32_e32 v36, v39, v36
	v_add_f32_e32 v39, v41, v43
	;; [unrolled: 1-line block ×3, first 2 shown]
	v_sub_f32_e32 v40, v39, v41
	v_mul_f32_e32 v36, v44, v36
	v_sub_f32_e32 v40, v43, v40
	v_add_f32_e32 v36, v40, v36
	v_cvt_f32_i32_e32 v35, v35
	v_add_f32_e32 v40, v39, v36
	v_mul_f32_e32 v41, v40, v40
	v_mov_b32_e32 v42, 0x3ecc95a3
	v_fmac_f32_e32 v42, 0x3e9b6dac, v41
	v_mov_b32_e32 v43, 0x3f2aaada
	v_fmac_f32_e32 v43, v41, v42
	v_mul_f32_e32 v42, 0x3f317218, v35
	v_fma_f32 v44, v35, s8, -v42
	v_fmac_f32_e32 v44, 0xb102e308, v35
	v_sub_f32_e32 v35, v40, v39
	v_sub_f32_e32 v35, v36, v35
	v_add_f32_e32 v36, v42, v44
	v_sub_f32_e32 v39, v36, v42
	v_ldexp_f32 v42, v40, 1
	v_mul_f32_e32 v40, v40, v41
	v_mul_f32_e32 v40, v40, v43
	v_add_f32_e32 v41, v42, v40
	v_sub_f32_e32 v42, v41, v42
	v_ldexp_f32 v35, v35, 1
	v_sub_f32_e32 v40, v40, v42
	v_add_f32_e32 v35, v35, v40
	v_add_f32_e32 v40, v41, v35
	v_sub_f32_e32 v41, v40, v41
	v_sub_f32_e32 v35, v35, v41
	v_add_f32_e32 v41, v36, v40
	v_sub_f32_e32 v42, v41, v36
	v_sub_f32_e32 v43, v41, v42
	;; [unrolled: 1-line block ×5, first 2 shown]
	v_add_f32_e32 v36, v40, v36
	v_add_f32_e32 v40, v39, v35
	v_sub_f32_e32 v42, v40, v39
	v_sub_f32_e32 v43, v40, v42
	;; [unrolled: 1-line block ×4, first 2 shown]
	v_add_f32_e32 v36, v40, v36
	v_add_f32_e32 v35, v35, v39
	;; [unrolled: 1-line block ×3, first 2 shown]
	v_sub_f32_e32 v40, v39, v41
	v_sub_f32_e32 v36, v36, v40
	v_add_f32_e32 v35, v35, v36
	v_add_f32_e32 v35, v39, v35
	v_cmp_neq_f32_e32 vcc, s7, v38
	s_mov_b32 s7, 0x33800000
	v_cndmask_b32_e32 v35, v37, v35, vcc
	v_cmp_lt_f32_e64 vcc, |v38|, s7
	v_cndmask_b32_e32 v35, v35, v38, vcc
	v_add_f32_e32 v35, v33, v35
.LBB459_74:
	s_or_b64 exec, exec, s[2:3]
	v_bfe_u32 v33, v35, 16, 1
	s_movk_i32 s7, 0x7fff
	v_add3_u32 v33, v35, v33, s7
	v_and_b32_e32 v33, 0xffff0000, v33
	v_mov_b32_e32 v36, 0x7fc00000
	v_cmp_o_f32_e32 vcc, v35, v35
	v_cndmask_b32_e32 v38, v36, v33, vcc
	v_lshlrev_b32_e32 v33, 16, v12
	v_max_f32_e32 v37, v38, v38
	v_max_f32_e32 v35, v33, v33
	v_min_f32_e32 v39, v37, v35
	v_cmp_u_f32_e32 vcc, v38, v38
	v_max_f32_e32 v37, v37, v35
	v_cndmask_b32_e32 v39, v39, v38, vcc
	v_cmp_u_f32_e64 s[76:77], v33, v33
	v_cndmask_b32_e32 v37, v37, v38, vcc
	v_cndmask_b32_e64 v39, v39, v33, s[76:77]
	v_cndmask_b32_e64 v37, v37, v33, s[76:77]
	v_cmp_neq_f32_e32 vcc, v39, v37
	v_cmp_class_f32_e64 s[2:3], v39, s6
	s_or_b64 s[8:9], vcc, s[2:3]
	s_and_saveexec_b64 s[2:3], s[8:9]
	s_cbranch_execz .LBB459_76
; %bb.75:
	v_sub_f32_e32 v38, v39, v37
	s_mov_b32 s6, 0x3fb8aa3b
	v_mul_f32_e32 v39, 0x3fb8aa3b, v38
	v_fma_f32 v40, v38, s6, -v39
	v_rndne_f32_e32 v41, v39
	v_fmac_f32_e32 v40, 0x32a5705f, v38
	v_sub_f32_e32 v39, v39, v41
	v_add_f32_e32 v39, v39, v40
	v_exp_f32_e32 v39, v39
	v_cvt_i32_f32_e32 v40, v41
	s_mov_b32 s6, 0xc2ce8ed0
	v_cmp_ngt_f32_e32 vcc, s6, v38
	s_mov_b32 s6, 0x42b17218
	v_ldexp_f32 v39, v39, v40
	v_cndmask_b32_e32 v39, 0, v39, vcc
	v_mov_b32_e32 v40, 0x7f800000
	v_cmp_nlt_f32_e32 vcc, s6, v38
	v_cndmask_b32_e32 v41, v40, v39, vcc
	v_add_f32_e32 v42, 1.0, v41
	v_cvt_f64_f32_e32 v[38:39], v42
	v_add_f32_e32 v43, -1.0, v42
	v_sub_f32_e32 v44, v43, v42
	v_sub_f32_e32 v43, v41, v43
	v_frexp_exp_i32_f64_e32 v38, v[38:39]
	v_add_f32_e32 v39, 1.0, v44
	v_add_f32_e32 v39, v43, v39
	v_frexp_mant_f32_e32 v43, v42
	s_mov_b32 s8, 0x3f2aaaab
	v_cmp_gt_f32_e32 vcc, s8, v43
	s_mov_b32 s8, 0x3f317218
	s_mov_b32 s6, 0x7f800000
	v_subbrev_co_u32_e32 v38, vcc, 0, v38, vcc
	v_sub_u32_e32 v43, 0, v38
	v_ldexp_f32 v42, v42, v43
	v_ldexp_f32 v39, v39, v43
	v_add_f32_e32 v43, -1.0, v42
	v_add_f32_e32 v46, 1.0, v42
	v_add_f32_e32 v44, 1.0, v43
	v_add_f32_e32 v47, -1.0, v46
	v_sub_f32_e32 v44, v42, v44
	v_sub_f32_e32 v42, v42, v47
	v_add_f32_e32 v44, v39, v44
	v_add_f32_e32 v39, v39, v42
	;; [unrolled: 1-line block ×3, first 2 shown]
	v_rcp_f32_e32 v47, v42
	v_add_f32_e32 v45, v43, v44
	v_sub_f32_e32 v43, v43, v45
	v_add_f32_e32 v43, v44, v43
	v_sub_f32_e32 v44, v46, v42
	v_add_f32_e32 v39, v39, v44
	v_mul_f32_e32 v44, v45, v47
	v_mul_f32_e32 v46, v42, v44
	v_fma_f32 v48, v44, v42, -v46
	v_fmac_f32_e32 v48, v44, v39
	v_add_f32_e32 v53, v46, v48
	v_sub_f32_e32 v54, v45, v53
	v_sub_f32_e32 v45, v45, v54
	v_sub_f32_e32 v46, v53, v46
	v_sub_f32_e32 v45, v45, v53
	v_add_f32_e32 v43, v43, v45
	v_sub_f32_e32 v45, v46, v48
	v_add_f32_e32 v43, v45, v43
	v_add_f32_e32 v45, v54, v43
	v_mul_f32_e32 v46, v47, v45
	v_mul_f32_e32 v48, v42, v46
	v_fma_f32 v42, v46, v42, -v48
	v_fmac_f32_e32 v42, v46, v39
	v_sub_f32_e32 v39, v54, v45
	v_add_f32_e32 v39, v43, v39
	v_add_f32_e32 v43, v48, v42
	v_sub_f32_e32 v53, v45, v43
	v_sub_f32_e32 v45, v45, v53
	;; [unrolled: 1-line block ×4, first 2 shown]
	v_add_f32_e32 v39, v39, v43
	v_sub_f32_e32 v42, v48, v42
	v_add_f32_e32 v39, v42, v39
	v_add_f32_e32 v42, v44, v46
	;; [unrolled: 1-line block ×3, first 2 shown]
	v_sub_f32_e32 v43, v42, v44
	v_mul_f32_e32 v39, v47, v39
	v_sub_f32_e32 v43, v46, v43
	v_add_f32_e32 v39, v43, v39
	v_cvt_f32_i32_e32 v38, v38
	v_add_f32_e32 v43, v42, v39
	v_mul_f32_e32 v44, v43, v43
	v_mov_b32_e32 v45, 0x3ecc95a3
	v_fmac_f32_e32 v45, 0x3e9b6dac, v44
	v_mov_b32_e32 v46, 0x3f2aaada
	v_fmac_f32_e32 v46, v44, v45
	v_mul_f32_e32 v45, 0x3f317218, v38
	v_fma_f32 v47, v38, s8, -v45
	v_fmac_f32_e32 v47, 0xb102e308, v38
	v_sub_f32_e32 v38, v43, v42
	v_sub_f32_e32 v38, v39, v38
	v_add_f32_e32 v39, v45, v47
	v_sub_f32_e32 v42, v39, v45
	v_ldexp_f32 v45, v43, 1
	v_mul_f32_e32 v43, v43, v44
	v_mul_f32_e32 v43, v43, v46
	v_add_f32_e32 v44, v45, v43
	v_sub_f32_e32 v45, v44, v45
	v_ldexp_f32 v38, v38, 1
	v_sub_f32_e32 v43, v43, v45
	v_add_f32_e32 v38, v38, v43
	v_add_f32_e32 v43, v44, v38
	v_sub_f32_e32 v44, v43, v44
	v_sub_f32_e32 v38, v38, v44
	v_add_f32_e32 v44, v39, v43
	v_sub_f32_e32 v45, v44, v39
	v_sub_f32_e32 v46, v44, v45
	;; [unrolled: 1-line block ×5, first 2 shown]
	v_add_f32_e32 v39, v43, v39
	v_add_f32_e32 v43, v42, v38
	v_sub_f32_e32 v45, v43, v42
	v_sub_f32_e32 v46, v43, v45
	;; [unrolled: 1-line block ×4, first 2 shown]
	v_add_f32_e32 v39, v43, v39
	v_add_f32_e32 v38, v38, v42
	;; [unrolled: 1-line block ×3, first 2 shown]
	v_sub_f32_e32 v43, v42, v44
	v_sub_f32_e32 v39, v39, v43
	v_add_f32_e32 v38, v38, v39
	v_add_f32_e32 v38, v42, v38
	v_cmp_neq_f32_e32 vcc, s6, v41
	s_mov_b32 s6, 0x33800000
	v_cndmask_b32_e32 v38, v40, v38, vcc
	v_cmp_lt_f32_e64 vcc, |v41|, s6
	v_cndmask_b32_e32 v38, v38, v41, vcc
	v_add_f32_e32 v38, v37, v38
.LBB459_76:
	s_or_b64 exec, exec, s[2:3]
	v_bfe_u32 v37, v38, 16, 1
	v_add3_u32 v37, v38, v37, s7
	v_and_b32_e32 v37, 0xffff0000, v37
	v_cmp_o_f32_e32 vcc, v38, v38
	v_cndmask_b32_e32 v38, v36, v37, vcc
	v_and_b32_e32 v12, 0xffff0000, v12
	v_max_f32_e32 v36, v38, v38
	v_max_f32_e32 v37, v12, v12
	v_min_f32_e32 v39, v36, v37
	v_cmp_u_f32_e32 vcc, v38, v38
	v_max_f32_e32 v36, v36, v37
	v_cndmask_b32_e32 v39, v39, v38, vcc
	v_cmp_u_f32_e64 s[78:79], v12, v12
	v_cndmask_b32_e32 v36, v36, v38, vcc
	v_cndmask_b32_e64 v39, v39, v12, s[78:79]
	v_cndmask_b32_e64 v36, v36, v12, s[78:79]
	s_movk_i32 s6, 0x1f8
	v_cmp_neq_f32_e32 vcc, v39, v36
	v_cmp_class_f32_e64 s[2:3], v39, s6
	s_or_b64 s[8:9], vcc, s[2:3]
	s_and_saveexec_b64 s[2:3], s[8:9]
	s_cbranch_execz .LBB459_78
; %bb.77:
	v_sub_f32_e32 v38, v39, v36
	s_mov_b32 s7, 0x3fb8aa3b
	v_mul_f32_e32 v39, 0x3fb8aa3b, v38
	v_fma_f32 v40, v38, s7, -v39
	v_rndne_f32_e32 v41, v39
	v_fmac_f32_e32 v40, 0x32a5705f, v38
	v_sub_f32_e32 v39, v39, v41
	v_add_f32_e32 v39, v39, v40
	v_exp_f32_e32 v39, v39
	v_cvt_i32_f32_e32 v40, v41
	s_mov_b32 s7, 0xc2ce8ed0
	v_cmp_ngt_f32_e32 vcc, s7, v38
	s_mov_b32 s7, 0x42b17218
	v_ldexp_f32 v39, v39, v40
	v_cndmask_b32_e32 v39, 0, v39, vcc
	v_mov_b32_e32 v40, 0x7f800000
	v_cmp_nlt_f32_e32 vcc, s7, v38
	v_cndmask_b32_e32 v41, v40, v39, vcc
	v_add_f32_e32 v42, 1.0, v41
	v_cvt_f64_f32_e32 v[38:39], v42
	v_add_f32_e32 v43, -1.0, v42
	v_sub_f32_e32 v44, v43, v42
	v_sub_f32_e32 v43, v41, v43
	v_frexp_exp_i32_f64_e32 v38, v[38:39]
	v_add_f32_e32 v39, 1.0, v44
	v_add_f32_e32 v39, v43, v39
	v_frexp_mant_f32_e32 v43, v42
	s_mov_b32 s8, 0x3f2aaaab
	v_cmp_gt_f32_e32 vcc, s8, v43
	s_mov_b32 s8, 0x3f317218
	s_mov_b32 s7, 0x7f800000
	v_subbrev_co_u32_e32 v38, vcc, 0, v38, vcc
	v_sub_u32_e32 v43, 0, v38
	v_ldexp_f32 v42, v42, v43
	v_ldexp_f32 v39, v39, v43
	v_add_f32_e32 v43, -1.0, v42
	v_add_f32_e32 v46, 1.0, v42
	v_add_f32_e32 v44, 1.0, v43
	v_add_f32_e32 v47, -1.0, v46
	v_sub_f32_e32 v44, v42, v44
	v_sub_f32_e32 v42, v42, v47
	v_add_f32_e32 v44, v39, v44
	v_add_f32_e32 v39, v39, v42
	v_add_f32_e32 v42, v46, v39
	v_rcp_f32_e32 v47, v42
	v_add_f32_e32 v45, v43, v44
	v_sub_f32_e32 v43, v43, v45
	v_add_f32_e32 v43, v44, v43
	v_sub_f32_e32 v44, v46, v42
	v_add_f32_e32 v39, v39, v44
	v_mul_f32_e32 v44, v45, v47
	v_mul_f32_e32 v46, v42, v44
	v_fma_f32 v48, v44, v42, -v46
	v_fmac_f32_e32 v48, v44, v39
	v_add_f32_e32 v53, v46, v48
	v_sub_f32_e32 v54, v45, v53
	v_sub_f32_e32 v45, v45, v54
	;; [unrolled: 1-line block ×4, first 2 shown]
	v_add_f32_e32 v43, v43, v45
	v_sub_f32_e32 v45, v46, v48
	v_add_f32_e32 v43, v45, v43
	v_add_f32_e32 v45, v54, v43
	v_mul_f32_e32 v46, v47, v45
	v_mul_f32_e32 v48, v42, v46
	v_fma_f32 v42, v46, v42, -v48
	v_fmac_f32_e32 v42, v46, v39
	v_sub_f32_e32 v39, v54, v45
	v_add_f32_e32 v39, v43, v39
	v_add_f32_e32 v43, v48, v42
	v_sub_f32_e32 v53, v45, v43
	v_sub_f32_e32 v45, v45, v53
	;; [unrolled: 1-line block ×4, first 2 shown]
	v_add_f32_e32 v39, v39, v43
	v_sub_f32_e32 v42, v48, v42
	v_add_f32_e32 v39, v42, v39
	v_add_f32_e32 v42, v44, v46
	;; [unrolled: 1-line block ×3, first 2 shown]
	v_sub_f32_e32 v43, v42, v44
	v_mul_f32_e32 v39, v47, v39
	v_sub_f32_e32 v43, v46, v43
	v_add_f32_e32 v39, v43, v39
	v_cvt_f32_i32_e32 v38, v38
	v_add_f32_e32 v43, v42, v39
	v_mul_f32_e32 v44, v43, v43
	v_mov_b32_e32 v45, 0x3ecc95a3
	v_fmac_f32_e32 v45, 0x3e9b6dac, v44
	v_mov_b32_e32 v46, 0x3f2aaada
	v_fmac_f32_e32 v46, v44, v45
	v_mul_f32_e32 v45, 0x3f317218, v38
	v_fma_f32 v47, v38, s8, -v45
	v_fmac_f32_e32 v47, 0xb102e308, v38
	v_sub_f32_e32 v38, v43, v42
	v_sub_f32_e32 v38, v39, v38
	v_add_f32_e32 v39, v45, v47
	v_sub_f32_e32 v42, v39, v45
	v_ldexp_f32 v45, v43, 1
	v_mul_f32_e32 v43, v43, v44
	v_mul_f32_e32 v43, v43, v46
	v_add_f32_e32 v44, v45, v43
	v_sub_f32_e32 v45, v44, v45
	v_ldexp_f32 v38, v38, 1
	v_sub_f32_e32 v43, v43, v45
	v_add_f32_e32 v38, v38, v43
	v_add_f32_e32 v43, v44, v38
	v_sub_f32_e32 v44, v43, v44
	v_sub_f32_e32 v38, v38, v44
	v_add_f32_e32 v44, v39, v43
	v_sub_f32_e32 v45, v44, v39
	v_sub_f32_e32 v46, v44, v45
	;; [unrolled: 1-line block ×5, first 2 shown]
	v_add_f32_e32 v39, v43, v39
	v_add_f32_e32 v43, v42, v38
	v_sub_f32_e32 v45, v43, v42
	v_sub_f32_e32 v46, v43, v45
	;; [unrolled: 1-line block ×4, first 2 shown]
	v_add_f32_e32 v39, v43, v39
	v_add_f32_e32 v38, v38, v42
	;; [unrolled: 1-line block ×3, first 2 shown]
	v_sub_f32_e32 v43, v42, v44
	v_sub_f32_e32 v39, v39, v43
	v_add_f32_e32 v38, v38, v39
	v_add_f32_e32 v38, v42, v38
	v_cmp_neq_f32_e32 vcc, s7, v41
	s_mov_b32 s7, 0x33800000
	v_cndmask_b32_e32 v38, v40, v38, vcc
	v_cmp_lt_f32_e64 vcc, |v41|, s7
	v_cndmask_b32_e32 v38, v38, v41, vcc
	v_add_f32_e32 v38, v36, v38
.LBB459_78:
	s_or_b64 exec, exec, s[2:3]
	v_bfe_u32 v36, v38, 16, 1
	s_movk_i32 s7, 0x7fff
	v_add3_u32 v36, v38, v36, s7
	v_and_b32_e32 v36, 0xffff0000, v36
	v_mov_b32_e32 v39, 0x7fc00000
	v_cmp_o_f32_e32 vcc, v38, v38
	v_cndmask_b32_e32 v41, v39, v36, vcc
	v_lshlrev_b32_e32 v36, 16, v5
	v_max_f32_e32 v40, v41, v41
	v_max_f32_e32 v38, v36, v36
	v_min_f32_e32 v42, v40, v38
	v_cmp_u_f32_e32 vcc, v41, v41
	v_max_f32_e32 v40, v40, v38
	v_cndmask_b32_e32 v42, v42, v41, vcc
	v_cmp_u_f32_e64 s[80:81], v36, v36
	v_cndmask_b32_e32 v40, v40, v41, vcc
	v_cndmask_b32_e64 v42, v42, v36, s[80:81]
	v_cndmask_b32_e64 v40, v40, v36, s[80:81]
	v_cmp_neq_f32_e32 vcc, v42, v40
	v_cmp_class_f32_e64 s[2:3], v42, s6
	s_or_b64 s[8:9], vcc, s[2:3]
	s_and_saveexec_b64 s[2:3], s[8:9]
	s_cbranch_execz .LBB459_80
; %bb.79:
	v_sub_f32_e32 v41, v42, v40
	s_mov_b32 s6, 0x3fb8aa3b
	v_mul_f32_e32 v42, 0x3fb8aa3b, v41
	v_fma_f32 v43, v41, s6, -v42
	v_rndne_f32_e32 v44, v42
	v_fmac_f32_e32 v43, 0x32a5705f, v41
	v_sub_f32_e32 v42, v42, v44
	v_add_f32_e32 v42, v42, v43
	v_exp_f32_e32 v42, v42
	v_cvt_i32_f32_e32 v43, v44
	s_mov_b32 s6, 0xc2ce8ed0
	v_cmp_ngt_f32_e32 vcc, s6, v41
	s_mov_b32 s6, 0x42b17218
	v_ldexp_f32 v42, v42, v43
	v_cndmask_b32_e32 v42, 0, v42, vcc
	v_mov_b32_e32 v43, 0x7f800000
	v_cmp_nlt_f32_e32 vcc, s6, v41
	v_cndmask_b32_e32 v44, v43, v42, vcc
	v_add_f32_e32 v45, 1.0, v44
	v_cvt_f64_f32_e32 v[41:42], v45
	v_add_f32_e32 v46, -1.0, v45
	v_sub_f32_e32 v47, v46, v45
	v_sub_f32_e32 v46, v44, v46
	v_frexp_exp_i32_f64_e32 v41, v[41:42]
	v_add_f32_e32 v42, 1.0, v47
	v_add_f32_e32 v42, v46, v42
	v_frexp_mant_f32_e32 v46, v45
	s_mov_b32 s8, 0x3f2aaaab
	v_cmp_gt_f32_e32 vcc, s8, v46
	s_mov_b32 s8, 0x3f317218
	s_mov_b32 s6, 0x7f800000
	v_subbrev_co_u32_e32 v41, vcc, 0, v41, vcc
	v_sub_u32_e32 v46, 0, v41
	v_ldexp_f32 v45, v45, v46
	v_ldexp_f32 v42, v42, v46
	v_add_f32_e32 v46, -1.0, v45
	v_add_f32_e32 v53, 1.0, v45
	v_add_f32_e32 v47, 1.0, v46
	v_add_f32_e32 v54, -1.0, v53
	v_sub_f32_e32 v47, v45, v47
	v_sub_f32_e32 v45, v45, v54
	v_add_f32_e32 v47, v42, v47
	v_add_f32_e32 v42, v42, v45
	;; [unrolled: 1-line block ×3, first 2 shown]
	v_rcp_f32_e32 v54, v45
	v_add_f32_e32 v48, v46, v47
	v_sub_f32_e32 v46, v46, v48
	v_add_f32_e32 v46, v47, v46
	v_sub_f32_e32 v47, v53, v45
	v_add_f32_e32 v42, v42, v47
	v_mul_f32_e32 v47, v48, v54
	v_mul_f32_e32 v53, v45, v47
	v_fma_f32 v55, v47, v45, -v53
	v_fmac_f32_e32 v55, v47, v42
	v_add_f32_e32 v56, v53, v55
	v_sub_f32_e32 v57, v48, v56
	v_sub_f32_e32 v48, v48, v57
	;; [unrolled: 1-line block ×4, first 2 shown]
	v_add_f32_e32 v46, v46, v48
	v_sub_f32_e32 v48, v53, v55
	v_add_f32_e32 v46, v48, v46
	v_add_f32_e32 v48, v57, v46
	v_mul_f32_e32 v53, v54, v48
	v_mul_f32_e32 v55, v45, v53
	v_fma_f32 v45, v53, v45, -v55
	v_fmac_f32_e32 v45, v53, v42
	v_sub_f32_e32 v42, v57, v48
	v_add_f32_e32 v42, v46, v42
	v_add_f32_e32 v46, v55, v45
	v_sub_f32_e32 v56, v48, v46
	v_sub_f32_e32 v48, v48, v56
	;; [unrolled: 1-line block ×4, first 2 shown]
	v_add_f32_e32 v42, v42, v46
	v_sub_f32_e32 v45, v55, v45
	v_add_f32_e32 v42, v45, v42
	v_add_f32_e32 v45, v47, v53
	;; [unrolled: 1-line block ×3, first 2 shown]
	v_sub_f32_e32 v46, v45, v47
	v_mul_f32_e32 v42, v54, v42
	v_sub_f32_e32 v46, v53, v46
	v_add_f32_e32 v42, v46, v42
	v_cvt_f32_i32_e32 v41, v41
	v_add_f32_e32 v46, v45, v42
	v_mul_f32_e32 v47, v46, v46
	v_mov_b32_e32 v48, 0x3ecc95a3
	v_fmac_f32_e32 v48, 0x3e9b6dac, v47
	v_mov_b32_e32 v53, 0x3f2aaada
	v_fmac_f32_e32 v53, v47, v48
	v_mul_f32_e32 v48, 0x3f317218, v41
	v_fma_f32 v54, v41, s8, -v48
	v_fmac_f32_e32 v54, 0xb102e308, v41
	v_sub_f32_e32 v41, v46, v45
	v_sub_f32_e32 v41, v42, v41
	v_add_f32_e32 v42, v48, v54
	v_sub_f32_e32 v45, v42, v48
	v_ldexp_f32 v48, v46, 1
	v_mul_f32_e32 v46, v46, v47
	v_mul_f32_e32 v46, v46, v53
	v_add_f32_e32 v47, v48, v46
	v_sub_f32_e32 v48, v47, v48
	v_ldexp_f32 v41, v41, 1
	v_sub_f32_e32 v46, v46, v48
	v_add_f32_e32 v41, v41, v46
	v_add_f32_e32 v46, v47, v41
	v_sub_f32_e32 v47, v46, v47
	v_sub_f32_e32 v41, v41, v47
	v_add_f32_e32 v47, v42, v46
	v_sub_f32_e32 v48, v47, v42
	v_sub_f32_e32 v53, v47, v48
	;; [unrolled: 1-line block ×5, first 2 shown]
	v_add_f32_e32 v42, v46, v42
	v_add_f32_e32 v46, v45, v41
	v_sub_f32_e32 v48, v46, v45
	v_sub_f32_e32 v53, v46, v48
	;; [unrolled: 1-line block ×4, first 2 shown]
	v_add_f32_e32 v42, v46, v42
	v_add_f32_e32 v41, v41, v45
	;; [unrolled: 1-line block ×3, first 2 shown]
	v_sub_f32_e32 v46, v45, v47
	v_sub_f32_e32 v42, v42, v46
	v_add_f32_e32 v41, v41, v42
	v_add_f32_e32 v41, v45, v41
	v_cmp_neq_f32_e32 vcc, s6, v44
	s_mov_b32 s6, 0x33800000
	v_cndmask_b32_e32 v41, v43, v41, vcc
	v_cmp_lt_f32_e64 vcc, |v44|, s6
	v_cndmask_b32_e32 v41, v41, v44, vcc
	v_add_f32_e32 v41, v40, v41
.LBB459_80:
	s_or_b64 exec, exec, s[2:3]
	v_bfe_u32 v40, v41, 16, 1
	v_add3_u32 v40, v41, v40, s7
	v_and_b32_e32 v40, 0xffff0000, v40
	v_cmp_o_f32_e32 vcc, v41, v41
	v_cndmask_b32_e32 v41, v39, v40, vcc
	v_and_b32_e32 v5, 0xffff0000, v5
	v_max_f32_e32 v39, v41, v41
	v_max_f32_e32 v40, v5, v5
	v_min_f32_e32 v42, v39, v40
	v_cmp_u_f32_e32 vcc, v41, v41
	v_max_f32_e32 v39, v39, v40
	v_cndmask_b32_e32 v42, v42, v41, vcc
	v_cmp_u_f32_e64 s[82:83], v5, v5
	v_cndmask_b32_e32 v39, v39, v41, vcc
	v_cndmask_b32_e64 v42, v42, v5, s[82:83]
	v_cndmask_b32_e64 v39, v39, v5, s[82:83]
	s_movk_i32 s6, 0x1f8
	v_cmp_neq_f32_e32 vcc, v42, v39
	v_cmp_class_f32_e64 s[2:3], v42, s6
	s_or_b64 s[8:9], vcc, s[2:3]
	s_and_saveexec_b64 s[2:3], s[8:9]
	s_cbranch_execz .LBB459_82
; %bb.81:
	v_sub_f32_e32 v41, v42, v39
	s_mov_b32 s7, 0x3fb8aa3b
	v_mul_f32_e32 v42, 0x3fb8aa3b, v41
	v_fma_f32 v43, v41, s7, -v42
	v_rndne_f32_e32 v44, v42
	v_fmac_f32_e32 v43, 0x32a5705f, v41
	v_sub_f32_e32 v42, v42, v44
	v_add_f32_e32 v42, v42, v43
	v_exp_f32_e32 v42, v42
	v_cvt_i32_f32_e32 v43, v44
	s_mov_b32 s7, 0xc2ce8ed0
	v_cmp_ngt_f32_e32 vcc, s7, v41
	s_mov_b32 s7, 0x42b17218
	v_ldexp_f32 v42, v42, v43
	v_cndmask_b32_e32 v42, 0, v42, vcc
	v_mov_b32_e32 v43, 0x7f800000
	v_cmp_nlt_f32_e32 vcc, s7, v41
	v_cndmask_b32_e32 v44, v43, v42, vcc
	v_add_f32_e32 v45, 1.0, v44
	v_cvt_f64_f32_e32 v[41:42], v45
	v_add_f32_e32 v46, -1.0, v45
	v_sub_f32_e32 v47, v46, v45
	v_sub_f32_e32 v46, v44, v46
	v_frexp_exp_i32_f64_e32 v41, v[41:42]
	v_add_f32_e32 v42, 1.0, v47
	v_add_f32_e32 v42, v46, v42
	v_frexp_mant_f32_e32 v46, v45
	s_mov_b32 s8, 0x3f2aaaab
	v_cmp_gt_f32_e32 vcc, s8, v46
	s_mov_b32 s8, 0x3f317218
	s_mov_b32 s7, 0x7f800000
	v_subbrev_co_u32_e32 v41, vcc, 0, v41, vcc
	v_sub_u32_e32 v46, 0, v41
	v_ldexp_f32 v45, v45, v46
	v_ldexp_f32 v42, v42, v46
	v_add_f32_e32 v46, -1.0, v45
	v_add_f32_e32 v53, 1.0, v45
	v_add_f32_e32 v47, 1.0, v46
	v_add_f32_e32 v54, -1.0, v53
	v_sub_f32_e32 v47, v45, v47
	v_sub_f32_e32 v45, v45, v54
	v_add_f32_e32 v47, v42, v47
	v_add_f32_e32 v42, v42, v45
	;; [unrolled: 1-line block ×3, first 2 shown]
	v_rcp_f32_e32 v54, v45
	v_add_f32_e32 v48, v46, v47
	v_sub_f32_e32 v46, v46, v48
	v_add_f32_e32 v46, v47, v46
	v_sub_f32_e32 v47, v53, v45
	v_add_f32_e32 v42, v42, v47
	v_mul_f32_e32 v47, v48, v54
	v_mul_f32_e32 v53, v45, v47
	v_fma_f32 v55, v47, v45, -v53
	v_fmac_f32_e32 v55, v47, v42
	v_add_f32_e32 v56, v53, v55
	v_sub_f32_e32 v57, v48, v56
	v_sub_f32_e32 v48, v48, v57
	;; [unrolled: 1-line block ×4, first 2 shown]
	v_add_f32_e32 v46, v46, v48
	v_sub_f32_e32 v48, v53, v55
	v_add_f32_e32 v46, v48, v46
	v_add_f32_e32 v48, v57, v46
	v_mul_f32_e32 v53, v54, v48
	v_mul_f32_e32 v55, v45, v53
	v_fma_f32 v45, v53, v45, -v55
	v_fmac_f32_e32 v45, v53, v42
	v_sub_f32_e32 v42, v57, v48
	v_add_f32_e32 v42, v46, v42
	v_add_f32_e32 v46, v55, v45
	v_sub_f32_e32 v56, v48, v46
	v_sub_f32_e32 v48, v48, v56
	;; [unrolled: 1-line block ×4, first 2 shown]
	v_add_f32_e32 v42, v42, v46
	v_sub_f32_e32 v45, v55, v45
	v_add_f32_e32 v42, v45, v42
	v_add_f32_e32 v45, v47, v53
	;; [unrolled: 1-line block ×3, first 2 shown]
	v_sub_f32_e32 v46, v45, v47
	v_mul_f32_e32 v42, v54, v42
	v_sub_f32_e32 v46, v53, v46
	v_add_f32_e32 v42, v46, v42
	v_cvt_f32_i32_e32 v41, v41
	v_add_f32_e32 v46, v45, v42
	v_mul_f32_e32 v47, v46, v46
	v_mov_b32_e32 v48, 0x3ecc95a3
	v_fmac_f32_e32 v48, 0x3e9b6dac, v47
	v_mov_b32_e32 v53, 0x3f2aaada
	v_fmac_f32_e32 v53, v47, v48
	v_mul_f32_e32 v48, 0x3f317218, v41
	v_fma_f32 v54, v41, s8, -v48
	v_fmac_f32_e32 v54, 0xb102e308, v41
	v_sub_f32_e32 v41, v46, v45
	v_sub_f32_e32 v41, v42, v41
	v_add_f32_e32 v42, v48, v54
	v_sub_f32_e32 v45, v42, v48
	v_ldexp_f32 v48, v46, 1
	v_mul_f32_e32 v46, v46, v47
	v_mul_f32_e32 v46, v46, v53
	v_add_f32_e32 v47, v48, v46
	v_sub_f32_e32 v48, v47, v48
	v_ldexp_f32 v41, v41, 1
	v_sub_f32_e32 v46, v46, v48
	v_add_f32_e32 v41, v41, v46
	v_add_f32_e32 v46, v47, v41
	v_sub_f32_e32 v47, v46, v47
	v_sub_f32_e32 v41, v41, v47
	v_add_f32_e32 v47, v42, v46
	v_sub_f32_e32 v48, v47, v42
	v_sub_f32_e32 v53, v47, v48
	;; [unrolled: 1-line block ×5, first 2 shown]
	v_add_f32_e32 v42, v46, v42
	v_add_f32_e32 v46, v45, v41
	v_sub_f32_e32 v48, v46, v45
	v_sub_f32_e32 v53, v46, v48
	v_sub_f32_e32 v45, v45, v53
	v_sub_f32_e32 v41, v41, v48
	v_add_f32_e32 v42, v46, v42
	v_add_f32_e32 v41, v41, v45
	;; [unrolled: 1-line block ×3, first 2 shown]
	v_sub_f32_e32 v46, v45, v47
	v_sub_f32_e32 v42, v42, v46
	v_add_f32_e32 v41, v41, v42
	v_add_f32_e32 v41, v45, v41
	v_cmp_neq_f32_e32 vcc, s7, v44
	s_mov_b32 s7, 0x33800000
	v_cndmask_b32_e32 v41, v43, v41, vcc
	v_cmp_lt_f32_e64 vcc, |v44|, s7
	v_cndmask_b32_e32 v41, v41, v44, vcc
	v_add_f32_e32 v41, v39, v41
.LBB459_82:
	s_or_b64 exec, exec, s[2:3]
	v_bfe_u32 v39, v41, 16, 1
	s_movk_i32 s7, 0x7fff
	v_add3_u32 v39, v41, v39, s7
	v_and_b32_e32 v39, 0xffff0000, v39
	v_mov_b32_e32 v42, 0x7fc00000
	v_cmp_o_f32_e32 vcc, v41, v41
	v_cndmask_b32_e32 v44, v42, v39, vcc
	v_lshlrev_b32_e32 v39, 16, v6
	v_max_f32_e32 v43, v44, v44
	v_max_f32_e32 v41, v39, v39
	v_min_f32_e32 v45, v43, v41
	v_cmp_u_f32_e32 vcc, v44, v44
	v_max_f32_e32 v43, v43, v41
	v_cndmask_b32_e32 v45, v45, v44, vcc
	v_cmp_u_f32_e64 s[84:85], v39, v39
	v_cndmask_b32_e32 v43, v43, v44, vcc
	v_cndmask_b32_e64 v45, v45, v39, s[84:85]
	v_cndmask_b32_e64 v43, v43, v39, s[84:85]
	v_cmp_neq_f32_e32 vcc, v45, v43
	v_cmp_class_f32_e64 s[2:3], v45, s6
	s_or_b64 s[8:9], vcc, s[2:3]
	s_and_saveexec_b64 s[2:3], s[8:9]
	s_cbranch_execz .LBB459_84
; %bb.83:
	v_sub_f32_e32 v44, v45, v43
	s_mov_b32 s6, 0x3fb8aa3b
	v_mul_f32_e32 v45, 0x3fb8aa3b, v44
	v_fma_f32 v46, v44, s6, -v45
	v_rndne_f32_e32 v47, v45
	v_fmac_f32_e32 v46, 0x32a5705f, v44
	v_sub_f32_e32 v45, v45, v47
	v_add_f32_e32 v45, v45, v46
	v_exp_f32_e32 v45, v45
	v_cvt_i32_f32_e32 v46, v47
	s_mov_b32 s6, 0xc2ce8ed0
	v_cmp_ngt_f32_e32 vcc, s6, v44
	s_mov_b32 s6, 0x42b17218
	v_ldexp_f32 v45, v45, v46
	v_cndmask_b32_e32 v45, 0, v45, vcc
	v_mov_b32_e32 v46, 0x7f800000
	v_cmp_nlt_f32_e32 vcc, s6, v44
	v_cndmask_b32_e32 v47, v46, v45, vcc
	v_add_f32_e32 v48, 1.0, v47
	v_cvt_f64_f32_e32 v[44:45], v48
	v_add_f32_e32 v53, -1.0, v48
	v_sub_f32_e32 v54, v53, v48
	v_sub_f32_e32 v53, v47, v53
	v_frexp_exp_i32_f64_e32 v44, v[44:45]
	v_add_f32_e32 v45, 1.0, v54
	v_add_f32_e32 v45, v53, v45
	v_frexp_mant_f32_e32 v53, v48
	s_mov_b32 s8, 0x3f2aaaab
	v_cmp_gt_f32_e32 vcc, s8, v53
	s_mov_b32 s8, 0x3f317218
	s_mov_b32 s6, 0x7f800000
	v_subbrev_co_u32_e32 v44, vcc, 0, v44, vcc
	v_sub_u32_e32 v53, 0, v44
	v_ldexp_f32 v48, v48, v53
	v_ldexp_f32 v45, v45, v53
	v_add_f32_e32 v53, -1.0, v48
	v_add_f32_e32 v56, 1.0, v48
	v_add_f32_e32 v54, 1.0, v53
	v_add_f32_e32 v57, -1.0, v56
	v_sub_f32_e32 v54, v48, v54
	v_sub_f32_e32 v48, v48, v57
	v_add_f32_e32 v54, v45, v54
	v_add_f32_e32 v45, v45, v48
	;; [unrolled: 1-line block ×3, first 2 shown]
	v_rcp_f32_e32 v57, v48
	v_add_f32_e32 v55, v53, v54
	v_sub_f32_e32 v53, v53, v55
	v_add_f32_e32 v53, v54, v53
	v_sub_f32_e32 v54, v56, v48
	v_add_f32_e32 v45, v45, v54
	v_mul_f32_e32 v54, v55, v57
	v_mul_f32_e32 v56, v48, v54
	v_fma_f32 v58, v54, v48, -v56
	v_fmac_f32_e32 v58, v54, v45
	v_add_f32_e32 v59, v56, v58
	v_sub_f32_e32 v60, v55, v59
	v_sub_f32_e32 v55, v55, v60
	;; [unrolled: 1-line block ×4, first 2 shown]
	v_add_f32_e32 v53, v53, v55
	v_sub_f32_e32 v55, v56, v58
	v_add_f32_e32 v53, v55, v53
	v_add_f32_e32 v55, v60, v53
	v_mul_f32_e32 v56, v57, v55
	v_mul_f32_e32 v58, v48, v56
	v_fma_f32 v48, v56, v48, -v58
	v_fmac_f32_e32 v48, v56, v45
	v_sub_f32_e32 v45, v60, v55
	v_add_f32_e32 v45, v53, v45
	v_add_f32_e32 v53, v58, v48
	v_sub_f32_e32 v59, v55, v53
	v_sub_f32_e32 v55, v55, v59
	;; [unrolled: 1-line block ×4, first 2 shown]
	v_add_f32_e32 v45, v45, v53
	v_sub_f32_e32 v48, v58, v48
	v_add_f32_e32 v45, v48, v45
	v_add_f32_e32 v48, v54, v56
	;; [unrolled: 1-line block ×3, first 2 shown]
	v_sub_f32_e32 v53, v48, v54
	v_mul_f32_e32 v45, v57, v45
	v_sub_f32_e32 v53, v56, v53
	v_add_f32_e32 v45, v53, v45
	v_cvt_f32_i32_e32 v44, v44
	v_add_f32_e32 v53, v48, v45
	v_mul_f32_e32 v54, v53, v53
	v_mov_b32_e32 v55, 0x3ecc95a3
	v_fmac_f32_e32 v55, 0x3e9b6dac, v54
	v_mov_b32_e32 v56, 0x3f2aaada
	v_fmac_f32_e32 v56, v54, v55
	v_mul_f32_e32 v55, 0x3f317218, v44
	v_fma_f32 v57, v44, s8, -v55
	v_fmac_f32_e32 v57, 0xb102e308, v44
	v_sub_f32_e32 v44, v53, v48
	v_sub_f32_e32 v44, v45, v44
	v_add_f32_e32 v45, v55, v57
	v_sub_f32_e32 v48, v45, v55
	v_ldexp_f32 v55, v53, 1
	v_mul_f32_e32 v53, v53, v54
	v_mul_f32_e32 v53, v53, v56
	v_add_f32_e32 v54, v55, v53
	v_sub_f32_e32 v55, v54, v55
	v_ldexp_f32 v44, v44, 1
	v_sub_f32_e32 v53, v53, v55
	v_add_f32_e32 v44, v44, v53
	v_add_f32_e32 v53, v54, v44
	v_sub_f32_e32 v54, v53, v54
	v_sub_f32_e32 v44, v44, v54
	v_add_f32_e32 v54, v45, v53
	v_sub_f32_e32 v55, v54, v45
	v_sub_f32_e32 v56, v54, v55
	;; [unrolled: 1-line block ×5, first 2 shown]
	v_add_f32_e32 v45, v53, v45
	v_add_f32_e32 v53, v48, v44
	v_sub_f32_e32 v55, v53, v48
	v_sub_f32_e32 v56, v53, v55
	;; [unrolled: 1-line block ×4, first 2 shown]
	v_add_f32_e32 v45, v53, v45
	v_add_f32_e32 v44, v44, v48
	;; [unrolled: 1-line block ×3, first 2 shown]
	v_sub_f32_e32 v53, v48, v54
	v_sub_f32_e32 v45, v45, v53
	v_add_f32_e32 v44, v44, v45
	v_add_f32_e32 v44, v48, v44
	v_cmp_neq_f32_e32 vcc, s6, v47
	s_mov_b32 s6, 0x33800000
	v_cndmask_b32_e32 v44, v46, v44, vcc
	v_cmp_lt_f32_e64 vcc, |v47|, s6
	v_cndmask_b32_e32 v44, v44, v47, vcc
	v_add_f32_e32 v44, v43, v44
.LBB459_84:
	s_or_b64 exec, exec, s[2:3]
	v_bfe_u32 v43, v44, 16, 1
	v_add3_u32 v43, v44, v43, s7
	v_and_b32_e32 v43, 0xffff0000, v43
	v_cmp_o_f32_e32 vcc, v44, v44
	v_cndmask_b32_e32 v44, v42, v43, vcc
	v_and_b32_e32 v6, 0xffff0000, v6
	v_max_f32_e32 v42, v44, v44
	v_max_f32_e32 v43, v6, v6
	v_min_f32_e32 v45, v42, v43
	v_cmp_u_f32_e32 vcc, v44, v44
	v_max_f32_e32 v42, v42, v43
	v_cndmask_b32_e32 v45, v45, v44, vcc
	v_cmp_u_f32_e64 s[86:87], v6, v6
	v_cndmask_b32_e32 v42, v42, v44, vcc
	v_cndmask_b32_e64 v45, v45, v6, s[86:87]
	v_cndmask_b32_e64 v42, v42, v6, s[86:87]
	s_movk_i32 s6, 0x1f8
	v_cmp_neq_f32_e32 vcc, v45, v42
	v_cmp_class_f32_e64 s[2:3], v45, s6
	s_or_b64 s[8:9], vcc, s[2:3]
	s_and_saveexec_b64 s[2:3], s[8:9]
	s_cbranch_execz .LBB459_86
; %bb.85:
	v_sub_f32_e32 v44, v45, v42
	s_mov_b32 s7, 0x3fb8aa3b
	v_mul_f32_e32 v45, 0x3fb8aa3b, v44
	v_fma_f32 v46, v44, s7, -v45
	v_rndne_f32_e32 v47, v45
	v_fmac_f32_e32 v46, 0x32a5705f, v44
	v_sub_f32_e32 v45, v45, v47
	v_add_f32_e32 v45, v45, v46
	v_exp_f32_e32 v45, v45
	v_cvt_i32_f32_e32 v46, v47
	s_mov_b32 s7, 0xc2ce8ed0
	v_cmp_ngt_f32_e32 vcc, s7, v44
	s_mov_b32 s7, 0x42b17218
	v_ldexp_f32 v45, v45, v46
	v_cndmask_b32_e32 v45, 0, v45, vcc
	v_mov_b32_e32 v46, 0x7f800000
	v_cmp_nlt_f32_e32 vcc, s7, v44
	v_cndmask_b32_e32 v47, v46, v45, vcc
	v_add_f32_e32 v48, 1.0, v47
	v_cvt_f64_f32_e32 v[44:45], v48
	v_add_f32_e32 v53, -1.0, v48
	v_sub_f32_e32 v54, v53, v48
	v_sub_f32_e32 v53, v47, v53
	v_frexp_exp_i32_f64_e32 v44, v[44:45]
	v_add_f32_e32 v45, 1.0, v54
	v_add_f32_e32 v45, v53, v45
	v_frexp_mant_f32_e32 v53, v48
	s_mov_b32 s8, 0x3f2aaaab
	v_cmp_gt_f32_e32 vcc, s8, v53
	s_mov_b32 s8, 0x3f317218
	s_mov_b32 s7, 0x7f800000
	v_subbrev_co_u32_e32 v44, vcc, 0, v44, vcc
	v_sub_u32_e32 v53, 0, v44
	v_ldexp_f32 v48, v48, v53
	v_ldexp_f32 v45, v45, v53
	v_add_f32_e32 v53, -1.0, v48
	v_add_f32_e32 v56, 1.0, v48
	v_add_f32_e32 v54, 1.0, v53
	v_add_f32_e32 v57, -1.0, v56
	v_sub_f32_e32 v54, v48, v54
	v_sub_f32_e32 v48, v48, v57
	v_add_f32_e32 v54, v45, v54
	v_add_f32_e32 v45, v45, v48
	;; [unrolled: 1-line block ×3, first 2 shown]
	v_rcp_f32_e32 v57, v48
	v_add_f32_e32 v55, v53, v54
	v_sub_f32_e32 v53, v53, v55
	v_add_f32_e32 v53, v54, v53
	v_sub_f32_e32 v54, v56, v48
	v_add_f32_e32 v45, v45, v54
	v_mul_f32_e32 v54, v55, v57
	v_mul_f32_e32 v56, v48, v54
	v_fma_f32 v58, v54, v48, -v56
	v_fmac_f32_e32 v58, v54, v45
	v_add_f32_e32 v59, v56, v58
	v_sub_f32_e32 v60, v55, v59
	v_sub_f32_e32 v55, v55, v60
	;; [unrolled: 1-line block ×4, first 2 shown]
	v_add_f32_e32 v53, v53, v55
	v_sub_f32_e32 v55, v56, v58
	v_add_f32_e32 v53, v55, v53
	v_add_f32_e32 v55, v60, v53
	v_mul_f32_e32 v56, v57, v55
	v_mul_f32_e32 v58, v48, v56
	v_fma_f32 v48, v56, v48, -v58
	v_fmac_f32_e32 v48, v56, v45
	v_sub_f32_e32 v45, v60, v55
	v_add_f32_e32 v45, v53, v45
	v_add_f32_e32 v53, v58, v48
	v_sub_f32_e32 v59, v55, v53
	v_sub_f32_e32 v55, v55, v59
	;; [unrolled: 1-line block ×4, first 2 shown]
	v_add_f32_e32 v45, v45, v53
	v_sub_f32_e32 v48, v58, v48
	v_add_f32_e32 v45, v48, v45
	v_add_f32_e32 v48, v54, v56
	;; [unrolled: 1-line block ×3, first 2 shown]
	v_sub_f32_e32 v53, v48, v54
	v_mul_f32_e32 v45, v57, v45
	v_sub_f32_e32 v53, v56, v53
	v_add_f32_e32 v45, v53, v45
	v_cvt_f32_i32_e32 v44, v44
	v_add_f32_e32 v53, v48, v45
	v_mul_f32_e32 v54, v53, v53
	v_mov_b32_e32 v55, 0x3ecc95a3
	v_fmac_f32_e32 v55, 0x3e9b6dac, v54
	v_mov_b32_e32 v56, 0x3f2aaada
	v_fmac_f32_e32 v56, v54, v55
	v_mul_f32_e32 v55, 0x3f317218, v44
	v_fma_f32 v57, v44, s8, -v55
	v_fmac_f32_e32 v57, 0xb102e308, v44
	v_sub_f32_e32 v44, v53, v48
	v_sub_f32_e32 v44, v45, v44
	v_add_f32_e32 v45, v55, v57
	v_sub_f32_e32 v48, v45, v55
	v_ldexp_f32 v55, v53, 1
	v_mul_f32_e32 v53, v53, v54
	v_mul_f32_e32 v53, v53, v56
	v_add_f32_e32 v54, v55, v53
	v_sub_f32_e32 v55, v54, v55
	v_ldexp_f32 v44, v44, 1
	v_sub_f32_e32 v53, v53, v55
	v_add_f32_e32 v44, v44, v53
	v_add_f32_e32 v53, v54, v44
	v_sub_f32_e32 v54, v53, v54
	v_sub_f32_e32 v44, v44, v54
	v_add_f32_e32 v54, v45, v53
	v_sub_f32_e32 v55, v54, v45
	v_sub_f32_e32 v56, v54, v55
	v_sub_f32_e32 v48, v57, v48
	v_sub_f32_e32 v45, v45, v56
	v_sub_f32_e32 v53, v53, v55
	v_add_f32_e32 v45, v53, v45
	v_add_f32_e32 v53, v48, v44
	v_sub_f32_e32 v55, v53, v48
	v_sub_f32_e32 v56, v53, v55
	;; [unrolled: 1-line block ×4, first 2 shown]
	v_add_f32_e32 v45, v53, v45
	v_add_f32_e32 v44, v44, v48
	;; [unrolled: 1-line block ×3, first 2 shown]
	v_sub_f32_e32 v53, v48, v54
	v_sub_f32_e32 v45, v45, v53
	v_add_f32_e32 v44, v44, v45
	v_add_f32_e32 v44, v48, v44
	v_cmp_neq_f32_e32 vcc, s7, v47
	s_mov_b32 s7, 0x33800000
	v_cndmask_b32_e32 v44, v46, v44, vcc
	v_cmp_lt_f32_e64 vcc, |v47|, s7
	v_cndmask_b32_e32 v44, v44, v47, vcc
	v_add_f32_e32 v44, v42, v44
.LBB459_86:
	s_or_b64 exec, exec, s[2:3]
	v_bfe_u32 v42, v44, 16, 1
	s_movk_i32 s7, 0x7fff
	v_add3_u32 v42, v44, v42, s7
	v_and_b32_e32 v42, 0xffff0000, v42
	v_mov_b32_e32 v45, 0x7fc00000
	v_cmp_o_f32_e32 vcc, v44, v44
	v_cndmask_b32_e32 v47, v45, v42, vcc
	v_lshlrev_b32_e32 v42, 16, v7
	v_max_f32_e32 v46, v47, v47
	v_max_f32_e32 v44, v42, v42
	v_min_f32_e32 v48, v46, v44
	v_cmp_u_f32_e32 vcc, v47, v47
	v_max_f32_e32 v46, v46, v44
	v_cndmask_b32_e32 v48, v48, v47, vcc
	v_cmp_u_f32_e64 s[88:89], v42, v42
	v_cndmask_b32_e32 v46, v46, v47, vcc
	v_cndmask_b32_e64 v48, v48, v42, s[88:89]
	v_cndmask_b32_e64 v46, v46, v42, s[88:89]
	v_cmp_neq_f32_e32 vcc, v48, v46
	v_cmp_class_f32_e64 s[2:3], v48, s6
	s_or_b64 s[8:9], vcc, s[2:3]
	s_and_saveexec_b64 s[2:3], s[8:9]
	s_cbranch_execz .LBB459_88
; %bb.87:
	v_sub_f32_e32 v47, v48, v46
	s_mov_b32 s6, 0x3fb8aa3b
	v_mul_f32_e32 v48, 0x3fb8aa3b, v47
	v_fma_f32 v53, v47, s6, -v48
	v_rndne_f32_e32 v54, v48
	v_fmac_f32_e32 v53, 0x32a5705f, v47
	v_sub_f32_e32 v48, v48, v54
	v_add_f32_e32 v48, v48, v53
	v_exp_f32_e32 v48, v48
	v_cvt_i32_f32_e32 v53, v54
	s_mov_b32 s6, 0xc2ce8ed0
	v_cmp_ngt_f32_e32 vcc, s6, v47
	s_mov_b32 s6, 0x42b17218
	v_ldexp_f32 v48, v48, v53
	v_cndmask_b32_e32 v48, 0, v48, vcc
	v_mov_b32_e32 v53, 0x7f800000
	v_cmp_nlt_f32_e32 vcc, s6, v47
	v_cndmask_b32_e32 v54, v53, v48, vcc
	v_add_f32_e32 v55, 1.0, v54
	v_cvt_f64_f32_e32 v[47:48], v55
	v_add_f32_e32 v56, -1.0, v55
	v_sub_f32_e32 v57, v56, v55
	v_sub_f32_e32 v56, v54, v56
	v_frexp_exp_i32_f64_e32 v47, v[47:48]
	v_add_f32_e32 v48, 1.0, v57
	v_add_f32_e32 v48, v56, v48
	v_frexp_mant_f32_e32 v56, v55
	s_mov_b32 s8, 0x3f2aaaab
	v_cmp_gt_f32_e32 vcc, s8, v56
	s_mov_b32 s8, 0x3f317218
	s_mov_b32 s6, 0x7f800000
	v_subbrev_co_u32_e32 v47, vcc, 0, v47, vcc
	v_sub_u32_e32 v56, 0, v47
	v_ldexp_f32 v55, v55, v56
	v_ldexp_f32 v48, v48, v56
	v_add_f32_e32 v56, -1.0, v55
	v_add_f32_e32 v59, 1.0, v55
	v_add_f32_e32 v57, 1.0, v56
	v_add_f32_e32 v60, -1.0, v59
	v_sub_f32_e32 v57, v55, v57
	v_sub_f32_e32 v55, v55, v60
	v_add_f32_e32 v57, v48, v57
	v_add_f32_e32 v48, v48, v55
	;; [unrolled: 1-line block ×3, first 2 shown]
	v_rcp_f32_e32 v60, v55
	v_add_f32_e32 v58, v56, v57
	v_sub_f32_e32 v56, v56, v58
	v_add_f32_e32 v56, v57, v56
	v_sub_f32_e32 v57, v59, v55
	v_add_f32_e32 v48, v48, v57
	v_mul_f32_e32 v57, v58, v60
	v_mul_f32_e32 v59, v55, v57
	v_fma_f32 v61, v57, v55, -v59
	v_fmac_f32_e32 v61, v57, v48
	v_add_f32_e32 v62, v59, v61
	v_sub_f32_e32 v63, v58, v62
	v_sub_f32_e32 v58, v58, v63
	;; [unrolled: 1-line block ×4, first 2 shown]
	v_add_f32_e32 v56, v56, v58
	v_sub_f32_e32 v58, v59, v61
	v_add_f32_e32 v56, v58, v56
	v_add_f32_e32 v58, v63, v56
	v_mul_f32_e32 v59, v60, v58
	v_mul_f32_e32 v61, v55, v59
	v_fma_f32 v55, v59, v55, -v61
	v_fmac_f32_e32 v55, v59, v48
	v_sub_f32_e32 v48, v63, v58
	v_add_f32_e32 v48, v56, v48
	v_add_f32_e32 v56, v61, v55
	v_sub_f32_e32 v62, v58, v56
	v_sub_f32_e32 v58, v58, v62
	;; [unrolled: 1-line block ×4, first 2 shown]
	v_add_f32_e32 v48, v48, v56
	v_sub_f32_e32 v55, v61, v55
	v_add_f32_e32 v48, v55, v48
	v_add_f32_e32 v55, v57, v59
	;; [unrolled: 1-line block ×3, first 2 shown]
	v_sub_f32_e32 v56, v55, v57
	v_mul_f32_e32 v48, v60, v48
	v_sub_f32_e32 v56, v59, v56
	v_add_f32_e32 v48, v56, v48
	v_cvt_f32_i32_e32 v47, v47
	v_add_f32_e32 v56, v55, v48
	v_mul_f32_e32 v57, v56, v56
	v_mov_b32_e32 v58, 0x3ecc95a3
	v_fmac_f32_e32 v58, 0x3e9b6dac, v57
	v_mov_b32_e32 v59, 0x3f2aaada
	v_fmac_f32_e32 v59, v57, v58
	v_mul_f32_e32 v58, 0x3f317218, v47
	v_fma_f32 v60, v47, s8, -v58
	v_fmac_f32_e32 v60, 0xb102e308, v47
	v_sub_f32_e32 v47, v56, v55
	v_sub_f32_e32 v47, v48, v47
	v_add_f32_e32 v48, v58, v60
	v_sub_f32_e32 v55, v48, v58
	v_ldexp_f32 v58, v56, 1
	v_mul_f32_e32 v56, v56, v57
	v_mul_f32_e32 v56, v56, v59
	v_add_f32_e32 v57, v58, v56
	v_sub_f32_e32 v58, v57, v58
	v_ldexp_f32 v47, v47, 1
	v_sub_f32_e32 v56, v56, v58
	v_add_f32_e32 v47, v47, v56
	v_add_f32_e32 v56, v57, v47
	v_sub_f32_e32 v57, v56, v57
	v_sub_f32_e32 v47, v47, v57
	v_add_f32_e32 v57, v48, v56
	v_sub_f32_e32 v58, v57, v48
	v_sub_f32_e32 v59, v57, v58
	;; [unrolled: 1-line block ×5, first 2 shown]
	v_add_f32_e32 v48, v56, v48
	v_add_f32_e32 v56, v55, v47
	v_sub_f32_e32 v58, v56, v55
	v_sub_f32_e32 v59, v56, v58
	;; [unrolled: 1-line block ×4, first 2 shown]
	v_add_f32_e32 v48, v56, v48
	v_add_f32_e32 v47, v47, v55
	v_add_f32_e32 v55, v57, v48
	v_sub_f32_e32 v56, v55, v57
	v_sub_f32_e32 v48, v48, v56
	v_add_f32_e32 v47, v47, v48
	v_add_f32_e32 v47, v55, v47
	v_cmp_neq_f32_e32 vcc, s6, v54
	s_mov_b32 s6, 0x33800000
	v_cndmask_b32_e32 v47, v53, v47, vcc
	v_cmp_lt_f32_e64 vcc, |v54|, s6
	v_cndmask_b32_e32 v47, v47, v54, vcc
	v_add_f32_e32 v47, v46, v47
.LBB459_88:
	s_or_b64 exec, exec, s[2:3]
	v_bfe_u32 v46, v47, 16, 1
	v_add3_u32 v46, v47, v46, s7
	v_and_b32_e32 v46, 0xffff0000, v46
	v_cmp_o_f32_e32 vcc, v47, v47
	v_cndmask_b32_e32 v47, v45, v46, vcc
	v_and_b32_e32 v7, 0xffff0000, v7
	v_max_f32_e32 v45, v47, v47
	v_max_f32_e32 v46, v7, v7
	v_min_f32_e32 v48, v45, v46
	v_cmp_u_f32_e32 vcc, v47, v47
	v_max_f32_e32 v45, v45, v46
	v_cndmask_b32_e32 v48, v48, v47, vcc
	v_cmp_u_f32_e64 s[90:91], v7, v7
	v_cndmask_b32_e32 v45, v45, v47, vcc
	v_cndmask_b32_e64 v48, v48, v7, s[90:91]
	v_cndmask_b32_e64 v45, v45, v7, s[90:91]
	s_movk_i32 s6, 0x1f8
	v_cmp_neq_f32_e32 vcc, v48, v45
	v_cmp_class_f32_e64 s[2:3], v48, s6
	s_or_b64 s[8:9], vcc, s[2:3]
	s_and_saveexec_b64 s[2:3], s[8:9]
	s_cbranch_execz .LBB459_90
; %bb.89:
	v_sub_f32_e32 v47, v48, v45
	s_mov_b32 s7, 0x3fb8aa3b
	v_mul_f32_e32 v48, 0x3fb8aa3b, v47
	v_fma_f32 v53, v47, s7, -v48
	v_rndne_f32_e32 v54, v48
	v_fmac_f32_e32 v53, 0x32a5705f, v47
	v_sub_f32_e32 v48, v48, v54
	v_add_f32_e32 v48, v48, v53
	v_exp_f32_e32 v48, v48
	v_cvt_i32_f32_e32 v53, v54
	s_mov_b32 s7, 0xc2ce8ed0
	v_cmp_ngt_f32_e32 vcc, s7, v47
	s_mov_b32 s7, 0x42b17218
	v_ldexp_f32 v48, v48, v53
	v_cndmask_b32_e32 v48, 0, v48, vcc
	v_mov_b32_e32 v53, 0x7f800000
	v_cmp_nlt_f32_e32 vcc, s7, v47
	v_cndmask_b32_e32 v54, v53, v48, vcc
	v_add_f32_e32 v55, 1.0, v54
	v_cvt_f64_f32_e32 v[47:48], v55
	v_add_f32_e32 v56, -1.0, v55
	v_sub_f32_e32 v57, v56, v55
	v_sub_f32_e32 v56, v54, v56
	v_frexp_exp_i32_f64_e32 v47, v[47:48]
	v_add_f32_e32 v48, 1.0, v57
	v_add_f32_e32 v48, v56, v48
	v_frexp_mant_f32_e32 v56, v55
	s_mov_b32 s8, 0x3f2aaaab
	v_cmp_gt_f32_e32 vcc, s8, v56
	s_mov_b32 s8, 0x3f317218
	s_mov_b32 s7, 0x7f800000
	v_subbrev_co_u32_e32 v47, vcc, 0, v47, vcc
	v_sub_u32_e32 v56, 0, v47
	v_ldexp_f32 v55, v55, v56
	v_ldexp_f32 v48, v48, v56
	v_add_f32_e32 v56, -1.0, v55
	v_add_f32_e32 v59, 1.0, v55
	v_add_f32_e32 v57, 1.0, v56
	v_add_f32_e32 v60, -1.0, v59
	v_sub_f32_e32 v57, v55, v57
	v_sub_f32_e32 v55, v55, v60
	v_add_f32_e32 v57, v48, v57
	v_add_f32_e32 v48, v48, v55
	;; [unrolled: 1-line block ×3, first 2 shown]
	v_rcp_f32_e32 v60, v55
	v_add_f32_e32 v58, v56, v57
	v_sub_f32_e32 v56, v56, v58
	v_add_f32_e32 v56, v57, v56
	v_sub_f32_e32 v57, v59, v55
	v_add_f32_e32 v48, v48, v57
	v_mul_f32_e32 v57, v58, v60
	v_mul_f32_e32 v59, v55, v57
	v_fma_f32 v61, v57, v55, -v59
	v_fmac_f32_e32 v61, v57, v48
	v_add_f32_e32 v62, v59, v61
	v_sub_f32_e32 v63, v58, v62
	v_sub_f32_e32 v58, v58, v63
	;; [unrolled: 1-line block ×4, first 2 shown]
	v_add_f32_e32 v56, v56, v58
	v_sub_f32_e32 v58, v59, v61
	v_add_f32_e32 v56, v58, v56
	v_add_f32_e32 v58, v63, v56
	v_mul_f32_e32 v59, v60, v58
	v_mul_f32_e32 v61, v55, v59
	v_fma_f32 v55, v59, v55, -v61
	v_fmac_f32_e32 v55, v59, v48
	v_sub_f32_e32 v48, v63, v58
	v_add_f32_e32 v48, v56, v48
	v_add_f32_e32 v56, v61, v55
	v_sub_f32_e32 v62, v58, v56
	v_sub_f32_e32 v58, v58, v62
	;; [unrolled: 1-line block ×4, first 2 shown]
	v_add_f32_e32 v48, v48, v56
	v_sub_f32_e32 v55, v61, v55
	v_add_f32_e32 v48, v55, v48
	v_add_f32_e32 v55, v57, v59
	;; [unrolled: 1-line block ×3, first 2 shown]
	v_sub_f32_e32 v56, v55, v57
	v_mul_f32_e32 v48, v60, v48
	v_sub_f32_e32 v56, v59, v56
	v_add_f32_e32 v48, v56, v48
	v_cvt_f32_i32_e32 v47, v47
	v_add_f32_e32 v56, v55, v48
	v_mul_f32_e32 v57, v56, v56
	v_mov_b32_e32 v58, 0x3ecc95a3
	v_fmac_f32_e32 v58, 0x3e9b6dac, v57
	v_mov_b32_e32 v59, 0x3f2aaada
	v_fmac_f32_e32 v59, v57, v58
	v_mul_f32_e32 v58, 0x3f317218, v47
	v_fma_f32 v60, v47, s8, -v58
	v_fmac_f32_e32 v60, 0xb102e308, v47
	v_sub_f32_e32 v47, v56, v55
	v_sub_f32_e32 v47, v48, v47
	v_add_f32_e32 v48, v58, v60
	v_sub_f32_e32 v55, v48, v58
	v_ldexp_f32 v58, v56, 1
	v_mul_f32_e32 v56, v56, v57
	v_mul_f32_e32 v56, v56, v59
	v_add_f32_e32 v57, v58, v56
	v_sub_f32_e32 v58, v57, v58
	v_ldexp_f32 v47, v47, 1
	v_sub_f32_e32 v56, v56, v58
	v_add_f32_e32 v47, v47, v56
	v_add_f32_e32 v56, v57, v47
	v_sub_f32_e32 v57, v56, v57
	v_sub_f32_e32 v47, v47, v57
	v_add_f32_e32 v57, v48, v56
	v_sub_f32_e32 v58, v57, v48
	v_sub_f32_e32 v59, v57, v58
	v_sub_f32_e32 v55, v60, v55
	v_sub_f32_e32 v48, v48, v59
	v_sub_f32_e32 v56, v56, v58
	v_add_f32_e32 v48, v56, v48
	v_add_f32_e32 v56, v55, v47
	v_sub_f32_e32 v58, v56, v55
	v_sub_f32_e32 v59, v56, v58
	;; [unrolled: 1-line block ×4, first 2 shown]
	v_add_f32_e32 v48, v56, v48
	v_add_f32_e32 v47, v47, v55
	;; [unrolled: 1-line block ×3, first 2 shown]
	v_sub_f32_e32 v56, v55, v57
	v_sub_f32_e32 v48, v48, v56
	v_add_f32_e32 v47, v47, v48
	v_add_f32_e32 v47, v55, v47
	v_cmp_neq_f32_e32 vcc, s7, v54
	s_mov_b32 s7, 0x33800000
	v_cndmask_b32_e32 v47, v53, v47, vcc
	v_cmp_lt_f32_e64 vcc, |v54|, s7
	v_cndmask_b32_e32 v47, v47, v54, vcc
	v_add_f32_e32 v47, v45, v47
.LBB459_90:
	s_or_b64 exec, exec, s[2:3]
	v_bfe_u32 v45, v47, 16, 1
	s_movk_i32 s7, 0x7fff
	v_add3_u32 v45, v47, v45, s7
	v_and_b32_e32 v45, 0xffff0000, v45
	v_mov_b32_e32 v48, 0x7fc00000
	v_cmp_o_f32_e32 vcc, v47, v47
	v_cndmask_b32_e32 v54, v48, v45, vcc
	v_lshlrev_b32_e32 v45, 16, v8
	v_max_f32_e32 v53, v54, v54
	v_max_f32_e32 v47, v45, v45
	v_min_f32_e32 v55, v53, v47
	v_cmp_u_f32_e32 vcc, v54, v54
	v_max_f32_e32 v53, v53, v47
	v_cndmask_b32_e32 v55, v55, v54, vcc
	v_cmp_u_f32_e64 s[92:93], v45, v45
	v_cndmask_b32_e32 v53, v53, v54, vcc
	v_cndmask_b32_e64 v55, v55, v45, s[92:93]
	v_cndmask_b32_e64 v53, v53, v45, s[92:93]
	v_cmp_neq_f32_e32 vcc, v55, v53
	v_cmp_class_f32_e64 s[2:3], v55, s6
	s_or_b64 s[8:9], vcc, s[2:3]
	s_and_saveexec_b64 s[2:3], s[8:9]
	s_cbranch_execz .LBB459_92
; %bb.91:
	v_sub_f32_e32 v54, v55, v53
	s_mov_b32 s6, 0x3fb8aa3b
	v_mul_f32_e32 v55, 0x3fb8aa3b, v54
	v_fma_f32 v56, v54, s6, -v55
	v_rndne_f32_e32 v57, v55
	v_fmac_f32_e32 v56, 0x32a5705f, v54
	v_sub_f32_e32 v55, v55, v57
	v_add_f32_e32 v55, v55, v56
	v_exp_f32_e32 v55, v55
	v_cvt_i32_f32_e32 v56, v57
	s_mov_b32 s6, 0xc2ce8ed0
	v_cmp_ngt_f32_e32 vcc, s6, v54
	s_mov_b32 s6, 0x42b17218
	v_ldexp_f32 v55, v55, v56
	v_cndmask_b32_e32 v55, 0, v55, vcc
	v_mov_b32_e32 v56, 0x7f800000
	v_cmp_nlt_f32_e32 vcc, s6, v54
	v_cndmask_b32_e32 v57, v56, v55, vcc
	v_add_f32_e32 v58, 1.0, v57
	v_cvt_f64_f32_e32 v[54:55], v58
	v_add_f32_e32 v59, -1.0, v58
	v_sub_f32_e32 v60, v59, v58
	v_sub_f32_e32 v59, v57, v59
	v_frexp_exp_i32_f64_e32 v54, v[54:55]
	v_add_f32_e32 v55, 1.0, v60
	v_add_f32_e32 v55, v59, v55
	v_frexp_mant_f32_e32 v59, v58
	s_mov_b32 s8, 0x3f2aaaab
	v_cmp_gt_f32_e32 vcc, s8, v59
	s_mov_b32 s8, 0x3f317218
	s_mov_b32 s6, 0x7f800000
	v_subbrev_co_u32_e32 v54, vcc, 0, v54, vcc
	v_sub_u32_e32 v59, 0, v54
	v_ldexp_f32 v58, v58, v59
	v_ldexp_f32 v55, v55, v59
	v_add_f32_e32 v59, -1.0, v58
	v_add_f32_e32 v62, 1.0, v58
	v_add_f32_e32 v60, 1.0, v59
	v_add_f32_e32 v63, -1.0, v62
	v_sub_f32_e32 v60, v58, v60
	v_sub_f32_e32 v58, v58, v63
	v_add_f32_e32 v60, v55, v60
	v_add_f32_e32 v55, v55, v58
	;; [unrolled: 1-line block ×3, first 2 shown]
	v_rcp_f32_e32 v63, v58
	v_add_f32_e32 v61, v59, v60
	v_sub_f32_e32 v59, v59, v61
	v_add_f32_e32 v59, v60, v59
	v_sub_f32_e32 v60, v62, v58
	v_add_f32_e32 v55, v55, v60
	v_mul_f32_e32 v60, v61, v63
	v_mul_f32_e32 v62, v58, v60
	v_fma_f32 v64, v60, v58, -v62
	v_fmac_f32_e32 v64, v60, v55
	v_add_f32_e32 v65, v62, v64
	v_sub_f32_e32 v66, v61, v65
	v_sub_f32_e32 v61, v61, v66
	;; [unrolled: 1-line block ×4, first 2 shown]
	v_add_f32_e32 v59, v59, v61
	v_sub_f32_e32 v61, v62, v64
	v_add_f32_e32 v59, v61, v59
	v_add_f32_e32 v61, v66, v59
	v_mul_f32_e32 v62, v63, v61
	v_mul_f32_e32 v64, v58, v62
	v_fma_f32 v58, v62, v58, -v64
	v_fmac_f32_e32 v58, v62, v55
	v_sub_f32_e32 v55, v66, v61
	v_add_f32_e32 v55, v59, v55
	v_add_f32_e32 v59, v64, v58
	v_sub_f32_e32 v65, v61, v59
	v_sub_f32_e32 v61, v61, v65
	v_sub_f32_e32 v64, v59, v64
	v_sub_f32_e32 v59, v61, v59
	v_add_f32_e32 v55, v55, v59
	v_sub_f32_e32 v58, v64, v58
	v_add_f32_e32 v55, v58, v55
	v_add_f32_e32 v58, v60, v62
	;; [unrolled: 1-line block ×3, first 2 shown]
	v_sub_f32_e32 v59, v58, v60
	v_mul_f32_e32 v55, v63, v55
	v_sub_f32_e32 v59, v62, v59
	v_add_f32_e32 v55, v59, v55
	v_cvt_f32_i32_e32 v54, v54
	v_add_f32_e32 v59, v58, v55
	v_mul_f32_e32 v60, v59, v59
	v_mov_b32_e32 v61, 0x3ecc95a3
	v_fmac_f32_e32 v61, 0x3e9b6dac, v60
	v_mov_b32_e32 v62, 0x3f2aaada
	v_fmac_f32_e32 v62, v60, v61
	v_mul_f32_e32 v61, 0x3f317218, v54
	v_fma_f32 v63, v54, s8, -v61
	v_fmac_f32_e32 v63, 0xb102e308, v54
	v_sub_f32_e32 v54, v59, v58
	v_sub_f32_e32 v54, v55, v54
	v_add_f32_e32 v55, v61, v63
	v_sub_f32_e32 v58, v55, v61
	v_ldexp_f32 v61, v59, 1
	v_mul_f32_e32 v59, v59, v60
	v_mul_f32_e32 v59, v59, v62
	v_add_f32_e32 v60, v61, v59
	v_sub_f32_e32 v61, v60, v61
	v_ldexp_f32 v54, v54, 1
	v_sub_f32_e32 v59, v59, v61
	v_add_f32_e32 v54, v54, v59
	v_add_f32_e32 v59, v60, v54
	v_sub_f32_e32 v60, v59, v60
	v_sub_f32_e32 v54, v54, v60
	v_add_f32_e32 v60, v55, v59
	v_sub_f32_e32 v61, v60, v55
	v_sub_f32_e32 v62, v60, v61
	;; [unrolled: 1-line block ×5, first 2 shown]
	v_add_f32_e32 v55, v59, v55
	v_add_f32_e32 v59, v58, v54
	v_sub_f32_e32 v61, v59, v58
	v_sub_f32_e32 v62, v59, v61
	;; [unrolled: 1-line block ×4, first 2 shown]
	v_add_f32_e32 v55, v59, v55
	v_add_f32_e32 v54, v54, v58
	;; [unrolled: 1-line block ×3, first 2 shown]
	v_sub_f32_e32 v59, v58, v60
	v_sub_f32_e32 v55, v55, v59
	v_add_f32_e32 v54, v54, v55
	v_add_f32_e32 v54, v58, v54
	v_cmp_neq_f32_e32 vcc, s6, v57
	s_mov_b32 s6, 0x33800000
	v_cndmask_b32_e32 v54, v56, v54, vcc
	v_cmp_lt_f32_e64 vcc, |v57|, s6
	v_cndmask_b32_e32 v54, v54, v57, vcc
	v_add_f32_e32 v54, v53, v54
.LBB459_92:
	s_or_b64 exec, exec, s[2:3]
	v_bfe_u32 v53, v54, 16, 1
	v_add3_u32 v53, v54, v53, s7
	v_and_b32_e32 v53, 0xffff0000, v53
	v_cmp_o_f32_e32 vcc, v54, v54
	v_cndmask_b32_e32 v54, v48, v53, vcc
	v_and_b32_e32 v8, 0xffff0000, v8
	v_max_f32_e32 v53, v54, v54
	v_max_f32_e32 v48, v8, v8
	v_min_f32_e32 v55, v53, v48
	v_cmp_u_f32_e32 vcc, v54, v54
	v_max_f32_e32 v53, v53, v48
	v_cndmask_b32_e32 v55, v55, v54, vcc
	v_cmp_u_f32_e64 s[94:95], v8, v8
	v_cndmask_b32_e32 v53, v53, v54, vcc
	v_cndmask_b32_e64 v55, v55, v8, s[94:95]
	v_cndmask_b32_e64 v53, v53, v8, s[94:95]
	s_movk_i32 s2, 0x1f8
	v_cmp_neq_f32_e32 vcc, v55, v53
	v_cmp_class_f32_e64 s[2:3], v55, s2
	s_or_b64 s[6:7], vcc, s[2:3]
	s_and_saveexec_b64 s[2:3], s[6:7]
	s_cbranch_execz .LBB459_94
; %bb.93:
	v_sub_f32_e32 v54, v55, v53
	s_mov_b32 s6, 0x3fb8aa3b
	v_mul_f32_e32 v55, 0x3fb8aa3b, v54
	v_fma_f32 v56, v54, s6, -v55
	v_rndne_f32_e32 v57, v55
	v_fmac_f32_e32 v56, 0x32a5705f, v54
	v_sub_f32_e32 v55, v55, v57
	v_add_f32_e32 v55, v55, v56
	v_exp_f32_e32 v55, v55
	v_cvt_i32_f32_e32 v56, v57
	s_mov_b32 s6, 0xc2ce8ed0
	v_cmp_ngt_f32_e32 vcc, s6, v54
	s_mov_b32 s6, 0x42b17218
	v_ldexp_f32 v55, v55, v56
	v_cndmask_b32_e32 v55, 0, v55, vcc
	v_mov_b32_e32 v56, 0x7f800000
	v_cmp_nlt_f32_e32 vcc, s6, v54
	v_cndmask_b32_e32 v57, v56, v55, vcc
	v_add_f32_e32 v58, 1.0, v57
	v_cvt_f64_f32_e32 v[54:55], v58
	v_add_f32_e32 v59, -1.0, v58
	v_sub_f32_e32 v60, v59, v58
	v_sub_f32_e32 v59, v57, v59
	v_frexp_exp_i32_f64_e32 v54, v[54:55]
	v_add_f32_e32 v55, 1.0, v60
	v_add_f32_e32 v55, v59, v55
	v_frexp_mant_f32_e32 v59, v58
	s_mov_b32 s7, 0x3f2aaaab
	v_cmp_gt_f32_e32 vcc, s7, v59
	s_mov_b32 s7, 0x3f317218
	s_mov_b32 s6, 0x7f800000
	v_subbrev_co_u32_e32 v54, vcc, 0, v54, vcc
	v_sub_u32_e32 v59, 0, v54
	v_ldexp_f32 v58, v58, v59
	v_ldexp_f32 v55, v55, v59
	v_add_f32_e32 v59, -1.0, v58
	v_add_f32_e32 v62, 1.0, v58
	v_add_f32_e32 v60, 1.0, v59
	v_add_f32_e32 v63, -1.0, v62
	v_sub_f32_e32 v60, v58, v60
	v_sub_f32_e32 v58, v58, v63
	v_add_f32_e32 v60, v55, v60
	v_add_f32_e32 v55, v55, v58
	v_add_f32_e32 v58, v62, v55
	v_rcp_f32_e32 v63, v58
	v_add_f32_e32 v61, v59, v60
	v_sub_f32_e32 v59, v59, v61
	v_add_f32_e32 v59, v60, v59
	v_sub_f32_e32 v60, v62, v58
	v_add_f32_e32 v55, v55, v60
	v_mul_f32_e32 v60, v61, v63
	v_mul_f32_e32 v62, v58, v60
	v_fma_f32 v64, v60, v58, -v62
	v_fmac_f32_e32 v64, v60, v55
	v_add_f32_e32 v65, v62, v64
	v_sub_f32_e32 v66, v61, v65
	v_sub_f32_e32 v61, v61, v66
	;; [unrolled: 1-line block ×4, first 2 shown]
	v_add_f32_e32 v59, v59, v61
	v_sub_f32_e32 v61, v62, v64
	v_add_f32_e32 v59, v61, v59
	v_add_f32_e32 v61, v66, v59
	v_mul_f32_e32 v62, v63, v61
	v_mul_f32_e32 v64, v58, v62
	v_fma_f32 v58, v62, v58, -v64
	v_fmac_f32_e32 v58, v62, v55
	v_sub_f32_e32 v55, v66, v61
	v_add_f32_e32 v55, v59, v55
	v_add_f32_e32 v59, v64, v58
	v_sub_f32_e32 v65, v61, v59
	v_sub_f32_e32 v61, v61, v65
	;; [unrolled: 1-line block ×4, first 2 shown]
	v_add_f32_e32 v55, v55, v59
	v_sub_f32_e32 v58, v64, v58
	v_add_f32_e32 v55, v58, v55
	v_add_f32_e32 v58, v60, v62
	;; [unrolled: 1-line block ×3, first 2 shown]
	v_sub_f32_e32 v59, v58, v60
	v_mul_f32_e32 v55, v63, v55
	v_sub_f32_e32 v59, v62, v59
	v_add_f32_e32 v55, v59, v55
	v_cvt_f32_i32_e32 v54, v54
	v_add_f32_e32 v59, v58, v55
	v_mul_f32_e32 v60, v59, v59
	v_mov_b32_e32 v61, 0x3ecc95a3
	v_fmac_f32_e32 v61, 0x3e9b6dac, v60
	v_mov_b32_e32 v62, 0x3f2aaada
	v_fmac_f32_e32 v62, v60, v61
	v_mul_f32_e32 v61, 0x3f317218, v54
	v_fma_f32 v63, v54, s7, -v61
	v_fmac_f32_e32 v63, 0xb102e308, v54
	v_sub_f32_e32 v54, v59, v58
	v_sub_f32_e32 v54, v55, v54
	v_add_f32_e32 v55, v61, v63
	v_sub_f32_e32 v58, v55, v61
	v_ldexp_f32 v61, v59, 1
	v_mul_f32_e32 v59, v59, v60
	v_mul_f32_e32 v59, v59, v62
	v_add_f32_e32 v60, v61, v59
	v_sub_f32_e32 v61, v60, v61
	v_ldexp_f32 v54, v54, 1
	v_sub_f32_e32 v59, v59, v61
	v_add_f32_e32 v54, v54, v59
	v_add_f32_e32 v59, v60, v54
	v_sub_f32_e32 v60, v59, v60
	v_sub_f32_e32 v54, v54, v60
	v_add_f32_e32 v60, v55, v59
	v_sub_f32_e32 v61, v60, v55
	v_sub_f32_e32 v62, v60, v61
	;; [unrolled: 1-line block ×5, first 2 shown]
	v_add_f32_e32 v55, v59, v55
	v_add_f32_e32 v59, v58, v54
	v_sub_f32_e32 v61, v59, v58
	v_sub_f32_e32 v62, v59, v61
	;; [unrolled: 1-line block ×4, first 2 shown]
	v_add_f32_e32 v55, v59, v55
	v_add_f32_e32 v54, v54, v58
	;; [unrolled: 1-line block ×3, first 2 shown]
	v_sub_f32_e32 v59, v58, v60
	v_sub_f32_e32 v55, v55, v59
	v_add_f32_e32 v54, v54, v55
	v_add_f32_e32 v54, v58, v54
	v_cmp_neq_f32_e32 vcc, s6, v57
	s_mov_b32 s6, 0x33800000
	v_cndmask_b32_e32 v54, v56, v54, vcc
	v_cmp_lt_f32_e64 vcc, |v57|, s6
	v_cndmask_b32_e32 v54, v54, v57, vcc
	v_add_f32_e32 v54, v53, v54
.LBB459_94:
	s_or_b64 exec, exec, s[2:3]
	s_load_dwordx2 s[6:7], s[4:5], 0x18
	v_bfe_u32 v53, v54, 16, 1
	s_movk_i32 s2, 0x7fff
	v_add3_u32 v53, v54, v53, s2
	v_cmp_o_f32_e32 vcc, v54, v54
	v_mov_b32_e32 v54, 0x7fc0
	v_cndmask_b32_sdwa v54, v54, v53, vcc dst_sel:DWORD dst_unused:UNUSED_PAD src0_sel:DWORD src1_sel:WORD_1
	v_lshrrev_b32_e32 v53, 4, v0
	v_and_b32_e32 v53, 14, v53
	v_lshl_add_u32 v53, v0, 1, v53
	v_cmp_gt_u32_e32 vcc, 64, v0
	ds_write_b16 v53, v54
	s_waitcnt lgkmcnt(0)
	s_barrier
	s_and_saveexec_b64 s[8:9], vcc
	s_cbranch_execz .LBB459_134
; %bb.95:
	v_lshrrev_b32_e32 v53, 2, v0
	v_and_b32_e32 v53, 62, v53
	v_lshlrev_b32_e32 v55, 3, v0
	v_add_u32_e32 v53, v53, v55
	ds_read_u16 v55, v53
	ds_read_u16 v56, v53 offset:2
	s_movk_i32 s11, 0x1f8
	s_waitcnt lgkmcnt(1)
	v_lshlrev_b32_e32 v55, 16, v55
	s_waitcnt lgkmcnt(0)
	v_lshlrev_b32_e32 v57, 16, v56
	v_max_f32_e32 v58, v57, v57
	v_max_f32_e32 v56, v55, v55
	v_min_f32_e32 v59, v56, v58
	v_cmp_u_f32_e64 s[4:5], v55, v55
	v_max_f32_e32 v58, v56, v58
	v_cndmask_b32_e64 v59, v59, v55, s[4:5]
	v_cmp_u_f32_e32 vcc, v57, v57
	v_cndmask_b32_e64 v58, v58, v55, s[4:5]
	v_cndmask_b32_e32 v59, v59, v57, vcc
	v_cndmask_b32_e32 v57, v58, v57, vcc
	v_cmp_neq_f32_e32 vcc, v59, v57
	v_cmp_class_f32_e64 s[2:3], v59, s11
	s_or_b64 vcc, vcc, s[2:3]
	v_mov_b32_e32 v58, v55
	s_and_saveexec_b64 s[2:3], vcc
	s_cbranch_execz .LBB459_97
; %bb.96:
	v_sub_f32_e32 v58, v59, v57
	s_mov_b32 s10, 0x3fb8aa3b
	v_mul_f32_e32 v59, 0x3fb8aa3b, v58
	v_fma_f32 v60, v58, s10, -v59
	v_rndne_f32_e32 v61, v59
	v_fmac_f32_e32 v60, 0x32a5705f, v58
	v_sub_f32_e32 v59, v59, v61
	v_add_f32_e32 v59, v59, v60
	v_exp_f32_e32 v59, v59
	v_cvt_i32_f32_e32 v60, v61
	s_mov_b32 s10, 0xc2ce8ed0
	v_cmp_ngt_f32_e32 vcc, s10, v58
	s_mov_b32 s10, 0x42b17218
	v_ldexp_f32 v59, v59, v60
	v_cndmask_b32_e32 v59, 0, v59, vcc
	v_mov_b32_e32 v60, 0x7f800000
	v_cmp_nlt_f32_e32 vcc, s10, v58
	v_cndmask_b32_e32 v61, v60, v59, vcc
	v_add_f32_e32 v62, 1.0, v61
	v_cvt_f64_f32_e32 v[58:59], v62
	v_add_f32_e32 v63, -1.0, v62
	v_sub_f32_e32 v64, v63, v62
	v_sub_f32_e32 v63, v61, v63
	v_frexp_exp_i32_f64_e32 v58, v[58:59]
	v_add_f32_e32 v59, 1.0, v64
	v_add_f32_e32 v59, v63, v59
	v_frexp_mant_f32_e32 v63, v62
	s_mov_b32 s12, 0x3f2aaaab
	v_cmp_gt_f32_e32 vcc, s12, v63
	s_mov_b32 s12, 0x3f317218
	s_mov_b32 s10, 0x7f800000
	v_subbrev_co_u32_e32 v58, vcc, 0, v58, vcc
	v_sub_u32_e32 v63, 0, v58
	v_ldexp_f32 v62, v62, v63
	v_ldexp_f32 v59, v59, v63
	v_add_f32_e32 v63, -1.0, v62
	v_add_f32_e32 v66, 1.0, v62
	v_add_f32_e32 v64, 1.0, v63
	v_add_f32_e32 v67, -1.0, v66
	v_sub_f32_e32 v64, v62, v64
	v_sub_f32_e32 v62, v62, v67
	v_add_f32_e32 v64, v59, v64
	v_add_f32_e32 v59, v59, v62
	;; [unrolled: 1-line block ×3, first 2 shown]
	v_rcp_f32_e32 v67, v62
	v_add_f32_e32 v65, v63, v64
	v_sub_f32_e32 v63, v63, v65
	v_add_f32_e32 v63, v64, v63
	v_sub_f32_e32 v64, v66, v62
	v_add_f32_e32 v59, v59, v64
	v_mul_f32_e32 v64, v65, v67
	v_mul_f32_e32 v66, v62, v64
	v_fma_f32 v68, v64, v62, -v66
	v_fmac_f32_e32 v68, v64, v59
	v_add_f32_e32 v69, v66, v68
	v_sub_f32_e32 v70, v65, v69
	v_sub_f32_e32 v65, v65, v70
	;; [unrolled: 1-line block ×4, first 2 shown]
	v_add_f32_e32 v63, v63, v65
	v_sub_f32_e32 v65, v66, v68
	v_add_f32_e32 v63, v65, v63
	v_add_f32_e32 v65, v70, v63
	v_mul_f32_e32 v66, v67, v65
	v_mul_f32_e32 v68, v62, v66
	v_fma_f32 v62, v66, v62, -v68
	v_fmac_f32_e32 v62, v66, v59
	v_sub_f32_e32 v59, v70, v65
	v_add_f32_e32 v59, v63, v59
	v_add_f32_e32 v63, v68, v62
	v_sub_f32_e32 v69, v65, v63
	v_sub_f32_e32 v65, v65, v69
	;; [unrolled: 1-line block ×4, first 2 shown]
	v_add_f32_e32 v59, v59, v63
	v_sub_f32_e32 v62, v68, v62
	v_add_f32_e32 v59, v62, v59
	v_add_f32_e32 v62, v64, v66
	;; [unrolled: 1-line block ×3, first 2 shown]
	v_sub_f32_e32 v63, v62, v64
	v_mul_f32_e32 v59, v67, v59
	v_sub_f32_e32 v63, v66, v63
	v_add_f32_e32 v59, v63, v59
	v_cvt_f32_i32_e32 v58, v58
	v_add_f32_e32 v63, v62, v59
	v_mul_f32_e32 v64, v63, v63
	v_mov_b32_e32 v65, 0x3ecc95a3
	v_fmac_f32_e32 v65, 0x3e9b6dac, v64
	v_mov_b32_e32 v66, 0x3f2aaada
	v_fmac_f32_e32 v66, v64, v65
	v_mul_f32_e32 v65, 0x3f317218, v58
	v_fma_f32 v67, v58, s12, -v65
	v_fmac_f32_e32 v67, 0xb102e308, v58
	v_sub_f32_e32 v58, v63, v62
	v_sub_f32_e32 v58, v59, v58
	v_add_f32_e32 v59, v65, v67
	v_sub_f32_e32 v62, v59, v65
	v_ldexp_f32 v65, v63, 1
	v_mul_f32_e32 v63, v63, v64
	v_mul_f32_e32 v63, v63, v66
	v_add_f32_e32 v64, v65, v63
	v_sub_f32_e32 v65, v64, v65
	v_ldexp_f32 v58, v58, 1
	v_sub_f32_e32 v63, v63, v65
	v_add_f32_e32 v58, v58, v63
	v_add_f32_e32 v63, v64, v58
	v_sub_f32_e32 v64, v63, v64
	v_sub_f32_e32 v58, v58, v64
	v_add_f32_e32 v64, v59, v63
	v_sub_f32_e32 v65, v64, v59
	v_sub_f32_e32 v66, v64, v65
	;; [unrolled: 1-line block ×5, first 2 shown]
	v_add_f32_e32 v59, v63, v59
	v_add_f32_e32 v63, v62, v58
	v_sub_f32_e32 v65, v63, v62
	v_sub_f32_e32 v66, v63, v65
	;; [unrolled: 1-line block ×4, first 2 shown]
	v_add_f32_e32 v59, v63, v59
	v_add_f32_e32 v58, v58, v62
	;; [unrolled: 1-line block ×3, first 2 shown]
	v_sub_f32_e32 v63, v62, v64
	v_sub_f32_e32 v59, v59, v63
	v_add_f32_e32 v58, v58, v59
	v_add_f32_e32 v58, v62, v58
	v_cmp_neq_f32_e32 vcc, s10, v61
	s_mov_b32 s10, 0x33800000
	v_cndmask_b32_e32 v58, v60, v58, vcc
	v_cmp_lt_f32_e64 vcc, |v61|, s10
	v_cndmask_b32_e32 v58, v58, v61, vcc
	v_add_f32_e32 v58, v57, v58
.LBB459_97:
	s_or_b64 exec, exec, s[2:3]
	ds_read_u16 v60, v53 offset:4
	v_bfe_u32 v57, v58, 16, 1
	s_movk_i32 s10, 0x7fff
	v_add3_u32 v57, v58, v57, s10
	v_and_b32_e32 v59, 0xffff0000, v57
	v_mov_b32_e32 v57, 0x7fc00000
	v_cmp_o_f32_e32 vcc, v58, v58
	v_cndmask_b32_e32 v59, v57, v59, vcc
	s_waitcnt lgkmcnt(0)
	v_lshlrev_b32_e32 v58, 16, v60
	v_max_f32_e32 v61, v59, v59
	v_max_f32_e32 v62, v58, v58
	v_min_f32_e32 v60, v61, v62
	v_cmp_u_f32_e32 vcc, v59, v59
	v_max_f32_e32 v61, v61, v62
	v_cndmask_b32_e32 v60, v60, v59, vcc
	v_cmp_u_f32_e64 s[2:3], v58, v58
	v_cndmask_b32_e32 v61, v61, v59, vcc
	v_cndmask_b32_e64 v60, v60, v58, s[2:3]
	v_cndmask_b32_e64 v58, v61, v58, s[2:3]
	v_cmp_neq_f32_e32 vcc, v60, v58
	v_cmp_class_f32_e64 s[2:3], v60, s11
	s_or_b64 vcc, vcc, s[2:3]
	s_and_saveexec_b64 s[2:3], vcc
	s_cbranch_execz .LBB459_99
; %bb.98:
	v_sub_f32_e32 v59, v60, v58
	s_mov_b32 s11, 0x3fb8aa3b
	v_mul_f32_e32 v60, 0x3fb8aa3b, v59
	v_fma_f32 v61, v59, s11, -v60
	v_rndne_f32_e32 v62, v60
	v_fmac_f32_e32 v61, 0x32a5705f, v59
	v_sub_f32_e32 v60, v60, v62
	v_add_f32_e32 v60, v60, v61
	v_exp_f32_e32 v60, v60
	v_cvt_i32_f32_e32 v61, v62
	s_mov_b32 s11, 0xc2ce8ed0
	v_cmp_ngt_f32_e32 vcc, s11, v59
	s_mov_b32 s11, 0x42b17218
	v_ldexp_f32 v60, v60, v61
	v_cndmask_b32_e32 v60, 0, v60, vcc
	v_mov_b32_e32 v61, 0x7f800000
	v_cmp_nlt_f32_e32 vcc, s11, v59
	v_cndmask_b32_e32 v62, v61, v60, vcc
	v_add_f32_e32 v63, 1.0, v62
	v_cvt_f64_f32_e32 v[59:60], v63
	v_add_f32_e32 v64, -1.0, v63
	v_sub_f32_e32 v65, v64, v63
	v_sub_f32_e32 v64, v62, v64
	v_frexp_exp_i32_f64_e32 v59, v[59:60]
	v_add_f32_e32 v60, 1.0, v65
	v_add_f32_e32 v60, v64, v60
	v_frexp_mant_f32_e32 v64, v63
	s_mov_b32 s12, 0x3f2aaaab
	v_cmp_gt_f32_e32 vcc, s12, v64
	s_mov_b32 s12, 0x3f317218
	s_mov_b32 s11, 0x7f800000
	v_subbrev_co_u32_e32 v59, vcc, 0, v59, vcc
	v_sub_u32_e32 v64, 0, v59
	v_ldexp_f32 v63, v63, v64
	v_ldexp_f32 v60, v60, v64
	v_add_f32_e32 v64, -1.0, v63
	v_add_f32_e32 v67, 1.0, v63
	v_add_f32_e32 v65, 1.0, v64
	v_add_f32_e32 v68, -1.0, v67
	v_sub_f32_e32 v65, v63, v65
	v_sub_f32_e32 v63, v63, v68
	v_add_f32_e32 v65, v60, v65
	v_add_f32_e32 v60, v60, v63
	;; [unrolled: 1-line block ×3, first 2 shown]
	v_rcp_f32_e32 v68, v63
	v_add_f32_e32 v66, v64, v65
	v_sub_f32_e32 v64, v64, v66
	v_add_f32_e32 v64, v65, v64
	v_sub_f32_e32 v65, v67, v63
	v_add_f32_e32 v60, v60, v65
	v_mul_f32_e32 v65, v66, v68
	v_mul_f32_e32 v67, v63, v65
	v_fma_f32 v69, v65, v63, -v67
	v_fmac_f32_e32 v69, v65, v60
	v_add_f32_e32 v70, v67, v69
	v_sub_f32_e32 v71, v66, v70
	v_sub_f32_e32 v66, v66, v71
	;; [unrolled: 1-line block ×4, first 2 shown]
	v_add_f32_e32 v64, v64, v66
	v_sub_f32_e32 v66, v67, v69
	v_add_f32_e32 v64, v66, v64
	v_add_f32_e32 v66, v71, v64
	v_mul_f32_e32 v67, v68, v66
	v_mul_f32_e32 v69, v63, v67
	v_fma_f32 v63, v67, v63, -v69
	v_fmac_f32_e32 v63, v67, v60
	v_sub_f32_e32 v60, v71, v66
	v_add_f32_e32 v60, v64, v60
	v_add_f32_e32 v64, v69, v63
	v_sub_f32_e32 v70, v66, v64
	v_sub_f32_e32 v66, v66, v70
	;; [unrolled: 1-line block ×4, first 2 shown]
	v_add_f32_e32 v60, v60, v64
	v_sub_f32_e32 v63, v69, v63
	v_add_f32_e32 v60, v63, v60
	v_add_f32_e32 v63, v65, v67
	;; [unrolled: 1-line block ×3, first 2 shown]
	v_sub_f32_e32 v64, v63, v65
	v_mul_f32_e32 v60, v68, v60
	v_sub_f32_e32 v64, v67, v64
	v_add_f32_e32 v60, v64, v60
	v_cvt_f32_i32_e32 v59, v59
	v_add_f32_e32 v64, v63, v60
	v_mul_f32_e32 v65, v64, v64
	v_mov_b32_e32 v66, 0x3ecc95a3
	v_fmac_f32_e32 v66, 0x3e9b6dac, v65
	v_mov_b32_e32 v67, 0x3f2aaada
	v_fmac_f32_e32 v67, v65, v66
	v_mul_f32_e32 v66, 0x3f317218, v59
	v_fma_f32 v68, v59, s12, -v66
	v_fmac_f32_e32 v68, 0xb102e308, v59
	v_sub_f32_e32 v59, v64, v63
	v_sub_f32_e32 v59, v60, v59
	v_add_f32_e32 v60, v66, v68
	v_sub_f32_e32 v63, v60, v66
	v_ldexp_f32 v66, v64, 1
	v_mul_f32_e32 v64, v64, v65
	v_mul_f32_e32 v64, v64, v67
	v_add_f32_e32 v65, v66, v64
	v_sub_f32_e32 v66, v65, v66
	v_ldexp_f32 v59, v59, 1
	v_sub_f32_e32 v64, v64, v66
	v_add_f32_e32 v59, v59, v64
	v_add_f32_e32 v64, v65, v59
	v_sub_f32_e32 v65, v64, v65
	v_sub_f32_e32 v59, v59, v65
	v_add_f32_e32 v65, v60, v64
	v_sub_f32_e32 v66, v65, v60
	v_sub_f32_e32 v67, v65, v66
	;; [unrolled: 1-line block ×5, first 2 shown]
	v_add_f32_e32 v60, v64, v60
	v_add_f32_e32 v64, v63, v59
	v_sub_f32_e32 v66, v64, v63
	v_sub_f32_e32 v67, v64, v66
	;; [unrolled: 1-line block ×4, first 2 shown]
	v_add_f32_e32 v60, v64, v60
	v_add_f32_e32 v59, v59, v63
	;; [unrolled: 1-line block ×3, first 2 shown]
	v_sub_f32_e32 v64, v63, v65
	v_sub_f32_e32 v60, v60, v64
	v_add_f32_e32 v59, v59, v60
	v_add_f32_e32 v59, v63, v59
	v_cmp_neq_f32_e32 vcc, s11, v62
	s_mov_b32 s11, 0x33800000
	v_cndmask_b32_e32 v59, v61, v59, vcc
	v_cmp_lt_f32_e64 vcc, |v62|, s11
	v_cndmask_b32_e32 v59, v59, v62, vcc
	v_add_f32_e32 v59, v58, v59
.LBB459_99:
	s_or_b64 exec, exec, s[2:3]
	ds_read_u16 v60, v53 offset:6
	v_bfe_u32 v58, v59, 16, 1
	v_add3_u32 v58, v59, v58, s10
	v_and_b32_e32 v58, 0xffff0000, v58
	v_cmp_o_f32_e32 vcc, v59, v59
	v_cndmask_b32_e32 v58, v57, v58, vcc
	s_waitcnt lgkmcnt(0)
	v_lshlrev_b32_e32 v57, 16, v60
	v_max_f32_e32 v60, v58, v58
	v_max_f32_e32 v61, v57, v57
	v_min_f32_e32 v59, v60, v61
	v_cmp_u_f32_e32 vcc, v58, v58
	v_max_f32_e32 v60, v60, v61
	v_cndmask_b32_e32 v59, v59, v58, vcc
	v_cmp_u_f32_e64 s[2:3], v57, v57
	v_cndmask_b32_e32 v60, v60, v58, vcc
	v_cndmask_b32_e64 v59, v59, v57, s[2:3]
	v_cndmask_b32_e64 v57, v60, v57, s[2:3]
	s_movk_i32 s2, 0x1f8
	v_cmp_neq_f32_e32 vcc, v59, v57
	v_cmp_class_f32_e64 s[2:3], v59, s2
	s_or_b64 s[10:11], vcc, s[2:3]
	s_and_saveexec_b64 s[2:3], s[10:11]
	s_cbranch_execz .LBB459_101
; %bb.100:
	v_sub_f32_e32 v58, v59, v57
	s_mov_b32 s10, 0x3fb8aa3b
	v_mul_f32_e32 v59, 0x3fb8aa3b, v58
	v_fma_f32 v60, v58, s10, -v59
	v_rndne_f32_e32 v61, v59
	v_fmac_f32_e32 v60, 0x32a5705f, v58
	v_sub_f32_e32 v59, v59, v61
	v_add_f32_e32 v59, v59, v60
	v_exp_f32_e32 v59, v59
	v_cvt_i32_f32_e32 v60, v61
	s_mov_b32 s10, 0xc2ce8ed0
	v_cmp_ngt_f32_e32 vcc, s10, v58
	s_mov_b32 s10, 0x42b17218
	v_ldexp_f32 v59, v59, v60
	v_cndmask_b32_e32 v59, 0, v59, vcc
	v_mov_b32_e32 v60, 0x7f800000
	v_cmp_nlt_f32_e32 vcc, s10, v58
	v_cndmask_b32_e32 v61, v60, v59, vcc
	v_add_f32_e32 v62, 1.0, v61
	v_cvt_f64_f32_e32 v[58:59], v62
	v_add_f32_e32 v63, -1.0, v62
	v_sub_f32_e32 v64, v63, v62
	v_sub_f32_e32 v63, v61, v63
	v_frexp_exp_i32_f64_e32 v58, v[58:59]
	v_add_f32_e32 v59, 1.0, v64
	v_add_f32_e32 v59, v63, v59
	v_frexp_mant_f32_e32 v63, v62
	s_mov_b32 s11, 0x3f2aaaab
	v_cmp_gt_f32_e32 vcc, s11, v63
	s_mov_b32 s11, 0x3f317218
	s_mov_b32 s10, 0x7f800000
	v_subbrev_co_u32_e32 v58, vcc, 0, v58, vcc
	v_sub_u32_e32 v63, 0, v58
	v_ldexp_f32 v62, v62, v63
	v_ldexp_f32 v59, v59, v63
	v_add_f32_e32 v63, -1.0, v62
	v_add_f32_e32 v66, 1.0, v62
	v_add_f32_e32 v64, 1.0, v63
	v_add_f32_e32 v67, -1.0, v66
	v_sub_f32_e32 v64, v62, v64
	v_sub_f32_e32 v62, v62, v67
	v_add_f32_e32 v64, v59, v64
	v_add_f32_e32 v59, v59, v62
	v_add_f32_e32 v62, v66, v59
	v_rcp_f32_e32 v67, v62
	v_add_f32_e32 v65, v63, v64
	v_sub_f32_e32 v63, v63, v65
	v_add_f32_e32 v63, v64, v63
	v_sub_f32_e32 v64, v66, v62
	v_add_f32_e32 v59, v59, v64
	v_mul_f32_e32 v64, v65, v67
	v_mul_f32_e32 v66, v62, v64
	v_fma_f32 v68, v64, v62, -v66
	v_fmac_f32_e32 v68, v64, v59
	v_add_f32_e32 v69, v66, v68
	v_sub_f32_e32 v70, v65, v69
	v_sub_f32_e32 v65, v65, v70
	;; [unrolled: 1-line block ×4, first 2 shown]
	v_add_f32_e32 v63, v63, v65
	v_sub_f32_e32 v65, v66, v68
	v_add_f32_e32 v63, v65, v63
	v_add_f32_e32 v65, v70, v63
	v_mul_f32_e32 v66, v67, v65
	v_mul_f32_e32 v68, v62, v66
	v_fma_f32 v62, v66, v62, -v68
	v_fmac_f32_e32 v62, v66, v59
	v_sub_f32_e32 v59, v70, v65
	v_add_f32_e32 v59, v63, v59
	v_add_f32_e32 v63, v68, v62
	v_sub_f32_e32 v69, v65, v63
	v_sub_f32_e32 v65, v65, v69
	;; [unrolled: 1-line block ×4, first 2 shown]
	v_add_f32_e32 v59, v59, v63
	v_sub_f32_e32 v62, v68, v62
	v_add_f32_e32 v59, v62, v59
	v_add_f32_e32 v62, v64, v66
	;; [unrolled: 1-line block ×3, first 2 shown]
	v_sub_f32_e32 v63, v62, v64
	v_mul_f32_e32 v59, v67, v59
	v_sub_f32_e32 v63, v66, v63
	v_add_f32_e32 v59, v63, v59
	v_cvt_f32_i32_e32 v58, v58
	v_add_f32_e32 v63, v62, v59
	v_mul_f32_e32 v64, v63, v63
	v_mov_b32_e32 v65, 0x3ecc95a3
	v_fmac_f32_e32 v65, 0x3e9b6dac, v64
	v_mov_b32_e32 v66, 0x3f2aaada
	v_fmac_f32_e32 v66, v64, v65
	v_mul_f32_e32 v65, 0x3f317218, v58
	v_fma_f32 v67, v58, s11, -v65
	v_fmac_f32_e32 v67, 0xb102e308, v58
	v_sub_f32_e32 v58, v63, v62
	v_sub_f32_e32 v58, v59, v58
	v_add_f32_e32 v59, v65, v67
	v_sub_f32_e32 v62, v59, v65
	v_ldexp_f32 v65, v63, 1
	v_mul_f32_e32 v63, v63, v64
	v_mul_f32_e32 v63, v63, v66
	v_add_f32_e32 v64, v65, v63
	v_sub_f32_e32 v65, v64, v65
	v_ldexp_f32 v58, v58, 1
	v_sub_f32_e32 v63, v63, v65
	v_add_f32_e32 v58, v58, v63
	v_add_f32_e32 v63, v64, v58
	v_sub_f32_e32 v64, v63, v64
	v_sub_f32_e32 v58, v58, v64
	v_add_f32_e32 v64, v59, v63
	v_sub_f32_e32 v65, v64, v59
	v_sub_f32_e32 v66, v64, v65
	;; [unrolled: 1-line block ×5, first 2 shown]
	v_add_f32_e32 v59, v63, v59
	v_add_f32_e32 v63, v62, v58
	v_sub_f32_e32 v65, v63, v62
	v_sub_f32_e32 v66, v63, v65
	;; [unrolled: 1-line block ×4, first 2 shown]
	v_add_f32_e32 v59, v63, v59
	v_add_f32_e32 v58, v58, v62
	;; [unrolled: 1-line block ×3, first 2 shown]
	v_sub_f32_e32 v63, v62, v64
	v_sub_f32_e32 v59, v59, v63
	v_add_f32_e32 v58, v58, v59
	v_add_f32_e32 v58, v62, v58
	v_cmp_neq_f32_e32 vcc, s10, v61
	s_mov_b32 s10, 0x33800000
	v_cndmask_b32_e32 v58, v60, v58, vcc
	v_cmp_lt_f32_e64 vcc, |v61|, s10
	v_cndmask_b32_e32 v58, v58, v61, vcc
	v_add_f32_e32 v58, v57, v58
.LBB459_101:
	s_or_b64 exec, exec, s[2:3]
	v_bfe_u32 v57, v58, 16, 1
	s_movk_i32 s2, 0x7fff
	v_add3_u32 v57, v58, v57, s2
	v_cmp_o_f32_e32 vcc, v58, v58
	v_mov_b32_e32 v58, 0x7fc0
	v_cndmask_b32_sdwa v59, v58, v57, vcc dst_sel:DWORD dst_unused:UNUSED_PAD src0_sel:DWORD src1_sel:WORD_1
	v_mbcnt_lo_u32_b32 v57, -1, 0
	v_mbcnt_hi_u32_b32 v57, -1, v57
	v_and_b32_e32 v58, 15, v57
	v_and_b32_e32 v60, 0xffff, v59
	v_cmp_ne_u32_e32 vcc, 0, v58
	s_nop 0
	v_mov_b32_dpp v61, v60 row_shr:1 row_mask:0xf bank_mask:0xf
	s_and_saveexec_b64 s[2:3], vcc
	s_xor_b64 s[10:11], exec, s[2:3]
	s_cbranch_execz .LBB459_105
; %bb.102:
	v_lshlrev_b32_e32 v61, 16, v61
	v_lshlrev_b32_e32 v59, 16, v60
	v_max_f32_e32 v62, v59, v59
	v_max_f32_e32 v63, v61, v61
	v_min_f32_e32 v60, v63, v62
	v_cmp_u_f32_e64 s[2:3], v61, v61
	v_max_f32_e32 v62, v63, v62
	v_cndmask_b32_e64 v60, v60, v61, s[2:3]
	v_cmp_u_f32_e32 vcc, v59, v59
	v_cndmask_b32_e64 v62, v62, v61, s[2:3]
	v_cndmask_b32_e32 v60, v60, v59, vcc
	v_cndmask_b32_e32 v59, v62, v59, vcc
	s_movk_i32 s2, 0x1f8
	v_cmp_neq_f32_e32 vcc, v60, v59
	v_cmp_class_f32_e64 s[2:3], v60, s2
	s_or_b64 vcc, vcc, s[2:3]
	s_and_saveexec_b64 s[2:3], vcc
	s_cbranch_execz .LBB459_104
; %bb.103:
	v_sub_f32_e32 v60, v60, v59
	s_mov_b32 s33, 0x3fb8aa3b
	v_mul_f32_e32 v61, 0x3fb8aa3b, v60
	v_fma_f32 v62, v60, s33, -v61
	v_rndne_f32_e32 v63, v61
	v_fmac_f32_e32 v62, 0x32a5705f, v60
	v_sub_f32_e32 v61, v61, v63
	v_add_f32_e32 v61, v61, v62
	v_exp_f32_e32 v61, v61
	v_cvt_i32_f32_e32 v62, v63
	s_mov_b32 s33, 0xc2ce8ed0
	v_cmp_ngt_f32_e32 vcc, s33, v60
	s_mov_b32 s33, 0x42b17218
	v_ldexp_f32 v61, v61, v62
	v_cndmask_b32_e32 v61, 0, v61, vcc
	v_mov_b32_e32 v62, 0x7f800000
	v_cmp_nlt_f32_e32 vcc, s33, v60
	v_cndmask_b32_e32 v63, v62, v61, vcc
	v_add_f32_e32 v64, 1.0, v63
	v_cvt_f64_f32_e32 v[60:61], v64
	v_add_f32_e32 v65, -1.0, v64
	v_sub_f32_e32 v66, v65, v64
	v_sub_f32_e32 v65, v63, v65
	v_frexp_exp_i32_f64_e32 v60, v[60:61]
	v_add_f32_e32 v61, 1.0, v66
	v_add_f32_e32 v61, v65, v61
	v_frexp_mant_f32_e32 v65, v64
	s_mov_b32 s12, 0x3f2aaaab
	v_cmp_gt_f32_e32 vcc, s12, v65
	s_mov_b32 s12, 0x3f317218
	s_mov_b32 s33, 0x7f800000
	v_subbrev_co_u32_e32 v60, vcc, 0, v60, vcc
	v_sub_u32_e32 v65, 0, v60
	v_ldexp_f32 v64, v64, v65
	v_ldexp_f32 v61, v61, v65
	v_add_f32_e32 v65, -1.0, v64
	v_add_f32_e32 v68, 1.0, v64
	v_add_f32_e32 v66, 1.0, v65
	v_add_f32_e32 v69, -1.0, v68
	v_sub_f32_e32 v66, v64, v66
	v_sub_f32_e32 v64, v64, v69
	v_add_f32_e32 v66, v61, v66
	v_add_f32_e32 v61, v61, v64
	;; [unrolled: 1-line block ×3, first 2 shown]
	v_rcp_f32_e32 v69, v64
	v_add_f32_e32 v67, v65, v66
	v_sub_f32_e32 v65, v65, v67
	v_add_f32_e32 v65, v66, v65
	v_sub_f32_e32 v66, v68, v64
	v_add_f32_e32 v61, v61, v66
	v_mul_f32_e32 v66, v67, v69
	v_mul_f32_e32 v68, v64, v66
	v_fma_f32 v70, v66, v64, -v68
	v_fmac_f32_e32 v70, v66, v61
	v_add_f32_e32 v71, v68, v70
	v_sub_f32_e32 v72, v67, v71
	v_sub_f32_e32 v67, v67, v72
	v_sub_f32_e32 v68, v71, v68
	v_sub_f32_e32 v67, v67, v71
	v_add_f32_e32 v65, v65, v67
	v_sub_f32_e32 v67, v68, v70
	v_add_f32_e32 v65, v67, v65
	v_add_f32_e32 v67, v72, v65
	v_mul_f32_e32 v68, v69, v67
	v_mul_f32_e32 v70, v64, v68
	v_fma_f32 v64, v68, v64, -v70
	v_fmac_f32_e32 v64, v68, v61
	v_sub_f32_e32 v61, v72, v67
	v_add_f32_e32 v61, v65, v61
	v_add_f32_e32 v65, v70, v64
	v_sub_f32_e32 v71, v67, v65
	v_sub_f32_e32 v67, v67, v71
	;; [unrolled: 1-line block ×4, first 2 shown]
	v_add_f32_e32 v61, v61, v65
	v_sub_f32_e32 v64, v70, v64
	v_add_f32_e32 v61, v64, v61
	v_add_f32_e32 v64, v66, v68
	;; [unrolled: 1-line block ×3, first 2 shown]
	v_sub_f32_e32 v65, v64, v66
	v_mul_f32_e32 v61, v69, v61
	v_sub_f32_e32 v65, v68, v65
	v_add_f32_e32 v61, v65, v61
	v_cvt_f32_i32_e32 v60, v60
	v_add_f32_e32 v65, v64, v61
	v_mul_f32_e32 v66, v65, v65
	v_mov_b32_e32 v67, 0x3ecc95a3
	v_fmac_f32_e32 v67, 0x3e9b6dac, v66
	v_mov_b32_e32 v68, 0x3f2aaada
	v_fmac_f32_e32 v68, v66, v67
	v_mul_f32_e32 v67, 0x3f317218, v60
	v_fma_f32 v69, v60, s12, -v67
	v_fmac_f32_e32 v69, 0xb102e308, v60
	v_sub_f32_e32 v60, v65, v64
	v_sub_f32_e32 v60, v61, v60
	v_add_f32_e32 v61, v67, v69
	v_sub_f32_e32 v64, v61, v67
	v_ldexp_f32 v67, v65, 1
	v_mul_f32_e32 v65, v65, v66
	v_mul_f32_e32 v65, v65, v68
	v_add_f32_e32 v66, v67, v65
	v_sub_f32_e32 v67, v66, v67
	v_ldexp_f32 v60, v60, 1
	v_sub_f32_e32 v65, v65, v67
	v_add_f32_e32 v60, v60, v65
	v_add_f32_e32 v65, v66, v60
	v_sub_f32_e32 v66, v65, v66
	v_sub_f32_e32 v60, v60, v66
	v_add_f32_e32 v66, v61, v65
	v_sub_f32_e32 v67, v66, v61
	v_sub_f32_e32 v68, v66, v67
	;; [unrolled: 1-line block ×5, first 2 shown]
	v_add_f32_e32 v61, v65, v61
	v_add_f32_e32 v65, v64, v60
	v_sub_f32_e32 v67, v65, v64
	v_sub_f32_e32 v68, v65, v67
	v_sub_f32_e32 v64, v64, v68
	v_sub_f32_e32 v60, v60, v67
	v_add_f32_e32 v61, v65, v61
	v_add_f32_e32 v60, v60, v64
	;; [unrolled: 1-line block ×3, first 2 shown]
	v_sub_f32_e32 v65, v64, v66
	v_sub_f32_e32 v61, v61, v65
	v_add_f32_e32 v60, v60, v61
	v_add_f32_e32 v60, v64, v60
	v_cmp_neq_f32_e32 vcc, s33, v63
	s_mov_b32 s12, 0x33800000
	v_cndmask_b32_e32 v60, v62, v60, vcc
	v_cmp_lt_f32_e64 vcc, |v63|, s12
	v_cndmask_b32_e32 v60, v60, v63, vcc
	v_add_f32_e32 v61, v59, v60
.LBB459_104:
	s_or_b64 exec, exec, s[2:3]
	v_bfe_u32 v59, v61, 16, 1
	s_movk_i32 s2, 0x7fff
	v_add3_u32 v59, v61, v59, s2
	v_cmp_o_f32_e32 vcc, v61, v61
	v_mov_b32_e32 v60, 0x7fc0
	v_cndmask_b32_sdwa v59, v60, v59, vcc dst_sel:DWORD dst_unused:UNUSED_PAD src0_sel:DWORD src1_sel:WORD_1
	v_and_b32_e32 v60, 0xffff, v59
.LBB459_105:
	s_or_b64 exec, exec, s[10:11]
	s_nop 0
	v_mov_b32_dpp v61, v60 row_shr:2 row_mask:0xf bank_mask:0xf
	v_cmp_lt_u32_e32 vcc, 1, v58
	s_and_saveexec_b64 s[10:11], vcc
	s_cbranch_execz .LBB459_109
; %bb.106:
	v_lshlrev_b32_e32 v61, 16, v61
	v_lshlrev_b32_e32 v59, 16, v60
	v_max_f32_e32 v62, v59, v59
	v_max_f32_e32 v63, v61, v61
	v_min_f32_e32 v60, v63, v62
	v_cmp_u_f32_e32 vcc, v61, v61
	v_max_f32_e32 v62, v63, v62
	v_cndmask_b32_e32 v60, v60, v61, vcc
	v_cmp_u_f32_e64 s[2:3], v59, v59
	v_cndmask_b32_e32 v62, v62, v61, vcc
	v_cndmask_b32_e64 v60, v60, v59, s[2:3]
	v_cndmask_b32_e64 v59, v62, v59, s[2:3]
	s_movk_i32 s2, 0x1f8
	v_cmp_neq_f32_e32 vcc, v60, v59
	v_cmp_class_f32_e64 s[2:3], v60, s2
	s_or_b64 vcc, vcc, s[2:3]
	s_and_saveexec_b64 s[2:3], vcc
	s_cbranch_execz .LBB459_108
; %bb.107:
	v_sub_f32_e32 v60, v60, v59
	s_mov_b32 s12, 0x3fb8aa3b
	v_mul_f32_e32 v61, 0x3fb8aa3b, v60
	v_fma_f32 v62, v60, s12, -v61
	v_rndne_f32_e32 v63, v61
	v_fmac_f32_e32 v62, 0x32a5705f, v60
	v_sub_f32_e32 v61, v61, v63
	v_add_f32_e32 v61, v61, v62
	v_exp_f32_e32 v61, v61
	v_cvt_i32_f32_e32 v62, v63
	s_mov_b32 s12, 0xc2ce8ed0
	v_cmp_ngt_f32_e32 vcc, s12, v60
	s_mov_b32 s12, 0x42b17218
	v_ldexp_f32 v61, v61, v62
	v_cndmask_b32_e32 v61, 0, v61, vcc
	v_mov_b32_e32 v62, 0x7f800000
	v_cmp_nlt_f32_e32 vcc, s12, v60
	v_cndmask_b32_e32 v63, v62, v61, vcc
	v_add_f32_e32 v64, 1.0, v63
	v_cvt_f64_f32_e32 v[60:61], v64
	v_add_f32_e32 v65, -1.0, v64
	v_sub_f32_e32 v66, v65, v64
	v_sub_f32_e32 v65, v63, v65
	v_frexp_exp_i32_f64_e32 v60, v[60:61]
	v_add_f32_e32 v61, 1.0, v66
	v_add_f32_e32 v61, v65, v61
	v_frexp_mant_f32_e32 v65, v64
	s_mov_b32 s13, 0x3f2aaaab
	v_cmp_gt_f32_e32 vcc, s13, v65
	s_mov_b32 s13, 0x3f317218
	s_mov_b32 s12, 0x7f800000
	v_subbrev_co_u32_e32 v60, vcc, 0, v60, vcc
	v_sub_u32_e32 v65, 0, v60
	v_ldexp_f32 v64, v64, v65
	v_ldexp_f32 v61, v61, v65
	v_add_f32_e32 v65, -1.0, v64
	v_add_f32_e32 v68, 1.0, v64
	v_add_f32_e32 v66, 1.0, v65
	v_add_f32_e32 v69, -1.0, v68
	v_sub_f32_e32 v66, v64, v66
	v_sub_f32_e32 v64, v64, v69
	v_add_f32_e32 v66, v61, v66
	v_add_f32_e32 v61, v61, v64
	;; [unrolled: 1-line block ×3, first 2 shown]
	v_rcp_f32_e32 v69, v64
	v_add_f32_e32 v67, v65, v66
	v_sub_f32_e32 v65, v65, v67
	v_add_f32_e32 v65, v66, v65
	v_sub_f32_e32 v66, v68, v64
	v_add_f32_e32 v61, v61, v66
	v_mul_f32_e32 v66, v67, v69
	v_mul_f32_e32 v68, v64, v66
	v_fma_f32 v70, v66, v64, -v68
	v_fmac_f32_e32 v70, v66, v61
	v_add_f32_e32 v71, v68, v70
	v_sub_f32_e32 v72, v67, v71
	v_sub_f32_e32 v67, v67, v72
	;; [unrolled: 1-line block ×4, first 2 shown]
	v_add_f32_e32 v65, v65, v67
	v_sub_f32_e32 v67, v68, v70
	v_add_f32_e32 v65, v67, v65
	v_add_f32_e32 v67, v72, v65
	v_mul_f32_e32 v68, v69, v67
	v_mul_f32_e32 v70, v64, v68
	v_fma_f32 v64, v68, v64, -v70
	v_fmac_f32_e32 v64, v68, v61
	v_sub_f32_e32 v61, v72, v67
	v_add_f32_e32 v61, v65, v61
	v_add_f32_e32 v65, v70, v64
	v_sub_f32_e32 v71, v67, v65
	v_sub_f32_e32 v67, v67, v71
	;; [unrolled: 1-line block ×4, first 2 shown]
	v_add_f32_e32 v61, v61, v65
	v_sub_f32_e32 v64, v70, v64
	v_add_f32_e32 v61, v64, v61
	v_add_f32_e32 v64, v66, v68
	;; [unrolled: 1-line block ×3, first 2 shown]
	v_sub_f32_e32 v65, v64, v66
	v_mul_f32_e32 v61, v69, v61
	v_sub_f32_e32 v65, v68, v65
	v_add_f32_e32 v61, v65, v61
	v_cvt_f32_i32_e32 v60, v60
	v_add_f32_e32 v65, v64, v61
	v_mul_f32_e32 v66, v65, v65
	v_mov_b32_e32 v67, 0x3ecc95a3
	v_fmac_f32_e32 v67, 0x3e9b6dac, v66
	v_mov_b32_e32 v68, 0x3f2aaada
	v_fmac_f32_e32 v68, v66, v67
	v_mul_f32_e32 v67, 0x3f317218, v60
	v_fma_f32 v69, v60, s13, -v67
	v_fmac_f32_e32 v69, 0xb102e308, v60
	v_sub_f32_e32 v60, v65, v64
	v_sub_f32_e32 v60, v61, v60
	v_add_f32_e32 v61, v67, v69
	v_sub_f32_e32 v64, v61, v67
	v_ldexp_f32 v67, v65, 1
	v_mul_f32_e32 v65, v65, v66
	v_mul_f32_e32 v65, v65, v68
	v_add_f32_e32 v66, v67, v65
	v_sub_f32_e32 v67, v66, v67
	v_ldexp_f32 v60, v60, 1
	v_sub_f32_e32 v65, v65, v67
	v_add_f32_e32 v60, v60, v65
	v_add_f32_e32 v65, v66, v60
	v_sub_f32_e32 v66, v65, v66
	v_sub_f32_e32 v60, v60, v66
	v_add_f32_e32 v66, v61, v65
	v_sub_f32_e32 v67, v66, v61
	v_sub_f32_e32 v68, v66, v67
	;; [unrolled: 1-line block ×5, first 2 shown]
	v_add_f32_e32 v61, v65, v61
	v_add_f32_e32 v65, v64, v60
	v_sub_f32_e32 v67, v65, v64
	v_sub_f32_e32 v68, v65, v67
	;; [unrolled: 1-line block ×4, first 2 shown]
	v_add_f32_e32 v61, v65, v61
	v_add_f32_e32 v60, v60, v64
	;; [unrolled: 1-line block ×3, first 2 shown]
	v_sub_f32_e32 v65, v64, v66
	v_sub_f32_e32 v61, v61, v65
	v_add_f32_e32 v60, v60, v61
	v_add_f32_e32 v60, v64, v60
	v_cmp_neq_f32_e32 vcc, s12, v63
	s_mov_b32 s12, 0x33800000
	v_cndmask_b32_e32 v60, v62, v60, vcc
	v_cmp_lt_f32_e64 vcc, |v63|, s12
	v_cndmask_b32_e32 v60, v60, v63, vcc
	v_add_f32_e32 v61, v59, v60
.LBB459_108:
	s_or_b64 exec, exec, s[2:3]
	v_bfe_u32 v59, v61, 16, 1
	s_movk_i32 s2, 0x7fff
	v_add3_u32 v59, v61, v59, s2
	v_cmp_o_f32_e32 vcc, v61, v61
	v_mov_b32_e32 v60, 0x7fc0
	v_cndmask_b32_sdwa v59, v60, v59, vcc dst_sel:DWORD dst_unused:UNUSED_PAD src0_sel:DWORD src1_sel:WORD_1
	v_and_b32_e32 v60, 0xffff, v59
.LBB459_109:
	s_or_b64 exec, exec, s[10:11]
	s_nop 0
	v_mov_b32_dpp v61, v60 row_shr:4 row_mask:0xf bank_mask:0xf
	v_cmp_lt_u32_e32 vcc, 3, v58
	s_and_saveexec_b64 s[10:11], vcc
	s_cbranch_execz .LBB459_113
; %bb.110:
	v_lshlrev_b32_e32 v61, 16, v61
	v_lshlrev_b32_e32 v59, 16, v60
	v_max_f32_e32 v62, v59, v59
	v_max_f32_e32 v63, v61, v61
	v_min_f32_e32 v60, v63, v62
	v_cmp_u_f32_e32 vcc, v61, v61
	v_max_f32_e32 v62, v63, v62
	v_cndmask_b32_e32 v60, v60, v61, vcc
	v_cmp_u_f32_e64 s[2:3], v59, v59
	v_cndmask_b32_e32 v62, v62, v61, vcc
	v_cndmask_b32_e64 v60, v60, v59, s[2:3]
	v_cndmask_b32_e64 v59, v62, v59, s[2:3]
	s_movk_i32 s2, 0x1f8
	v_cmp_neq_f32_e32 vcc, v60, v59
	v_cmp_class_f32_e64 s[2:3], v60, s2
	s_or_b64 vcc, vcc, s[2:3]
	s_and_saveexec_b64 s[2:3], vcc
	s_cbranch_execz .LBB459_112
; %bb.111:
	v_sub_f32_e32 v60, v60, v59
	s_mov_b32 s12, 0x3fb8aa3b
	v_mul_f32_e32 v61, 0x3fb8aa3b, v60
	v_fma_f32 v62, v60, s12, -v61
	v_rndne_f32_e32 v63, v61
	v_fmac_f32_e32 v62, 0x32a5705f, v60
	v_sub_f32_e32 v61, v61, v63
	v_add_f32_e32 v61, v61, v62
	v_exp_f32_e32 v61, v61
	v_cvt_i32_f32_e32 v62, v63
	s_mov_b32 s12, 0xc2ce8ed0
	v_cmp_ngt_f32_e32 vcc, s12, v60
	s_mov_b32 s12, 0x42b17218
	v_ldexp_f32 v61, v61, v62
	v_cndmask_b32_e32 v61, 0, v61, vcc
	v_mov_b32_e32 v62, 0x7f800000
	v_cmp_nlt_f32_e32 vcc, s12, v60
	v_cndmask_b32_e32 v63, v62, v61, vcc
	v_add_f32_e32 v64, 1.0, v63
	v_cvt_f64_f32_e32 v[60:61], v64
	v_add_f32_e32 v65, -1.0, v64
	v_sub_f32_e32 v66, v65, v64
	v_sub_f32_e32 v65, v63, v65
	v_frexp_exp_i32_f64_e32 v60, v[60:61]
	v_add_f32_e32 v61, 1.0, v66
	v_add_f32_e32 v61, v65, v61
	v_frexp_mant_f32_e32 v65, v64
	s_mov_b32 s13, 0x3f2aaaab
	v_cmp_gt_f32_e32 vcc, s13, v65
	s_mov_b32 s13, 0x3f317218
	s_mov_b32 s12, 0x7f800000
	v_subbrev_co_u32_e32 v60, vcc, 0, v60, vcc
	v_sub_u32_e32 v65, 0, v60
	v_ldexp_f32 v64, v64, v65
	v_ldexp_f32 v61, v61, v65
	v_add_f32_e32 v65, -1.0, v64
	v_add_f32_e32 v68, 1.0, v64
	v_add_f32_e32 v66, 1.0, v65
	v_add_f32_e32 v69, -1.0, v68
	v_sub_f32_e32 v66, v64, v66
	v_sub_f32_e32 v64, v64, v69
	v_add_f32_e32 v66, v61, v66
	v_add_f32_e32 v61, v61, v64
	;; [unrolled: 1-line block ×3, first 2 shown]
	v_rcp_f32_e32 v69, v64
	v_add_f32_e32 v67, v65, v66
	v_sub_f32_e32 v65, v65, v67
	v_add_f32_e32 v65, v66, v65
	v_sub_f32_e32 v66, v68, v64
	v_add_f32_e32 v61, v61, v66
	v_mul_f32_e32 v66, v67, v69
	v_mul_f32_e32 v68, v64, v66
	v_fma_f32 v70, v66, v64, -v68
	v_fmac_f32_e32 v70, v66, v61
	v_add_f32_e32 v71, v68, v70
	v_sub_f32_e32 v72, v67, v71
	v_sub_f32_e32 v67, v67, v72
	;; [unrolled: 1-line block ×4, first 2 shown]
	v_add_f32_e32 v65, v65, v67
	v_sub_f32_e32 v67, v68, v70
	v_add_f32_e32 v65, v67, v65
	v_add_f32_e32 v67, v72, v65
	v_mul_f32_e32 v68, v69, v67
	v_mul_f32_e32 v70, v64, v68
	v_fma_f32 v64, v68, v64, -v70
	v_fmac_f32_e32 v64, v68, v61
	v_sub_f32_e32 v61, v72, v67
	v_add_f32_e32 v61, v65, v61
	v_add_f32_e32 v65, v70, v64
	v_sub_f32_e32 v71, v67, v65
	v_sub_f32_e32 v67, v67, v71
	;; [unrolled: 1-line block ×4, first 2 shown]
	v_add_f32_e32 v61, v61, v65
	v_sub_f32_e32 v64, v70, v64
	v_add_f32_e32 v61, v64, v61
	v_add_f32_e32 v64, v66, v68
	;; [unrolled: 1-line block ×3, first 2 shown]
	v_sub_f32_e32 v65, v64, v66
	v_mul_f32_e32 v61, v69, v61
	v_sub_f32_e32 v65, v68, v65
	v_add_f32_e32 v61, v65, v61
	v_cvt_f32_i32_e32 v60, v60
	v_add_f32_e32 v65, v64, v61
	v_mul_f32_e32 v66, v65, v65
	v_mov_b32_e32 v67, 0x3ecc95a3
	v_fmac_f32_e32 v67, 0x3e9b6dac, v66
	v_mov_b32_e32 v68, 0x3f2aaada
	v_fmac_f32_e32 v68, v66, v67
	v_mul_f32_e32 v67, 0x3f317218, v60
	v_fma_f32 v69, v60, s13, -v67
	v_fmac_f32_e32 v69, 0xb102e308, v60
	v_sub_f32_e32 v60, v65, v64
	v_sub_f32_e32 v60, v61, v60
	v_add_f32_e32 v61, v67, v69
	v_sub_f32_e32 v64, v61, v67
	v_ldexp_f32 v67, v65, 1
	v_mul_f32_e32 v65, v65, v66
	v_mul_f32_e32 v65, v65, v68
	v_add_f32_e32 v66, v67, v65
	v_sub_f32_e32 v67, v66, v67
	v_ldexp_f32 v60, v60, 1
	v_sub_f32_e32 v65, v65, v67
	v_add_f32_e32 v60, v60, v65
	v_add_f32_e32 v65, v66, v60
	v_sub_f32_e32 v66, v65, v66
	v_sub_f32_e32 v60, v60, v66
	v_add_f32_e32 v66, v61, v65
	v_sub_f32_e32 v67, v66, v61
	v_sub_f32_e32 v68, v66, v67
	;; [unrolled: 1-line block ×5, first 2 shown]
	v_add_f32_e32 v61, v65, v61
	v_add_f32_e32 v65, v64, v60
	v_sub_f32_e32 v67, v65, v64
	v_sub_f32_e32 v68, v65, v67
	;; [unrolled: 1-line block ×4, first 2 shown]
	v_add_f32_e32 v61, v65, v61
	v_add_f32_e32 v60, v60, v64
	;; [unrolled: 1-line block ×3, first 2 shown]
	v_sub_f32_e32 v65, v64, v66
	v_sub_f32_e32 v61, v61, v65
	v_add_f32_e32 v60, v60, v61
	v_add_f32_e32 v60, v64, v60
	v_cmp_neq_f32_e32 vcc, s12, v63
	s_mov_b32 s12, 0x33800000
	v_cndmask_b32_e32 v60, v62, v60, vcc
	v_cmp_lt_f32_e64 vcc, |v63|, s12
	v_cndmask_b32_e32 v60, v60, v63, vcc
	v_add_f32_e32 v61, v59, v60
.LBB459_112:
	s_or_b64 exec, exec, s[2:3]
	v_bfe_u32 v59, v61, 16, 1
	s_movk_i32 s2, 0x7fff
	v_add3_u32 v59, v61, v59, s2
	v_cmp_o_f32_e32 vcc, v61, v61
	v_mov_b32_e32 v60, 0x7fc0
	v_cndmask_b32_sdwa v59, v60, v59, vcc dst_sel:DWORD dst_unused:UNUSED_PAD src0_sel:DWORD src1_sel:WORD_1
	v_and_b32_e32 v60, 0xffff, v59
.LBB459_113:
	s_or_b64 exec, exec, s[10:11]
	s_nop 0
	v_mov_b32_dpp v61, v60 row_shr:8 row_mask:0xf bank_mask:0xf
	v_cmp_lt_u32_e32 vcc, 7, v58
	s_and_saveexec_b64 s[10:11], vcc
	s_cbranch_execz .LBB459_117
; %bb.114:
	v_lshlrev_b32_e32 v59, 16, v61
	v_lshlrev_b32_e32 v58, 16, v60
	v_max_f32_e32 v61, v58, v58
	v_max_f32_e32 v62, v59, v59
	v_min_f32_e32 v60, v62, v61
	v_cmp_u_f32_e32 vcc, v59, v59
	v_max_f32_e32 v61, v62, v61
	v_cndmask_b32_e32 v60, v60, v59, vcc
	v_cmp_u_f32_e64 s[2:3], v58, v58
	v_cndmask_b32_e32 v61, v61, v59, vcc
	v_cndmask_b32_e64 v60, v60, v58, s[2:3]
	v_cndmask_b32_e64 v58, v61, v58, s[2:3]
	s_movk_i32 s2, 0x1f8
	v_cmp_neq_f32_e32 vcc, v60, v58
	v_cmp_class_f32_e64 s[2:3], v60, s2
	s_or_b64 vcc, vcc, s[2:3]
	s_and_saveexec_b64 s[2:3], vcc
	s_cbranch_execz .LBB459_116
; %bb.115:
	v_sub_f32_e32 v59, v60, v58
	s_mov_b32 s12, 0x3fb8aa3b
	v_mul_f32_e32 v60, 0x3fb8aa3b, v59
	v_fma_f32 v61, v59, s12, -v60
	v_rndne_f32_e32 v62, v60
	v_fmac_f32_e32 v61, 0x32a5705f, v59
	v_sub_f32_e32 v60, v60, v62
	v_add_f32_e32 v60, v60, v61
	v_exp_f32_e32 v60, v60
	v_cvt_i32_f32_e32 v61, v62
	s_mov_b32 s12, 0xc2ce8ed0
	v_cmp_ngt_f32_e32 vcc, s12, v59
	s_mov_b32 s12, 0x42b17218
	v_ldexp_f32 v60, v60, v61
	v_cndmask_b32_e32 v60, 0, v60, vcc
	v_mov_b32_e32 v61, 0x7f800000
	v_cmp_nlt_f32_e32 vcc, s12, v59
	v_cndmask_b32_e32 v62, v61, v60, vcc
	v_add_f32_e32 v63, 1.0, v62
	v_cvt_f64_f32_e32 v[59:60], v63
	v_add_f32_e32 v64, -1.0, v63
	v_sub_f32_e32 v65, v64, v63
	v_sub_f32_e32 v64, v62, v64
	v_frexp_exp_i32_f64_e32 v59, v[59:60]
	v_add_f32_e32 v60, 1.0, v65
	v_add_f32_e32 v60, v64, v60
	v_frexp_mant_f32_e32 v64, v63
	s_mov_b32 s13, 0x3f2aaaab
	v_cmp_gt_f32_e32 vcc, s13, v64
	s_mov_b32 s13, 0x3f317218
	s_mov_b32 s12, 0x7f800000
	v_subbrev_co_u32_e32 v59, vcc, 0, v59, vcc
	v_sub_u32_e32 v64, 0, v59
	v_ldexp_f32 v63, v63, v64
	v_ldexp_f32 v60, v60, v64
	v_add_f32_e32 v64, -1.0, v63
	v_add_f32_e32 v67, 1.0, v63
	v_add_f32_e32 v65, 1.0, v64
	v_add_f32_e32 v68, -1.0, v67
	v_sub_f32_e32 v65, v63, v65
	v_sub_f32_e32 v63, v63, v68
	v_add_f32_e32 v65, v60, v65
	v_add_f32_e32 v60, v60, v63
	;; [unrolled: 1-line block ×3, first 2 shown]
	v_rcp_f32_e32 v68, v63
	v_add_f32_e32 v66, v64, v65
	v_sub_f32_e32 v64, v64, v66
	v_add_f32_e32 v64, v65, v64
	v_sub_f32_e32 v65, v67, v63
	v_add_f32_e32 v60, v60, v65
	v_mul_f32_e32 v65, v66, v68
	v_mul_f32_e32 v67, v63, v65
	v_fma_f32 v69, v65, v63, -v67
	v_fmac_f32_e32 v69, v65, v60
	v_add_f32_e32 v70, v67, v69
	v_sub_f32_e32 v71, v66, v70
	v_sub_f32_e32 v66, v66, v71
	;; [unrolled: 1-line block ×4, first 2 shown]
	v_add_f32_e32 v64, v64, v66
	v_sub_f32_e32 v66, v67, v69
	v_add_f32_e32 v64, v66, v64
	v_add_f32_e32 v66, v71, v64
	v_mul_f32_e32 v67, v68, v66
	v_mul_f32_e32 v69, v63, v67
	v_fma_f32 v63, v67, v63, -v69
	v_fmac_f32_e32 v63, v67, v60
	v_sub_f32_e32 v60, v71, v66
	v_add_f32_e32 v60, v64, v60
	v_add_f32_e32 v64, v69, v63
	v_sub_f32_e32 v70, v66, v64
	v_sub_f32_e32 v66, v66, v70
	v_sub_f32_e32 v69, v64, v69
	v_sub_f32_e32 v64, v66, v64
	v_add_f32_e32 v60, v60, v64
	v_sub_f32_e32 v63, v69, v63
	v_add_f32_e32 v60, v63, v60
	v_add_f32_e32 v63, v65, v67
	;; [unrolled: 1-line block ×3, first 2 shown]
	v_sub_f32_e32 v64, v63, v65
	v_mul_f32_e32 v60, v68, v60
	v_sub_f32_e32 v64, v67, v64
	v_add_f32_e32 v60, v64, v60
	v_cvt_f32_i32_e32 v59, v59
	v_add_f32_e32 v64, v63, v60
	v_mul_f32_e32 v65, v64, v64
	v_mov_b32_e32 v66, 0x3ecc95a3
	v_fmac_f32_e32 v66, 0x3e9b6dac, v65
	v_mov_b32_e32 v67, 0x3f2aaada
	v_fmac_f32_e32 v67, v65, v66
	v_mul_f32_e32 v66, 0x3f317218, v59
	v_fma_f32 v68, v59, s13, -v66
	v_fmac_f32_e32 v68, 0xb102e308, v59
	v_sub_f32_e32 v59, v64, v63
	v_sub_f32_e32 v59, v60, v59
	v_add_f32_e32 v60, v66, v68
	v_sub_f32_e32 v63, v60, v66
	v_ldexp_f32 v66, v64, 1
	v_mul_f32_e32 v64, v64, v65
	v_mul_f32_e32 v64, v64, v67
	v_add_f32_e32 v65, v66, v64
	v_sub_f32_e32 v66, v65, v66
	v_ldexp_f32 v59, v59, 1
	v_sub_f32_e32 v64, v64, v66
	v_add_f32_e32 v59, v59, v64
	v_add_f32_e32 v64, v65, v59
	v_sub_f32_e32 v65, v64, v65
	v_sub_f32_e32 v59, v59, v65
	v_add_f32_e32 v65, v60, v64
	v_sub_f32_e32 v66, v65, v60
	v_sub_f32_e32 v67, v65, v66
	;; [unrolled: 1-line block ×5, first 2 shown]
	v_add_f32_e32 v60, v64, v60
	v_add_f32_e32 v64, v63, v59
	v_sub_f32_e32 v66, v64, v63
	v_sub_f32_e32 v67, v64, v66
	;; [unrolled: 1-line block ×4, first 2 shown]
	v_add_f32_e32 v60, v64, v60
	v_add_f32_e32 v59, v59, v63
	;; [unrolled: 1-line block ×3, first 2 shown]
	v_sub_f32_e32 v64, v63, v65
	v_sub_f32_e32 v60, v60, v64
	v_add_f32_e32 v59, v59, v60
	v_add_f32_e32 v59, v63, v59
	v_cmp_neq_f32_e32 vcc, s12, v62
	s_mov_b32 s12, 0x33800000
	v_cndmask_b32_e32 v59, v61, v59, vcc
	v_cmp_lt_f32_e64 vcc, |v62|, s12
	v_cndmask_b32_e32 v59, v59, v62, vcc
	v_add_f32_e32 v59, v58, v59
.LBB459_116:
	s_or_b64 exec, exec, s[2:3]
	v_bfe_u32 v58, v59, 16, 1
	s_movk_i32 s2, 0x7fff
	v_add3_u32 v58, v59, v58, s2
	v_cmp_o_f32_e32 vcc, v59, v59
	v_mov_b32_e32 v59, 0x7fc0
	v_cndmask_b32_sdwa v59, v59, v58, vcc dst_sel:DWORD dst_unused:UNUSED_PAD src0_sel:DWORD src1_sel:WORD_1
	v_and_b32_e32 v60, 0xffff, v59
.LBB459_117:
	s_or_b64 exec, exec, s[10:11]
	v_and_b32_e32 v61, 16, v57
	v_mov_b32_dpp v58, v60 row_bcast:15 row_mask:0xf bank_mask:0xf
	v_cmp_ne_u32_e32 vcc, 0, v61
	s_and_saveexec_b64 s[10:11], vcc
	s_cbranch_execz .LBB459_121
; %bb.118:
	v_lshlrev_b32_e32 v59, 16, v58
	v_lshlrev_b32_e32 v58, 16, v60
	v_max_f32_e32 v61, v58, v58
	v_max_f32_e32 v62, v59, v59
	v_min_f32_e32 v60, v62, v61
	v_cmp_u_f32_e32 vcc, v59, v59
	v_max_f32_e32 v61, v62, v61
	v_cndmask_b32_e32 v60, v60, v59, vcc
	v_cmp_u_f32_e64 s[2:3], v58, v58
	v_cndmask_b32_e32 v61, v61, v59, vcc
	v_cndmask_b32_e64 v60, v60, v58, s[2:3]
	v_cndmask_b32_e64 v58, v61, v58, s[2:3]
	s_movk_i32 s2, 0x1f8
	v_cmp_neq_f32_e32 vcc, v60, v58
	v_cmp_class_f32_e64 s[2:3], v60, s2
	s_or_b64 vcc, vcc, s[2:3]
	s_and_saveexec_b64 s[2:3], vcc
	s_cbranch_execz .LBB459_120
; %bb.119:
	v_sub_f32_e32 v59, v60, v58
	s_mov_b32 s12, 0x3fb8aa3b
	v_mul_f32_e32 v60, 0x3fb8aa3b, v59
	v_fma_f32 v61, v59, s12, -v60
	v_rndne_f32_e32 v62, v60
	v_fmac_f32_e32 v61, 0x32a5705f, v59
	v_sub_f32_e32 v60, v60, v62
	v_add_f32_e32 v60, v60, v61
	v_exp_f32_e32 v60, v60
	v_cvt_i32_f32_e32 v61, v62
	s_mov_b32 s12, 0xc2ce8ed0
	v_cmp_ngt_f32_e32 vcc, s12, v59
	s_mov_b32 s12, 0x42b17218
	v_ldexp_f32 v60, v60, v61
	v_cndmask_b32_e32 v60, 0, v60, vcc
	v_mov_b32_e32 v61, 0x7f800000
	v_cmp_nlt_f32_e32 vcc, s12, v59
	v_cndmask_b32_e32 v62, v61, v60, vcc
	v_add_f32_e32 v63, 1.0, v62
	v_cvt_f64_f32_e32 v[59:60], v63
	v_add_f32_e32 v64, -1.0, v63
	v_sub_f32_e32 v65, v64, v63
	v_sub_f32_e32 v64, v62, v64
	v_frexp_exp_i32_f64_e32 v59, v[59:60]
	v_add_f32_e32 v60, 1.0, v65
	v_add_f32_e32 v60, v64, v60
	v_frexp_mant_f32_e32 v64, v63
	s_mov_b32 s13, 0x3f2aaaab
	v_cmp_gt_f32_e32 vcc, s13, v64
	s_mov_b32 s13, 0x3f317218
	s_mov_b32 s12, 0x7f800000
	v_subbrev_co_u32_e32 v59, vcc, 0, v59, vcc
	v_sub_u32_e32 v64, 0, v59
	v_ldexp_f32 v63, v63, v64
	v_ldexp_f32 v60, v60, v64
	v_add_f32_e32 v64, -1.0, v63
	v_add_f32_e32 v67, 1.0, v63
	v_add_f32_e32 v65, 1.0, v64
	v_add_f32_e32 v68, -1.0, v67
	v_sub_f32_e32 v65, v63, v65
	v_sub_f32_e32 v63, v63, v68
	v_add_f32_e32 v65, v60, v65
	v_add_f32_e32 v60, v60, v63
	;; [unrolled: 1-line block ×3, first 2 shown]
	v_rcp_f32_e32 v68, v63
	v_add_f32_e32 v66, v64, v65
	v_sub_f32_e32 v64, v64, v66
	v_add_f32_e32 v64, v65, v64
	v_sub_f32_e32 v65, v67, v63
	v_add_f32_e32 v60, v60, v65
	v_mul_f32_e32 v65, v66, v68
	v_mul_f32_e32 v67, v63, v65
	v_fma_f32 v69, v65, v63, -v67
	v_fmac_f32_e32 v69, v65, v60
	v_add_f32_e32 v70, v67, v69
	v_sub_f32_e32 v71, v66, v70
	v_sub_f32_e32 v66, v66, v71
	;; [unrolled: 1-line block ×4, first 2 shown]
	v_add_f32_e32 v64, v64, v66
	v_sub_f32_e32 v66, v67, v69
	v_add_f32_e32 v64, v66, v64
	v_add_f32_e32 v66, v71, v64
	v_mul_f32_e32 v67, v68, v66
	v_mul_f32_e32 v69, v63, v67
	v_fma_f32 v63, v67, v63, -v69
	v_fmac_f32_e32 v63, v67, v60
	v_sub_f32_e32 v60, v71, v66
	v_add_f32_e32 v60, v64, v60
	v_add_f32_e32 v64, v69, v63
	v_sub_f32_e32 v70, v66, v64
	v_sub_f32_e32 v66, v66, v70
	;; [unrolled: 1-line block ×4, first 2 shown]
	v_add_f32_e32 v60, v60, v64
	v_sub_f32_e32 v63, v69, v63
	v_add_f32_e32 v60, v63, v60
	v_add_f32_e32 v63, v65, v67
	v_add_f32_e32 v60, v70, v60
	v_sub_f32_e32 v64, v63, v65
	v_mul_f32_e32 v60, v68, v60
	v_sub_f32_e32 v64, v67, v64
	v_add_f32_e32 v60, v64, v60
	v_cvt_f32_i32_e32 v59, v59
	v_add_f32_e32 v64, v63, v60
	v_mul_f32_e32 v65, v64, v64
	v_mov_b32_e32 v66, 0x3ecc95a3
	v_fmac_f32_e32 v66, 0x3e9b6dac, v65
	v_mov_b32_e32 v67, 0x3f2aaada
	v_fmac_f32_e32 v67, v65, v66
	v_mul_f32_e32 v66, 0x3f317218, v59
	v_fma_f32 v68, v59, s13, -v66
	v_fmac_f32_e32 v68, 0xb102e308, v59
	v_sub_f32_e32 v59, v64, v63
	v_sub_f32_e32 v59, v60, v59
	v_add_f32_e32 v60, v66, v68
	v_sub_f32_e32 v63, v60, v66
	v_ldexp_f32 v66, v64, 1
	v_mul_f32_e32 v64, v64, v65
	v_mul_f32_e32 v64, v64, v67
	v_add_f32_e32 v65, v66, v64
	v_sub_f32_e32 v66, v65, v66
	v_ldexp_f32 v59, v59, 1
	v_sub_f32_e32 v64, v64, v66
	v_add_f32_e32 v59, v59, v64
	v_add_f32_e32 v64, v65, v59
	v_sub_f32_e32 v65, v64, v65
	v_sub_f32_e32 v59, v59, v65
	v_add_f32_e32 v65, v60, v64
	v_sub_f32_e32 v66, v65, v60
	v_sub_f32_e32 v67, v65, v66
	v_sub_f32_e32 v63, v68, v63
	v_sub_f32_e32 v60, v60, v67
	v_sub_f32_e32 v64, v64, v66
	v_add_f32_e32 v60, v64, v60
	v_add_f32_e32 v64, v63, v59
	v_sub_f32_e32 v66, v64, v63
	v_sub_f32_e32 v67, v64, v66
	;; [unrolled: 1-line block ×4, first 2 shown]
	v_add_f32_e32 v60, v64, v60
	v_add_f32_e32 v59, v59, v63
	;; [unrolled: 1-line block ×3, first 2 shown]
	v_sub_f32_e32 v64, v63, v65
	v_sub_f32_e32 v60, v60, v64
	v_add_f32_e32 v59, v59, v60
	v_add_f32_e32 v59, v63, v59
	v_cmp_neq_f32_e32 vcc, s12, v62
	s_mov_b32 s12, 0x33800000
	v_cndmask_b32_e32 v59, v61, v59, vcc
	v_cmp_lt_f32_e64 vcc, |v62|, s12
	v_cndmask_b32_e32 v59, v59, v62, vcc
	v_add_f32_e32 v59, v58, v59
.LBB459_120:
	s_or_b64 exec, exec, s[2:3]
	v_bfe_u32 v58, v59, 16, 1
	s_movk_i32 s2, 0x7fff
	v_add3_u32 v58, v59, v58, s2
	v_cmp_o_f32_e32 vcc, v59, v59
	v_mov_b32_e32 v59, 0x7fc0
	v_cndmask_b32_sdwa v59, v59, v58, vcc dst_sel:DWORD dst_unused:UNUSED_PAD src0_sel:DWORD src1_sel:WORD_1
	v_and_b32_e32 v60, 0xffff, v59
.LBB459_121:
	s_or_b64 exec, exec, s[10:11]
	s_nop 0
	v_mov_b32_dpp v58, v60 row_bcast:31 row_mask:0xf bank_mask:0xf
	v_cmp_lt_u32_e32 vcc, 31, v57
	s_and_saveexec_b64 s[10:11], vcc
	s_cbranch_execz .LBB459_125
; %bb.122:
	v_lshlrev_b32_e32 v59, 16, v58
	v_lshlrev_b32_e32 v58, 16, v60
	v_max_f32_e32 v61, v58, v58
	v_max_f32_e32 v62, v59, v59
	v_min_f32_e32 v60, v62, v61
	v_cmp_u_f32_e32 vcc, v59, v59
	v_max_f32_e32 v61, v62, v61
	v_cndmask_b32_e32 v60, v60, v59, vcc
	v_cmp_u_f32_e64 s[2:3], v58, v58
	v_cndmask_b32_e32 v61, v61, v59, vcc
	v_cndmask_b32_e64 v60, v60, v58, s[2:3]
	v_cndmask_b32_e64 v58, v61, v58, s[2:3]
	s_movk_i32 s2, 0x1f8
	v_cmp_neq_f32_e32 vcc, v60, v58
	v_cmp_class_f32_e64 s[2:3], v60, s2
	s_or_b64 vcc, vcc, s[2:3]
	s_and_saveexec_b64 s[2:3], vcc
	s_cbranch_execz .LBB459_124
; %bb.123:
	v_sub_f32_e32 v59, v60, v58
	s_mov_b32 s12, 0x3fb8aa3b
	v_mul_f32_e32 v60, 0x3fb8aa3b, v59
	v_fma_f32 v61, v59, s12, -v60
	v_rndne_f32_e32 v62, v60
	v_fmac_f32_e32 v61, 0x32a5705f, v59
	v_sub_f32_e32 v60, v60, v62
	v_add_f32_e32 v60, v60, v61
	v_exp_f32_e32 v60, v60
	v_cvt_i32_f32_e32 v61, v62
	s_mov_b32 s12, 0xc2ce8ed0
	v_cmp_ngt_f32_e32 vcc, s12, v59
	s_mov_b32 s12, 0x42b17218
	v_ldexp_f32 v60, v60, v61
	v_cndmask_b32_e32 v60, 0, v60, vcc
	v_mov_b32_e32 v61, 0x7f800000
	v_cmp_nlt_f32_e32 vcc, s12, v59
	v_cndmask_b32_e32 v62, v61, v60, vcc
	v_add_f32_e32 v63, 1.0, v62
	v_cvt_f64_f32_e32 v[59:60], v63
	v_add_f32_e32 v64, -1.0, v63
	v_sub_f32_e32 v65, v64, v63
	v_sub_f32_e32 v64, v62, v64
	v_frexp_exp_i32_f64_e32 v59, v[59:60]
	v_add_f32_e32 v60, 1.0, v65
	v_add_f32_e32 v60, v64, v60
	v_frexp_mant_f32_e32 v64, v63
	s_mov_b32 s13, 0x3f2aaaab
	v_cmp_gt_f32_e32 vcc, s13, v64
	s_mov_b32 s13, 0x3f317218
	s_mov_b32 s12, 0x7f800000
	v_subbrev_co_u32_e32 v59, vcc, 0, v59, vcc
	v_sub_u32_e32 v64, 0, v59
	v_ldexp_f32 v63, v63, v64
	v_ldexp_f32 v60, v60, v64
	v_add_f32_e32 v64, -1.0, v63
	v_add_f32_e32 v67, 1.0, v63
	v_add_f32_e32 v65, 1.0, v64
	v_add_f32_e32 v68, -1.0, v67
	v_sub_f32_e32 v65, v63, v65
	v_sub_f32_e32 v63, v63, v68
	v_add_f32_e32 v65, v60, v65
	v_add_f32_e32 v60, v60, v63
	;; [unrolled: 1-line block ×3, first 2 shown]
	v_rcp_f32_e32 v68, v63
	v_add_f32_e32 v66, v64, v65
	v_sub_f32_e32 v64, v64, v66
	v_add_f32_e32 v64, v65, v64
	v_sub_f32_e32 v65, v67, v63
	v_add_f32_e32 v60, v60, v65
	v_mul_f32_e32 v65, v66, v68
	v_mul_f32_e32 v67, v63, v65
	v_fma_f32 v69, v65, v63, -v67
	v_fmac_f32_e32 v69, v65, v60
	v_add_f32_e32 v70, v67, v69
	v_sub_f32_e32 v71, v66, v70
	v_sub_f32_e32 v66, v66, v71
	;; [unrolled: 1-line block ×4, first 2 shown]
	v_add_f32_e32 v64, v64, v66
	v_sub_f32_e32 v66, v67, v69
	v_add_f32_e32 v64, v66, v64
	v_add_f32_e32 v66, v71, v64
	v_mul_f32_e32 v67, v68, v66
	v_mul_f32_e32 v69, v63, v67
	v_fma_f32 v63, v67, v63, -v69
	v_fmac_f32_e32 v63, v67, v60
	v_sub_f32_e32 v60, v71, v66
	v_add_f32_e32 v60, v64, v60
	v_add_f32_e32 v64, v69, v63
	v_sub_f32_e32 v70, v66, v64
	v_sub_f32_e32 v66, v66, v70
	;; [unrolled: 1-line block ×4, first 2 shown]
	v_add_f32_e32 v60, v60, v64
	v_sub_f32_e32 v63, v69, v63
	v_add_f32_e32 v60, v63, v60
	v_add_f32_e32 v63, v65, v67
	;; [unrolled: 1-line block ×3, first 2 shown]
	v_sub_f32_e32 v64, v63, v65
	v_mul_f32_e32 v60, v68, v60
	v_sub_f32_e32 v64, v67, v64
	v_add_f32_e32 v60, v64, v60
	v_cvt_f32_i32_e32 v59, v59
	v_add_f32_e32 v64, v63, v60
	v_mul_f32_e32 v65, v64, v64
	v_mov_b32_e32 v66, 0x3ecc95a3
	v_fmac_f32_e32 v66, 0x3e9b6dac, v65
	v_mov_b32_e32 v67, 0x3f2aaada
	v_fmac_f32_e32 v67, v65, v66
	v_mul_f32_e32 v66, 0x3f317218, v59
	v_fma_f32 v68, v59, s13, -v66
	v_fmac_f32_e32 v68, 0xb102e308, v59
	v_sub_f32_e32 v59, v64, v63
	v_sub_f32_e32 v59, v60, v59
	v_add_f32_e32 v60, v66, v68
	v_sub_f32_e32 v63, v60, v66
	v_ldexp_f32 v66, v64, 1
	v_mul_f32_e32 v64, v64, v65
	v_mul_f32_e32 v64, v64, v67
	v_add_f32_e32 v65, v66, v64
	v_sub_f32_e32 v66, v65, v66
	v_ldexp_f32 v59, v59, 1
	v_sub_f32_e32 v64, v64, v66
	v_add_f32_e32 v59, v59, v64
	v_add_f32_e32 v64, v65, v59
	v_sub_f32_e32 v65, v64, v65
	v_sub_f32_e32 v59, v59, v65
	v_add_f32_e32 v65, v60, v64
	v_sub_f32_e32 v66, v65, v60
	v_sub_f32_e32 v67, v65, v66
	v_sub_f32_e32 v63, v68, v63
	v_sub_f32_e32 v60, v60, v67
	v_sub_f32_e32 v64, v64, v66
	v_add_f32_e32 v60, v64, v60
	v_add_f32_e32 v64, v63, v59
	v_sub_f32_e32 v66, v64, v63
	v_sub_f32_e32 v67, v64, v66
	;; [unrolled: 1-line block ×4, first 2 shown]
	v_add_f32_e32 v60, v64, v60
	v_add_f32_e32 v59, v59, v63
	;; [unrolled: 1-line block ×3, first 2 shown]
	v_sub_f32_e32 v64, v63, v65
	v_sub_f32_e32 v60, v60, v64
	v_add_f32_e32 v59, v59, v60
	v_add_f32_e32 v59, v63, v59
	v_cmp_neq_f32_e32 vcc, s12, v62
	s_mov_b32 s12, 0x33800000
	v_cndmask_b32_e32 v59, v61, v59, vcc
	v_cmp_lt_f32_e64 vcc, |v62|, s12
	v_cndmask_b32_e32 v59, v59, v62, vcc
	v_add_f32_e32 v59, v58, v59
.LBB459_124:
	s_or_b64 exec, exec, s[2:3]
	v_bfe_u32 v58, v59, 16, 1
	s_movk_i32 s2, 0x7fff
	v_add3_u32 v58, v59, v58, s2
	v_cmp_o_f32_e32 vcc, v59, v59
	v_mov_b32_e32 v59, 0x7fc0
	v_cndmask_b32_sdwa v59, v59, v58, vcc dst_sel:DWORD dst_unused:UNUSED_PAD src0_sel:DWORD src1_sel:WORD_1
.LBB459_125:
	s_or_b64 exec, exec, s[10:11]
	v_add_u32_e32 v58, -1, v57
	v_and_b32_e32 v60, 64, v57
	v_cmp_lt_i32_e32 vcc, v58, v60
	v_cndmask_b32_e32 v57, v58, v57, vcc
	v_lshlrev_b32_e32 v57, 2, v57
	v_and_b32_e32 v58, 0xffff, v59
	ds_bpermute_b32 v57, v57, v58
	s_waitcnt lgkmcnt(0)
	v_lshlrev_b32_e32 v57, 16, v57
	v_max_f32_e32 v58, v57, v57
	v_min_f32_e32 v59, v58, v56
	v_max_f32_e32 v58, v58, v56
	v_cmp_u_f32_e32 vcc, v57, v57
	v_cndmask_b32_e32 v56, v59, v57, vcc
	v_cndmask_b32_e32 v58, v58, v57, vcc
	v_cndmask_b32_e64 v56, v56, v55, s[4:5]
	v_cndmask_b32_e64 v55, v58, v55, s[4:5]
	s_movk_i32 s4, 0x1f8
	v_cmp_neq_f32_e32 vcc, v56, v55
	v_cmp_class_f32_e64 s[2:3], v56, s4
	s_or_b64 s[10:11], vcc, s[2:3]
	s_and_saveexec_b64 s[2:3], s[10:11]
	s_cbranch_execz .LBB459_127
; %bb.126:
	v_sub_f32_e32 v56, v56, v55
	s_mov_b32 s5, 0x3fb8aa3b
	v_mul_f32_e32 v57, 0x3fb8aa3b, v56
	v_fma_f32 v58, v56, s5, -v57
	v_rndne_f32_e32 v59, v57
	v_fmac_f32_e32 v58, 0x32a5705f, v56
	v_sub_f32_e32 v57, v57, v59
	v_add_f32_e32 v57, v57, v58
	v_exp_f32_e32 v57, v57
	v_cvt_i32_f32_e32 v58, v59
	s_mov_b32 s5, 0xc2ce8ed0
	v_cmp_ngt_f32_e32 vcc, s5, v56
	s_mov_b32 s5, 0x42b17218
	v_ldexp_f32 v57, v57, v58
	v_cndmask_b32_e32 v57, 0, v57, vcc
	v_mov_b32_e32 v58, 0x7f800000
	v_cmp_nlt_f32_e32 vcc, s5, v56
	v_cndmask_b32_e32 v59, v58, v57, vcc
	v_add_f32_e32 v60, 1.0, v59
	v_cvt_f64_f32_e32 v[56:57], v60
	v_add_f32_e32 v61, -1.0, v60
	v_sub_f32_e32 v62, v61, v60
	v_sub_f32_e32 v61, v59, v61
	v_frexp_exp_i32_f64_e32 v56, v[56:57]
	v_add_f32_e32 v57, 1.0, v62
	v_add_f32_e32 v57, v61, v57
	v_frexp_mant_f32_e32 v61, v60
	s_mov_b32 s10, 0x3f2aaaab
	v_cmp_gt_f32_e32 vcc, s10, v61
	s_mov_b32 s10, 0x3f317218
	s_mov_b32 s5, 0x7f800000
	v_subbrev_co_u32_e32 v56, vcc, 0, v56, vcc
	v_sub_u32_e32 v61, 0, v56
	v_ldexp_f32 v60, v60, v61
	v_ldexp_f32 v57, v57, v61
	v_add_f32_e32 v61, -1.0, v60
	v_add_f32_e32 v64, 1.0, v60
	v_add_f32_e32 v62, 1.0, v61
	v_add_f32_e32 v65, -1.0, v64
	v_sub_f32_e32 v62, v60, v62
	v_sub_f32_e32 v60, v60, v65
	v_add_f32_e32 v62, v57, v62
	v_add_f32_e32 v57, v57, v60
	;; [unrolled: 1-line block ×3, first 2 shown]
	v_rcp_f32_e32 v65, v60
	v_add_f32_e32 v63, v61, v62
	v_sub_f32_e32 v61, v61, v63
	v_add_f32_e32 v61, v62, v61
	v_sub_f32_e32 v62, v64, v60
	v_add_f32_e32 v57, v57, v62
	v_mul_f32_e32 v62, v63, v65
	v_mul_f32_e32 v64, v60, v62
	v_fma_f32 v66, v62, v60, -v64
	v_fmac_f32_e32 v66, v62, v57
	v_add_f32_e32 v67, v64, v66
	v_sub_f32_e32 v68, v63, v67
	v_sub_f32_e32 v63, v63, v68
	;; [unrolled: 1-line block ×4, first 2 shown]
	v_add_f32_e32 v61, v61, v63
	v_sub_f32_e32 v63, v64, v66
	v_add_f32_e32 v61, v63, v61
	v_add_f32_e32 v63, v68, v61
	v_mul_f32_e32 v64, v65, v63
	v_mul_f32_e32 v66, v60, v64
	v_fma_f32 v60, v64, v60, -v66
	v_fmac_f32_e32 v60, v64, v57
	v_sub_f32_e32 v57, v68, v63
	v_add_f32_e32 v57, v61, v57
	v_add_f32_e32 v61, v66, v60
	v_sub_f32_e32 v67, v63, v61
	v_sub_f32_e32 v63, v63, v67
	;; [unrolled: 1-line block ×4, first 2 shown]
	v_add_f32_e32 v57, v57, v61
	v_sub_f32_e32 v60, v66, v60
	v_add_f32_e32 v57, v60, v57
	v_add_f32_e32 v60, v62, v64
	;; [unrolled: 1-line block ×3, first 2 shown]
	v_sub_f32_e32 v61, v60, v62
	v_mul_f32_e32 v57, v65, v57
	v_sub_f32_e32 v61, v64, v61
	v_add_f32_e32 v57, v61, v57
	v_cvt_f32_i32_e32 v56, v56
	v_add_f32_e32 v61, v60, v57
	v_mul_f32_e32 v62, v61, v61
	v_mov_b32_e32 v63, 0x3ecc95a3
	v_fmac_f32_e32 v63, 0x3e9b6dac, v62
	v_mov_b32_e32 v64, 0x3f2aaada
	v_fmac_f32_e32 v64, v62, v63
	v_mul_f32_e32 v63, 0x3f317218, v56
	v_fma_f32 v65, v56, s10, -v63
	v_fmac_f32_e32 v65, 0xb102e308, v56
	v_sub_f32_e32 v56, v61, v60
	v_sub_f32_e32 v56, v57, v56
	v_add_f32_e32 v57, v63, v65
	v_sub_f32_e32 v60, v57, v63
	v_ldexp_f32 v63, v61, 1
	v_mul_f32_e32 v61, v61, v62
	v_mul_f32_e32 v61, v61, v64
	v_add_f32_e32 v62, v63, v61
	v_sub_f32_e32 v63, v62, v63
	v_ldexp_f32 v56, v56, 1
	v_sub_f32_e32 v61, v61, v63
	v_add_f32_e32 v56, v56, v61
	v_add_f32_e32 v61, v62, v56
	v_sub_f32_e32 v62, v61, v62
	v_sub_f32_e32 v56, v56, v62
	v_add_f32_e32 v62, v57, v61
	v_sub_f32_e32 v63, v62, v57
	v_sub_f32_e32 v64, v62, v63
	;; [unrolled: 1-line block ×5, first 2 shown]
	v_add_f32_e32 v57, v61, v57
	v_add_f32_e32 v61, v60, v56
	v_sub_f32_e32 v63, v61, v60
	v_sub_f32_e32 v64, v61, v63
	;; [unrolled: 1-line block ×4, first 2 shown]
	v_add_f32_e32 v57, v61, v57
	v_add_f32_e32 v56, v56, v60
	;; [unrolled: 1-line block ×3, first 2 shown]
	v_sub_f32_e32 v61, v60, v62
	v_sub_f32_e32 v57, v57, v61
	v_add_f32_e32 v56, v56, v57
	v_add_f32_e32 v56, v60, v56
	v_cmp_neq_f32_e32 vcc, s5, v59
	s_mov_b32 s5, 0x33800000
	v_cndmask_b32_e32 v56, v58, v56, vcc
	v_cmp_lt_f32_e64 vcc, |v59|, s5
	v_cndmask_b32_e32 v56, v56, v59, vcc
	v_add_f32_e32 v57, v55, v56
.LBB459_127:
	s_or_b64 exec, exec, s[2:3]
	v_bfe_u32 v55, v57, 16, 1
	s_movk_i32 s5, 0x7fff
	v_add3_u32 v56, v57, v55, s5
	v_cmp_o_f32_e32 vcc, v57, v57
	v_mov_b32_e32 v55, 0x7fc0
	v_cndmask_b32_sdwa v56, v55, v56, vcc dst_sel:DWORD dst_unused:UNUSED_PAD src0_sel:DWORD src1_sel:WORD_1
	v_cmp_eq_u32_e32 vcc, 0, v0
	v_cndmask_b32_e32 v54, v56, v54, vcc
	; wave barrier
	ds_write_b16 v53, v54
	; wave barrier
	ds_read_u16 v57, v53 offset:2
	v_lshlrev_b32_e32 v56, 16, v54
	v_max_f32_e32 v58, v56, v56
	v_cmp_u_f32_e32 vcc, v56, v56
	s_waitcnt lgkmcnt(0)
	v_lshlrev_b32_e32 v54, 16, v57
	v_max_f32_e32 v59, v54, v54
	v_min_f32_e32 v57, v58, v59
	v_max_f32_e32 v58, v58, v59
	v_cndmask_b32_e32 v57, v57, v56, vcc
	v_cmp_u_f32_e64 s[2:3], v54, v54
	v_cndmask_b32_e32 v58, v58, v56, vcc
	v_cndmask_b32_e64 v57, v57, v54, s[2:3]
	v_cndmask_b32_e64 v54, v58, v54, s[2:3]
	v_cmp_neq_f32_e32 vcc, v57, v54
	v_cmp_class_f32_e64 s[2:3], v57, s4
	s_or_b64 s[10:11], vcc, s[2:3]
	s_and_saveexec_b64 s[2:3], s[10:11]
	s_cbranch_execz .LBB459_129
; %bb.128:
	v_sub_f32_e32 v56, v57, v54
	s_mov_b32 s4, 0x3fb8aa3b
	v_mul_f32_e32 v57, 0x3fb8aa3b, v56
	v_fma_f32 v58, v56, s4, -v57
	v_rndne_f32_e32 v59, v57
	v_fmac_f32_e32 v58, 0x32a5705f, v56
	v_sub_f32_e32 v57, v57, v59
	v_add_f32_e32 v57, v57, v58
	v_exp_f32_e32 v57, v57
	v_cvt_i32_f32_e32 v58, v59
	s_mov_b32 s4, 0xc2ce8ed0
	v_cmp_ngt_f32_e32 vcc, s4, v56
	s_mov_b32 s4, 0x42b17218
	v_ldexp_f32 v57, v57, v58
	v_cndmask_b32_e32 v57, 0, v57, vcc
	v_mov_b32_e32 v58, 0x7f800000
	v_cmp_nlt_f32_e32 vcc, s4, v56
	v_cndmask_b32_e32 v59, v58, v57, vcc
	v_add_f32_e32 v60, 1.0, v59
	v_cvt_f64_f32_e32 v[56:57], v60
	v_add_f32_e32 v61, -1.0, v60
	v_sub_f32_e32 v62, v61, v60
	v_sub_f32_e32 v61, v59, v61
	v_frexp_exp_i32_f64_e32 v56, v[56:57]
	v_add_f32_e32 v57, 1.0, v62
	v_add_f32_e32 v57, v61, v57
	v_frexp_mant_f32_e32 v61, v60
	s_mov_b32 s10, 0x3f2aaaab
	v_cmp_gt_f32_e32 vcc, s10, v61
	s_mov_b32 s10, 0x3f317218
	s_mov_b32 s4, 0x7f800000
	v_subbrev_co_u32_e32 v56, vcc, 0, v56, vcc
	v_sub_u32_e32 v61, 0, v56
	v_ldexp_f32 v60, v60, v61
	v_ldexp_f32 v57, v57, v61
	v_add_f32_e32 v61, -1.0, v60
	v_add_f32_e32 v64, 1.0, v60
	v_add_f32_e32 v62, 1.0, v61
	v_add_f32_e32 v65, -1.0, v64
	v_sub_f32_e32 v62, v60, v62
	v_sub_f32_e32 v60, v60, v65
	v_add_f32_e32 v62, v57, v62
	v_add_f32_e32 v57, v57, v60
	v_add_f32_e32 v60, v64, v57
	v_rcp_f32_e32 v65, v60
	v_add_f32_e32 v63, v61, v62
	v_sub_f32_e32 v61, v61, v63
	v_add_f32_e32 v61, v62, v61
	v_sub_f32_e32 v62, v64, v60
	v_add_f32_e32 v57, v57, v62
	v_mul_f32_e32 v62, v63, v65
	v_mul_f32_e32 v64, v60, v62
	v_fma_f32 v66, v62, v60, -v64
	v_fmac_f32_e32 v66, v62, v57
	v_add_f32_e32 v67, v64, v66
	v_sub_f32_e32 v68, v63, v67
	v_sub_f32_e32 v63, v63, v68
	;; [unrolled: 1-line block ×4, first 2 shown]
	v_add_f32_e32 v61, v61, v63
	v_sub_f32_e32 v63, v64, v66
	v_add_f32_e32 v61, v63, v61
	v_add_f32_e32 v63, v68, v61
	v_mul_f32_e32 v64, v65, v63
	v_mul_f32_e32 v66, v60, v64
	v_fma_f32 v60, v64, v60, -v66
	v_fmac_f32_e32 v60, v64, v57
	v_sub_f32_e32 v57, v68, v63
	v_add_f32_e32 v57, v61, v57
	v_add_f32_e32 v61, v66, v60
	v_sub_f32_e32 v67, v63, v61
	v_sub_f32_e32 v63, v63, v67
	;; [unrolled: 1-line block ×4, first 2 shown]
	v_add_f32_e32 v57, v57, v61
	v_sub_f32_e32 v60, v66, v60
	v_add_f32_e32 v57, v60, v57
	v_add_f32_e32 v60, v62, v64
	;; [unrolled: 1-line block ×3, first 2 shown]
	v_sub_f32_e32 v61, v60, v62
	v_mul_f32_e32 v57, v65, v57
	v_sub_f32_e32 v61, v64, v61
	v_add_f32_e32 v57, v61, v57
	v_cvt_f32_i32_e32 v56, v56
	v_add_f32_e32 v61, v60, v57
	v_mul_f32_e32 v62, v61, v61
	v_mov_b32_e32 v63, 0x3ecc95a3
	v_fmac_f32_e32 v63, 0x3e9b6dac, v62
	v_mov_b32_e32 v64, 0x3f2aaada
	v_fmac_f32_e32 v64, v62, v63
	v_mul_f32_e32 v63, 0x3f317218, v56
	v_fma_f32 v65, v56, s10, -v63
	v_fmac_f32_e32 v65, 0xb102e308, v56
	v_sub_f32_e32 v56, v61, v60
	v_sub_f32_e32 v56, v57, v56
	v_add_f32_e32 v57, v63, v65
	v_sub_f32_e32 v60, v57, v63
	v_ldexp_f32 v63, v61, 1
	v_mul_f32_e32 v61, v61, v62
	v_mul_f32_e32 v61, v61, v64
	v_add_f32_e32 v62, v63, v61
	v_sub_f32_e32 v63, v62, v63
	v_ldexp_f32 v56, v56, 1
	v_sub_f32_e32 v61, v61, v63
	v_add_f32_e32 v56, v56, v61
	v_add_f32_e32 v61, v62, v56
	v_sub_f32_e32 v62, v61, v62
	v_sub_f32_e32 v56, v56, v62
	v_add_f32_e32 v62, v57, v61
	v_sub_f32_e32 v63, v62, v57
	v_sub_f32_e32 v64, v62, v63
	;; [unrolled: 1-line block ×5, first 2 shown]
	v_add_f32_e32 v57, v61, v57
	v_add_f32_e32 v61, v60, v56
	v_sub_f32_e32 v63, v61, v60
	v_sub_f32_e32 v64, v61, v63
	;; [unrolled: 1-line block ×4, first 2 shown]
	v_add_f32_e32 v57, v61, v57
	v_add_f32_e32 v56, v56, v60
	;; [unrolled: 1-line block ×3, first 2 shown]
	v_sub_f32_e32 v61, v60, v62
	v_sub_f32_e32 v57, v57, v61
	v_add_f32_e32 v56, v56, v57
	v_add_f32_e32 v56, v60, v56
	v_cmp_neq_f32_e32 vcc, s4, v59
	s_mov_b32 s4, 0x33800000
	v_cndmask_b32_e32 v56, v58, v56, vcc
	v_cmp_lt_f32_e64 vcc, |v59|, s4
	v_cndmask_b32_e32 v56, v56, v59, vcc
	v_add_f32_e32 v56, v54, v56
.LBB459_129:
	s_or_b64 exec, exec, s[2:3]
	v_bfe_u32 v54, v56, 16, 1
	v_add3_u32 v54, v56, v54, s5
	v_cmp_o_f32_e32 vcc, v56, v56
	ds_read_u16 v56, v53 offset:4
	v_cndmask_b32_sdwa v54, v55, v54, vcc dst_sel:DWORD dst_unused:UNUSED_PAD src0_sel:DWORD src1_sel:WORD_1
	ds_write_b16 v53, v54 offset:2
	v_lshlrev_b32_e32 v55, 16, v54
	v_max_f32_e32 v57, v55, v55
	s_waitcnt lgkmcnt(1)
	v_lshlrev_b32_e32 v54, 16, v56
	v_max_f32_e32 v58, v54, v54
	v_min_f32_e32 v56, v57, v58
	v_cmp_u_f32_e32 vcc, v55, v55
	v_max_f32_e32 v57, v57, v58
	v_cndmask_b32_e32 v56, v56, v55, vcc
	v_cmp_u_f32_e64 s[2:3], v54, v54
	v_cndmask_b32_e32 v57, v57, v55, vcc
	v_cndmask_b32_e64 v56, v56, v54, s[2:3]
	v_cndmask_b32_e64 v54, v57, v54, s[2:3]
	s_movk_i32 s4, 0x1f8
	v_cmp_neq_f32_e32 vcc, v56, v54
	v_cmp_class_f32_e64 s[2:3], v56, s4
	s_or_b64 s[10:11], vcc, s[2:3]
	s_and_saveexec_b64 s[2:3], s[10:11]
	s_cbranch_execz .LBB459_131
; %bb.130:
	v_sub_f32_e32 v55, v56, v54
	s_mov_b32 s5, 0x3fb8aa3b
	v_mul_f32_e32 v56, 0x3fb8aa3b, v55
	v_fma_f32 v57, v55, s5, -v56
	v_rndne_f32_e32 v58, v56
	v_fmac_f32_e32 v57, 0x32a5705f, v55
	v_sub_f32_e32 v56, v56, v58
	v_add_f32_e32 v56, v56, v57
	v_exp_f32_e32 v56, v56
	v_cvt_i32_f32_e32 v57, v58
	s_mov_b32 s5, 0xc2ce8ed0
	v_cmp_ngt_f32_e32 vcc, s5, v55
	s_mov_b32 s5, 0x42b17218
	v_ldexp_f32 v56, v56, v57
	v_cndmask_b32_e32 v56, 0, v56, vcc
	v_mov_b32_e32 v57, 0x7f800000
	v_cmp_nlt_f32_e32 vcc, s5, v55
	v_cndmask_b32_e32 v58, v57, v56, vcc
	v_add_f32_e32 v59, 1.0, v58
	v_cvt_f64_f32_e32 v[55:56], v59
	v_add_f32_e32 v60, -1.0, v59
	v_sub_f32_e32 v61, v60, v59
	v_sub_f32_e32 v60, v58, v60
	v_frexp_exp_i32_f64_e32 v55, v[55:56]
	v_add_f32_e32 v56, 1.0, v61
	v_add_f32_e32 v56, v60, v56
	v_frexp_mant_f32_e32 v60, v59
	s_mov_b32 s10, 0x3f2aaaab
	v_cmp_gt_f32_e32 vcc, s10, v60
	s_mov_b32 s10, 0x3f317218
	s_mov_b32 s5, 0x7f800000
	v_subbrev_co_u32_e32 v55, vcc, 0, v55, vcc
	v_sub_u32_e32 v60, 0, v55
	v_ldexp_f32 v59, v59, v60
	v_ldexp_f32 v56, v56, v60
	v_add_f32_e32 v60, -1.0, v59
	v_add_f32_e32 v63, 1.0, v59
	v_add_f32_e32 v61, 1.0, v60
	v_add_f32_e32 v64, -1.0, v63
	v_sub_f32_e32 v61, v59, v61
	v_sub_f32_e32 v59, v59, v64
	v_add_f32_e32 v61, v56, v61
	v_add_f32_e32 v56, v56, v59
	;; [unrolled: 1-line block ×3, first 2 shown]
	v_rcp_f32_e32 v64, v59
	v_add_f32_e32 v62, v60, v61
	v_sub_f32_e32 v60, v60, v62
	v_add_f32_e32 v60, v61, v60
	v_sub_f32_e32 v61, v63, v59
	v_add_f32_e32 v56, v56, v61
	v_mul_f32_e32 v61, v62, v64
	v_mul_f32_e32 v63, v59, v61
	v_fma_f32 v65, v61, v59, -v63
	v_fmac_f32_e32 v65, v61, v56
	v_add_f32_e32 v66, v63, v65
	v_sub_f32_e32 v67, v62, v66
	v_sub_f32_e32 v62, v62, v67
	;; [unrolled: 1-line block ×4, first 2 shown]
	v_add_f32_e32 v60, v60, v62
	v_sub_f32_e32 v62, v63, v65
	v_add_f32_e32 v60, v62, v60
	v_add_f32_e32 v62, v67, v60
	v_mul_f32_e32 v63, v64, v62
	v_mul_f32_e32 v65, v59, v63
	v_fma_f32 v59, v63, v59, -v65
	v_fmac_f32_e32 v59, v63, v56
	v_sub_f32_e32 v56, v67, v62
	v_add_f32_e32 v56, v60, v56
	v_add_f32_e32 v60, v65, v59
	v_sub_f32_e32 v66, v62, v60
	v_sub_f32_e32 v62, v62, v66
	;; [unrolled: 1-line block ×4, first 2 shown]
	v_add_f32_e32 v56, v56, v60
	v_sub_f32_e32 v59, v65, v59
	v_add_f32_e32 v56, v59, v56
	v_add_f32_e32 v59, v61, v63
	;; [unrolled: 1-line block ×3, first 2 shown]
	v_sub_f32_e32 v60, v59, v61
	v_mul_f32_e32 v56, v64, v56
	v_sub_f32_e32 v60, v63, v60
	v_add_f32_e32 v56, v60, v56
	v_cvt_f32_i32_e32 v55, v55
	v_add_f32_e32 v60, v59, v56
	v_mul_f32_e32 v61, v60, v60
	v_mov_b32_e32 v62, 0x3ecc95a3
	v_fmac_f32_e32 v62, 0x3e9b6dac, v61
	v_mov_b32_e32 v63, 0x3f2aaada
	v_fmac_f32_e32 v63, v61, v62
	v_mul_f32_e32 v62, 0x3f317218, v55
	v_fma_f32 v64, v55, s10, -v62
	v_fmac_f32_e32 v64, 0xb102e308, v55
	v_sub_f32_e32 v55, v60, v59
	v_sub_f32_e32 v55, v56, v55
	v_add_f32_e32 v56, v62, v64
	v_sub_f32_e32 v59, v56, v62
	v_ldexp_f32 v62, v60, 1
	v_mul_f32_e32 v60, v60, v61
	v_mul_f32_e32 v60, v60, v63
	v_add_f32_e32 v61, v62, v60
	v_sub_f32_e32 v62, v61, v62
	v_ldexp_f32 v55, v55, 1
	v_sub_f32_e32 v60, v60, v62
	v_add_f32_e32 v55, v55, v60
	v_add_f32_e32 v60, v61, v55
	v_sub_f32_e32 v61, v60, v61
	v_sub_f32_e32 v55, v55, v61
	v_add_f32_e32 v61, v56, v60
	v_sub_f32_e32 v62, v61, v56
	v_sub_f32_e32 v63, v61, v62
	;; [unrolled: 1-line block ×5, first 2 shown]
	v_add_f32_e32 v56, v60, v56
	v_add_f32_e32 v60, v59, v55
	v_sub_f32_e32 v62, v60, v59
	v_sub_f32_e32 v63, v60, v62
	;; [unrolled: 1-line block ×4, first 2 shown]
	v_add_f32_e32 v56, v60, v56
	v_add_f32_e32 v55, v55, v59
	;; [unrolled: 1-line block ×3, first 2 shown]
	v_sub_f32_e32 v60, v59, v61
	v_sub_f32_e32 v56, v56, v60
	v_add_f32_e32 v55, v55, v56
	v_add_f32_e32 v55, v59, v55
	v_cmp_neq_f32_e32 vcc, s5, v58
	s_mov_b32 s5, 0x33800000
	v_cndmask_b32_e32 v55, v57, v55, vcc
	v_cmp_lt_f32_e64 vcc, |v58|, s5
	v_cndmask_b32_e32 v55, v55, v58, vcc
	v_add_f32_e32 v55, v54, v55
.LBB459_131:
	s_or_b64 exec, exec, s[2:3]
	v_bfe_u32 v54, v55, 16, 1
	s_movk_i32 s5, 0x7fff
	v_add3_u32 v56, v55, v54, s5
	v_cmp_o_f32_e32 vcc, v55, v55
	ds_read_u16 v55, v53 offset:6
	v_mov_b32_e32 v54, 0x7fc0
	v_cndmask_b32_sdwa v56, v54, v56, vcc dst_sel:DWORD dst_unused:UNUSED_PAD src0_sel:DWORD src1_sel:WORD_1
	ds_write_b16 v53, v56 offset:4
	v_lshlrev_b32_e32 v56, 16, v56
	s_waitcnt lgkmcnt(1)
	v_lshlrev_b32_e32 v55, 16, v55
	v_max_f32_e32 v58, v56, v56
	v_max_f32_e32 v59, v55, v55
	v_min_f32_e32 v57, v58, v59
	v_cmp_u_f32_e32 vcc, v56, v56
	v_max_f32_e32 v58, v58, v59
	v_cndmask_b32_e32 v57, v57, v56, vcc
	v_cmp_u_f32_e64 s[2:3], v55, v55
	v_cndmask_b32_e32 v58, v58, v56, vcc
	v_cndmask_b32_e64 v57, v57, v55, s[2:3]
	v_cndmask_b32_e64 v55, v58, v55, s[2:3]
	v_cmp_neq_f32_e32 vcc, v57, v55
	v_cmp_class_f32_e64 s[2:3], v57, s4
	s_or_b64 s[10:11], vcc, s[2:3]
	s_and_saveexec_b64 s[2:3], s[10:11]
	s_cbranch_execz .LBB459_133
; %bb.132:
	v_sub_f32_e32 v56, v57, v55
	s_mov_b32 s4, 0x3fb8aa3b
	v_mul_f32_e32 v57, 0x3fb8aa3b, v56
	v_fma_f32 v58, v56, s4, -v57
	v_rndne_f32_e32 v59, v57
	v_fmac_f32_e32 v58, 0x32a5705f, v56
	v_sub_f32_e32 v57, v57, v59
	v_add_f32_e32 v57, v57, v58
	v_exp_f32_e32 v57, v57
	v_cvt_i32_f32_e32 v58, v59
	s_mov_b32 s4, 0xc2ce8ed0
	v_cmp_ngt_f32_e32 vcc, s4, v56
	s_mov_b32 s4, 0x42b17218
	v_ldexp_f32 v57, v57, v58
	v_cndmask_b32_e32 v57, 0, v57, vcc
	v_mov_b32_e32 v58, 0x7f800000
	v_cmp_nlt_f32_e32 vcc, s4, v56
	v_cndmask_b32_e32 v59, v58, v57, vcc
	v_add_f32_e32 v60, 1.0, v59
	v_cvt_f64_f32_e32 v[56:57], v60
	v_add_f32_e32 v61, -1.0, v60
	v_sub_f32_e32 v62, v61, v60
	v_sub_f32_e32 v61, v59, v61
	v_frexp_exp_i32_f64_e32 v56, v[56:57]
	v_add_f32_e32 v57, 1.0, v62
	v_add_f32_e32 v57, v61, v57
	v_frexp_mant_f32_e32 v61, v60
	s_mov_b32 s10, 0x3f2aaaab
	v_cmp_gt_f32_e32 vcc, s10, v61
	s_mov_b32 s10, 0x3f317218
	s_mov_b32 s4, 0x7f800000
	v_subbrev_co_u32_e32 v56, vcc, 0, v56, vcc
	v_sub_u32_e32 v61, 0, v56
	v_ldexp_f32 v60, v60, v61
	v_ldexp_f32 v57, v57, v61
	v_add_f32_e32 v61, -1.0, v60
	v_add_f32_e32 v64, 1.0, v60
	v_add_f32_e32 v62, 1.0, v61
	v_add_f32_e32 v65, -1.0, v64
	v_sub_f32_e32 v62, v60, v62
	v_sub_f32_e32 v60, v60, v65
	v_add_f32_e32 v62, v57, v62
	v_add_f32_e32 v57, v57, v60
	v_add_f32_e32 v60, v64, v57
	v_rcp_f32_e32 v65, v60
	v_add_f32_e32 v63, v61, v62
	v_sub_f32_e32 v61, v61, v63
	v_add_f32_e32 v61, v62, v61
	v_sub_f32_e32 v62, v64, v60
	v_add_f32_e32 v57, v57, v62
	v_mul_f32_e32 v62, v63, v65
	v_mul_f32_e32 v64, v60, v62
	v_fma_f32 v66, v62, v60, -v64
	v_fmac_f32_e32 v66, v62, v57
	v_add_f32_e32 v67, v64, v66
	v_sub_f32_e32 v68, v63, v67
	v_sub_f32_e32 v63, v63, v68
	;; [unrolled: 1-line block ×4, first 2 shown]
	v_add_f32_e32 v61, v61, v63
	v_sub_f32_e32 v63, v64, v66
	v_add_f32_e32 v61, v63, v61
	v_add_f32_e32 v63, v68, v61
	v_mul_f32_e32 v64, v65, v63
	v_mul_f32_e32 v66, v60, v64
	v_fma_f32 v60, v64, v60, -v66
	v_fmac_f32_e32 v60, v64, v57
	v_sub_f32_e32 v57, v68, v63
	v_add_f32_e32 v57, v61, v57
	v_add_f32_e32 v61, v66, v60
	v_sub_f32_e32 v67, v63, v61
	v_sub_f32_e32 v63, v63, v67
	;; [unrolled: 1-line block ×4, first 2 shown]
	v_add_f32_e32 v57, v57, v61
	v_sub_f32_e32 v60, v66, v60
	v_add_f32_e32 v57, v60, v57
	v_add_f32_e32 v60, v62, v64
	;; [unrolled: 1-line block ×3, first 2 shown]
	v_sub_f32_e32 v61, v60, v62
	v_mul_f32_e32 v57, v65, v57
	v_sub_f32_e32 v61, v64, v61
	v_add_f32_e32 v57, v61, v57
	v_cvt_f32_i32_e32 v56, v56
	v_add_f32_e32 v61, v60, v57
	v_mul_f32_e32 v62, v61, v61
	v_mov_b32_e32 v63, 0x3ecc95a3
	v_fmac_f32_e32 v63, 0x3e9b6dac, v62
	v_mov_b32_e32 v64, 0x3f2aaada
	v_fmac_f32_e32 v64, v62, v63
	v_mul_f32_e32 v63, 0x3f317218, v56
	v_fma_f32 v65, v56, s10, -v63
	v_fmac_f32_e32 v65, 0xb102e308, v56
	v_sub_f32_e32 v56, v61, v60
	v_sub_f32_e32 v56, v57, v56
	v_add_f32_e32 v57, v63, v65
	v_sub_f32_e32 v60, v57, v63
	v_ldexp_f32 v63, v61, 1
	v_mul_f32_e32 v61, v61, v62
	v_mul_f32_e32 v61, v61, v64
	v_add_f32_e32 v62, v63, v61
	v_sub_f32_e32 v63, v62, v63
	v_ldexp_f32 v56, v56, 1
	v_sub_f32_e32 v61, v61, v63
	v_add_f32_e32 v56, v56, v61
	v_add_f32_e32 v61, v62, v56
	v_sub_f32_e32 v62, v61, v62
	v_sub_f32_e32 v56, v56, v62
	v_add_f32_e32 v62, v57, v61
	v_sub_f32_e32 v63, v62, v57
	v_sub_f32_e32 v64, v62, v63
	;; [unrolled: 1-line block ×5, first 2 shown]
	v_add_f32_e32 v57, v61, v57
	v_add_f32_e32 v61, v60, v56
	v_sub_f32_e32 v63, v61, v60
	v_sub_f32_e32 v64, v61, v63
	;; [unrolled: 1-line block ×4, first 2 shown]
	v_add_f32_e32 v57, v61, v57
	v_add_f32_e32 v56, v56, v60
	;; [unrolled: 1-line block ×3, first 2 shown]
	v_sub_f32_e32 v61, v60, v62
	v_sub_f32_e32 v57, v57, v61
	v_add_f32_e32 v56, v56, v57
	v_add_f32_e32 v56, v60, v56
	v_cmp_neq_f32_e32 vcc, s4, v59
	s_mov_b32 s4, 0x33800000
	v_cndmask_b32_e32 v56, v58, v56, vcc
	v_cmp_lt_f32_e64 vcc, |v59|, s4
	v_cndmask_b32_e32 v56, v56, v59, vcc
	v_add_f32_e32 v56, v55, v56
.LBB459_133:
	s_or_b64 exec, exec, s[2:3]
	v_bfe_u32 v55, v56, 16, 1
	v_add3_u32 v55, v56, v55, s5
	v_cmp_o_f32_e32 vcc, v56, v56
	v_cndmask_b32_sdwa v54, v54, v55, vcc dst_sel:DWORD dst_unused:UNUSED_PAD src0_sel:DWORD src1_sel:WORD_1
	ds_write_b16 v53, v54 offset:6
.LBB459_134:
	s_or_b64 exec, exec, s[8:9]
	v_mul_u32_u24_e32 v53, 46, v0
	v_cmp_ne_u32_e32 vcc, 0, v0
	s_waitcnt lgkmcnt(0)
	s_barrier
	s_and_saveexec_b64 s[2:3], vcc
	s_cbranch_execz .LBB459_138
; %bb.135:
	v_add_u32_e32 v0, -1, v0
	v_lshrrev_b32_e32 v1, 4, v0
	v_and_b32_e32 v1, 0xffffffe, v1
	v_lshl_add_u32 v0, v0, 1, v1
	ds_read_u16 v0, v0
	s_waitcnt lgkmcnt(0)
	v_lshlrev_b32_e32 v1, 16, v0
	v_max_f32_e32 v0, v1, v1
	v_min_f32_e32 v51, v0, v50
	v_max_f32_e32 v0, v0, v50
	v_cmp_u_f32_e32 vcc, v1, v1
	v_cndmask_b32_e32 v50, v51, v1, vcc
	v_cndmask_b32_e32 v0, v0, v1, vcc
	v_cndmask_b32_e64 v50, v50, v49, s[0:1]
	v_cndmask_b32_e64 v0, v0, v49, s[0:1]
	s_movk_i32 s0, 0x1f8
	v_cmp_neq_f32_e32 vcc, v50, v0
	v_cmp_class_f32_e64 s[0:1], v50, s0
	s_or_b64 s[4:5], vcc, s[0:1]
	s_and_saveexec_b64 s[0:1], s[4:5]
	s_cbranch_execz .LBB459_137
; %bb.136:
	v_sub_f32_e32 v1, v50, v0
	s_mov_b32 s4, 0x3fb8aa3b
	v_mul_f32_e32 v49, 0x3fb8aa3b, v1
	v_fma_f32 v50, v1, s4, -v49
	v_rndne_f32_e32 v51, v49
	v_fmac_f32_e32 v50, 0x32a5705f, v1
	v_sub_f32_e32 v49, v49, v51
	v_add_f32_e32 v49, v49, v50
	v_exp_f32_e32 v49, v49
	v_cvt_i32_f32_e32 v50, v51
	s_mov_b32 s4, 0xc2ce8ed0
	v_cmp_ngt_f32_e32 vcc, s4, v1
	s_mov_b32 s4, 0x42b17218
	v_ldexp_f32 v49, v49, v50
	v_cndmask_b32_e32 v49, 0, v49, vcc
	v_mov_b32_e32 v51, 0x7f800000
	v_cmp_nlt_f32_e32 vcc, s4, v1
	v_cndmask_b32_e32 v1, v51, v49, vcc
	v_add_f32_e32 v52, 1.0, v1
	v_cvt_f64_f32_e32 v[49:50], v52
	v_add_f32_e32 v54, -1.0, v52
	v_sub_f32_e32 v55, v54, v52
	v_sub_f32_e32 v54, v1, v54
	v_frexp_exp_i32_f64_e32 v49, v[49:50]
	v_add_f32_e32 v50, 1.0, v55
	v_add_f32_e32 v50, v54, v50
	v_frexp_mant_f32_e32 v54, v52
	s_mov_b32 s5, 0x3f2aaaab
	v_cmp_gt_f32_e32 vcc, s5, v54
	s_mov_b32 s5, 0x3f317218
	s_mov_b32 s4, 0x7f800000
	v_subbrev_co_u32_e32 v49, vcc, 0, v49, vcc
	v_sub_u32_e32 v54, 0, v49
	v_ldexp_f32 v52, v52, v54
	v_ldexp_f32 v50, v50, v54
	v_add_f32_e32 v54, -1.0, v52
	v_add_f32_e32 v57, 1.0, v52
	v_add_f32_e32 v55, 1.0, v54
	v_add_f32_e32 v58, -1.0, v57
	v_sub_f32_e32 v55, v52, v55
	v_sub_f32_e32 v52, v52, v58
	v_add_f32_e32 v55, v50, v55
	v_add_f32_e32 v50, v50, v52
	;; [unrolled: 1-line block ×3, first 2 shown]
	v_rcp_f32_e32 v58, v52
	v_add_f32_e32 v56, v54, v55
	v_sub_f32_e32 v54, v54, v56
	v_add_f32_e32 v54, v55, v54
	v_sub_f32_e32 v55, v57, v52
	v_add_f32_e32 v50, v50, v55
	v_mul_f32_e32 v55, v56, v58
	v_mul_f32_e32 v57, v52, v55
	v_fma_f32 v59, v55, v52, -v57
	v_fmac_f32_e32 v59, v55, v50
	v_add_f32_e32 v60, v57, v59
	v_sub_f32_e32 v61, v56, v60
	v_sub_f32_e32 v56, v56, v61
	;; [unrolled: 1-line block ×4, first 2 shown]
	v_add_f32_e32 v54, v54, v56
	v_sub_f32_e32 v56, v57, v59
	v_add_f32_e32 v54, v56, v54
	v_add_f32_e32 v56, v61, v54
	v_mul_f32_e32 v57, v58, v56
	v_mul_f32_e32 v59, v52, v57
	v_fma_f32 v52, v57, v52, -v59
	v_fmac_f32_e32 v52, v57, v50
	v_sub_f32_e32 v50, v61, v56
	v_add_f32_e32 v50, v54, v50
	v_add_f32_e32 v54, v59, v52
	v_sub_f32_e32 v60, v56, v54
	v_sub_f32_e32 v56, v56, v60
	;; [unrolled: 1-line block ×4, first 2 shown]
	v_add_f32_e32 v50, v50, v54
	v_sub_f32_e32 v52, v59, v52
	v_add_f32_e32 v50, v52, v50
	v_add_f32_e32 v52, v55, v57
	;; [unrolled: 1-line block ×3, first 2 shown]
	v_sub_f32_e32 v54, v52, v55
	v_mul_f32_e32 v50, v58, v50
	v_sub_f32_e32 v54, v57, v54
	v_add_f32_e32 v50, v54, v50
	v_cvt_f32_i32_e32 v49, v49
	v_add_f32_e32 v54, v52, v50
	v_mul_f32_e32 v55, v54, v54
	v_mov_b32_e32 v56, 0x3ecc95a3
	v_fmac_f32_e32 v56, 0x3e9b6dac, v55
	v_mov_b32_e32 v57, 0x3f2aaada
	v_fmac_f32_e32 v57, v55, v56
	v_mul_f32_e32 v56, 0x3f317218, v49
	v_fma_f32 v58, v49, s5, -v56
	v_fmac_f32_e32 v58, 0xb102e308, v49
	v_sub_f32_e32 v49, v54, v52
	v_sub_f32_e32 v49, v50, v49
	v_add_f32_e32 v50, v56, v58
	v_sub_f32_e32 v52, v50, v56
	v_ldexp_f32 v56, v54, 1
	v_mul_f32_e32 v54, v54, v55
	v_mul_f32_e32 v54, v54, v57
	v_add_f32_e32 v55, v56, v54
	v_sub_f32_e32 v56, v55, v56
	v_ldexp_f32 v49, v49, 1
	v_sub_f32_e32 v54, v54, v56
	v_add_f32_e32 v49, v49, v54
	v_add_f32_e32 v54, v55, v49
	v_sub_f32_e32 v55, v54, v55
	v_sub_f32_e32 v49, v49, v55
	v_add_f32_e32 v55, v50, v54
	v_sub_f32_e32 v56, v55, v50
	v_sub_f32_e32 v57, v55, v56
	;; [unrolled: 1-line block ×5, first 2 shown]
	v_add_f32_e32 v50, v54, v50
	v_add_f32_e32 v54, v52, v49
	v_sub_f32_e32 v56, v54, v52
	v_sub_f32_e32 v57, v54, v56
	;; [unrolled: 1-line block ×4, first 2 shown]
	v_add_f32_e32 v50, v54, v50
	v_add_f32_e32 v49, v49, v52
	;; [unrolled: 1-line block ×3, first 2 shown]
	v_sub_f32_e32 v54, v52, v55
	v_sub_f32_e32 v50, v50, v54
	v_add_f32_e32 v49, v49, v50
	v_add_f32_e32 v49, v52, v49
	v_cmp_neq_f32_e32 vcc, s4, v1
	s_mov_b32 s4, 0x33800000
	v_cndmask_b32_e32 v49, v51, v49, vcc
	v_cmp_lt_f32_e64 vcc, |v1|, s4
	v_cndmask_b32_e32 v1, v49, v1, vcc
	v_add_f32_e32 v1, v0, v1
.LBB459_137:
	s_or_b64 exec, exec, s[0:1]
	v_bfe_u32 v0, v1, 16, 1
	s_movk_i32 s0, 0x7fff
	v_add3_u32 v0, v1, v0, s0
	v_cmp_o_f32_e32 vcc, v1, v1
	v_mov_b32_e32 v1, 0x7fc0
	v_cndmask_b32_sdwa v1, v1, v0, vcc dst_sel:DWORD dst_unused:UNUSED_PAD src0_sel:DWORD src1_sel:WORD_1
	v_lshlrev_b32_e32 v49, 16, v1
	v_max_f32_e32 v0, v49, v49
	v_min_f32_e32 v51, v0, v22
	v_max_f32_e32 v52, v0, v22
	;;#ASMSTART
	;;#ASMEND
.LBB459_138:
	s_or_b64 exec, exec, s[2:3]
	v_cmp_u_f32_e32 vcc, v49, v49
	v_cndmask_b32_e32 v0, v51, v49, vcc
	v_cndmask_b32_e64 v22, v0, v14, s[50:51]
	v_cndmask_b32_e32 v0, v52, v49, vcc
	v_cndmask_b32_e64 v0, v0, v14, s[50:51]
	s_movk_i32 s2, 0x1f8
	v_cmp_neq_f32_e32 vcc, v22, v0
	v_cmp_class_f32_e64 s[0:1], v22, s2
	s_or_b64 s[4:5], vcc, s[0:1]
	s_and_saveexec_b64 s[0:1], s[4:5]
	s_cbranch_execz .LBB459_140
; %bb.139:
	v_sub_f32_e32 v14, v22, v0
	s_mov_b32 s3, 0x3fb8aa3b
	v_mul_f32_e32 v22, 0x3fb8aa3b, v14
	v_fma_f32 v49, v14, s3, -v22
	v_rndne_f32_e32 v50, v22
	v_fmac_f32_e32 v49, 0x32a5705f, v14
	v_sub_f32_e32 v22, v22, v50
	v_add_f32_e32 v22, v22, v49
	v_exp_f32_e32 v22, v22
	v_cvt_i32_f32_e32 v49, v50
	s_mov_b32 s3, 0xc2ce8ed0
	v_cmp_ngt_f32_e32 vcc, s3, v14
	s_mov_b32 s3, 0x42b17218
	v_ldexp_f32 v22, v22, v49
	v_cndmask_b32_e32 v22, 0, v22, vcc
	v_mov_b32_e32 v51, 0x7f800000
	v_cmp_nlt_f32_e32 vcc, s3, v14
	v_cndmask_b32_e32 v14, v51, v22, vcc
	v_add_f32_e32 v22, 1.0, v14
	v_cvt_f64_f32_e32 v[49:50], v22
	v_add_f32_e32 v52, -1.0, v22
	v_sub_f32_e32 v54, v52, v22
	v_sub_f32_e32 v52, v14, v52
	v_frexp_exp_i32_f64_e32 v49, v[49:50]
	v_add_f32_e32 v50, 1.0, v54
	v_add_f32_e32 v50, v52, v50
	v_frexp_mant_f32_e32 v52, v22
	s_mov_b32 s4, 0x3f2aaaab
	v_cmp_gt_f32_e32 vcc, s4, v52
	s_mov_b32 s4, 0x3f317218
	s_mov_b32 s3, 0x7f800000
	v_subbrev_co_u32_e32 v49, vcc, 0, v49, vcc
	v_sub_u32_e32 v52, 0, v49
	v_ldexp_f32 v22, v22, v52
	v_ldexp_f32 v50, v50, v52
	v_add_f32_e32 v52, -1.0, v22
	v_add_f32_e32 v56, 1.0, v22
	v_add_f32_e32 v54, 1.0, v52
	v_add_f32_e32 v57, -1.0, v56
	v_sub_f32_e32 v54, v22, v54
	v_sub_f32_e32 v22, v22, v57
	v_add_f32_e32 v22, v50, v22
	v_add_f32_e32 v54, v50, v54
	;; [unrolled: 1-line block ×3, first 2 shown]
	v_rcp_f32_e32 v57, v50
	v_add_f32_e32 v55, v52, v54
	v_sub_f32_e32 v52, v52, v55
	v_add_f32_e32 v52, v54, v52
	v_sub_f32_e32 v54, v56, v50
	v_add_f32_e32 v22, v22, v54
	v_mul_f32_e32 v54, v55, v57
	v_mul_f32_e32 v56, v50, v54
	v_fma_f32 v58, v54, v50, -v56
	v_fmac_f32_e32 v58, v54, v22
	v_add_f32_e32 v59, v56, v58
	v_sub_f32_e32 v60, v55, v59
	v_sub_f32_e32 v55, v55, v60
	;; [unrolled: 1-line block ×4, first 2 shown]
	v_add_f32_e32 v52, v52, v55
	v_sub_f32_e32 v55, v56, v58
	v_add_f32_e32 v52, v55, v52
	v_add_f32_e32 v55, v60, v52
	v_mul_f32_e32 v56, v57, v55
	v_mul_f32_e32 v58, v50, v56
	v_fma_f32 v50, v56, v50, -v58
	v_fmac_f32_e32 v50, v56, v22
	v_sub_f32_e32 v22, v60, v55
	v_add_f32_e32 v22, v52, v22
	v_add_f32_e32 v52, v58, v50
	v_sub_f32_e32 v59, v55, v52
	v_sub_f32_e32 v55, v55, v59
	;; [unrolled: 1-line block ×4, first 2 shown]
	v_add_f32_e32 v22, v22, v52
	v_sub_f32_e32 v50, v58, v50
	v_add_f32_e32 v22, v50, v22
	v_add_f32_e32 v50, v54, v56
	;; [unrolled: 1-line block ×3, first 2 shown]
	v_sub_f32_e32 v52, v50, v54
	v_mul_f32_e32 v22, v57, v22
	v_sub_f32_e32 v52, v56, v52
	v_add_f32_e32 v22, v52, v22
	v_cvt_f32_i32_e32 v49, v49
	v_add_f32_e32 v52, v50, v22
	v_mul_f32_e32 v54, v52, v52
	v_mov_b32_e32 v55, 0x3ecc95a3
	v_fmac_f32_e32 v55, 0x3e9b6dac, v54
	v_mov_b32_e32 v56, 0x3f2aaada
	v_fmac_f32_e32 v56, v54, v55
	v_mul_f32_e32 v55, 0x3f317218, v49
	v_fma_f32 v57, v49, s4, -v55
	v_fmac_f32_e32 v57, 0xb102e308, v49
	v_sub_f32_e32 v49, v52, v50
	v_sub_f32_e32 v22, v22, v49
	v_add_f32_e32 v49, v55, v57
	v_sub_f32_e32 v50, v49, v55
	v_ldexp_f32 v55, v52, 1
	v_mul_f32_e32 v52, v52, v54
	v_mul_f32_e32 v52, v52, v56
	v_add_f32_e32 v54, v55, v52
	v_sub_f32_e32 v55, v54, v55
	v_ldexp_f32 v22, v22, 1
	v_sub_f32_e32 v52, v52, v55
	v_add_f32_e32 v22, v22, v52
	v_add_f32_e32 v52, v54, v22
	v_sub_f32_e32 v54, v52, v54
	v_sub_f32_e32 v22, v22, v54
	v_add_f32_e32 v54, v49, v52
	v_sub_f32_e32 v55, v54, v49
	v_sub_f32_e32 v56, v54, v55
	;; [unrolled: 1-line block ×5, first 2 shown]
	v_add_f32_e32 v49, v52, v49
	v_add_f32_e32 v52, v50, v22
	v_sub_f32_e32 v55, v52, v50
	v_sub_f32_e32 v56, v52, v55
	;; [unrolled: 1-line block ×4, first 2 shown]
	v_add_f32_e32 v49, v52, v49
	v_add_f32_e32 v22, v22, v50
	;; [unrolled: 1-line block ×3, first 2 shown]
	v_sub_f32_e32 v52, v50, v54
	v_sub_f32_e32 v49, v49, v52
	v_add_f32_e32 v22, v22, v49
	v_add_f32_e32 v22, v50, v22
	v_cmp_neq_f32_e32 vcc, s3, v14
	s_mov_b32 s3, 0x33800000
	v_cndmask_b32_e32 v22, v51, v22, vcc
	v_cmp_lt_f32_e64 vcc, |v14|, s3
	v_cndmask_b32_e32 v14, v22, v14, vcc
	v_add_f32_e32 v49, v0, v14
.LBB459_140:
	s_or_b64 exec, exec, s[0:1]
	v_bfe_u32 v0, v49, 16, 1
	s_movk_i32 s3, 0x7fff
	v_add3_u32 v0, v49, v0, s3
	v_cmp_o_f32_e32 vcc, v49, v49
	v_mov_b32_e32 v14, 0x7fc0
	v_cndmask_b32_sdwa v0, v14, v0, vcc dst_sel:DWORD dst_unused:UNUSED_PAD src0_sel:DWORD src1_sel:WORD_1
	v_lshlrev_b32_e32 v22, 16, v0
	v_max_f32_e32 v50, v22, v22
	v_min_f32_e32 v49, v50, v16
	v_cmp_u_f32_e32 vcc, v22, v22
	v_max_f32_e32 v16, v50, v16
	v_cndmask_b32_e32 v49, v49, v22, vcc
	v_cndmask_b32_e32 v16, v16, v22, vcc
	v_cndmask_b32_e64 v49, v49, v15, s[52:53]
	v_cndmask_b32_e64 v15, v16, v15, s[52:53]
	v_cmp_neq_f32_e32 vcc, v49, v15
	v_cmp_class_f32_e64 s[0:1], v49, s2
	s_or_b64 s[4:5], vcc, s[0:1]
	s_and_saveexec_b64 s[0:1], s[4:5]
	s_cbranch_execz .LBB459_142
; %bb.141:
	v_sub_f32_e32 v16, v49, v15
	s_mov_b32 s2, 0x3fb8aa3b
	v_mul_f32_e32 v22, 0x3fb8aa3b, v16
	v_fma_f32 v49, v16, s2, -v22
	v_rndne_f32_e32 v50, v22
	v_fmac_f32_e32 v49, 0x32a5705f, v16
	v_sub_f32_e32 v22, v22, v50
	v_add_f32_e32 v22, v22, v49
	v_exp_f32_e32 v22, v22
	v_cvt_i32_f32_e32 v49, v50
	s_mov_b32 s2, 0xc2ce8ed0
	v_cmp_ngt_f32_e32 vcc, s2, v16
	s_mov_b32 s2, 0x42b17218
	v_ldexp_f32 v22, v22, v49
	v_cndmask_b32_e32 v22, 0, v22, vcc
	v_mov_b32_e32 v51, 0x7f800000
	v_cmp_nlt_f32_e32 vcc, s2, v16
	v_cndmask_b32_e32 v16, v51, v22, vcc
	v_add_f32_e32 v22, 1.0, v16
	v_cvt_f64_f32_e32 v[49:50], v22
	v_add_f32_e32 v52, -1.0, v22
	v_sub_f32_e32 v54, v52, v22
	v_sub_f32_e32 v52, v16, v52
	v_frexp_exp_i32_f64_e32 v49, v[49:50]
	v_add_f32_e32 v50, 1.0, v54
	v_add_f32_e32 v50, v52, v50
	v_frexp_mant_f32_e32 v52, v22
	s_mov_b32 s4, 0x3f2aaaab
	v_cmp_gt_f32_e32 vcc, s4, v52
	s_mov_b32 s4, 0x3f317218
	s_mov_b32 s2, 0x7f800000
	v_subbrev_co_u32_e32 v49, vcc, 0, v49, vcc
	v_sub_u32_e32 v52, 0, v49
	v_ldexp_f32 v22, v22, v52
	v_ldexp_f32 v50, v50, v52
	v_add_f32_e32 v52, -1.0, v22
	v_add_f32_e32 v56, 1.0, v22
	v_add_f32_e32 v54, 1.0, v52
	v_add_f32_e32 v57, -1.0, v56
	v_sub_f32_e32 v54, v22, v54
	v_sub_f32_e32 v22, v22, v57
	v_add_f32_e32 v22, v50, v22
	v_add_f32_e32 v54, v50, v54
	;; [unrolled: 1-line block ×3, first 2 shown]
	v_rcp_f32_e32 v57, v50
	v_add_f32_e32 v55, v52, v54
	v_sub_f32_e32 v52, v52, v55
	v_add_f32_e32 v52, v54, v52
	v_sub_f32_e32 v54, v56, v50
	v_add_f32_e32 v22, v22, v54
	v_mul_f32_e32 v54, v55, v57
	v_mul_f32_e32 v56, v50, v54
	v_fma_f32 v58, v54, v50, -v56
	v_fmac_f32_e32 v58, v54, v22
	v_add_f32_e32 v59, v56, v58
	v_sub_f32_e32 v60, v55, v59
	v_sub_f32_e32 v55, v55, v60
	;; [unrolled: 1-line block ×4, first 2 shown]
	v_add_f32_e32 v52, v52, v55
	v_sub_f32_e32 v55, v56, v58
	v_add_f32_e32 v52, v55, v52
	v_add_f32_e32 v55, v60, v52
	v_mul_f32_e32 v56, v57, v55
	v_mul_f32_e32 v58, v50, v56
	v_fma_f32 v50, v56, v50, -v58
	v_fmac_f32_e32 v50, v56, v22
	v_sub_f32_e32 v22, v60, v55
	v_add_f32_e32 v22, v52, v22
	v_add_f32_e32 v52, v58, v50
	v_sub_f32_e32 v59, v55, v52
	v_sub_f32_e32 v55, v55, v59
	;; [unrolled: 1-line block ×4, first 2 shown]
	v_add_f32_e32 v22, v22, v52
	v_sub_f32_e32 v50, v58, v50
	v_add_f32_e32 v22, v50, v22
	v_add_f32_e32 v50, v54, v56
	;; [unrolled: 1-line block ×3, first 2 shown]
	v_sub_f32_e32 v52, v50, v54
	v_mul_f32_e32 v22, v57, v22
	v_sub_f32_e32 v52, v56, v52
	v_add_f32_e32 v22, v52, v22
	v_cvt_f32_i32_e32 v49, v49
	v_add_f32_e32 v52, v50, v22
	v_mul_f32_e32 v54, v52, v52
	v_mov_b32_e32 v55, 0x3ecc95a3
	v_fmac_f32_e32 v55, 0x3e9b6dac, v54
	v_mov_b32_e32 v56, 0x3f2aaada
	v_fmac_f32_e32 v56, v54, v55
	v_mul_f32_e32 v55, 0x3f317218, v49
	v_fma_f32 v57, v49, s4, -v55
	v_fmac_f32_e32 v57, 0xb102e308, v49
	v_sub_f32_e32 v49, v52, v50
	v_sub_f32_e32 v22, v22, v49
	v_add_f32_e32 v49, v55, v57
	v_sub_f32_e32 v50, v49, v55
	v_ldexp_f32 v55, v52, 1
	v_mul_f32_e32 v52, v52, v54
	v_mul_f32_e32 v52, v52, v56
	v_add_f32_e32 v54, v55, v52
	v_sub_f32_e32 v55, v54, v55
	v_ldexp_f32 v22, v22, 1
	v_sub_f32_e32 v52, v52, v55
	v_add_f32_e32 v22, v22, v52
	v_add_f32_e32 v52, v54, v22
	v_sub_f32_e32 v54, v52, v54
	v_sub_f32_e32 v22, v22, v54
	v_add_f32_e32 v54, v49, v52
	v_sub_f32_e32 v55, v54, v49
	v_sub_f32_e32 v56, v54, v55
	;; [unrolled: 1-line block ×5, first 2 shown]
	v_add_f32_e32 v49, v52, v49
	v_add_f32_e32 v52, v50, v22
	v_sub_f32_e32 v55, v52, v50
	v_sub_f32_e32 v56, v52, v55
	;; [unrolled: 1-line block ×4, first 2 shown]
	v_add_f32_e32 v49, v52, v49
	v_add_f32_e32 v22, v22, v50
	;; [unrolled: 1-line block ×3, first 2 shown]
	v_sub_f32_e32 v52, v50, v54
	v_sub_f32_e32 v49, v49, v52
	v_add_f32_e32 v22, v22, v49
	v_add_f32_e32 v22, v50, v22
	v_cmp_neq_f32_e32 vcc, s2, v16
	s_mov_b32 s2, 0x33800000
	v_cndmask_b32_e32 v22, v51, v22, vcc
	v_cmp_lt_f32_e64 vcc, |v16|, s2
	v_cndmask_b32_e32 v16, v22, v16, vcc
	v_add_f32_e32 v22, v15, v16
.LBB459_142:
	s_or_b64 exec, exec, s[0:1]
	v_bfe_u32 v15, v22, 16, 1
	v_add3_u32 v15, v22, v15, s3
	v_cmp_o_f32_e32 vcc, v22, v22
	v_cndmask_b32_sdwa v14, v14, v15, vcc dst_sel:DWORD dst_unused:UNUSED_PAD src0_sel:DWORD src1_sel:WORD_1
	v_lshlrev_b32_e32 v15, 16, v14
	v_max_f32_e32 v22, v15, v15
	v_min_f32_e32 v16, v22, v18
	v_cmp_u_f32_e32 vcc, v15, v15
	v_max_f32_e32 v18, v22, v18
	v_cndmask_b32_e32 v16, v16, v15, vcc
	v_cndmask_b32_e32 v18, v18, v15, vcc
	v_cndmask_b32_e64 v16, v16, v2, s[54:55]
	v_cndmask_b32_e64 v2, v18, v2, s[54:55]
	s_movk_i32 s2, 0x1f8
	v_cmp_neq_f32_e32 vcc, v16, v2
	v_cmp_class_f32_e64 s[0:1], v16, s2
	s_or_b64 s[4:5], vcc, s[0:1]
	s_and_saveexec_b64 s[0:1], s[4:5]
	s_cbranch_execz .LBB459_144
; %bb.143:
	v_sub_f32_e32 v15, v16, v2
	s_mov_b32 s3, 0x3fb8aa3b
	v_mul_f32_e32 v16, 0x3fb8aa3b, v15
	v_fma_f32 v18, v15, s3, -v16
	v_rndne_f32_e32 v22, v16
	v_fmac_f32_e32 v18, 0x32a5705f, v15
	v_sub_f32_e32 v16, v16, v22
	v_add_f32_e32 v16, v16, v18
	v_exp_f32_e32 v16, v16
	v_cvt_i32_f32_e32 v18, v22
	s_mov_b32 s3, 0xc2ce8ed0
	v_cmp_ngt_f32_e32 vcc, s3, v15
	s_mov_b32 s3, 0x42b17218
	v_ldexp_f32 v16, v16, v18
	v_cndmask_b32_e32 v16, 0, v16, vcc
	v_mov_b32_e32 v18, 0x7f800000
	v_cmp_nlt_f32_e32 vcc, s3, v15
	v_cndmask_b32_e32 v22, v18, v16, vcc
	v_add_f32_e32 v49, 1.0, v22
	v_cvt_f64_f32_e32 v[15:16], v49
	v_add_f32_e32 v50, -1.0, v49
	v_sub_f32_e32 v51, v50, v49
	v_sub_f32_e32 v50, v22, v50
	v_frexp_exp_i32_f64_e32 v15, v[15:16]
	v_add_f32_e32 v16, 1.0, v51
	v_add_f32_e32 v16, v50, v16
	v_frexp_mant_f32_e32 v50, v49
	s_mov_b32 s4, 0x3f2aaaab
	v_cmp_gt_f32_e32 vcc, s4, v50
	s_mov_b32 s4, 0x3f317218
	s_mov_b32 s3, 0x7f800000
	v_subbrev_co_u32_e32 v15, vcc, 0, v15, vcc
	v_sub_u32_e32 v50, 0, v15
	v_ldexp_f32 v49, v49, v50
	v_ldexp_f32 v16, v16, v50
	v_add_f32_e32 v50, -1.0, v49
	v_add_f32_e32 v54, 1.0, v49
	v_add_f32_e32 v51, 1.0, v50
	v_add_f32_e32 v55, -1.0, v54
	v_sub_f32_e32 v51, v49, v51
	v_sub_f32_e32 v49, v49, v55
	v_add_f32_e32 v51, v16, v51
	v_add_f32_e32 v16, v16, v49
	;; [unrolled: 1-line block ×3, first 2 shown]
	v_rcp_f32_e32 v55, v49
	v_add_f32_e32 v52, v50, v51
	v_sub_f32_e32 v50, v50, v52
	v_add_f32_e32 v50, v51, v50
	v_sub_f32_e32 v51, v54, v49
	v_add_f32_e32 v16, v16, v51
	v_mul_f32_e32 v51, v52, v55
	v_mul_f32_e32 v54, v49, v51
	v_fma_f32 v56, v51, v49, -v54
	v_fmac_f32_e32 v56, v51, v16
	v_add_f32_e32 v57, v54, v56
	v_sub_f32_e32 v58, v52, v57
	v_sub_f32_e32 v52, v52, v58
	;; [unrolled: 1-line block ×4, first 2 shown]
	v_add_f32_e32 v50, v50, v52
	v_sub_f32_e32 v52, v54, v56
	v_add_f32_e32 v50, v52, v50
	v_add_f32_e32 v52, v58, v50
	v_mul_f32_e32 v54, v55, v52
	v_mul_f32_e32 v56, v49, v54
	v_fma_f32 v49, v54, v49, -v56
	v_fmac_f32_e32 v49, v54, v16
	v_sub_f32_e32 v16, v58, v52
	v_add_f32_e32 v16, v50, v16
	v_add_f32_e32 v50, v56, v49
	v_sub_f32_e32 v57, v52, v50
	v_sub_f32_e32 v52, v52, v57
	;; [unrolled: 1-line block ×4, first 2 shown]
	v_add_f32_e32 v16, v16, v50
	v_sub_f32_e32 v49, v56, v49
	v_add_f32_e32 v16, v49, v16
	v_add_f32_e32 v49, v51, v54
	;; [unrolled: 1-line block ×3, first 2 shown]
	v_sub_f32_e32 v50, v49, v51
	v_mul_f32_e32 v16, v55, v16
	v_sub_f32_e32 v50, v54, v50
	v_add_f32_e32 v16, v50, v16
	v_cvt_f32_i32_e32 v15, v15
	v_add_f32_e32 v50, v49, v16
	v_mul_f32_e32 v51, v50, v50
	v_mov_b32_e32 v52, 0x3ecc95a3
	v_fmac_f32_e32 v52, 0x3e9b6dac, v51
	v_mov_b32_e32 v54, 0x3f2aaada
	v_fmac_f32_e32 v54, v51, v52
	v_mul_f32_e32 v52, 0x3f317218, v15
	v_fma_f32 v55, v15, s4, -v52
	v_fmac_f32_e32 v55, 0xb102e308, v15
	v_sub_f32_e32 v15, v50, v49
	v_sub_f32_e32 v15, v16, v15
	v_add_f32_e32 v16, v52, v55
	v_sub_f32_e32 v49, v16, v52
	v_ldexp_f32 v52, v50, 1
	v_mul_f32_e32 v50, v50, v51
	v_mul_f32_e32 v50, v50, v54
	v_add_f32_e32 v51, v52, v50
	v_sub_f32_e32 v52, v51, v52
	v_ldexp_f32 v15, v15, 1
	v_sub_f32_e32 v50, v50, v52
	v_add_f32_e32 v15, v15, v50
	v_add_f32_e32 v50, v51, v15
	v_sub_f32_e32 v51, v50, v51
	v_sub_f32_e32 v15, v15, v51
	v_add_f32_e32 v51, v16, v50
	v_sub_f32_e32 v52, v51, v16
	v_sub_f32_e32 v54, v51, v52
	;; [unrolled: 1-line block ×5, first 2 shown]
	v_add_f32_e32 v16, v50, v16
	v_add_f32_e32 v50, v49, v15
	v_sub_f32_e32 v52, v50, v49
	v_sub_f32_e32 v54, v50, v52
	;; [unrolled: 1-line block ×4, first 2 shown]
	v_add_f32_e32 v16, v50, v16
	v_add_f32_e32 v15, v15, v49
	;; [unrolled: 1-line block ×3, first 2 shown]
	v_sub_f32_e32 v50, v49, v51
	v_sub_f32_e32 v16, v16, v50
	v_add_f32_e32 v15, v15, v16
	v_add_f32_e32 v15, v49, v15
	v_cmp_neq_f32_e32 vcc, s3, v22
	s_mov_b32 s3, 0x33800000
	v_cndmask_b32_e32 v15, v18, v15, vcc
	v_cmp_lt_f32_e64 vcc, |v22|, s3
	v_cndmask_b32_e32 v15, v15, v22, vcc
	v_add_f32_e32 v15, v2, v15
.LBB459_144:
	s_or_b64 exec, exec, s[0:1]
	v_bfe_u32 v2, v15, 16, 1
	s_movk_i32 s3, 0x7fff
	v_add3_u32 v2, v15, v2, s3
	v_cmp_o_f32_e32 vcc, v15, v15
	v_mov_b32_e32 v15, 0x7fc0
	v_cndmask_b32_sdwa v2, v15, v2, vcc dst_sel:DWORD dst_unused:UNUSED_PAD src0_sel:DWORD src1_sel:WORD_1
	v_lshlrev_b32_e32 v18, 16, v2
	v_max_f32_e32 v16, v18, v18
	v_min_f32_e32 v22, v16, v19
	v_cmp_u_f32_e32 vcc, v18, v18
	v_max_f32_e32 v16, v16, v19
	v_cndmask_b32_e32 v22, v22, v18, vcc
	v_cndmask_b32_e32 v16, v16, v18, vcc
	v_cndmask_b32_e64 v22, v22, v17, s[56:57]
	v_cndmask_b32_e64 v16, v16, v17, s[56:57]
	v_cmp_neq_f32_e32 vcc, v22, v16
	v_cmp_class_f32_e64 s[0:1], v22, s2
	s_or_b64 s[4:5], vcc, s[0:1]
	s_and_saveexec_b64 s[0:1], s[4:5]
	s_cbranch_execz .LBB459_146
; %bb.145:
	v_sub_f32_e32 v17, v22, v16
	s_mov_b32 s2, 0x3fb8aa3b
	v_mul_f32_e32 v18, 0x3fb8aa3b, v17
	v_fma_f32 v19, v17, s2, -v18
	v_rndne_f32_e32 v22, v18
	v_fmac_f32_e32 v19, 0x32a5705f, v17
	v_sub_f32_e32 v18, v18, v22
	v_add_f32_e32 v18, v18, v19
	v_exp_f32_e32 v18, v18
	v_cvt_i32_f32_e32 v19, v22
	s_mov_b32 s2, 0xc2ce8ed0
	v_cmp_ngt_f32_e32 vcc, s2, v17
	s_mov_b32 s2, 0x42b17218
	v_ldexp_f32 v18, v18, v19
	v_cndmask_b32_e32 v18, 0, v18, vcc
	v_mov_b32_e32 v19, 0x7f800000
	v_cmp_nlt_f32_e32 vcc, s2, v17
	v_cndmask_b32_e32 v22, v19, v18, vcc
	v_add_f32_e32 v49, 1.0, v22
	v_cvt_f64_f32_e32 v[17:18], v49
	v_add_f32_e32 v50, -1.0, v49
	v_sub_f32_e32 v51, v50, v49
	v_sub_f32_e32 v50, v22, v50
	v_frexp_exp_i32_f64_e32 v17, v[17:18]
	v_add_f32_e32 v18, 1.0, v51
	v_add_f32_e32 v18, v50, v18
	v_frexp_mant_f32_e32 v50, v49
	s_mov_b32 s4, 0x3f2aaaab
	v_cmp_gt_f32_e32 vcc, s4, v50
	s_mov_b32 s4, 0x3f317218
	s_mov_b32 s2, 0x7f800000
	v_subbrev_co_u32_e32 v17, vcc, 0, v17, vcc
	v_sub_u32_e32 v50, 0, v17
	v_ldexp_f32 v49, v49, v50
	v_ldexp_f32 v18, v18, v50
	v_add_f32_e32 v50, -1.0, v49
	v_add_f32_e32 v54, 1.0, v49
	v_add_f32_e32 v51, 1.0, v50
	v_add_f32_e32 v55, -1.0, v54
	v_sub_f32_e32 v51, v49, v51
	v_sub_f32_e32 v49, v49, v55
	v_add_f32_e32 v51, v18, v51
	v_add_f32_e32 v18, v18, v49
	;; [unrolled: 1-line block ×3, first 2 shown]
	v_rcp_f32_e32 v55, v49
	v_add_f32_e32 v52, v50, v51
	v_sub_f32_e32 v50, v50, v52
	v_add_f32_e32 v50, v51, v50
	v_sub_f32_e32 v51, v54, v49
	v_add_f32_e32 v18, v18, v51
	v_mul_f32_e32 v51, v52, v55
	v_mul_f32_e32 v54, v49, v51
	v_fma_f32 v56, v51, v49, -v54
	v_fmac_f32_e32 v56, v51, v18
	v_add_f32_e32 v57, v54, v56
	v_sub_f32_e32 v58, v52, v57
	v_sub_f32_e32 v52, v52, v58
	;; [unrolled: 1-line block ×4, first 2 shown]
	v_add_f32_e32 v50, v50, v52
	v_sub_f32_e32 v52, v54, v56
	v_add_f32_e32 v50, v52, v50
	v_add_f32_e32 v52, v58, v50
	v_mul_f32_e32 v54, v55, v52
	v_mul_f32_e32 v56, v49, v54
	v_fma_f32 v49, v54, v49, -v56
	v_fmac_f32_e32 v49, v54, v18
	v_sub_f32_e32 v18, v58, v52
	v_add_f32_e32 v18, v50, v18
	v_add_f32_e32 v50, v56, v49
	v_sub_f32_e32 v57, v52, v50
	v_sub_f32_e32 v52, v52, v57
	;; [unrolled: 1-line block ×4, first 2 shown]
	v_add_f32_e32 v18, v18, v50
	v_sub_f32_e32 v49, v56, v49
	v_add_f32_e32 v18, v49, v18
	v_add_f32_e32 v49, v51, v54
	;; [unrolled: 1-line block ×3, first 2 shown]
	v_sub_f32_e32 v50, v49, v51
	v_mul_f32_e32 v18, v55, v18
	v_sub_f32_e32 v50, v54, v50
	v_add_f32_e32 v18, v50, v18
	v_cvt_f32_i32_e32 v17, v17
	v_add_f32_e32 v50, v49, v18
	v_mul_f32_e32 v51, v50, v50
	v_mov_b32_e32 v52, 0x3ecc95a3
	v_fmac_f32_e32 v52, 0x3e9b6dac, v51
	v_mov_b32_e32 v54, 0x3f2aaada
	v_fmac_f32_e32 v54, v51, v52
	v_mul_f32_e32 v52, 0x3f317218, v17
	v_fma_f32 v55, v17, s4, -v52
	v_fmac_f32_e32 v55, 0xb102e308, v17
	v_sub_f32_e32 v17, v50, v49
	v_sub_f32_e32 v17, v18, v17
	v_add_f32_e32 v18, v52, v55
	v_sub_f32_e32 v49, v18, v52
	v_ldexp_f32 v52, v50, 1
	v_mul_f32_e32 v50, v50, v51
	v_mul_f32_e32 v50, v50, v54
	v_add_f32_e32 v51, v52, v50
	v_sub_f32_e32 v52, v51, v52
	v_ldexp_f32 v17, v17, 1
	v_sub_f32_e32 v50, v50, v52
	v_add_f32_e32 v17, v17, v50
	v_add_f32_e32 v50, v51, v17
	v_sub_f32_e32 v51, v50, v51
	v_sub_f32_e32 v17, v17, v51
	v_add_f32_e32 v51, v18, v50
	v_sub_f32_e32 v52, v51, v18
	v_sub_f32_e32 v54, v51, v52
	;; [unrolled: 1-line block ×5, first 2 shown]
	v_add_f32_e32 v18, v50, v18
	v_add_f32_e32 v50, v49, v17
	v_sub_f32_e32 v52, v50, v49
	v_sub_f32_e32 v54, v50, v52
	;; [unrolled: 1-line block ×4, first 2 shown]
	v_add_f32_e32 v18, v50, v18
	v_add_f32_e32 v17, v17, v49
	;; [unrolled: 1-line block ×3, first 2 shown]
	v_sub_f32_e32 v50, v49, v51
	v_sub_f32_e32 v18, v18, v50
	v_add_f32_e32 v17, v17, v18
	v_add_f32_e32 v17, v49, v17
	v_cmp_neq_f32_e32 vcc, s2, v22
	s_mov_b32 s2, 0x33800000
	v_cndmask_b32_e32 v17, v19, v17, vcc
	v_cmp_lt_f32_e64 vcc, |v22|, s2
	v_cndmask_b32_e32 v17, v17, v22, vcc
	v_add_f32_e32 v18, v16, v17
.LBB459_146:
	s_or_b64 exec, exec, s[0:1]
	v_bfe_u32 v16, v18, 16, 1
	v_add3_u32 v16, v18, v16, s3
	v_cmp_o_f32_e32 vcc, v18, v18
	v_cndmask_b32_sdwa v15, v15, v16, vcc dst_sel:DWORD dst_unused:UNUSED_PAD src0_sel:DWORD src1_sel:WORD_1
	v_lshlrev_b32_e32 v16, 16, v15
	v_max_f32_e32 v18, v16, v16
	v_min_f32_e32 v17, v18, v21
	v_cmp_u_f32_e32 vcc, v16, v16
	v_max_f32_e32 v18, v18, v21
	v_cndmask_b32_e32 v17, v17, v16, vcc
	v_cndmask_b32_e32 v18, v18, v16, vcc
	v_cndmask_b32_e64 v17, v17, v3, s[58:59]
	v_cndmask_b32_e64 v3, v18, v3, s[58:59]
	s_movk_i32 s2, 0x1f8
	v_cmp_neq_f32_e32 vcc, v17, v3
	v_cmp_class_f32_e64 s[0:1], v17, s2
	s_or_b64 s[4:5], vcc, s[0:1]
	s_and_saveexec_b64 s[0:1], s[4:5]
	s_cbranch_execz .LBB459_148
; %bb.147:
	v_sub_f32_e32 v16, v17, v3
	s_mov_b32 s3, 0x3fb8aa3b
	v_mul_f32_e32 v17, 0x3fb8aa3b, v16
	v_fma_f32 v18, v16, s3, -v17
	v_rndne_f32_e32 v19, v17
	v_fmac_f32_e32 v18, 0x32a5705f, v16
	v_sub_f32_e32 v17, v17, v19
	v_add_f32_e32 v17, v17, v18
	v_exp_f32_e32 v17, v17
	v_cvt_i32_f32_e32 v18, v19
	s_mov_b32 s3, 0xc2ce8ed0
	v_cmp_ngt_f32_e32 vcc, s3, v16
	s_mov_b32 s3, 0x42b17218
	v_ldexp_f32 v17, v17, v18
	v_cndmask_b32_e32 v17, 0, v17, vcc
	v_mov_b32_e32 v18, 0x7f800000
	v_cmp_nlt_f32_e32 vcc, s3, v16
	v_cndmask_b32_e32 v19, v18, v17, vcc
	v_add_f32_e32 v21, 1.0, v19
	v_cvt_f64_f32_e32 v[16:17], v21
	v_add_f32_e32 v22, -1.0, v21
	v_sub_f32_e32 v49, v22, v21
	v_sub_f32_e32 v22, v19, v22
	v_frexp_exp_i32_f64_e32 v16, v[16:17]
	v_add_f32_e32 v17, 1.0, v49
	v_add_f32_e32 v17, v22, v17
	v_frexp_mant_f32_e32 v22, v21
	s_mov_b32 s4, 0x3f2aaaab
	v_cmp_gt_f32_e32 vcc, s4, v22
	s_mov_b32 s4, 0x3f317218
	s_mov_b32 s3, 0x7f800000
	v_subbrev_co_u32_e32 v16, vcc, 0, v16, vcc
	v_sub_u32_e32 v22, 0, v16
	v_ldexp_f32 v21, v21, v22
	v_ldexp_f32 v17, v17, v22
	v_add_f32_e32 v22, -1.0, v21
	v_add_f32_e32 v51, 1.0, v21
	v_add_f32_e32 v49, 1.0, v22
	v_add_f32_e32 v52, -1.0, v51
	v_sub_f32_e32 v49, v21, v49
	v_sub_f32_e32 v21, v21, v52
	v_add_f32_e32 v49, v17, v49
	v_add_f32_e32 v17, v17, v21
	;; [unrolled: 1-line block ×3, first 2 shown]
	v_rcp_f32_e32 v52, v21
	v_add_f32_e32 v50, v22, v49
	v_sub_f32_e32 v22, v22, v50
	v_add_f32_e32 v22, v49, v22
	v_sub_f32_e32 v49, v51, v21
	v_add_f32_e32 v17, v17, v49
	v_mul_f32_e32 v49, v50, v52
	v_mul_f32_e32 v51, v21, v49
	v_fma_f32 v54, v49, v21, -v51
	v_fmac_f32_e32 v54, v49, v17
	v_add_f32_e32 v55, v51, v54
	v_sub_f32_e32 v56, v50, v55
	v_sub_f32_e32 v50, v50, v56
	;; [unrolled: 1-line block ×4, first 2 shown]
	v_add_f32_e32 v22, v22, v50
	v_sub_f32_e32 v50, v51, v54
	v_add_f32_e32 v22, v50, v22
	v_add_f32_e32 v50, v56, v22
	v_mul_f32_e32 v51, v52, v50
	v_mul_f32_e32 v54, v21, v51
	v_fma_f32 v21, v51, v21, -v54
	v_fmac_f32_e32 v21, v51, v17
	v_sub_f32_e32 v17, v56, v50
	v_add_f32_e32 v17, v22, v17
	v_add_f32_e32 v22, v54, v21
	v_sub_f32_e32 v55, v50, v22
	v_sub_f32_e32 v50, v50, v55
	;; [unrolled: 1-line block ×4, first 2 shown]
	v_add_f32_e32 v17, v17, v22
	v_sub_f32_e32 v21, v54, v21
	v_add_f32_e32 v17, v21, v17
	v_add_f32_e32 v21, v49, v51
	;; [unrolled: 1-line block ×3, first 2 shown]
	v_sub_f32_e32 v22, v21, v49
	v_mul_f32_e32 v17, v52, v17
	v_sub_f32_e32 v22, v51, v22
	v_add_f32_e32 v17, v22, v17
	v_cvt_f32_i32_e32 v16, v16
	v_add_f32_e32 v22, v21, v17
	v_mul_f32_e32 v49, v22, v22
	v_mov_b32_e32 v50, 0x3ecc95a3
	v_fmac_f32_e32 v50, 0x3e9b6dac, v49
	v_mov_b32_e32 v51, 0x3f2aaada
	v_fmac_f32_e32 v51, v49, v50
	v_mul_f32_e32 v50, 0x3f317218, v16
	v_fma_f32 v52, v16, s4, -v50
	v_fmac_f32_e32 v52, 0xb102e308, v16
	v_sub_f32_e32 v16, v22, v21
	v_sub_f32_e32 v16, v17, v16
	v_add_f32_e32 v17, v50, v52
	v_sub_f32_e32 v21, v17, v50
	v_ldexp_f32 v50, v22, 1
	v_mul_f32_e32 v22, v22, v49
	v_mul_f32_e32 v22, v22, v51
	v_add_f32_e32 v49, v50, v22
	v_sub_f32_e32 v50, v49, v50
	v_ldexp_f32 v16, v16, 1
	v_sub_f32_e32 v22, v22, v50
	v_add_f32_e32 v16, v16, v22
	v_add_f32_e32 v22, v49, v16
	v_sub_f32_e32 v49, v22, v49
	v_sub_f32_e32 v16, v16, v49
	v_add_f32_e32 v49, v17, v22
	v_sub_f32_e32 v50, v49, v17
	v_sub_f32_e32 v51, v49, v50
	;; [unrolled: 1-line block ×5, first 2 shown]
	v_add_f32_e32 v17, v22, v17
	v_add_f32_e32 v22, v21, v16
	v_sub_f32_e32 v50, v22, v21
	v_sub_f32_e32 v51, v22, v50
	;; [unrolled: 1-line block ×4, first 2 shown]
	v_add_f32_e32 v17, v22, v17
	v_add_f32_e32 v16, v16, v21
	;; [unrolled: 1-line block ×3, first 2 shown]
	v_sub_f32_e32 v22, v21, v49
	v_sub_f32_e32 v17, v17, v22
	v_add_f32_e32 v16, v16, v17
	v_add_f32_e32 v16, v21, v16
	v_cmp_neq_f32_e32 vcc, s3, v19
	s_mov_b32 s3, 0x33800000
	v_cndmask_b32_e32 v16, v18, v16, vcc
	v_cmp_lt_f32_e64 vcc, |v19|, s3
	v_cndmask_b32_e32 v16, v16, v19, vcc
	v_add_f32_e32 v16, v3, v16
.LBB459_148:
	s_or_b64 exec, exec, s[0:1]
	v_bfe_u32 v3, v16, 16, 1
	s_movk_i32 s3, 0x7fff
	v_add3_u32 v3, v16, v3, s3
	v_cmp_o_f32_e32 vcc, v16, v16
	v_mov_b32_e32 v16, 0x7fc0
	v_cndmask_b32_sdwa v3, v16, v3, vcc dst_sel:DWORD dst_unused:UNUSED_PAD src0_sel:DWORD src1_sel:WORD_1
	v_lshlrev_b32_e32 v18, 16, v3
	v_max_f32_e32 v17, v18, v18
	v_min_f32_e32 v19, v17, v23
	v_cmp_u_f32_e32 vcc, v18, v18
	v_max_f32_e32 v17, v17, v23
	v_cndmask_b32_e32 v19, v19, v18, vcc
	v_cndmask_b32_e32 v17, v17, v18, vcc
	v_cndmask_b32_e64 v19, v19, v20, s[60:61]
	v_cndmask_b32_e64 v17, v17, v20, s[60:61]
	v_cmp_neq_f32_e32 vcc, v19, v17
	v_cmp_class_f32_e64 s[0:1], v19, s2
	s_or_b64 s[4:5], vcc, s[0:1]
	s_and_saveexec_b64 s[0:1], s[4:5]
	s_cbranch_execz .LBB459_150
; %bb.149:
	v_sub_f32_e32 v18, v19, v17
	s_mov_b32 s2, 0x3fb8aa3b
	v_mul_f32_e32 v19, 0x3fb8aa3b, v18
	v_fma_f32 v20, v18, s2, -v19
	v_rndne_f32_e32 v21, v19
	v_fmac_f32_e32 v20, 0x32a5705f, v18
	v_sub_f32_e32 v19, v19, v21
	v_add_f32_e32 v19, v19, v20
	v_exp_f32_e32 v19, v19
	v_cvt_i32_f32_e32 v20, v21
	s_mov_b32 s2, 0xc2ce8ed0
	v_cmp_ngt_f32_e32 vcc, s2, v18
	s_mov_b32 s2, 0x42b17218
	v_ldexp_f32 v19, v19, v20
	v_cndmask_b32_e32 v19, 0, v19, vcc
	v_mov_b32_e32 v20, 0x7f800000
	v_cmp_nlt_f32_e32 vcc, s2, v18
	v_cndmask_b32_e32 v21, v20, v19, vcc
	v_add_f32_e32 v22, 1.0, v21
	v_cvt_f64_f32_e32 v[18:19], v22
	v_add_f32_e32 v23, -1.0, v22
	v_sub_f32_e32 v49, v23, v22
	v_sub_f32_e32 v23, v21, v23
	v_frexp_exp_i32_f64_e32 v18, v[18:19]
	v_add_f32_e32 v19, 1.0, v49
	v_add_f32_e32 v19, v23, v19
	v_frexp_mant_f32_e32 v23, v22
	s_mov_b32 s4, 0x3f2aaaab
	v_cmp_gt_f32_e32 vcc, s4, v23
	s_mov_b32 s4, 0x3f317218
	s_mov_b32 s2, 0x7f800000
	v_subbrev_co_u32_e32 v18, vcc, 0, v18, vcc
	v_sub_u32_e32 v23, 0, v18
	v_ldexp_f32 v22, v22, v23
	v_ldexp_f32 v19, v19, v23
	v_add_f32_e32 v23, -1.0, v22
	v_add_f32_e32 v51, 1.0, v22
	v_add_f32_e32 v49, 1.0, v23
	v_add_f32_e32 v52, -1.0, v51
	v_sub_f32_e32 v49, v22, v49
	v_sub_f32_e32 v22, v22, v52
	v_add_f32_e32 v49, v19, v49
	v_add_f32_e32 v19, v19, v22
	;; [unrolled: 1-line block ×3, first 2 shown]
	v_rcp_f32_e32 v52, v22
	v_add_f32_e32 v50, v23, v49
	v_sub_f32_e32 v23, v23, v50
	v_add_f32_e32 v23, v49, v23
	v_sub_f32_e32 v49, v51, v22
	v_add_f32_e32 v19, v19, v49
	v_mul_f32_e32 v49, v50, v52
	v_mul_f32_e32 v51, v22, v49
	v_fma_f32 v54, v49, v22, -v51
	v_fmac_f32_e32 v54, v49, v19
	v_add_f32_e32 v55, v51, v54
	v_sub_f32_e32 v56, v50, v55
	v_sub_f32_e32 v50, v50, v56
	;; [unrolled: 1-line block ×4, first 2 shown]
	v_add_f32_e32 v23, v23, v50
	v_sub_f32_e32 v50, v51, v54
	v_add_f32_e32 v23, v50, v23
	v_add_f32_e32 v50, v56, v23
	v_mul_f32_e32 v51, v52, v50
	v_mul_f32_e32 v54, v22, v51
	v_fma_f32 v22, v51, v22, -v54
	v_fmac_f32_e32 v22, v51, v19
	v_sub_f32_e32 v19, v56, v50
	v_add_f32_e32 v19, v23, v19
	v_add_f32_e32 v23, v54, v22
	v_sub_f32_e32 v55, v50, v23
	v_sub_f32_e32 v50, v50, v55
	;; [unrolled: 1-line block ×4, first 2 shown]
	v_add_f32_e32 v19, v19, v23
	v_sub_f32_e32 v22, v54, v22
	v_add_f32_e32 v19, v22, v19
	v_add_f32_e32 v22, v49, v51
	;; [unrolled: 1-line block ×3, first 2 shown]
	v_sub_f32_e32 v23, v22, v49
	v_mul_f32_e32 v19, v52, v19
	v_sub_f32_e32 v23, v51, v23
	v_add_f32_e32 v19, v23, v19
	v_cvt_f32_i32_e32 v18, v18
	v_add_f32_e32 v23, v22, v19
	v_mul_f32_e32 v49, v23, v23
	v_mov_b32_e32 v50, 0x3ecc95a3
	v_fmac_f32_e32 v50, 0x3e9b6dac, v49
	v_mov_b32_e32 v51, 0x3f2aaada
	v_fmac_f32_e32 v51, v49, v50
	v_mul_f32_e32 v50, 0x3f317218, v18
	v_fma_f32 v52, v18, s4, -v50
	v_fmac_f32_e32 v52, 0xb102e308, v18
	v_sub_f32_e32 v18, v23, v22
	v_sub_f32_e32 v18, v19, v18
	v_add_f32_e32 v19, v50, v52
	v_sub_f32_e32 v22, v19, v50
	v_ldexp_f32 v50, v23, 1
	v_mul_f32_e32 v23, v23, v49
	v_mul_f32_e32 v23, v23, v51
	v_add_f32_e32 v49, v50, v23
	v_sub_f32_e32 v50, v49, v50
	v_ldexp_f32 v18, v18, 1
	v_sub_f32_e32 v23, v23, v50
	v_add_f32_e32 v18, v18, v23
	v_add_f32_e32 v23, v49, v18
	v_sub_f32_e32 v49, v23, v49
	v_sub_f32_e32 v18, v18, v49
	v_add_f32_e32 v49, v19, v23
	v_sub_f32_e32 v50, v49, v19
	v_sub_f32_e32 v51, v49, v50
	;; [unrolled: 1-line block ×5, first 2 shown]
	v_add_f32_e32 v19, v23, v19
	v_add_f32_e32 v23, v22, v18
	v_sub_f32_e32 v50, v23, v22
	v_sub_f32_e32 v51, v23, v50
	;; [unrolled: 1-line block ×4, first 2 shown]
	v_add_f32_e32 v19, v23, v19
	v_add_f32_e32 v18, v18, v22
	;; [unrolled: 1-line block ×3, first 2 shown]
	v_sub_f32_e32 v23, v22, v49
	v_sub_f32_e32 v19, v19, v23
	v_add_f32_e32 v18, v18, v19
	v_add_f32_e32 v18, v22, v18
	v_cmp_neq_f32_e32 vcc, s2, v21
	s_mov_b32 s2, 0x33800000
	v_cndmask_b32_e32 v18, v20, v18, vcc
	v_cmp_lt_f32_e64 vcc, |v21|, s2
	v_cndmask_b32_e32 v18, v18, v21, vcc
	v_add_f32_e32 v18, v17, v18
.LBB459_150:
	s_or_b64 exec, exec, s[0:1]
	v_bfe_u32 v17, v18, 16, 1
	v_add3_u32 v17, v18, v17, s3
	v_cmp_o_f32_e32 vcc, v18, v18
	v_cndmask_b32_sdwa v16, v16, v17, vcc dst_sel:DWORD dst_unused:UNUSED_PAD src0_sel:DWORD src1_sel:WORD_1
	v_lshlrev_b32_e32 v17, 16, v16
	v_max_f32_e32 v19, v17, v17
	v_min_f32_e32 v18, v19, v25
	v_cmp_u_f32_e32 vcc, v17, v17
	v_max_f32_e32 v19, v19, v25
	v_cndmask_b32_e32 v18, v18, v17, vcc
	v_cndmask_b32_e32 v19, v19, v17, vcc
	v_cndmask_b32_e64 v18, v18, v4, s[62:63]
	v_cndmask_b32_e64 v4, v19, v4, s[62:63]
	s_movk_i32 s2, 0x1f8
	v_cmp_neq_f32_e32 vcc, v18, v4
	v_cmp_class_f32_e64 s[0:1], v18, s2
	s_or_b64 s[4:5], vcc, s[0:1]
	s_and_saveexec_b64 s[0:1], s[4:5]
	s_cbranch_execz .LBB459_152
; %bb.151:
	v_sub_f32_e32 v17, v18, v4
	s_mov_b32 s3, 0x3fb8aa3b
	v_mul_f32_e32 v18, 0x3fb8aa3b, v17
	v_fma_f32 v19, v17, s3, -v18
	v_rndne_f32_e32 v20, v18
	v_fmac_f32_e32 v19, 0x32a5705f, v17
	v_sub_f32_e32 v18, v18, v20
	v_add_f32_e32 v18, v18, v19
	v_exp_f32_e32 v18, v18
	v_cvt_i32_f32_e32 v19, v20
	s_mov_b32 s3, 0xc2ce8ed0
	v_cmp_ngt_f32_e32 vcc, s3, v17
	s_mov_b32 s3, 0x42b17218
	v_ldexp_f32 v18, v18, v19
	v_cndmask_b32_e32 v18, 0, v18, vcc
	v_mov_b32_e32 v19, 0x7f800000
	v_cmp_nlt_f32_e32 vcc, s3, v17
	v_cndmask_b32_e32 v20, v19, v18, vcc
	v_add_f32_e32 v21, 1.0, v20
	v_cvt_f64_f32_e32 v[17:18], v21
	v_add_f32_e32 v22, -1.0, v21
	v_sub_f32_e32 v23, v22, v21
	v_sub_f32_e32 v22, v20, v22
	v_frexp_exp_i32_f64_e32 v17, v[17:18]
	v_add_f32_e32 v18, 1.0, v23
	v_add_f32_e32 v18, v22, v18
	v_frexp_mant_f32_e32 v22, v21
	s_mov_b32 s4, 0x3f2aaaab
	v_cmp_gt_f32_e32 vcc, s4, v22
	s_mov_b32 s4, 0x3f317218
	s_mov_b32 s3, 0x7f800000
	v_subbrev_co_u32_e32 v17, vcc, 0, v17, vcc
	v_sub_u32_e32 v22, 0, v17
	v_ldexp_f32 v21, v21, v22
	v_ldexp_f32 v18, v18, v22
	v_add_f32_e32 v22, -1.0, v21
	v_add_f32_e32 v49, 1.0, v21
	v_add_f32_e32 v23, 1.0, v22
	v_add_f32_e32 v50, -1.0, v49
	v_sub_f32_e32 v23, v21, v23
	v_sub_f32_e32 v21, v21, v50
	v_add_f32_e32 v23, v18, v23
	v_add_f32_e32 v18, v18, v21
	;; [unrolled: 1-line block ×3, first 2 shown]
	v_rcp_f32_e32 v50, v21
	v_add_f32_e32 v25, v22, v23
	v_sub_f32_e32 v22, v22, v25
	v_add_f32_e32 v22, v23, v22
	v_sub_f32_e32 v23, v49, v21
	v_add_f32_e32 v18, v18, v23
	v_mul_f32_e32 v23, v25, v50
	v_mul_f32_e32 v49, v21, v23
	v_fma_f32 v51, v23, v21, -v49
	v_fmac_f32_e32 v51, v23, v18
	v_add_f32_e32 v52, v49, v51
	v_sub_f32_e32 v54, v25, v52
	v_sub_f32_e32 v25, v25, v54
	;; [unrolled: 1-line block ×4, first 2 shown]
	v_add_f32_e32 v22, v22, v25
	v_sub_f32_e32 v25, v49, v51
	v_add_f32_e32 v22, v25, v22
	v_add_f32_e32 v25, v54, v22
	v_mul_f32_e32 v49, v50, v25
	v_mul_f32_e32 v51, v21, v49
	v_fma_f32 v21, v49, v21, -v51
	v_fmac_f32_e32 v21, v49, v18
	v_sub_f32_e32 v18, v54, v25
	v_add_f32_e32 v18, v22, v18
	v_add_f32_e32 v22, v51, v21
	v_sub_f32_e32 v52, v25, v22
	v_sub_f32_e32 v25, v25, v52
	;; [unrolled: 1-line block ×4, first 2 shown]
	v_add_f32_e32 v18, v18, v22
	v_sub_f32_e32 v21, v51, v21
	v_add_f32_e32 v18, v21, v18
	v_add_f32_e32 v21, v23, v49
	;; [unrolled: 1-line block ×3, first 2 shown]
	v_sub_f32_e32 v22, v21, v23
	v_mul_f32_e32 v18, v50, v18
	v_sub_f32_e32 v22, v49, v22
	v_add_f32_e32 v18, v22, v18
	v_cvt_f32_i32_e32 v17, v17
	v_add_f32_e32 v22, v21, v18
	v_mul_f32_e32 v23, v22, v22
	v_mov_b32_e32 v25, 0x3ecc95a3
	v_fmac_f32_e32 v25, 0x3e9b6dac, v23
	v_mov_b32_e32 v49, 0x3f2aaada
	v_fmac_f32_e32 v49, v23, v25
	v_mul_f32_e32 v25, 0x3f317218, v17
	v_fma_f32 v50, v17, s4, -v25
	v_fmac_f32_e32 v50, 0xb102e308, v17
	v_sub_f32_e32 v17, v22, v21
	v_sub_f32_e32 v17, v18, v17
	v_add_f32_e32 v18, v25, v50
	v_sub_f32_e32 v21, v18, v25
	v_ldexp_f32 v25, v22, 1
	v_mul_f32_e32 v22, v22, v23
	v_mul_f32_e32 v22, v22, v49
	v_add_f32_e32 v23, v25, v22
	v_sub_f32_e32 v25, v23, v25
	v_ldexp_f32 v17, v17, 1
	v_sub_f32_e32 v22, v22, v25
	v_add_f32_e32 v17, v17, v22
	v_add_f32_e32 v22, v23, v17
	v_sub_f32_e32 v23, v22, v23
	v_sub_f32_e32 v17, v17, v23
	v_add_f32_e32 v23, v18, v22
	v_sub_f32_e32 v25, v23, v18
	v_sub_f32_e32 v49, v23, v25
	;; [unrolled: 1-line block ×5, first 2 shown]
	v_add_f32_e32 v18, v22, v18
	v_add_f32_e32 v22, v21, v17
	v_sub_f32_e32 v25, v22, v21
	v_sub_f32_e32 v49, v22, v25
	v_sub_f32_e32 v21, v21, v49
	v_sub_f32_e32 v17, v17, v25
	v_add_f32_e32 v18, v22, v18
	v_add_f32_e32 v17, v17, v21
	;; [unrolled: 1-line block ×3, first 2 shown]
	v_sub_f32_e32 v22, v21, v23
	v_sub_f32_e32 v18, v18, v22
	v_add_f32_e32 v17, v17, v18
	v_add_f32_e32 v17, v21, v17
	v_cmp_neq_f32_e32 vcc, s3, v20
	s_mov_b32 s3, 0x33800000
	v_cndmask_b32_e32 v17, v19, v17, vcc
	v_cmp_lt_f32_e64 vcc, |v20|, s3
	v_cndmask_b32_e32 v17, v17, v20, vcc
	v_add_f32_e32 v17, v4, v17
.LBB459_152:
	s_or_b64 exec, exec, s[0:1]
	v_bfe_u32 v4, v17, 16, 1
	s_movk_i32 s3, 0x7fff
	v_add3_u32 v4, v17, v4, s3
	v_cmp_o_f32_e32 vcc, v17, v17
	v_mov_b32_e32 v17, 0x7fc0
	v_cndmask_b32_sdwa v4, v17, v4, vcc dst_sel:DWORD dst_unused:UNUSED_PAD src0_sel:DWORD src1_sel:WORD_1
	v_lshlrev_b32_e32 v19, 16, v4
	v_max_f32_e32 v18, v19, v19
	v_min_f32_e32 v20, v18, v26
	v_cmp_u_f32_e32 vcc, v19, v19
	v_max_f32_e32 v18, v18, v26
	v_cndmask_b32_e32 v20, v20, v19, vcc
	v_cndmask_b32_e32 v18, v18, v19, vcc
	v_cndmask_b32_e64 v20, v20, v24, s[64:65]
	v_cndmask_b32_e64 v18, v18, v24, s[64:65]
	v_cmp_neq_f32_e32 vcc, v20, v18
	v_cmp_class_f32_e64 s[0:1], v20, s2
	s_or_b64 s[4:5], vcc, s[0:1]
	s_and_saveexec_b64 s[0:1], s[4:5]
	s_cbranch_execz .LBB459_154
; %bb.153:
	v_sub_f32_e32 v19, v20, v18
	s_mov_b32 s2, 0x3fb8aa3b
	v_mul_f32_e32 v20, 0x3fb8aa3b, v19
	v_fma_f32 v21, v19, s2, -v20
	v_rndne_f32_e32 v22, v20
	v_fmac_f32_e32 v21, 0x32a5705f, v19
	v_sub_f32_e32 v20, v20, v22
	v_add_f32_e32 v20, v20, v21
	v_exp_f32_e32 v20, v20
	v_cvt_i32_f32_e32 v21, v22
	s_mov_b32 s2, 0xc2ce8ed0
	v_cmp_ngt_f32_e32 vcc, s2, v19
	s_mov_b32 s2, 0x42b17218
	v_ldexp_f32 v20, v20, v21
	v_cndmask_b32_e32 v20, 0, v20, vcc
	v_mov_b32_e32 v21, 0x7f800000
	v_cmp_nlt_f32_e32 vcc, s2, v19
	v_cndmask_b32_e32 v22, v21, v20, vcc
	v_add_f32_e32 v23, 1.0, v22
	v_cvt_f64_f32_e32 v[19:20], v23
	v_add_f32_e32 v24, -1.0, v23
	v_sub_f32_e32 v25, v24, v23
	v_sub_f32_e32 v24, v22, v24
	v_frexp_exp_i32_f64_e32 v19, v[19:20]
	v_add_f32_e32 v20, 1.0, v25
	v_add_f32_e32 v20, v24, v20
	v_frexp_mant_f32_e32 v24, v23
	s_mov_b32 s4, 0x3f2aaaab
	v_cmp_gt_f32_e32 vcc, s4, v24
	s_mov_b32 s4, 0x3f317218
	s_mov_b32 s2, 0x7f800000
	v_subbrev_co_u32_e32 v19, vcc, 0, v19, vcc
	v_sub_u32_e32 v24, 0, v19
	v_ldexp_f32 v23, v23, v24
	v_ldexp_f32 v20, v20, v24
	v_add_f32_e32 v24, -1.0, v23
	v_add_f32_e32 v49, 1.0, v23
	v_add_f32_e32 v25, 1.0, v24
	v_add_f32_e32 v50, -1.0, v49
	v_sub_f32_e32 v25, v23, v25
	v_sub_f32_e32 v23, v23, v50
	v_add_f32_e32 v25, v20, v25
	v_add_f32_e32 v20, v20, v23
	;; [unrolled: 1-line block ×3, first 2 shown]
	v_rcp_f32_e32 v50, v23
	v_add_f32_e32 v26, v24, v25
	v_sub_f32_e32 v24, v24, v26
	v_add_f32_e32 v24, v25, v24
	v_sub_f32_e32 v25, v49, v23
	v_add_f32_e32 v20, v20, v25
	v_mul_f32_e32 v25, v26, v50
	v_mul_f32_e32 v49, v23, v25
	v_fma_f32 v51, v25, v23, -v49
	v_fmac_f32_e32 v51, v25, v20
	v_add_f32_e32 v52, v49, v51
	v_sub_f32_e32 v54, v26, v52
	v_sub_f32_e32 v26, v26, v54
	;; [unrolled: 1-line block ×4, first 2 shown]
	v_add_f32_e32 v24, v24, v26
	v_sub_f32_e32 v26, v49, v51
	v_add_f32_e32 v24, v26, v24
	v_add_f32_e32 v26, v54, v24
	v_mul_f32_e32 v49, v50, v26
	v_mul_f32_e32 v51, v23, v49
	v_fma_f32 v23, v49, v23, -v51
	v_fmac_f32_e32 v23, v49, v20
	v_sub_f32_e32 v20, v54, v26
	v_add_f32_e32 v20, v24, v20
	v_add_f32_e32 v24, v51, v23
	v_sub_f32_e32 v52, v26, v24
	v_sub_f32_e32 v26, v26, v52
	;; [unrolled: 1-line block ×4, first 2 shown]
	v_add_f32_e32 v20, v20, v24
	v_sub_f32_e32 v23, v51, v23
	v_add_f32_e32 v20, v23, v20
	v_add_f32_e32 v23, v25, v49
	;; [unrolled: 1-line block ×3, first 2 shown]
	v_sub_f32_e32 v24, v23, v25
	v_mul_f32_e32 v20, v50, v20
	v_sub_f32_e32 v24, v49, v24
	v_add_f32_e32 v20, v24, v20
	v_cvt_f32_i32_e32 v19, v19
	v_add_f32_e32 v24, v23, v20
	v_mul_f32_e32 v25, v24, v24
	v_mov_b32_e32 v26, 0x3ecc95a3
	v_fmac_f32_e32 v26, 0x3e9b6dac, v25
	v_mov_b32_e32 v49, 0x3f2aaada
	v_fmac_f32_e32 v49, v25, v26
	v_mul_f32_e32 v26, 0x3f317218, v19
	v_fma_f32 v50, v19, s4, -v26
	v_fmac_f32_e32 v50, 0xb102e308, v19
	v_sub_f32_e32 v19, v24, v23
	v_sub_f32_e32 v19, v20, v19
	v_add_f32_e32 v20, v26, v50
	v_sub_f32_e32 v23, v20, v26
	v_ldexp_f32 v26, v24, 1
	v_mul_f32_e32 v24, v24, v25
	v_mul_f32_e32 v24, v24, v49
	v_add_f32_e32 v25, v26, v24
	v_sub_f32_e32 v26, v25, v26
	v_ldexp_f32 v19, v19, 1
	v_sub_f32_e32 v24, v24, v26
	v_add_f32_e32 v19, v19, v24
	v_add_f32_e32 v24, v25, v19
	v_sub_f32_e32 v25, v24, v25
	v_sub_f32_e32 v19, v19, v25
	v_add_f32_e32 v25, v20, v24
	v_sub_f32_e32 v26, v25, v20
	v_sub_f32_e32 v49, v25, v26
	v_sub_f32_e32 v23, v50, v23
	v_sub_f32_e32 v20, v20, v49
	v_sub_f32_e32 v24, v24, v26
	v_add_f32_e32 v20, v24, v20
	v_add_f32_e32 v24, v23, v19
	v_sub_f32_e32 v26, v24, v23
	v_sub_f32_e32 v49, v24, v26
	v_sub_f32_e32 v23, v23, v49
	v_sub_f32_e32 v19, v19, v26
	v_add_f32_e32 v20, v24, v20
	v_add_f32_e32 v19, v19, v23
	;; [unrolled: 1-line block ×3, first 2 shown]
	v_sub_f32_e32 v24, v23, v25
	v_sub_f32_e32 v20, v20, v24
	v_add_f32_e32 v19, v19, v20
	v_add_f32_e32 v19, v23, v19
	v_cmp_neq_f32_e32 vcc, s2, v22
	s_mov_b32 s2, 0x33800000
	v_cndmask_b32_e32 v19, v21, v19, vcc
	v_cmp_lt_f32_e64 vcc, |v22|, s2
	v_cndmask_b32_e32 v19, v19, v22, vcc
	v_add_f32_e32 v19, v18, v19
.LBB459_154:
	s_or_b64 exec, exec, s[0:1]
	v_bfe_u32 v18, v19, 16, 1
	v_add3_u32 v18, v19, v18, s3
	v_cmp_o_f32_e32 vcc, v19, v19
	v_cndmask_b32_sdwa v17, v17, v18, vcc dst_sel:DWORD dst_unused:UNUSED_PAD src0_sel:DWORD src1_sel:WORD_1
	v_lshlrev_b32_e32 v18, 16, v17
	v_max_f32_e32 v20, v18, v18
	v_min_f32_e32 v19, v20, v28
	v_cmp_u_f32_e32 vcc, v18, v18
	v_max_f32_e32 v20, v20, v28
	v_cndmask_b32_e32 v19, v19, v18, vcc
	v_cndmask_b32_e32 v20, v20, v18, vcc
	v_cndmask_b32_e64 v19, v19, v9, s[66:67]
	v_cndmask_b32_e64 v9, v20, v9, s[66:67]
	s_movk_i32 s2, 0x1f8
	v_cmp_neq_f32_e32 vcc, v19, v9
	v_cmp_class_f32_e64 s[0:1], v19, s2
	s_or_b64 s[4:5], vcc, s[0:1]
	s_and_saveexec_b64 s[0:1], s[4:5]
	s_cbranch_execz .LBB459_156
; %bb.155:
	v_sub_f32_e32 v18, v19, v9
	s_mov_b32 s3, 0x3fb8aa3b
	v_mul_f32_e32 v19, 0x3fb8aa3b, v18
	v_fma_f32 v20, v18, s3, -v19
	v_rndne_f32_e32 v21, v19
	v_fmac_f32_e32 v20, 0x32a5705f, v18
	v_sub_f32_e32 v19, v19, v21
	v_add_f32_e32 v19, v19, v20
	v_exp_f32_e32 v19, v19
	v_cvt_i32_f32_e32 v20, v21
	s_mov_b32 s3, 0xc2ce8ed0
	v_cmp_ngt_f32_e32 vcc, s3, v18
	s_mov_b32 s3, 0x42b17218
	v_ldexp_f32 v19, v19, v20
	v_cndmask_b32_e32 v19, 0, v19, vcc
	v_mov_b32_e32 v20, 0x7f800000
	v_cmp_nlt_f32_e32 vcc, s3, v18
	v_cndmask_b32_e32 v21, v20, v19, vcc
	v_add_f32_e32 v22, 1.0, v21
	v_cvt_f64_f32_e32 v[18:19], v22
	v_add_f32_e32 v23, -1.0, v22
	v_sub_f32_e32 v24, v23, v22
	v_sub_f32_e32 v23, v21, v23
	v_frexp_exp_i32_f64_e32 v18, v[18:19]
	v_add_f32_e32 v19, 1.0, v24
	v_add_f32_e32 v19, v23, v19
	v_frexp_mant_f32_e32 v23, v22
	s_mov_b32 s4, 0x3f2aaaab
	v_cmp_gt_f32_e32 vcc, s4, v23
	s_mov_b32 s4, 0x3f317218
	s_mov_b32 s3, 0x7f800000
	v_subbrev_co_u32_e32 v18, vcc, 0, v18, vcc
	v_sub_u32_e32 v23, 0, v18
	v_ldexp_f32 v22, v22, v23
	v_ldexp_f32 v19, v19, v23
	v_add_f32_e32 v23, -1.0, v22
	v_add_f32_e32 v26, 1.0, v22
	v_add_f32_e32 v24, 1.0, v23
	v_add_f32_e32 v28, -1.0, v26
	v_sub_f32_e32 v24, v22, v24
	v_sub_f32_e32 v22, v22, v28
	v_add_f32_e32 v24, v19, v24
	v_add_f32_e32 v19, v19, v22
	;; [unrolled: 1-line block ×3, first 2 shown]
	v_rcp_f32_e32 v28, v22
	v_add_f32_e32 v25, v23, v24
	v_sub_f32_e32 v23, v23, v25
	v_add_f32_e32 v23, v24, v23
	v_sub_f32_e32 v24, v26, v22
	v_add_f32_e32 v19, v19, v24
	v_mul_f32_e32 v24, v25, v28
	v_mul_f32_e32 v26, v22, v24
	v_fma_f32 v49, v24, v22, -v26
	v_fmac_f32_e32 v49, v24, v19
	v_add_f32_e32 v50, v26, v49
	v_sub_f32_e32 v51, v25, v50
	v_sub_f32_e32 v25, v25, v51
	v_sub_f32_e32 v26, v50, v26
	v_sub_f32_e32 v25, v25, v50
	v_add_f32_e32 v23, v23, v25
	v_sub_f32_e32 v25, v26, v49
	v_add_f32_e32 v23, v25, v23
	v_add_f32_e32 v25, v51, v23
	v_mul_f32_e32 v26, v28, v25
	v_mul_f32_e32 v49, v22, v26
	v_fma_f32 v22, v26, v22, -v49
	v_fmac_f32_e32 v22, v26, v19
	v_sub_f32_e32 v19, v51, v25
	v_add_f32_e32 v19, v23, v19
	v_add_f32_e32 v23, v49, v22
	v_sub_f32_e32 v50, v25, v23
	v_sub_f32_e32 v25, v25, v50
	;; [unrolled: 1-line block ×4, first 2 shown]
	v_add_f32_e32 v19, v19, v23
	v_sub_f32_e32 v22, v49, v22
	v_add_f32_e32 v19, v22, v19
	v_add_f32_e32 v22, v24, v26
	;; [unrolled: 1-line block ×3, first 2 shown]
	v_sub_f32_e32 v23, v22, v24
	v_mul_f32_e32 v19, v28, v19
	v_sub_f32_e32 v23, v26, v23
	v_add_f32_e32 v19, v23, v19
	v_cvt_f32_i32_e32 v18, v18
	v_add_f32_e32 v23, v22, v19
	v_mul_f32_e32 v24, v23, v23
	v_mov_b32_e32 v25, 0x3ecc95a3
	v_fmac_f32_e32 v25, 0x3e9b6dac, v24
	v_mov_b32_e32 v26, 0x3f2aaada
	v_fmac_f32_e32 v26, v24, v25
	v_mul_f32_e32 v25, 0x3f317218, v18
	v_fma_f32 v28, v18, s4, -v25
	v_fmac_f32_e32 v28, 0xb102e308, v18
	v_sub_f32_e32 v18, v23, v22
	v_sub_f32_e32 v18, v19, v18
	v_add_f32_e32 v19, v25, v28
	v_sub_f32_e32 v22, v19, v25
	v_ldexp_f32 v25, v23, 1
	v_mul_f32_e32 v23, v23, v24
	v_mul_f32_e32 v23, v23, v26
	v_add_f32_e32 v24, v25, v23
	v_sub_f32_e32 v25, v24, v25
	v_ldexp_f32 v18, v18, 1
	v_sub_f32_e32 v23, v23, v25
	v_add_f32_e32 v18, v18, v23
	v_add_f32_e32 v23, v24, v18
	v_sub_f32_e32 v24, v23, v24
	v_sub_f32_e32 v18, v18, v24
	v_add_f32_e32 v24, v19, v23
	v_sub_f32_e32 v25, v24, v19
	v_sub_f32_e32 v26, v24, v25
	;; [unrolled: 1-line block ×5, first 2 shown]
	v_add_f32_e32 v19, v23, v19
	v_add_f32_e32 v23, v22, v18
	v_sub_f32_e32 v25, v23, v22
	v_sub_f32_e32 v26, v23, v25
	;; [unrolled: 1-line block ×4, first 2 shown]
	v_add_f32_e32 v19, v23, v19
	v_add_f32_e32 v18, v18, v22
	;; [unrolled: 1-line block ×3, first 2 shown]
	v_sub_f32_e32 v23, v22, v24
	v_sub_f32_e32 v19, v19, v23
	v_add_f32_e32 v18, v18, v19
	v_add_f32_e32 v18, v22, v18
	v_cmp_neq_f32_e32 vcc, s3, v21
	s_mov_b32 s3, 0x33800000
	v_cndmask_b32_e32 v18, v20, v18, vcc
	v_cmp_lt_f32_e64 vcc, |v21|, s3
	v_cndmask_b32_e32 v18, v18, v21, vcc
	v_add_f32_e32 v18, v9, v18
.LBB459_156:
	s_or_b64 exec, exec, s[0:1]
	v_bfe_u32 v9, v18, 16, 1
	s_movk_i32 s3, 0x7fff
	v_add3_u32 v9, v18, v9, s3
	v_cmp_o_f32_e32 vcc, v18, v18
	v_mov_b32_e32 v18, 0x7fc0
	v_cndmask_b32_sdwa v9, v18, v9, vcc dst_sel:DWORD dst_unused:UNUSED_PAD src0_sel:DWORD src1_sel:WORD_1
	v_lshlrev_b32_e32 v20, 16, v9
	v_max_f32_e32 v19, v20, v20
	v_min_f32_e32 v21, v19, v29
	v_cmp_u_f32_e32 vcc, v20, v20
	v_max_f32_e32 v19, v19, v29
	v_cndmask_b32_e32 v21, v21, v20, vcc
	v_cndmask_b32_e32 v19, v19, v20, vcc
	v_cndmask_b32_e64 v21, v21, v27, s[68:69]
	v_cndmask_b32_e64 v19, v19, v27, s[68:69]
	v_cmp_neq_f32_e32 vcc, v21, v19
	v_cmp_class_f32_e64 s[0:1], v21, s2
	s_or_b64 s[4:5], vcc, s[0:1]
	s_and_saveexec_b64 s[0:1], s[4:5]
	s_cbranch_execz .LBB459_158
; %bb.157:
	v_sub_f32_e32 v20, v21, v19
	s_mov_b32 s2, 0x3fb8aa3b
	v_mul_f32_e32 v21, 0x3fb8aa3b, v20
	v_fma_f32 v22, v20, s2, -v21
	v_rndne_f32_e32 v23, v21
	v_fmac_f32_e32 v22, 0x32a5705f, v20
	v_sub_f32_e32 v21, v21, v23
	v_add_f32_e32 v21, v21, v22
	v_exp_f32_e32 v21, v21
	v_cvt_i32_f32_e32 v22, v23
	s_mov_b32 s2, 0xc2ce8ed0
	v_cmp_ngt_f32_e32 vcc, s2, v20
	s_mov_b32 s2, 0x42b17218
	v_ldexp_f32 v21, v21, v22
	v_cndmask_b32_e32 v21, 0, v21, vcc
	v_mov_b32_e32 v22, 0x7f800000
	v_cmp_nlt_f32_e32 vcc, s2, v20
	v_cndmask_b32_e32 v23, v22, v21, vcc
	v_add_f32_e32 v24, 1.0, v23
	v_cvt_f64_f32_e32 v[20:21], v24
	v_add_f32_e32 v25, -1.0, v24
	v_sub_f32_e32 v26, v25, v24
	v_sub_f32_e32 v25, v23, v25
	v_frexp_exp_i32_f64_e32 v20, v[20:21]
	v_add_f32_e32 v21, 1.0, v26
	v_add_f32_e32 v21, v25, v21
	v_frexp_mant_f32_e32 v25, v24
	s_mov_b32 s4, 0x3f2aaaab
	v_cmp_gt_f32_e32 vcc, s4, v25
	s_mov_b32 s4, 0x3f317218
	s_mov_b32 s2, 0x7f800000
	v_subbrev_co_u32_e32 v20, vcc, 0, v20, vcc
	v_sub_u32_e32 v25, 0, v20
	v_ldexp_f32 v24, v24, v25
	v_ldexp_f32 v21, v21, v25
	v_add_f32_e32 v25, -1.0, v24
	v_add_f32_e32 v28, 1.0, v24
	v_add_f32_e32 v26, 1.0, v25
	v_add_f32_e32 v29, -1.0, v28
	v_sub_f32_e32 v26, v24, v26
	v_sub_f32_e32 v24, v24, v29
	v_add_f32_e32 v26, v21, v26
	v_add_f32_e32 v21, v21, v24
	v_add_f32_e32 v24, v28, v21
	v_rcp_f32_e32 v29, v24
	v_add_f32_e32 v27, v25, v26
	v_sub_f32_e32 v25, v25, v27
	v_add_f32_e32 v25, v26, v25
	v_sub_f32_e32 v26, v28, v24
	v_add_f32_e32 v21, v21, v26
	v_mul_f32_e32 v26, v27, v29
	v_mul_f32_e32 v28, v24, v26
	v_fma_f32 v49, v26, v24, -v28
	v_fmac_f32_e32 v49, v26, v21
	v_add_f32_e32 v50, v28, v49
	v_sub_f32_e32 v51, v27, v50
	v_sub_f32_e32 v27, v27, v51
	;; [unrolled: 1-line block ×4, first 2 shown]
	v_add_f32_e32 v25, v25, v27
	v_sub_f32_e32 v27, v28, v49
	v_add_f32_e32 v25, v27, v25
	v_add_f32_e32 v27, v51, v25
	v_mul_f32_e32 v28, v29, v27
	v_mul_f32_e32 v49, v24, v28
	v_fma_f32 v24, v28, v24, -v49
	v_fmac_f32_e32 v24, v28, v21
	v_sub_f32_e32 v21, v51, v27
	v_add_f32_e32 v21, v25, v21
	v_add_f32_e32 v25, v49, v24
	v_sub_f32_e32 v50, v27, v25
	v_sub_f32_e32 v27, v27, v50
	;; [unrolled: 1-line block ×4, first 2 shown]
	v_add_f32_e32 v21, v21, v25
	v_sub_f32_e32 v24, v49, v24
	v_add_f32_e32 v21, v24, v21
	v_add_f32_e32 v24, v26, v28
	;; [unrolled: 1-line block ×3, first 2 shown]
	v_sub_f32_e32 v25, v24, v26
	v_mul_f32_e32 v21, v29, v21
	v_sub_f32_e32 v25, v28, v25
	v_add_f32_e32 v21, v25, v21
	v_cvt_f32_i32_e32 v20, v20
	v_add_f32_e32 v25, v24, v21
	v_mul_f32_e32 v26, v25, v25
	v_mov_b32_e32 v27, 0x3ecc95a3
	v_fmac_f32_e32 v27, 0x3e9b6dac, v26
	v_mov_b32_e32 v28, 0x3f2aaada
	v_fmac_f32_e32 v28, v26, v27
	v_mul_f32_e32 v27, 0x3f317218, v20
	v_fma_f32 v29, v20, s4, -v27
	v_fmac_f32_e32 v29, 0xb102e308, v20
	v_sub_f32_e32 v20, v25, v24
	v_sub_f32_e32 v20, v21, v20
	v_add_f32_e32 v21, v27, v29
	v_sub_f32_e32 v24, v21, v27
	v_ldexp_f32 v27, v25, 1
	v_mul_f32_e32 v25, v25, v26
	v_mul_f32_e32 v25, v25, v28
	v_add_f32_e32 v26, v27, v25
	v_sub_f32_e32 v27, v26, v27
	v_ldexp_f32 v20, v20, 1
	v_sub_f32_e32 v25, v25, v27
	v_add_f32_e32 v20, v20, v25
	v_add_f32_e32 v25, v26, v20
	v_sub_f32_e32 v26, v25, v26
	v_sub_f32_e32 v20, v20, v26
	v_add_f32_e32 v26, v21, v25
	v_sub_f32_e32 v27, v26, v21
	v_sub_f32_e32 v28, v26, v27
	v_sub_f32_e32 v24, v29, v24
	v_sub_f32_e32 v21, v21, v28
	v_sub_f32_e32 v25, v25, v27
	v_add_f32_e32 v21, v25, v21
	v_add_f32_e32 v25, v24, v20
	v_sub_f32_e32 v27, v25, v24
	v_sub_f32_e32 v28, v25, v27
	;; [unrolled: 1-line block ×4, first 2 shown]
	v_add_f32_e32 v21, v25, v21
	v_add_f32_e32 v20, v20, v24
	;; [unrolled: 1-line block ×3, first 2 shown]
	v_sub_f32_e32 v25, v24, v26
	v_sub_f32_e32 v21, v21, v25
	v_add_f32_e32 v20, v20, v21
	v_add_f32_e32 v20, v24, v20
	v_cmp_neq_f32_e32 vcc, s2, v23
	s_mov_b32 s2, 0x33800000
	v_cndmask_b32_e32 v20, v22, v20, vcc
	v_cmp_lt_f32_e64 vcc, |v23|, s2
	v_cndmask_b32_e32 v20, v20, v23, vcc
	v_add_f32_e32 v20, v19, v20
.LBB459_158:
	s_or_b64 exec, exec, s[0:1]
	v_bfe_u32 v19, v20, 16, 1
	v_add3_u32 v19, v20, v19, s3
	v_cmp_o_f32_e32 vcc, v20, v20
	v_cndmask_b32_sdwa v18, v18, v19, vcc dst_sel:DWORD dst_unused:UNUSED_PAD src0_sel:DWORD src1_sel:WORD_1
	v_lshlrev_b32_e32 v19, 16, v18
	v_max_f32_e32 v21, v19, v19
	v_min_f32_e32 v20, v21, v31
	v_cmp_u_f32_e32 vcc, v19, v19
	v_max_f32_e32 v21, v21, v31
	v_cndmask_b32_e32 v20, v20, v19, vcc
	v_cndmask_b32_e32 v21, v21, v19, vcc
	v_cndmask_b32_e64 v20, v20, v10, s[70:71]
	v_cndmask_b32_e64 v10, v21, v10, s[70:71]
	s_movk_i32 s2, 0x1f8
	v_cmp_neq_f32_e32 vcc, v20, v10
	v_cmp_class_f32_e64 s[0:1], v20, s2
	s_or_b64 s[4:5], vcc, s[0:1]
	s_and_saveexec_b64 s[0:1], s[4:5]
	s_cbranch_execz .LBB459_160
; %bb.159:
	v_sub_f32_e32 v19, v20, v10
	s_mov_b32 s3, 0x3fb8aa3b
	v_mul_f32_e32 v20, 0x3fb8aa3b, v19
	v_fma_f32 v21, v19, s3, -v20
	v_rndne_f32_e32 v22, v20
	v_fmac_f32_e32 v21, 0x32a5705f, v19
	v_sub_f32_e32 v20, v20, v22
	v_add_f32_e32 v20, v20, v21
	v_exp_f32_e32 v20, v20
	v_cvt_i32_f32_e32 v21, v22
	s_mov_b32 s3, 0xc2ce8ed0
	v_cmp_ngt_f32_e32 vcc, s3, v19
	s_mov_b32 s3, 0x42b17218
	v_ldexp_f32 v20, v20, v21
	v_cndmask_b32_e32 v20, 0, v20, vcc
	v_mov_b32_e32 v21, 0x7f800000
	v_cmp_nlt_f32_e32 vcc, s3, v19
	v_cndmask_b32_e32 v22, v21, v20, vcc
	v_add_f32_e32 v23, 1.0, v22
	v_cvt_f64_f32_e32 v[19:20], v23
	v_add_f32_e32 v24, -1.0, v23
	v_sub_f32_e32 v25, v24, v23
	v_sub_f32_e32 v24, v22, v24
	v_frexp_exp_i32_f64_e32 v19, v[19:20]
	v_add_f32_e32 v20, 1.0, v25
	v_add_f32_e32 v20, v24, v20
	v_frexp_mant_f32_e32 v24, v23
	s_mov_b32 s4, 0x3f2aaaab
	v_cmp_gt_f32_e32 vcc, s4, v24
	s_mov_b32 s4, 0x3f317218
	s_mov_b32 s3, 0x7f800000
	v_subbrev_co_u32_e32 v19, vcc, 0, v19, vcc
	v_sub_u32_e32 v24, 0, v19
	v_ldexp_f32 v23, v23, v24
	v_ldexp_f32 v20, v20, v24
	v_add_f32_e32 v24, -1.0, v23
	v_add_f32_e32 v27, 1.0, v23
	v_add_f32_e32 v25, 1.0, v24
	v_add_f32_e32 v28, -1.0, v27
	v_sub_f32_e32 v25, v23, v25
	v_sub_f32_e32 v23, v23, v28
	v_add_f32_e32 v25, v20, v25
	v_add_f32_e32 v20, v20, v23
	;; [unrolled: 1-line block ×3, first 2 shown]
	v_rcp_f32_e32 v28, v23
	v_add_f32_e32 v26, v24, v25
	v_sub_f32_e32 v24, v24, v26
	v_add_f32_e32 v24, v25, v24
	v_sub_f32_e32 v25, v27, v23
	v_add_f32_e32 v20, v20, v25
	v_mul_f32_e32 v25, v26, v28
	v_mul_f32_e32 v27, v23, v25
	v_fma_f32 v29, v25, v23, -v27
	v_fmac_f32_e32 v29, v25, v20
	v_add_f32_e32 v31, v27, v29
	v_sub_f32_e32 v49, v26, v31
	v_sub_f32_e32 v26, v26, v49
	;; [unrolled: 1-line block ×4, first 2 shown]
	v_add_f32_e32 v24, v24, v26
	v_sub_f32_e32 v26, v27, v29
	v_add_f32_e32 v24, v26, v24
	v_add_f32_e32 v26, v49, v24
	v_mul_f32_e32 v27, v28, v26
	v_mul_f32_e32 v29, v23, v27
	v_fma_f32 v23, v27, v23, -v29
	v_fmac_f32_e32 v23, v27, v20
	v_sub_f32_e32 v20, v49, v26
	v_add_f32_e32 v20, v24, v20
	v_add_f32_e32 v24, v29, v23
	v_sub_f32_e32 v31, v26, v24
	v_sub_f32_e32 v26, v26, v31
	;; [unrolled: 1-line block ×4, first 2 shown]
	v_add_f32_e32 v20, v20, v24
	v_sub_f32_e32 v23, v29, v23
	v_add_f32_e32 v20, v23, v20
	v_add_f32_e32 v23, v25, v27
	;; [unrolled: 1-line block ×3, first 2 shown]
	v_sub_f32_e32 v24, v23, v25
	v_mul_f32_e32 v20, v28, v20
	v_sub_f32_e32 v24, v27, v24
	v_add_f32_e32 v20, v24, v20
	v_cvt_f32_i32_e32 v19, v19
	v_add_f32_e32 v24, v23, v20
	v_mul_f32_e32 v25, v24, v24
	v_mov_b32_e32 v26, 0x3ecc95a3
	v_fmac_f32_e32 v26, 0x3e9b6dac, v25
	v_mov_b32_e32 v27, 0x3f2aaada
	v_fmac_f32_e32 v27, v25, v26
	v_mul_f32_e32 v26, 0x3f317218, v19
	v_fma_f32 v28, v19, s4, -v26
	v_fmac_f32_e32 v28, 0xb102e308, v19
	v_sub_f32_e32 v19, v24, v23
	v_sub_f32_e32 v19, v20, v19
	v_add_f32_e32 v20, v26, v28
	v_sub_f32_e32 v23, v20, v26
	v_ldexp_f32 v26, v24, 1
	v_mul_f32_e32 v24, v24, v25
	v_mul_f32_e32 v24, v24, v27
	v_add_f32_e32 v25, v26, v24
	v_sub_f32_e32 v26, v25, v26
	v_ldexp_f32 v19, v19, 1
	v_sub_f32_e32 v24, v24, v26
	v_add_f32_e32 v19, v19, v24
	v_add_f32_e32 v24, v25, v19
	v_sub_f32_e32 v25, v24, v25
	v_sub_f32_e32 v19, v19, v25
	v_add_f32_e32 v25, v20, v24
	v_sub_f32_e32 v26, v25, v20
	v_sub_f32_e32 v27, v25, v26
	v_sub_f32_e32 v23, v28, v23
	v_sub_f32_e32 v20, v20, v27
	v_sub_f32_e32 v24, v24, v26
	v_add_f32_e32 v20, v24, v20
	v_add_f32_e32 v24, v23, v19
	v_sub_f32_e32 v26, v24, v23
	v_sub_f32_e32 v27, v24, v26
	;; [unrolled: 1-line block ×4, first 2 shown]
	v_add_f32_e32 v20, v24, v20
	v_add_f32_e32 v19, v19, v23
	;; [unrolled: 1-line block ×3, first 2 shown]
	v_sub_f32_e32 v24, v23, v25
	v_sub_f32_e32 v20, v20, v24
	v_add_f32_e32 v19, v19, v20
	v_add_f32_e32 v19, v23, v19
	v_cmp_neq_f32_e32 vcc, s3, v22
	s_mov_b32 s3, 0x33800000
	v_cndmask_b32_e32 v19, v21, v19, vcc
	v_cmp_lt_f32_e64 vcc, |v22|, s3
	v_cndmask_b32_e32 v19, v19, v22, vcc
	v_add_f32_e32 v19, v10, v19
.LBB459_160:
	s_or_b64 exec, exec, s[0:1]
	v_bfe_u32 v10, v19, 16, 1
	s_movk_i32 s3, 0x7fff
	v_add3_u32 v10, v19, v10, s3
	v_cmp_o_f32_e32 vcc, v19, v19
	v_mov_b32_e32 v19, 0x7fc0
	v_cndmask_b32_sdwa v10, v19, v10, vcc dst_sel:DWORD dst_unused:UNUSED_PAD src0_sel:DWORD src1_sel:WORD_1
	v_lshlrev_b32_e32 v21, 16, v10
	v_max_f32_e32 v20, v21, v21
	v_min_f32_e32 v22, v20, v32
	v_cmp_u_f32_e32 vcc, v21, v21
	v_max_f32_e32 v20, v20, v32
	v_cndmask_b32_e32 v22, v22, v21, vcc
	v_cndmask_b32_e32 v20, v20, v21, vcc
	v_cndmask_b32_e64 v22, v22, v30, s[72:73]
	v_cndmask_b32_e64 v20, v20, v30, s[72:73]
	v_cmp_neq_f32_e32 vcc, v22, v20
	v_cmp_class_f32_e64 s[0:1], v22, s2
	s_or_b64 s[4:5], vcc, s[0:1]
	s_and_saveexec_b64 s[0:1], s[4:5]
	s_cbranch_execz .LBB459_162
; %bb.161:
	v_sub_f32_e32 v21, v22, v20
	s_mov_b32 s2, 0x3fb8aa3b
	v_mul_f32_e32 v22, 0x3fb8aa3b, v21
	v_fma_f32 v23, v21, s2, -v22
	v_rndne_f32_e32 v24, v22
	v_fmac_f32_e32 v23, 0x32a5705f, v21
	v_sub_f32_e32 v22, v22, v24
	v_add_f32_e32 v22, v22, v23
	v_exp_f32_e32 v22, v22
	v_cvt_i32_f32_e32 v23, v24
	s_mov_b32 s2, 0xc2ce8ed0
	v_cmp_ngt_f32_e32 vcc, s2, v21
	s_mov_b32 s2, 0x42b17218
	v_ldexp_f32 v22, v22, v23
	v_cndmask_b32_e32 v22, 0, v22, vcc
	v_mov_b32_e32 v23, 0x7f800000
	v_cmp_nlt_f32_e32 vcc, s2, v21
	v_cndmask_b32_e32 v24, v23, v22, vcc
	v_add_f32_e32 v25, 1.0, v24
	v_cvt_f64_f32_e32 v[21:22], v25
	v_add_f32_e32 v26, -1.0, v25
	v_sub_f32_e32 v27, v26, v25
	v_sub_f32_e32 v26, v24, v26
	v_frexp_exp_i32_f64_e32 v21, v[21:22]
	v_add_f32_e32 v22, 1.0, v27
	v_add_f32_e32 v22, v26, v22
	v_frexp_mant_f32_e32 v26, v25
	s_mov_b32 s4, 0x3f2aaaab
	v_cmp_gt_f32_e32 vcc, s4, v26
	s_mov_b32 s4, 0x3f317218
	s_mov_b32 s2, 0x7f800000
	v_subbrev_co_u32_e32 v21, vcc, 0, v21, vcc
	v_sub_u32_e32 v26, 0, v21
	v_ldexp_f32 v25, v25, v26
	v_ldexp_f32 v22, v22, v26
	v_add_f32_e32 v26, -1.0, v25
	v_add_f32_e32 v29, 1.0, v25
	v_add_f32_e32 v27, 1.0, v26
	v_add_f32_e32 v30, -1.0, v29
	v_sub_f32_e32 v27, v25, v27
	v_sub_f32_e32 v25, v25, v30
	v_add_f32_e32 v27, v22, v27
	v_add_f32_e32 v22, v22, v25
	;; [unrolled: 1-line block ×3, first 2 shown]
	v_rcp_f32_e32 v30, v25
	v_add_f32_e32 v28, v26, v27
	v_sub_f32_e32 v26, v26, v28
	v_add_f32_e32 v26, v27, v26
	v_sub_f32_e32 v27, v29, v25
	v_add_f32_e32 v22, v22, v27
	v_mul_f32_e32 v27, v28, v30
	v_mul_f32_e32 v29, v25, v27
	v_fma_f32 v31, v27, v25, -v29
	v_fmac_f32_e32 v31, v27, v22
	v_add_f32_e32 v32, v29, v31
	v_sub_f32_e32 v49, v28, v32
	v_sub_f32_e32 v28, v28, v49
	;; [unrolled: 1-line block ×4, first 2 shown]
	v_add_f32_e32 v26, v26, v28
	v_sub_f32_e32 v28, v29, v31
	v_add_f32_e32 v26, v28, v26
	v_add_f32_e32 v28, v49, v26
	v_mul_f32_e32 v29, v30, v28
	v_mul_f32_e32 v31, v25, v29
	v_fma_f32 v25, v29, v25, -v31
	v_fmac_f32_e32 v25, v29, v22
	v_sub_f32_e32 v22, v49, v28
	v_add_f32_e32 v22, v26, v22
	v_add_f32_e32 v26, v31, v25
	v_sub_f32_e32 v32, v28, v26
	v_sub_f32_e32 v28, v28, v32
	v_sub_f32_e32 v31, v26, v31
	v_sub_f32_e32 v26, v28, v26
	v_add_f32_e32 v22, v22, v26
	v_sub_f32_e32 v25, v31, v25
	v_add_f32_e32 v22, v25, v22
	v_add_f32_e32 v25, v27, v29
	;; [unrolled: 1-line block ×3, first 2 shown]
	v_sub_f32_e32 v26, v25, v27
	v_mul_f32_e32 v22, v30, v22
	v_sub_f32_e32 v26, v29, v26
	v_add_f32_e32 v22, v26, v22
	v_cvt_f32_i32_e32 v21, v21
	v_add_f32_e32 v26, v25, v22
	v_mul_f32_e32 v27, v26, v26
	v_mov_b32_e32 v28, 0x3ecc95a3
	v_fmac_f32_e32 v28, 0x3e9b6dac, v27
	v_mov_b32_e32 v29, 0x3f2aaada
	v_fmac_f32_e32 v29, v27, v28
	v_mul_f32_e32 v28, 0x3f317218, v21
	v_fma_f32 v30, v21, s4, -v28
	v_fmac_f32_e32 v30, 0xb102e308, v21
	v_sub_f32_e32 v21, v26, v25
	v_sub_f32_e32 v21, v22, v21
	v_add_f32_e32 v22, v28, v30
	v_sub_f32_e32 v25, v22, v28
	v_ldexp_f32 v28, v26, 1
	v_mul_f32_e32 v26, v26, v27
	v_mul_f32_e32 v26, v26, v29
	v_add_f32_e32 v27, v28, v26
	v_sub_f32_e32 v28, v27, v28
	v_ldexp_f32 v21, v21, 1
	v_sub_f32_e32 v26, v26, v28
	v_add_f32_e32 v21, v21, v26
	v_add_f32_e32 v26, v27, v21
	v_sub_f32_e32 v27, v26, v27
	v_sub_f32_e32 v21, v21, v27
	v_add_f32_e32 v27, v22, v26
	v_sub_f32_e32 v28, v27, v22
	v_sub_f32_e32 v29, v27, v28
	;; [unrolled: 1-line block ×5, first 2 shown]
	v_add_f32_e32 v22, v26, v22
	v_add_f32_e32 v26, v25, v21
	v_sub_f32_e32 v28, v26, v25
	v_sub_f32_e32 v29, v26, v28
	;; [unrolled: 1-line block ×4, first 2 shown]
	v_add_f32_e32 v22, v26, v22
	v_add_f32_e32 v21, v21, v25
	v_add_f32_e32 v25, v27, v22
	v_sub_f32_e32 v26, v25, v27
	v_sub_f32_e32 v22, v22, v26
	v_add_f32_e32 v21, v21, v22
	v_add_f32_e32 v21, v25, v21
	v_cmp_neq_f32_e32 vcc, s2, v24
	s_mov_b32 s2, 0x33800000
	v_cndmask_b32_e32 v21, v23, v21, vcc
	v_cmp_lt_f32_e64 vcc, |v24|, s2
	v_cndmask_b32_e32 v21, v21, v24, vcc
	v_add_f32_e32 v21, v20, v21
.LBB459_162:
	s_or_b64 exec, exec, s[0:1]
	v_bfe_u32 v20, v21, 16, 1
	v_add3_u32 v20, v21, v20, s3
	v_cmp_o_f32_e32 vcc, v21, v21
	v_cndmask_b32_sdwa v19, v19, v20, vcc dst_sel:DWORD dst_unused:UNUSED_PAD src0_sel:DWORD src1_sel:WORD_1
	v_lshlrev_b32_e32 v20, 16, v19
	v_max_f32_e32 v22, v20, v20
	v_min_f32_e32 v21, v22, v34
	v_cmp_u_f32_e32 vcc, v20, v20
	v_max_f32_e32 v22, v22, v34
	v_cndmask_b32_e32 v21, v21, v20, vcc
	v_cndmask_b32_e32 v22, v22, v20, vcc
	v_cndmask_b32_e64 v21, v21, v11, s[74:75]
	v_cndmask_b32_e64 v11, v22, v11, s[74:75]
	s_movk_i32 s2, 0x1f8
	v_cmp_neq_f32_e32 vcc, v21, v11
	v_cmp_class_f32_e64 s[0:1], v21, s2
	s_or_b64 s[4:5], vcc, s[0:1]
	s_and_saveexec_b64 s[0:1], s[4:5]
	s_cbranch_execz .LBB459_164
; %bb.163:
	v_sub_f32_e32 v20, v21, v11
	s_mov_b32 s3, 0x3fb8aa3b
	v_mul_f32_e32 v21, 0x3fb8aa3b, v20
	v_fma_f32 v22, v20, s3, -v21
	v_rndne_f32_e32 v23, v21
	v_fmac_f32_e32 v22, 0x32a5705f, v20
	v_sub_f32_e32 v21, v21, v23
	v_add_f32_e32 v21, v21, v22
	v_exp_f32_e32 v21, v21
	v_cvt_i32_f32_e32 v22, v23
	s_mov_b32 s3, 0xc2ce8ed0
	v_cmp_ngt_f32_e32 vcc, s3, v20
	s_mov_b32 s3, 0x42b17218
	v_ldexp_f32 v21, v21, v22
	v_cndmask_b32_e32 v21, 0, v21, vcc
	v_mov_b32_e32 v22, 0x7f800000
	v_cmp_nlt_f32_e32 vcc, s3, v20
	v_cndmask_b32_e32 v23, v22, v21, vcc
	v_add_f32_e32 v24, 1.0, v23
	v_cvt_f64_f32_e32 v[20:21], v24
	v_add_f32_e32 v25, -1.0, v24
	v_sub_f32_e32 v26, v25, v24
	v_sub_f32_e32 v25, v23, v25
	v_frexp_exp_i32_f64_e32 v20, v[20:21]
	v_add_f32_e32 v21, 1.0, v26
	v_add_f32_e32 v21, v25, v21
	v_frexp_mant_f32_e32 v25, v24
	s_mov_b32 s4, 0x3f2aaaab
	v_cmp_gt_f32_e32 vcc, s4, v25
	s_mov_b32 s4, 0x3f317218
	s_mov_b32 s3, 0x7f800000
	v_subbrev_co_u32_e32 v20, vcc, 0, v20, vcc
	v_sub_u32_e32 v25, 0, v20
	v_ldexp_f32 v24, v24, v25
	v_ldexp_f32 v21, v21, v25
	v_add_f32_e32 v25, -1.0, v24
	v_add_f32_e32 v28, 1.0, v24
	v_add_f32_e32 v26, 1.0, v25
	v_add_f32_e32 v29, -1.0, v28
	v_sub_f32_e32 v26, v24, v26
	v_sub_f32_e32 v24, v24, v29
	v_add_f32_e32 v26, v21, v26
	v_add_f32_e32 v21, v21, v24
	;; [unrolled: 1-line block ×3, first 2 shown]
	v_rcp_f32_e32 v29, v24
	v_add_f32_e32 v27, v25, v26
	v_sub_f32_e32 v25, v25, v27
	v_add_f32_e32 v25, v26, v25
	v_sub_f32_e32 v26, v28, v24
	v_add_f32_e32 v21, v21, v26
	v_mul_f32_e32 v26, v27, v29
	v_mul_f32_e32 v28, v24, v26
	v_fma_f32 v30, v26, v24, -v28
	v_fmac_f32_e32 v30, v26, v21
	v_add_f32_e32 v31, v28, v30
	v_sub_f32_e32 v32, v27, v31
	v_sub_f32_e32 v27, v27, v32
	;; [unrolled: 1-line block ×4, first 2 shown]
	v_add_f32_e32 v25, v25, v27
	v_sub_f32_e32 v27, v28, v30
	v_add_f32_e32 v25, v27, v25
	v_add_f32_e32 v27, v32, v25
	v_mul_f32_e32 v28, v29, v27
	v_mul_f32_e32 v30, v24, v28
	v_fma_f32 v24, v28, v24, -v30
	v_fmac_f32_e32 v24, v28, v21
	v_sub_f32_e32 v21, v32, v27
	v_add_f32_e32 v21, v25, v21
	v_add_f32_e32 v25, v30, v24
	v_sub_f32_e32 v31, v27, v25
	v_sub_f32_e32 v27, v27, v31
	;; [unrolled: 1-line block ×4, first 2 shown]
	v_add_f32_e32 v21, v21, v25
	v_sub_f32_e32 v24, v30, v24
	v_add_f32_e32 v21, v24, v21
	v_add_f32_e32 v24, v26, v28
	;; [unrolled: 1-line block ×3, first 2 shown]
	v_sub_f32_e32 v25, v24, v26
	v_mul_f32_e32 v21, v29, v21
	v_sub_f32_e32 v25, v28, v25
	v_add_f32_e32 v21, v25, v21
	v_cvt_f32_i32_e32 v20, v20
	v_add_f32_e32 v25, v24, v21
	v_mul_f32_e32 v26, v25, v25
	v_mov_b32_e32 v27, 0x3ecc95a3
	v_fmac_f32_e32 v27, 0x3e9b6dac, v26
	v_mov_b32_e32 v28, 0x3f2aaada
	v_fmac_f32_e32 v28, v26, v27
	v_mul_f32_e32 v27, 0x3f317218, v20
	v_fma_f32 v29, v20, s4, -v27
	v_fmac_f32_e32 v29, 0xb102e308, v20
	v_sub_f32_e32 v20, v25, v24
	v_sub_f32_e32 v20, v21, v20
	v_add_f32_e32 v21, v27, v29
	v_sub_f32_e32 v24, v21, v27
	v_ldexp_f32 v27, v25, 1
	v_mul_f32_e32 v25, v25, v26
	v_mul_f32_e32 v25, v25, v28
	v_add_f32_e32 v26, v27, v25
	v_sub_f32_e32 v27, v26, v27
	v_ldexp_f32 v20, v20, 1
	v_sub_f32_e32 v25, v25, v27
	v_add_f32_e32 v20, v20, v25
	v_add_f32_e32 v25, v26, v20
	v_sub_f32_e32 v26, v25, v26
	v_sub_f32_e32 v20, v20, v26
	v_add_f32_e32 v26, v21, v25
	v_sub_f32_e32 v27, v26, v21
	v_sub_f32_e32 v28, v26, v27
	;; [unrolled: 1-line block ×5, first 2 shown]
	v_add_f32_e32 v21, v25, v21
	v_add_f32_e32 v25, v24, v20
	v_sub_f32_e32 v27, v25, v24
	v_sub_f32_e32 v28, v25, v27
	;; [unrolled: 1-line block ×4, first 2 shown]
	v_add_f32_e32 v21, v25, v21
	v_add_f32_e32 v20, v20, v24
	;; [unrolled: 1-line block ×3, first 2 shown]
	v_sub_f32_e32 v25, v24, v26
	v_sub_f32_e32 v21, v21, v25
	v_add_f32_e32 v20, v20, v21
	v_add_f32_e32 v20, v24, v20
	v_cmp_neq_f32_e32 vcc, s3, v23
	s_mov_b32 s3, 0x33800000
	v_cndmask_b32_e32 v20, v22, v20, vcc
	v_cmp_lt_f32_e64 vcc, |v23|, s3
	v_cndmask_b32_e32 v20, v20, v23, vcc
	v_add_f32_e32 v20, v11, v20
.LBB459_164:
	s_or_b64 exec, exec, s[0:1]
	v_bfe_u32 v11, v20, 16, 1
	s_movk_i32 s3, 0x7fff
	v_add3_u32 v11, v20, v11, s3
	v_cmp_o_f32_e32 vcc, v20, v20
	v_mov_b32_e32 v20, 0x7fc0
	v_cndmask_b32_sdwa v11, v20, v11, vcc dst_sel:DWORD dst_unused:UNUSED_PAD src0_sel:DWORD src1_sel:WORD_1
	v_lshlrev_b32_e32 v22, 16, v11
	v_max_f32_e32 v21, v22, v22
	v_min_f32_e32 v23, v21, v35
	v_cmp_u_f32_e32 vcc, v22, v22
	v_max_f32_e32 v21, v21, v35
	v_cndmask_b32_e32 v23, v23, v22, vcc
	v_cndmask_b32_e32 v21, v21, v22, vcc
	v_cndmask_b32_e64 v23, v23, v33, s[76:77]
	v_cndmask_b32_e64 v21, v21, v33, s[76:77]
	v_cmp_neq_f32_e32 vcc, v23, v21
	v_cmp_class_f32_e64 s[0:1], v23, s2
	s_or_b64 s[4:5], vcc, s[0:1]
	s_and_saveexec_b64 s[0:1], s[4:5]
	s_cbranch_execz .LBB459_166
; %bb.165:
	v_sub_f32_e32 v22, v23, v21
	s_mov_b32 s2, 0x3fb8aa3b
	v_mul_f32_e32 v23, 0x3fb8aa3b, v22
	v_fma_f32 v24, v22, s2, -v23
	v_rndne_f32_e32 v25, v23
	v_fmac_f32_e32 v24, 0x32a5705f, v22
	v_sub_f32_e32 v23, v23, v25
	v_add_f32_e32 v23, v23, v24
	v_exp_f32_e32 v23, v23
	v_cvt_i32_f32_e32 v24, v25
	s_mov_b32 s2, 0xc2ce8ed0
	v_cmp_ngt_f32_e32 vcc, s2, v22
	s_mov_b32 s2, 0x42b17218
	v_ldexp_f32 v23, v23, v24
	v_cndmask_b32_e32 v23, 0, v23, vcc
	v_mov_b32_e32 v24, 0x7f800000
	v_cmp_nlt_f32_e32 vcc, s2, v22
	v_cndmask_b32_e32 v25, v24, v23, vcc
	v_add_f32_e32 v26, 1.0, v25
	v_cvt_f64_f32_e32 v[22:23], v26
	v_add_f32_e32 v27, -1.0, v26
	v_sub_f32_e32 v28, v27, v26
	v_sub_f32_e32 v27, v25, v27
	v_frexp_exp_i32_f64_e32 v22, v[22:23]
	v_add_f32_e32 v23, 1.0, v28
	v_add_f32_e32 v23, v27, v23
	v_frexp_mant_f32_e32 v27, v26
	s_mov_b32 s4, 0x3f2aaaab
	v_cmp_gt_f32_e32 vcc, s4, v27
	s_mov_b32 s4, 0x3f317218
	s_mov_b32 s2, 0x7f800000
	v_subbrev_co_u32_e32 v22, vcc, 0, v22, vcc
	v_sub_u32_e32 v27, 0, v22
	v_ldexp_f32 v26, v26, v27
	v_ldexp_f32 v23, v23, v27
	v_add_f32_e32 v27, -1.0, v26
	v_add_f32_e32 v30, 1.0, v26
	v_add_f32_e32 v28, 1.0, v27
	v_add_f32_e32 v31, -1.0, v30
	v_sub_f32_e32 v28, v26, v28
	v_sub_f32_e32 v26, v26, v31
	v_add_f32_e32 v28, v23, v28
	v_add_f32_e32 v23, v23, v26
	;; [unrolled: 1-line block ×3, first 2 shown]
	v_rcp_f32_e32 v31, v26
	v_add_f32_e32 v29, v27, v28
	v_sub_f32_e32 v27, v27, v29
	v_add_f32_e32 v27, v28, v27
	v_sub_f32_e32 v28, v30, v26
	v_add_f32_e32 v23, v23, v28
	v_mul_f32_e32 v28, v29, v31
	v_mul_f32_e32 v30, v26, v28
	v_fma_f32 v32, v28, v26, -v30
	v_fmac_f32_e32 v32, v28, v23
	v_add_f32_e32 v33, v30, v32
	v_sub_f32_e32 v34, v29, v33
	v_sub_f32_e32 v29, v29, v34
	;; [unrolled: 1-line block ×4, first 2 shown]
	v_add_f32_e32 v27, v27, v29
	v_sub_f32_e32 v29, v30, v32
	v_add_f32_e32 v27, v29, v27
	v_add_f32_e32 v29, v34, v27
	v_mul_f32_e32 v30, v31, v29
	v_mul_f32_e32 v32, v26, v30
	v_fma_f32 v26, v30, v26, -v32
	v_fmac_f32_e32 v26, v30, v23
	v_sub_f32_e32 v23, v34, v29
	v_add_f32_e32 v23, v27, v23
	v_add_f32_e32 v27, v32, v26
	v_sub_f32_e32 v33, v29, v27
	v_sub_f32_e32 v29, v29, v33
	;; [unrolled: 1-line block ×4, first 2 shown]
	v_add_f32_e32 v23, v23, v27
	v_sub_f32_e32 v26, v32, v26
	v_add_f32_e32 v23, v26, v23
	v_add_f32_e32 v26, v28, v30
	;; [unrolled: 1-line block ×3, first 2 shown]
	v_sub_f32_e32 v27, v26, v28
	v_mul_f32_e32 v23, v31, v23
	v_sub_f32_e32 v27, v30, v27
	v_add_f32_e32 v23, v27, v23
	v_cvt_f32_i32_e32 v22, v22
	v_add_f32_e32 v27, v26, v23
	v_mul_f32_e32 v28, v27, v27
	v_mov_b32_e32 v29, 0x3ecc95a3
	v_fmac_f32_e32 v29, 0x3e9b6dac, v28
	v_mov_b32_e32 v30, 0x3f2aaada
	v_fmac_f32_e32 v30, v28, v29
	v_mul_f32_e32 v29, 0x3f317218, v22
	v_fma_f32 v31, v22, s4, -v29
	v_fmac_f32_e32 v31, 0xb102e308, v22
	v_sub_f32_e32 v22, v27, v26
	v_sub_f32_e32 v22, v23, v22
	v_add_f32_e32 v23, v29, v31
	v_sub_f32_e32 v26, v23, v29
	v_ldexp_f32 v29, v27, 1
	v_mul_f32_e32 v27, v27, v28
	v_mul_f32_e32 v27, v27, v30
	v_add_f32_e32 v28, v29, v27
	v_sub_f32_e32 v29, v28, v29
	v_ldexp_f32 v22, v22, 1
	v_sub_f32_e32 v27, v27, v29
	v_add_f32_e32 v22, v22, v27
	v_add_f32_e32 v27, v28, v22
	v_sub_f32_e32 v28, v27, v28
	v_sub_f32_e32 v22, v22, v28
	v_add_f32_e32 v28, v23, v27
	v_sub_f32_e32 v29, v28, v23
	v_sub_f32_e32 v30, v28, v29
	;; [unrolled: 1-line block ×5, first 2 shown]
	v_add_f32_e32 v23, v27, v23
	v_add_f32_e32 v27, v26, v22
	v_sub_f32_e32 v29, v27, v26
	v_sub_f32_e32 v30, v27, v29
	;; [unrolled: 1-line block ×4, first 2 shown]
	v_add_f32_e32 v23, v27, v23
	v_add_f32_e32 v22, v22, v26
	;; [unrolled: 1-line block ×3, first 2 shown]
	v_sub_f32_e32 v27, v26, v28
	v_sub_f32_e32 v23, v23, v27
	v_add_f32_e32 v22, v22, v23
	v_add_f32_e32 v22, v26, v22
	v_cmp_neq_f32_e32 vcc, s2, v25
	s_mov_b32 s2, 0x33800000
	v_cndmask_b32_e32 v22, v24, v22, vcc
	v_cmp_lt_f32_e64 vcc, |v25|, s2
	v_cndmask_b32_e32 v22, v22, v25, vcc
	v_add_f32_e32 v22, v21, v22
.LBB459_166:
	s_or_b64 exec, exec, s[0:1]
	v_bfe_u32 v21, v22, 16, 1
	v_add3_u32 v21, v22, v21, s3
	v_cmp_o_f32_e32 vcc, v22, v22
	v_cndmask_b32_sdwa v20, v20, v21, vcc dst_sel:DWORD dst_unused:UNUSED_PAD src0_sel:DWORD src1_sel:WORD_1
	v_lshlrev_b32_e32 v21, 16, v20
	v_max_f32_e32 v23, v21, v21
	v_min_f32_e32 v22, v23, v37
	v_cmp_u_f32_e32 vcc, v21, v21
	v_max_f32_e32 v23, v23, v37
	v_cndmask_b32_e32 v22, v22, v21, vcc
	v_cndmask_b32_e32 v23, v23, v21, vcc
	v_cndmask_b32_e64 v22, v22, v12, s[78:79]
	v_cndmask_b32_e64 v12, v23, v12, s[78:79]
	s_movk_i32 s2, 0x1f8
	v_cmp_neq_f32_e32 vcc, v22, v12
	v_cmp_class_f32_e64 s[0:1], v22, s2
	s_or_b64 s[4:5], vcc, s[0:1]
	s_and_saveexec_b64 s[0:1], s[4:5]
	s_cbranch_execz .LBB459_168
; %bb.167:
	v_sub_f32_e32 v21, v22, v12
	s_mov_b32 s3, 0x3fb8aa3b
	v_mul_f32_e32 v22, 0x3fb8aa3b, v21
	v_fma_f32 v23, v21, s3, -v22
	v_rndne_f32_e32 v24, v22
	v_fmac_f32_e32 v23, 0x32a5705f, v21
	v_sub_f32_e32 v22, v22, v24
	v_add_f32_e32 v22, v22, v23
	v_exp_f32_e32 v22, v22
	v_cvt_i32_f32_e32 v23, v24
	s_mov_b32 s3, 0xc2ce8ed0
	v_cmp_ngt_f32_e32 vcc, s3, v21
	s_mov_b32 s3, 0x42b17218
	v_ldexp_f32 v22, v22, v23
	v_cndmask_b32_e32 v22, 0, v22, vcc
	v_mov_b32_e32 v23, 0x7f800000
	v_cmp_nlt_f32_e32 vcc, s3, v21
	v_cndmask_b32_e32 v24, v23, v22, vcc
	v_add_f32_e32 v25, 1.0, v24
	v_cvt_f64_f32_e32 v[21:22], v25
	v_add_f32_e32 v26, -1.0, v25
	v_sub_f32_e32 v27, v26, v25
	v_sub_f32_e32 v26, v24, v26
	v_frexp_exp_i32_f64_e32 v21, v[21:22]
	v_add_f32_e32 v22, 1.0, v27
	v_add_f32_e32 v22, v26, v22
	v_frexp_mant_f32_e32 v26, v25
	s_mov_b32 s4, 0x3f2aaaab
	v_cmp_gt_f32_e32 vcc, s4, v26
	s_mov_b32 s4, 0x3f317218
	s_mov_b32 s3, 0x7f800000
	v_subbrev_co_u32_e32 v21, vcc, 0, v21, vcc
	v_sub_u32_e32 v26, 0, v21
	v_ldexp_f32 v25, v25, v26
	v_ldexp_f32 v22, v22, v26
	v_add_f32_e32 v26, -1.0, v25
	v_add_f32_e32 v29, 1.0, v25
	v_add_f32_e32 v27, 1.0, v26
	v_add_f32_e32 v30, -1.0, v29
	v_sub_f32_e32 v27, v25, v27
	v_sub_f32_e32 v25, v25, v30
	v_add_f32_e32 v27, v22, v27
	v_add_f32_e32 v22, v22, v25
	;; [unrolled: 1-line block ×3, first 2 shown]
	v_rcp_f32_e32 v30, v25
	v_add_f32_e32 v28, v26, v27
	v_sub_f32_e32 v26, v26, v28
	v_add_f32_e32 v26, v27, v26
	v_sub_f32_e32 v27, v29, v25
	v_add_f32_e32 v22, v22, v27
	v_mul_f32_e32 v27, v28, v30
	v_mul_f32_e32 v29, v25, v27
	v_fma_f32 v31, v27, v25, -v29
	v_fmac_f32_e32 v31, v27, v22
	v_add_f32_e32 v32, v29, v31
	v_sub_f32_e32 v33, v28, v32
	v_sub_f32_e32 v28, v28, v33
	;; [unrolled: 1-line block ×4, first 2 shown]
	v_add_f32_e32 v26, v26, v28
	v_sub_f32_e32 v28, v29, v31
	v_add_f32_e32 v26, v28, v26
	v_add_f32_e32 v28, v33, v26
	v_mul_f32_e32 v29, v30, v28
	v_mul_f32_e32 v31, v25, v29
	v_fma_f32 v25, v29, v25, -v31
	v_fmac_f32_e32 v25, v29, v22
	v_sub_f32_e32 v22, v33, v28
	v_add_f32_e32 v22, v26, v22
	v_add_f32_e32 v26, v31, v25
	v_sub_f32_e32 v32, v28, v26
	v_sub_f32_e32 v28, v28, v32
	;; [unrolled: 1-line block ×4, first 2 shown]
	v_add_f32_e32 v22, v22, v26
	v_sub_f32_e32 v25, v31, v25
	v_add_f32_e32 v22, v25, v22
	v_add_f32_e32 v25, v27, v29
	;; [unrolled: 1-line block ×3, first 2 shown]
	v_sub_f32_e32 v26, v25, v27
	v_mul_f32_e32 v22, v30, v22
	v_sub_f32_e32 v26, v29, v26
	v_add_f32_e32 v22, v26, v22
	v_cvt_f32_i32_e32 v21, v21
	v_add_f32_e32 v26, v25, v22
	v_mul_f32_e32 v27, v26, v26
	v_mov_b32_e32 v28, 0x3ecc95a3
	v_fmac_f32_e32 v28, 0x3e9b6dac, v27
	v_mov_b32_e32 v29, 0x3f2aaada
	v_fmac_f32_e32 v29, v27, v28
	v_mul_f32_e32 v28, 0x3f317218, v21
	v_fma_f32 v30, v21, s4, -v28
	v_fmac_f32_e32 v30, 0xb102e308, v21
	v_sub_f32_e32 v21, v26, v25
	v_sub_f32_e32 v21, v22, v21
	v_add_f32_e32 v22, v28, v30
	v_sub_f32_e32 v25, v22, v28
	v_ldexp_f32 v28, v26, 1
	v_mul_f32_e32 v26, v26, v27
	v_mul_f32_e32 v26, v26, v29
	v_add_f32_e32 v27, v28, v26
	v_sub_f32_e32 v28, v27, v28
	v_ldexp_f32 v21, v21, 1
	v_sub_f32_e32 v26, v26, v28
	v_add_f32_e32 v21, v21, v26
	v_add_f32_e32 v26, v27, v21
	v_sub_f32_e32 v27, v26, v27
	v_sub_f32_e32 v21, v21, v27
	v_add_f32_e32 v27, v22, v26
	v_sub_f32_e32 v28, v27, v22
	v_sub_f32_e32 v29, v27, v28
	v_sub_f32_e32 v25, v30, v25
	v_sub_f32_e32 v22, v22, v29
	v_sub_f32_e32 v26, v26, v28
	v_add_f32_e32 v22, v26, v22
	v_add_f32_e32 v26, v25, v21
	v_sub_f32_e32 v28, v26, v25
	v_sub_f32_e32 v29, v26, v28
	;; [unrolled: 1-line block ×4, first 2 shown]
	v_add_f32_e32 v22, v26, v22
	v_add_f32_e32 v21, v21, v25
	;; [unrolled: 1-line block ×3, first 2 shown]
	v_sub_f32_e32 v26, v25, v27
	v_sub_f32_e32 v22, v22, v26
	v_add_f32_e32 v21, v21, v22
	v_add_f32_e32 v21, v25, v21
	v_cmp_neq_f32_e32 vcc, s3, v24
	s_mov_b32 s3, 0x33800000
	v_cndmask_b32_e32 v21, v23, v21, vcc
	v_cmp_lt_f32_e64 vcc, |v24|, s3
	v_cndmask_b32_e32 v21, v21, v24, vcc
	v_add_f32_e32 v21, v12, v21
.LBB459_168:
	s_or_b64 exec, exec, s[0:1]
	v_bfe_u32 v12, v21, 16, 1
	s_movk_i32 s3, 0x7fff
	v_add3_u32 v12, v21, v12, s3
	v_cmp_o_f32_e32 vcc, v21, v21
	v_mov_b32_e32 v21, 0x7fc0
	v_cndmask_b32_sdwa v12, v21, v12, vcc dst_sel:DWORD dst_unused:UNUSED_PAD src0_sel:DWORD src1_sel:WORD_1
	v_lshlrev_b32_e32 v23, 16, v12
	v_max_f32_e32 v22, v23, v23
	v_min_f32_e32 v24, v22, v38
	v_cmp_u_f32_e32 vcc, v23, v23
	v_max_f32_e32 v22, v22, v38
	v_cndmask_b32_e32 v24, v24, v23, vcc
	v_cndmask_b32_e32 v22, v22, v23, vcc
	v_cndmask_b32_e64 v24, v24, v36, s[80:81]
	v_cndmask_b32_e64 v22, v22, v36, s[80:81]
	v_cmp_neq_f32_e32 vcc, v24, v22
	v_cmp_class_f32_e64 s[0:1], v24, s2
	s_or_b64 s[4:5], vcc, s[0:1]
	s_and_saveexec_b64 s[0:1], s[4:5]
	s_cbranch_execz .LBB459_170
; %bb.169:
	v_sub_f32_e32 v23, v24, v22
	s_mov_b32 s2, 0x3fb8aa3b
	v_mul_f32_e32 v24, 0x3fb8aa3b, v23
	v_fma_f32 v25, v23, s2, -v24
	v_rndne_f32_e32 v26, v24
	v_fmac_f32_e32 v25, 0x32a5705f, v23
	v_sub_f32_e32 v24, v24, v26
	v_add_f32_e32 v24, v24, v25
	v_exp_f32_e32 v24, v24
	v_cvt_i32_f32_e32 v25, v26
	s_mov_b32 s2, 0xc2ce8ed0
	v_cmp_ngt_f32_e32 vcc, s2, v23
	s_mov_b32 s2, 0x42b17218
	v_ldexp_f32 v24, v24, v25
	v_cndmask_b32_e32 v24, 0, v24, vcc
	v_mov_b32_e32 v25, 0x7f800000
	v_cmp_nlt_f32_e32 vcc, s2, v23
	v_cndmask_b32_e32 v26, v25, v24, vcc
	v_add_f32_e32 v27, 1.0, v26
	v_cvt_f64_f32_e32 v[23:24], v27
	v_add_f32_e32 v28, -1.0, v27
	v_sub_f32_e32 v29, v28, v27
	v_sub_f32_e32 v28, v26, v28
	v_frexp_exp_i32_f64_e32 v23, v[23:24]
	v_add_f32_e32 v24, 1.0, v29
	v_add_f32_e32 v24, v28, v24
	v_frexp_mant_f32_e32 v28, v27
	s_mov_b32 s4, 0x3f2aaaab
	v_cmp_gt_f32_e32 vcc, s4, v28
	s_mov_b32 s4, 0x3f317218
	s_mov_b32 s2, 0x7f800000
	v_subbrev_co_u32_e32 v23, vcc, 0, v23, vcc
	v_sub_u32_e32 v28, 0, v23
	v_ldexp_f32 v27, v27, v28
	v_ldexp_f32 v24, v24, v28
	v_add_f32_e32 v28, -1.0, v27
	v_add_f32_e32 v31, 1.0, v27
	v_add_f32_e32 v29, 1.0, v28
	v_add_f32_e32 v32, -1.0, v31
	v_sub_f32_e32 v29, v27, v29
	v_sub_f32_e32 v27, v27, v32
	v_add_f32_e32 v29, v24, v29
	v_add_f32_e32 v24, v24, v27
	v_add_f32_e32 v27, v31, v24
	v_rcp_f32_e32 v32, v27
	v_add_f32_e32 v30, v28, v29
	v_sub_f32_e32 v28, v28, v30
	v_add_f32_e32 v28, v29, v28
	v_sub_f32_e32 v29, v31, v27
	v_add_f32_e32 v24, v24, v29
	v_mul_f32_e32 v29, v30, v32
	v_mul_f32_e32 v31, v27, v29
	v_fma_f32 v33, v29, v27, -v31
	v_fmac_f32_e32 v33, v29, v24
	v_add_f32_e32 v34, v31, v33
	v_sub_f32_e32 v35, v30, v34
	v_sub_f32_e32 v30, v30, v35
	;; [unrolled: 1-line block ×4, first 2 shown]
	v_add_f32_e32 v28, v28, v30
	v_sub_f32_e32 v30, v31, v33
	v_add_f32_e32 v28, v30, v28
	v_add_f32_e32 v30, v35, v28
	v_mul_f32_e32 v31, v32, v30
	v_mul_f32_e32 v33, v27, v31
	v_fma_f32 v27, v31, v27, -v33
	v_fmac_f32_e32 v27, v31, v24
	v_sub_f32_e32 v24, v35, v30
	v_add_f32_e32 v24, v28, v24
	v_add_f32_e32 v28, v33, v27
	v_sub_f32_e32 v34, v30, v28
	v_sub_f32_e32 v30, v30, v34
	;; [unrolled: 1-line block ×4, first 2 shown]
	v_add_f32_e32 v24, v24, v28
	v_sub_f32_e32 v27, v33, v27
	v_add_f32_e32 v24, v27, v24
	v_add_f32_e32 v27, v29, v31
	;; [unrolled: 1-line block ×3, first 2 shown]
	v_sub_f32_e32 v28, v27, v29
	v_mul_f32_e32 v24, v32, v24
	v_sub_f32_e32 v28, v31, v28
	v_add_f32_e32 v24, v28, v24
	v_cvt_f32_i32_e32 v23, v23
	v_add_f32_e32 v28, v27, v24
	v_mul_f32_e32 v29, v28, v28
	v_mov_b32_e32 v30, 0x3ecc95a3
	v_fmac_f32_e32 v30, 0x3e9b6dac, v29
	v_mov_b32_e32 v31, 0x3f2aaada
	v_fmac_f32_e32 v31, v29, v30
	v_mul_f32_e32 v30, 0x3f317218, v23
	v_fma_f32 v32, v23, s4, -v30
	v_fmac_f32_e32 v32, 0xb102e308, v23
	v_sub_f32_e32 v23, v28, v27
	v_sub_f32_e32 v23, v24, v23
	v_add_f32_e32 v24, v30, v32
	v_sub_f32_e32 v27, v24, v30
	v_ldexp_f32 v30, v28, 1
	v_mul_f32_e32 v28, v28, v29
	v_mul_f32_e32 v28, v28, v31
	v_add_f32_e32 v29, v30, v28
	v_sub_f32_e32 v30, v29, v30
	v_ldexp_f32 v23, v23, 1
	v_sub_f32_e32 v28, v28, v30
	v_add_f32_e32 v23, v23, v28
	v_add_f32_e32 v28, v29, v23
	v_sub_f32_e32 v29, v28, v29
	v_sub_f32_e32 v23, v23, v29
	v_add_f32_e32 v29, v24, v28
	v_sub_f32_e32 v30, v29, v24
	v_sub_f32_e32 v31, v29, v30
	;; [unrolled: 1-line block ×5, first 2 shown]
	v_add_f32_e32 v24, v28, v24
	v_add_f32_e32 v28, v27, v23
	v_sub_f32_e32 v30, v28, v27
	v_sub_f32_e32 v31, v28, v30
	;; [unrolled: 1-line block ×4, first 2 shown]
	v_add_f32_e32 v24, v28, v24
	v_add_f32_e32 v23, v23, v27
	;; [unrolled: 1-line block ×3, first 2 shown]
	v_sub_f32_e32 v28, v27, v29
	v_sub_f32_e32 v24, v24, v28
	v_add_f32_e32 v23, v23, v24
	v_add_f32_e32 v23, v27, v23
	v_cmp_neq_f32_e32 vcc, s2, v26
	s_mov_b32 s2, 0x33800000
	v_cndmask_b32_e32 v23, v25, v23, vcc
	v_cmp_lt_f32_e64 vcc, |v26|, s2
	v_cndmask_b32_e32 v23, v23, v26, vcc
	v_add_f32_e32 v23, v22, v23
.LBB459_170:
	s_or_b64 exec, exec, s[0:1]
	v_bfe_u32 v22, v23, 16, 1
	v_add3_u32 v22, v23, v22, s3
	v_cmp_o_f32_e32 vcc, v23, v23
	v_cndmask_b32_sdwa v21, v21, v22, vcc dst_sel:DWORD dst_unused:UNUSED_PAD src0_sel:DWORD src1_sel:WORD_1
	v_lshlrev_b32_e32 v22, 16, v21
	v_max_f32_e32 v24, v22, v22
	v_min_f32_e32 v23, v24, v40
	v_cmp_u_f32_e32 vcc, v22, v22
	v_max_f32_e32 v24, v24, v40
	v_cndmask_b32_e32 v23, v23, v22, vcc
	v_cndmask_b32_e32 v24, v24, v22, vcc
	v_cndmask_b32_e64 v23, v23, v5, s[82:83]
	v_cndmask_b32_e64 v5, v24, v5, s[82:83]
	s_movk_i32 s2, 0x1f8
	v_cmp_neq_f32_e32 vcc, v23, v5
	v_cmp_class_f32_e64 s[0:1], v23, s2
	s_or_b64 s[4:5], vcc, s[0:1]
	s_and_saveexec_b64 s[0:1], s[4:5]
	s_cbranch_execz .LBB459_172
; %bb.171:
	v_sub_f32_e32 v22, v23, v5
	s_mov_b32 s3, 0x3fb8aa3b
	v_mul_f32_e32 v23, 0x3fb8aa3b, v22
	v_fma_f32 v24, v22, s3, -v23
	v_rndne_f32_e32 v25, v23
	v_fmac_f32_e32 v24, 0x32a5705f, v22
	v_sub_f32_e32 v23, v23, v25
	v_add_f32_e32 v23, v23, v24
	v_exp_f32_e32 v23, v23
	v_cvt_i32_f32_e32 v24, v25
	s_mov_b32 s3, 0xc2ce8ed0
	v_cmp_ngt_f32_e32 vcc, s3, v22
	s_mov_b32 s3, 0x42b17218
	v_ldexp_f32 v23, v23, v24
	v_cndmask_b32_e32 v23, 0, v23, vcc
	v_mov_b32_e32 v24, 0x7f800000
	v_cmp_nlt_f32_e32 vcc, s3, v22
	v_cndmask_b32_e32 v25, v24, v23, vcc
	v_add_f32_e32 v26, 1.0, v25
	v_cvt_f64_f32_e32 v[22:23], v26
	v_add_f32_e32 v27, -1.0, v26
	v_sub_f32_e32 v28, v27, v26
	v_sub_f32_e32 v27, v25, v27
	v_frexp_exp_i32_f64_e32 v22, v[22:23]
	v_add_f32_e32 v23, 1.0, v28
	v_add_f32_e32 v23, v27, v23
	v_frexp_mant_f32_e32 v27, v26
	s_mov_b32 s4, 0x3f2aaaab
	v_cmp_gt_f32_e32 vcc, s4, v27
	s_mov_b32 s4, 0x3f317218
	s_mov_b32 s3, 0x7f800000
	v_subbrev_co_u32_e32 v22, vcc, 0, v22, vcc
	v_sub_u32_e32 v27, 0, v22
	v_ldexp_f32 v26, v26, v27
	v_ldexp_f32 v23, v23, v27
	v_add_f32_e32 v27, -1.0, v26
	v_add_f32_e32 v30, 1.0, v26
	v_add_f32_e32 v28, 1.0, v27
	v_add_f32_e32 v31, -1.0, v30
	v_sub_f32_e32 v28, v26, v28
	v_sub_f32_e32 v26, v26, v31
	v_add_f32_e32 v28, v23, v28
	v_add_f32_e32 v23, v23, v26
	;; [unrolled: 1-line block ×3, first 2 shown]
	v_rcp_f32_e32 v31, v26
	v_add_f32_e32 v29, v27, v28
	v_sub_f32_e32 v27, v27, v29
	v_add_f32_e32 v27, v28, v27
	v_sub_f32_e32 v28, v30, v26
	v_add_f32_e32 v23, v23, v28
	v_mul_f32_e32 v28, v29, v31
	v_mul_f32_e32 v30, v26, v28
	v_fma_f32 v32, v28, v26, -v30
	v_fmac_f32_e32 v32, v28, v23
	v_add_f32_e32 v33, v30, v32
	v_sub_f32_e32 v34, v29, v33
	v_sub_f32_e32 v29, v29, v34
	;; [unrolled: 1-line block ×4, first 2 shown]
	v_add_f32_e32 v27, v27, v29
	v_sub_f32_e32 v29, v30, v32
	v_add_f32_e32 v27, v29, v27
	v_add_f32_e32 v29, v34, v27
	v_mul_f32_e32 v30, v31, v29
	v_mul_f32_e32 v32, v26, v30
	v_fma_f32 v26, v30, v26, -v32
	v_fmac_f32_e32 v26, v30, v23
	v_sub_f32_e32 v23, v34, v29
	v_add_f32_e32 v23, v27, v23
	v_add_f32_e32 v27, v32, v26
	v_sub_f32_e32 v33, v29, v27
	v_sub_f32_e32 v29, v29, v33
	;; [unrolled: 1-line block ×4, first 2 shown]
	v_add_f32_e32 v23, v23, v27
	v_sub_f32_e32 v26, v32, v26
	v_add_f32_e32 v23, v26, v23
	v_add_f32_e32 v26, v28, v30
	;; [unrolled: 1-line block ×3, first 2 shown]
	v_sub_f32_e32 v27, v26, v28
	v_mul_f32_e32 v23, v31, v23
	v_sub_f32_e32 v27, v30, v27
	v_add_f32_e32 v23, v27, v23
	v_cvt_f32_i32_e32 v22, v22
	v_add_f32_e32 v27, v26, v23
	v_mul_f32_e32 v28, v27, v27
	v_mov_b32_e32 v29, 0x3ecc95a3
	v_fmac_f32_e32 v29, 0x3e9b6dac, v28
	v_mov_b32_e32 v30, 0x3f2aaada
	v_fmac_f32_e32 v30, v28, v29
	v_mul_f32_e32 v29, 0x3f317218, v22
	v_fma_f32 v31, v22, s4, -v29
	v_fmac_f32_e32 v31, 0xb102e308, v22
	v_sub_f32_e32 v22, v27, v26
	v_sub_f32_e32 v22, v23, v22
	v_add_f32_e32 v23, v29, v31
	v_sub_f32_e32 v26, v23, v29
	v_ldexp_f32 v29, v27, 1
	v_mul_f32_e32 v27, v27, v28
	v_mul_f32_e32 v27, v27, v30
	v_add_f32_e32 v28, v29, v27
	v_sub_f32_e32 v29, v28, v29
	v_ldexp_f32 v22, v22, 1
	v_sub_f32_e32 v27, v27, v29
	v_add_f32_e32 v22, v22, v27
	v_add_f32_e32 v27, v28, v22
	v_sub_f32_e32 v28, v27, v28
	v_sub_f32_e32 v22, v22, v28
	v_add_f32_e32 v28, v23, v27
	v_sub_f32_e32 v29, v28, v23
	v_sub_f32_e32 v30, v28, v29
	;; [unrolled: 1-line block ×5, first 2 shown]
	v_add_f32_e32 v23, v27, v23
	v_add_f32_e32 v27, v26, v22
	v_sub_f32_e32 v29, v27, v26
	v_sub_f32_e32 v30, v27, v29
	;; [unrolled: 1-line block ×4, first 2 shown]
	v_add_f32_e32 v23, v27, v23
	v_add_f32_e32 v22, v22, v26
	;; [unrolled: 1-line block ×3, first 2 shown]
	v_sub_f32_e32 v27, v26, v28
	v_sub_f32_e32 v23, v23, v27
	v_add_f32_e32 v22, v22, v23
	v_add_f32_e32 v22, v26, v22
	v_cmp_neq_f32_e32 vcc, s3, v25
	s_mov_b32 s3, 0x33800000
	v_cndmask_b32_e32 v22, v24, v22, vcc
	v_cmp_lt_f32_e64 vcc, |v25|, s3
	v_cndmask_b32_e32 v22, v22, v25, vcc
	v_add_f32_e32 v22, v5, v22
.LBB459_172:
	s_or_b64 exec, exec, s[0:1]
	v_bfe_u32 v5, v22, 16, 1
	s_movk_i32 s3, 0x7fff
	v_add3_u32 v5, v22, v5, s3
	v_cmp_o_f32_e32 vcc, v22, v22
	v_mov_b32_e32 v22, 0x7fc0
	v_cndmask_b32_sdwa v5, v22, v5, vcc dst_sel:DWORD dst_unused:UNUSED_PAD src0_sel:DWORD src1_sel:WORD_1
	v_lshlrev_b32_e32 v24, 16, v5
	v_max_f32_e32 v23, v24, v24
	v_min_f32_e32 v25, v23, v41
	v_cmp_u_f32_e32 vcc, v24, v24
	v_max_f32_e32 v23, v23, v41
	v_cndmask_b32_e32 v25, v25, v24, vcc
	v_cndmask_b32_e32 v23, v23, v24, vcc
	v_cndmask_b32_e64 v25, v25, v39, s[84:85]
	v_cndmask_b32_e64 v23, v23, v39, s[84:85]
	v_cmp_neq_f32_e32 vcc, v25, v23
	v_cmp_class_f32_e64 s[0:1], v25, s2
	s_or_b64 s[4:5], vcc, s[0:1]
	s_and_saveexec_b64 s[0:1], s[4:5]
	s_cbranch_execz .LBB459_174
; %bb.173:
	v_sub_f32_e32 v24, v25, v23
	s_mov_b32 s2, 0x3fb8aa3b
	v_mul_f32_e32 v25, 0x3fb8aa3b, v24
	v_fma_f32 v26, v24, s2, -v25
	v_rndne_f32_e32 v27, v25
	v_fmac_f32_e32 v26, 0x32a5705f, v24
	v_sub_f32_e32 v25, v25, v27
	v_add_f32_e32 v25, v25, v26
	v_exp_f32_e32 v25, v25
	v_cvt_i32_f32_e32 v26, v27
	s_mov_b32 s2, 0xc2ce8ed0
	v_cmp_ngt_f32_e32 vcc, s2, v24
	s_mov_b32 s2, 0x42b17218
	v_ldexp_f32 v25, v25, v26
	v_cndmask_b32_e32 v25, 0, v25, vcc
	v_mov_b32_e32 v26, 0x7f800000
	v_cmp_nlt_f32_e32 vcc, s2, v24
	v_cndmask_b32_e32 v27, v26, v25, vcc
	v_add_f32_e32 v28, 1.0, v27
	v_cvt_f64_f32_e32 v[24:25], v28
	v_add_f32_e32 v29, -1.0, v28
	v_sub_f32_e32 v30, v29, v28
	v_sub_f32_e32 v29, v27, v29
	v_frexp_exp_i32_f64_e32 v24, v[24:25]
	v_add_f32_e32 v25, 1.0, v30
	v_add_f32_e32 v25, v29, v25
	v_frexp_mant_f32_e32 v29, v28
	s_mov_b32 s4, 0x3f2aaaab
	v_cmp_gt_f32_e32 vcc, s4, v29
	s_mov_b32 s4, 0x3f317218
	s_mov_b32 s2, 0x7f800000
	v_subbrev_co_u32_e32 v24, vcc, 0, v24, vcc
	v_sub_u32_e32 v29, 0, v24
	v_ldexp_f32 v28, v28, v29
	v_ldexp_f32 v25, v25, v29
	v_add_f32_e32 v29, -1.0, v28
	v_add_f32_e32 v32, 1.0, v28
	v_add_f32_e32 v30, 1.0, v29
	v_add_f32_e32 v33, -1.0, v32
	v_sub_f32_e32 v30, v28, v30
	v_sub_f32_e32 v28, v28, v33
	v_add_f32_e32 v30, v25, v30
	v_add_f32_e32 v25, v25, v28
	;; [unrolled: 1-line block ×3, first 2 shown]
	v_rcp_f32_e32 v33, v28
	v_add_f32_e32 v31, v29, v30
	v_sub_f32_e32 v29, v29, v31
	v_add_f32_e32 v29, v30, v29
	v_sub_f32_e32 v30, v32, v28
	v_add_f32_e32 v25, v25, v30
	v_mul_f32_e32 v30, v31, v33
	v_mul_f32_e32 v32, v28, v30
	v_fma_f32 v34, v30, v28, -v32
	v_fmac_f32_e32 v34, v30, v25
	v_add_f32_e32 v35, v32, v34
	v_sub_f32_e32 v36, v31, v35
	v_sub_f32_e32 v31, v31, v36
	;; [unrolled: 1-line block ×4, first 2 shown]
	v_add_f32_e32 v29, v29, v31
	v_sub_f32_e32 v31, v32, v34
	v_add_f32_e32 v29, v31, v29
	v_add_f32_e32 v31, v36, v29
	v_mul_f32_e32 v32, v33, v31
	v_mul_f32_e32 v34, v28, v32
	v_fma_f32 v28, v32, v28, -v34
	v_fmac_f32_e32 v28, v32, v25
	v_sub_f32_e32 v25, v36, v31
	v_add_f32_e32 v25, v29, v25
	v_add_f32_e32 v29, v34, v28
	v_sub_f32_e32 v35, v31, v29
	v_sub_f32_e32 v31, v31, v35
	;; [unrolled: 1-line block ×4, first 2 shown]
	v_add_f32_e32 v25, v25, v29
	v_sub_f32_e32 v28, v34, v28
	v_add_f32_e32 v25, v28, v25
	v_add_f32_e32 v28, v30, v32
	;; [unrolled: 1-line block ×3, first 2 shown]
	v_sub_f32_e32 v29, v28, v30
	v_mul_f32_e32 v25, v33, v25
	v_sub_f32_e32 v29, v32, v29
	v_add_f32_e32 v25, v29, v25
	v_cvt_f32_i32_e32 v24, v24
	v_add_f32_e32 v29, v28, v25
	v_mul_f32_e32 v30, v29, v29
	v_mov_b32_e32 v31, 0x3ecc95a3
	v_fmac_f32_e32 v31, 0x3e9b6dac, v30
	v_mov_b32_e32 v32, 0x3f2aaada
	v_fmac_f32_e32 v32, v30, v31
	v_mul_f32_e32 v31, 0x3f317218, v24
	v_fma_f32 v33, v24, s4, -v31
	v_fmac_f32_e32 v33, 0xb102e308, v24
	v_sub_f32_e32 v24, v29, v28
	v_sub_f32_e32 v24, v25, v24
	v_add_f32_e32 v25, v31, v33
	v_sub_f32_e32 v28, v25, v31
	v_ldexp_f32 v31, v29, 1
	v_mul_f32_e32 v29, v29, v30
	v_mul_f32_e32 v29, v29, v32
	v_add_f32_e32 v30, v31, v29
	v_sub_f32_e32 v31, v30, v31
	v_ldexp_f32 v24, v24, 1
	v_sub_f32_e32 v29, v29, v31
	v_add_f32_e32 v24, v24, v29
	v_add_f32_e32 v29, v30, v24
	v_sub_f32_e32 v30, v29, v30
	v_sub_f32_e32 v24, v24, v30
	v_add_f32_e32 v30, v25, v29
	v_sub_f32_e32 v31, v30, v25
	v_sub_f32_e32 v32, v30, v31
	v_sub_f32_e32 v28, v33, v28
	v_sub_f32_e32 v25, v25, v32
	v_sub_f32_e32 v29, v29, v31
	v_add_f32_e32 v25, v29, v25
	v_add_f32_e32 v29, v28, v24
	v_sub_f32_e32 v31, v29, v28
	v_sub_f32_e32 v32, v29, v31
	;; [unrolled: 1-line block ×4, first 2 shown]
	v_add_f32_e32 v25, v29, v25
	v_add_f32_e32 v24, v24, v28
	;; [unrolled: 1-line block ×3, first 2 shown]
	v_sub_f32_e32 v29, v28, v30
	v_sub_f32_e32 v25, v25, v29
	v_add_f32_e32 v24, v24, v25
	v_add_f32_e32 v24, v28, v24
	v_cmp_neq_f32_e32 vcc, s2, v27
	s_mov_b32 s2, 0x33800000
	v_cndmask_b32_e32 v24, v26, v24, vcc
	v_cmp_lt_f32_e64 vcc, |v27|, s2
	v_cndmask_b32_e32 v24, v24, v27, vcc
	v_add_f32_e32 v24, v23, v24
.LBB459_174:
	s_or_b64 exec, exec, s[0:1]
	v_bfe_u32 v23, v24, 16, 1
	v_add3_u32 v23, v24, v23, s3
	v_cmp_o_f32_e32 vcc, v24, v24
	v_cndmask_b32_sdwa v22, v22, v23, vcc dst_sel:DWORD dst_unused:UNUSED_PAD src0_sel:DWORD src1_sel:WORD_1
	v_lshlrev_b32_e32 v23, 16, v22
	v_max_f32_e32 v25, v23, v23
	v_min_f32_e32 v24, v25, v43
	v_cmp_u_f32_e32 vcc, v23, v23
	v_max_f32_e32 v25, v25, v43
	v_cndmask_b32_e32 v24, v24, v23, vcc
	v_cndmask_b32_e32 v25, v25, v23, vcc
	v_cndmask_b32_e64 v24, v24, v6, s[86:87]
	v_cndmask_b32_e64 v6, v25, v6, s[86:87]
	s_movk_i32 s2, 0x1f8
	v_cmp_neq_f32_e32 vcc, v24, v6
	v_cmp_class_f32_e64 s[0:1], v24, s2
	s_or_b64 s[4:5], vcc, s[0:1]
	s_and_saveexec_b64 s[0:1], s[4:5]
	s_cbranch_execz .LBB459_176
; %bb.175:
	v_sub_f32_e32 v23, v24, v6
	s_mov_b32 s3, 0x3fb8aa3b
	v_mul_f32_e32 v24, 0x3fb8aa3b, v23
	v_fma_f32 v25, v23, s3, -v24
	v_rndne_f32_e32 v26, v24
	v_fmac_f32_e32 v25, 0x32a5705f, v23
	v_sub_f32_e32 v24, v24, v26
	v_add_f32_e32 v24, v24, v25
	v_exp_f32_e32 v24, v24
	v_cvt_i32_f32_e32 v25, v26
	s_mov_b32 s3, 0xc2ce8ed0
	v_cmp_ngt_f32_e32 vcc, s3, v23
	s_mov_b32 s3, 0x42b17218
	v_ldexp_f32 v24, v24, v25
	v_cndmask_b32_e32 v24, 0, v24, vcc
	v_mov_b32_e32 v25, 0x7f800000
	v_cmp_nlt_f32_e32 vcc, s3, v23
	v_cndmask_b32_e32 v26, v25, v24, vcc
	v_add_f32_e32 v27, 1.0, v26
	v_cvt_f64_f32_e32 v[23:24], v27
	v_add_f32_e32 v28, -1.0, v27
	v_sub_f32_e32 v29, v28, v27
	v_sub_f32_e32 v28, v26, v28
	v_frexp_exp_i32_f64_e32 v23, v[23:24]
	v_add_f32_e32 v24, 1.0, v29
	v_add_f32_e32 v24, v28, v24
	v_frexp_mant_f32_e32 v28, v27
	s_mov_b32 s4, 0x3f2aaaab
	v_cmp_gt_f32_e32 vcc, s4, v28
	s_mov_b32 s4, 0x3f317218
	s_mov_b32 s3, 0x7f800000
	v_subbrev_co_u32_e32 v23, vcc, 0, v23, vcc
	v_sub_u32_e32 v28, 0, v23
	v_ldexp_f32 v27, v27, v28
	v_ldexp_f32 v24, v24, v28
	v_add_f32_e32 v28, -1.0, v27
	v_add_f32_e32 v31, 1.0, v27
	v_add_f32_e32 v29, 1.0, v28
	v_add_f32_e32 v32, -1.0, v31
	v_sub_f32_e32 v29, v27, v29
	v_sub_f32_e32 v27, v27, v32
	v_add_f32_e32 v29, v24, v29
	v_add_f32_e32 v24, v24, v27
	;; [unrolled: 1-line block ×3, first 2 shown]
	v_rcp_f32_e32 v32, v27
	v_add_f32_e32 v30, v28, v29
	v_sub_f32_e32 v28, v28, v30
	v_add_f32_e32 v28, v29, v28
	v_sub_f32_e32 v29, v31, v27
	v_add_f32_e32 v24, v24, v29
	v_mul_f32_e32 v29, v30, v32
	v_mul_f32_e32 v31, v27, v29
	v_fma_f32 v33, v29, v27, -v31
	v_fmac_f32_e32 v33, v29, v24
	v_add_f32_e32 v34, v31, v33
	v_sub_f32_e32 v35, v30, v34
	v_sub_f32_e32 v30, v30, v35
	;; [unrolled: 1-line block ×4, first 2 shown]
	v_add_f32_e32 v28, v28, v30
	v_sub_f32_e32 v30, v31, v33
	v_add_f32_e32 v28, v30, v28
	v_add_f32_e32 v30, v35, v28
	v_mul_f32_e32 v31, v32, v30
	v_mul_f32_e32 v33, v27, v31
	v_fma_f32 v27, v31, v27, -v33
	v_fmac_f32_e32 v27, v31, v24
	v_sub_f32_e32 v24, v35, v30
	v_add_f32_e32 v24, v28, v24
	v_add_f32_e32 v28, v33, v27
	v_sub_f32_e32 v34, v30, v28
	v_sub_f32_e32 v30, v30, v34
	;; [unrolled: 1-line block ×4, first 2 shown]
	v_add_f32_e32 v24, v24, v28
	v_sub_f32_e32 v27, v33, v27
	v_add_f32_e32 v24, v27, v24
	v_add_f32_e32 v27, v29, v31
	;; [unrolled: 1-line block ×3, first 2 shown]
	v_sub_f32_e32 v28, v27, v29
	v_mul_f32_e32 v24, v32, v24
	v_sub_f32_e32 v28, v31, v28
	v_add_f32_e32 v24, v28, v24
	v_cvt_f32_i32_e32 v23, v23
	v_add_f32_e32 v28, v27, v24
	v_mul_f32_e32 v29, v28, v28
	v_mov_b32_e32 v30, 0x3ecc95a3
	v_fmac_f32_e32 v30, 0x3e9b6dac, v29
	v_mov_b32_e32 v31, 0x3f2aaada
	v_fmac_f32_e32 v31, v29, v30
	v_mul_f32_e32 v30, 0x3f317218, v23
	v_fma_f32 v32, v23, s4, -v30
	v_fmac_f32_e32 v32, 0xb102e308, v23
	v_sub_f32_e32 v23, v28, v27
	v_sub_f32_e32 v23, v24, v23
	v_add_f32_e32 v24, v30, v32
	v_sub_f32_e32 v27, v24, v30
	v_ldexp_f32 v30, v28, 1
	v_mul_f32_e32 v28, v28, v29
	v_mul_f32_e32 v28, v28, v31
	v_add_f32_e32 v29, v30, v28
	v_sub_f32_e32 v30, v29, v30
	v_ldexp_f32 v23, v23, 1
	v_sub_f32_e32 v28, v28, v30
	v_add_f32_e32 v23, v23, v28
	v_add_f32_e32 v28, v29, v23
	v_sub_f32_e32 v29, v28, v29
	v_sub_f32_e32 v23, v23, v29
	v_add_f32_e32 v29, v24, v28
	v_sub_f32_e32 v30, v29, v24
	v_sub_f32_e32 v31, v29, v30
	;; [unrolled: 1-line block ×5, first 2 shown]
	v_add_f32_e32 v24, v28, v24
	v_add_f32_e32 v28, v27, v23
	v_sub_f32_e32 v30, v28, v27
	v_sub_f32_e32 v31, v28, v30
	;; [unrolled: 1-line block ×4, first 2 shown]
	v_add_f32_e32 v24, v28, v24
	v_add_f32_e32 v23, v23, v27
	;; [unrolled: 1-line block ×3, first 2 shown]
	v_sub_f32_e32 v28, v27, v29
	v_sub_f32_e32 v24, v24, v28
	v_add_f32_e32 v23, v23, v24
	v_add_f32_e32 v23, v27, v23
	v_cmp_neq_f32_e32 vcc, s3, v26
	s_mov_b32 s3, 0x33800000
	v_cndmask_b32_e32 v23, v25, v23, vcc
	v_cmp_lt_f32_e64 vcc, |v26|, s3
	v_cndmask_b32_e32 v23, v23, v26, vcc
	v_add_f32_e32 v23, v6, v23
.LBB459_176:
	s_or_b64 exec, exec, s[0:1]
	v_bfe_u32 v6, v23, 16, 1
	s_movk_i32 s3, 0x7fff
	v_add3_u32 v6, v23, v6, s3
	v_cmp_o_f32_e32 vcc, v23, v23
	v_mov_b32_e32 v23, 0x7fc0
	v_cndmask_b32_sdwa v6, v23, v6, vcc dst_sel:DWORD dst_unused:UNUSED_PAD src0_sel:DWORD src1_sel:WORD_1
	v_lshlrev_b32_e32 v25, 16, v6
	v_max_f32_e32 v24, v25, v25
	v_min_f32_e32 v26, v24, v44
	v_cmp_u_f32_e32 vcc, v25, v25
	v_max_f32_e32 v24, v24, v44
	v_cndmask_b32_e32 v26, v26, v25, vcc
	v_cndmask_b32_e32 v24, v24, v25, vcc
	v_cndmask_b32_e64 v26, v26, v42, s[88:89]
	v_cndmask_b32_e64 v24, v24, v42, s[88:89]
	v_cmp_neq_f32_e32 vcc, v26, v24
	v_cmp_class_f32_e64 s[0:1], v26, s2
	s_or_b64 s[4:5], vcc, s[0:1]
	s_and_saveexec_b64 s[0:1], s[4:5]
	s_cbranch_execz .LBB459_178
; %bb.177:
	v_sub_f32_e32 v25, v26, v24
	s_mov_b32 s2, 0x3fb8aa3b
	v_mul_f32_e32 v26, 0x3fb8aa3b, v25
	v_fma_f32 v27, v25, s2, -v26
	v_rndne_f32_e32 v28, v26
	v_fmac_f32_e32 v27, 0x32a5705f, v25
	v_sub_f32_e32 v26, v26, v28
	v_add_f32_e32 v26, v26, v27
	v_exp_f32_e32 v26, v26
	v_cvt_i32_f32_e32 v27, v28
	s_mov_b32 s2, 0xc2ce8ed0
	v_cmp_ngt_f32_e32 vcc, s2, v25
	s_mov_b32 s2, 0x42b17218
	v_ldexp_f32 v26, v26, v27
	v_cndmask_b32_e32 v26, 0, v26, vcc
	v_mov_b32_e32 v27, 0x7f800000
	v_cmp_nlt_f32_e32 vcc, s2, v25
	v_cndmask_b32_e32 v28, v27, v26, vcc
	v_add_f32_e32 v29, 1.0, v28
	v_cvt_f64_f32_e32 v[25:26], v29
	v_add_f32_e32 v30, -1.0, v29
	v_sub_f32_e32 v31, v30, v29
	v_sub_f32_e32 v30, v28, v30
	v_frexp_exp_i32_f64_e32 v25, v[25:26]
	v_add_f32_e32 v26, 1.0, v31
	v_add_f32_e32 v26, v30, v26
	v_frexp_mant_f32_e32 v30, v29
	s_mov_b32 s4, 0x3f2aaaab
	v_cmp_gt_f32_e32 vcc, s4, v30
	s_mov_b32 s4, 0x3f317218
	s_mov_b32 s2, 0x7f800000
	v_subbrev_co_u32_e32 v25, vcc, 0, v25, vcc
	v_sub_u32_e32 v30, 0, v25
	v_ldexp_f32 v29, v29, v30
	v_ldexp_f32 v26, v26, v30
	v_add_f32_e32 v30, -1.0, v29
	v_add_f32_e32 v33, 1.0, v29
	v_add_f32_e32 v31, 1.0, v30
	v_add_f32_e32 v34, -1.0, v33
	v_sub_f32_e32 v31, v29, v31
	v_sub_f32_e32 v29, v29, v34
	v_add_f32_e32 v31, v26, v31
	v_add_f32_e32 v26, v26, v29
	v_add_f32_e32 v29, v33, v26
	v_rcp_f32_e32 v34, v29
	v_add_f32_e32 v32, v30, v31
	v_sub_f32_e32 v30, v30, v32
	v_add_f32_e32 v30, v31, v30
	v_sub_f32_e32 v31, v33, v29
	v_add_f32_e32 v26, v26, v31
	v_mul_f32_e32 v31, v32, v34
	v_mul_f32_e32 v33, v29, v31
	v_fma_f32 v35, v31, v29, -v33
	v_fmac_f32_e32 v35, v31, v26
	v_add_f32_e32 v36, v33, v35
	v_sub_f32_e32 v37, v32, v36
	v_sub_f32_e32 v32, v32, v37
	;; [unrolled: 1-line block ×4, first 2 shown]
	v_add_f32_e32 v30, v30, v32
	v_sub_f32_e32 v32, v33, v35
	v_add_f32_e32 v30, v32, v30
	v_add_f32_e32 v32, v37, v30
	v_mul_f32_e32 v33, v34, v32
	v_mul_f32_e32 v35, v29, v33
	v_fma_f32 v29, v33, v29, -v35
	v_fmac_f32_e32 v29, v33, v26
	v_sub_f32_e32 v26, v37, v32
	v_add_f32_e32 v26, v30, v26
	v_add_f32_e32 v30, v35, v29
	v_sub_f32_e32 v36, v32, v30
	v_sub_f32_e32 v32, v32, v36
	;; [unrolled: 1-line block ×4, first 2 shown]
	v_add_f32_e32 v26, v26, v30
	v_sub_f32_e32 v29, v35, v29
	v_add_f32_e32 v26, v29, v26
	v_add_f32_e32 v29, v31, v33
	;; [unrolled: 1-line block ×3, first 2 shown]
	v_sub_f32_e32 v30, v29, v31
	v_mul_f32_e32 v26, v34, v26
	v_sub_f32_e32 v30, v33, v30
	v_add_f32_e32 v26, v30, v26
	v_cvt_f32_i32_e32 v25, v25
	v_add_f32_e32 v30, v29, v26
	v_mul_f32_e32 v31, v30, v30
	v_mov_b32_e32 v32, 0x3ecc95a3
	v_fmac_f32_e32 v32, 0x3e9b6dac, v31
	v_mov_b32_e32 v33, 0x3f2aaada
	v_fmac_f32_e32 v33, v31, v32
	v_mul_f32_e32 v32, 0x3f317218, v25
	v_fma_f32 v34, v25, s4, -v32
	v_fmac_f32_e32 v34, 0xb102e308, v25
	v_sub_f32_e32 v25, v30, v29
	v_sub_f32_e32 v25, v26, v25
	v_add_f32_e32 v26, v32, v34
	v_sub_f32_e32 v29, v26, v32
	v_ldexp_f32 v32, v30, 1
	v_mul_f32_e32 v30, v30, v31
	v_mul_f32_e32 v30, v30, v33
	v_add_f32_e32 v31, v32, v30
	v_sub_f32_e32 v32, v31, v32
	v_ldexp_f32 v25, v25, 1
	v_sub_f32_e32 v30, v30, v32
	v_add_f32_e32 v25, v25, v30
	v_add_f32_e32 v30, v31, v25
	v_sub_f32_e32 v31, v30, v31
	v_sub_f32_e32 v25, v25, v31
	v_add_f32_e32 v31, v26, v30
	v_sub_f32_e32 v32, v31, v26
	v_sub_f32_e32 v33, v31, v32
	;; [unrolled: 1-line block ×5, first 2 shown]
	v_add_f32_e32 v26, v30, v26
	v_add_f32_e32 v30, v29, v25
	v_sub_f32_e32 v32, v30, v29
	v_sub_f32_e32 v33, v30, v32
	;; [unrolled: 1-line block ×4, first 2 shown]
	v_add_f32_e32 v26, v30, v26
	v_add_f32_e32 v25, v25, v29
	;; [unrolled: 1-line block ×3, first 2 shown]
	v_sub_f32_e32 v30, v29, v31
	v_sub_f32_e32 v26, v26, v30
	v_add_f32_e32 v25, v25, v26
	v_add_f32_e32 v25, v29, v25
	v_cmp_neq_f32_e32 vcc, s2, v28
	s_mov_b32 s2, 0x33800000
	v_cndmask_b32_e32 v25, v27, v25, vcc
	v_cmp_lt_f32_e64 vcc, |v28|, s2
	v_cndmask_b32_e32 v25, v25, v28, vcc
	v_add_f32_e32 v25, v24, v25
.LBB459_178:
	s_or_b64 exec, exec, s[0:1]
	v_bfe_u32 v24, v25, 16, 1
	v_add3_u32 v24, v25, v24, s3
	v_cmp_o_f32_e32 vcc, v25, v25
	v_cndmask_b32_sdwa v23, v23, v24, vcc dst_sel:DWORD dst_unused:UNUSED_PAD src0_sel:DWORD src1_sel:WORD_1
	v_lshlrev_b32_e32 v24, 16, v23
	v_max_f32_e32 v26, v24, v24
	v_min_f32_e32 v25, v26, v46
	v_cmp_u_f32_e32 vcc, v24, v24
	v_max_f32_e32 v26, v26, v46
	v_cndmask_b32_e32 v25, v25, v24, vcc
	v_cndmask_b32_e32 v26, v26, v24, vcc
	v_cndmask_b32_e64 v25, v25, v7, s[90:91]
	v_cndmask_b32_e64 v7, v26, v7, s[90:91]
	s_movk_i32 s2, 0x1f8
	v_cmp_neq_f32_e32 vcc, v25, v7
	v_cmp_class_f32_e64 s[0:1], v25, s2
	s_or_b64 s[4:5], vcc, s[0:1]
	s_and_saveexec_b64 s[0:1], s[4:5]
	s_cbranch_execz .LBB459_180
; %bb.179:
	v_sub_f32_e32 v24, v25, v7
	s_mov_b32 s3, 0x3fb8aa3b
	v_mul_f32_e32 v25, 0x3fb8aa3b, v24
	v_fma_f32 v26, v24, s3, -v25
	v_rndne_f32_e32 v27, v25
	v_fmac_f32_e32 v26, 0x32a5705f, v24
	v_sub_f32_e32 v25, v25, v27
	v_add_f32_e32 v25, v25, v26
	v_exp_f32_e32 v25, v25
	v_cvt_i32_f32_e32 v26, v27
	s_mov_b32 s3, 0xc2ce8ed0
	v_cmp_ngt_f32_e32 vcc, s3, v24
	s_mov_b32 s3, 0x42b17218
	v_ldexp_f32 v25, v25, v26
	v_cndmask_b32_e32 v25, 0, v25, vcc
	v_mov_b32_e32 v26, 0x7f800000
	v_cmp_nlt_f32_e32 vcc, s3, v24
	v_cndmask_b32_e32 v27, v26, v25, vcc
	v_add_f32_e32 v28, 1.0, v27
	v_cvt_f64_f32_e32 v[24:25], v28
	v_add_f32_e32 v29, -1.0, v28
	v_sub_f32_e32 v30, v29, v28
	v_sub_f32_e32 v29, v27, v29
	v_frexp_exp_i32_f64_e32 v24, v[24:25]
	v_add_f32_e32 v25, 1.0, v30
	v_add_f32_e32 v25, v29, v25
	v_frexp_mant_f32_e32 v29, v28
	s_mov_b32 s4, 0x3f2aaaab
	v_cmp_gt_f32_e32 vcc, s4, v29
	s_mov_b32 s4, 0x3f317218
	s_mov_b32 s3, 0x7f800000
	v_subbrev_co_u32_e32 v24, vcc, 0, v24, vcc
	v_sub_u32_e32 v29, 0, v24
	v_ldexp_f32 v28, v28, v29
	v_ldexp_f32 v25, v25, v29
	v_add_f32_e32 v29, -1.0, v28
	v_add_f32_e32 v32, 1.0, v28
	v_add_f32_e32 v30, 1.0, v29
	v_add_f32_e32 v33, -1.0, v32
	v_sub_f32_e32 v30, v28, v30
	v_sub_f32_e32 v28, v28, v33
	v_add_f32_e32 v30, v25, v30
	v_add_f32_e32 v25, v25, v28
	;; [unrolled: 1-line block ×3, first 2 shown]
	v_rcp_f32_e32 v33, v28
	v_add_f32_e32 v31, v29, v30
	v_sub_f32_e32 v29, v29, v31
	v_add_f32_e32 v29, v30, v29
	v_sub_f32_e32 v30, v32, v28
	v_add_f32_e32 v25, v25, v30
	v_mul_f32_e32 v30, v31, v33
	v_mul_f32_e32 v32, v28, v30
	v_fma_f32 v34, v30, v28, -v32
	v_fmac_f32_e32 v34, v30, v25
	v_add_f32_e32 v35, v32, v34
	v_sub_f32_e32 v36, v31, v35
	v_sub_f32_e32 v31, v31, v36
	;; [unrolled: 1-line block ×4, first 2 shown]
	v_add_f32_e32 v29, v29, v31
	v_sub_f32_e32 v31, v32, v34
	v_add_f32_e32 v29, v31, v29
	v_add_f32_e32 v31, v36, v29
	v_mul_f32_e32 v32, v33, v31
	v_mul_f32_e32 v34, v28, v32
	v_fma_f32 v28, v32, v28, -v34
	v_fmac_f32_e32 v28, v32, v25
	v_sub_f32_e32 v25, v36, v31
	v_add_f32_e32 v25, v29, v25
	v_add_f32_e32 v29, v34, v28
	v_sub_f32_e32 v35, v31, v29
	v_sub_f32_e32 v31, v31, v35
	;; [unrolled: 1-line block ×4, first 2 shown]
	v_add_f32_e32 v25, v25, v29
	v_sub_f32_e32 v28, v34, v28
	v_add_f32_e32 v25, v28, v25
	v_add_f32_e32 v28, v30, v32
	;; [unrolled: 1-line block ×3, first 2 shown]
	v_sub_f32_e32 v29, v28, v30
	v_mul_f32_e32 v25, v33, v25
	v_sub_f32_e32 v29, v32, v29
	v_add_f32_e32 v25, v29, v25
	v_cvt_f32_i32_e32 v24, v24
	v_add_f32_e32 v29, v28, v25
	v_mul_f32_e32 v30, v29, v29
	v_mov_b32_e32 v31, 0x3ecc95a3
	v_fmac_f32_e32 v31, 0x3e9b6dac, v30
	v_mov_b32_e32 v32, 0x3f2aaada
	v_fmac_f32_e32 v32, v30, v31
	v_mul_f32_e32 v31, 0x3f317218, v24
	v_fma_f32 v33, v24, s4, -v31
	v_fmac_f32_e32 v33, 0xb102e308, v24
	v_sub_f32_e32 v24, v29, v28
	v_sub_f32_e32 v24, v25, v24
	v_add_f32_e32 v25, v31, v33
	v_sub_f32_e32 v28, v25, v31
	v_ldexp_f32 v31, v29, 1
	v_mul_f32_e32 v29, v29, v30
	v_mul_f32_e32 v29, v29, v32
	v_add_f32_e32 v30, v31, v29
	v_sub_f32_e32 v31, v30, v31
	v_ldexp_f32 v24, v24, 1
	v_sub_f32_e32 v29, v29, v31
	v_add_f32_e32 v24, v24, v29
	v_add_f32_e32 v29, v30, v24
	v_sub_f32_e32 v30, v29, v30
	v_sub_f32_e32 v24, v24, v30
	v_add_f32_e32 v30, v25, v29
	v_sub_f32_e32 v31, v30, v25
	v_sub_f32_e32 v32, v30, v31
	;; [unrolled: 1-line block ×5, first 2 shown]
	v_add_f32_e32 v25, v29, v25
	v_add_f32_e32 v29, v28, v24
	v_sub_f32_e32 v31, v29, v28
	v_sub_f32_e32 v32, v29, v31
	;; [unrolled: 1-line block ×4, first 2 shown]
	v_add_f32_e32 v25, v29, v25
	v_add_f32_e32 v24, v24, v28
	;; [unrolled: 1-line block ×3, first 2 shown]
	v_sub_f32_e32 v29, v28, v30
	v_sub_f32_e32 v25, v25, v29
	v_add_f32_e32 v24, v24, v25
	v_add_f32_e32 v24, v28, v24
	v_cmp_neq_f32_e32 vcc, s3, v27
	s_mov_b32 s3, 0x33800000
	v_cndmask_b32_e32 v24, v26, v24, vcc
	v_cmp_lt_f32_e64 vcc, |v27|, s3
	v_cndmask_b32_e32 v24, v24, v27, vcc
	v_add_f32_e32 v24, v7, v24
.LBB459_180:
	s_or_b64 exec, exec, s[0:1]
	v_bfe_u32 v7, v24, 16, 1
	s_movk_i32 s3, 0x7fff
	v_add3_u32 v7, v24, v7, s3
	v_cmp_o_f32_e32 vcc, v24, v24
	v_mov_b32_e32 v24, 0x7fc0
	v_cndmask_b32_sdwa v7, v24, v7, vcc dst_sel:DWORD dst_unused:UNUSED_PAD src0_sel:DWORD src1_sel:WORD_1
	v_lshlrev_b32_e32 v26, 16, v7
	v_max_f32_e32 v25, v26, v26
	v_min_f32_e32 v27, v25, v47
	v_cmp_u_f32_e32 vcc, v26, v26
	v_max_f32_e32 v25, v25, v47
	v_cndmask_b32_e32 v27, v27, v26, vcc
	v_cndmask_b32_e32 v25, v25, v26, vcc
	v_cndmask_b32_e64 v27, v27, v45, s[92:93]
	v_cndmask_b32_e64 v25, v25, v45, s[92:93]
	v_cmp_neq_f32_e32 vcc, v27, v25
	v_cmp_class_f32_e64 s[0:1], v27, s2
	s_or_b64 s[4:5], vcc, s[0:1]
	s_and_saveexec_b64 s[0:1], s[4:5]
	s_cbranch_execz .LBB459_182
; %bb.181:
	v_sub_f32_e32 v26, v27, v25
	s_mov_b32 s2, 0x3fb8aa3b
	v_mul_f32_e32 v27, 0x3fb8aa3b, v26
	v_fma_f32 v28, v26, s2, -v27
	v_rndne_f32_e32 v29, v27
	v_fmac_f32_e32 v28, 0x32a5705f, v26
	v_sub_f32_e32 v27, v27, v29
	v_add_f32_e32 v27, v27, v28
	v_exp_f32_e32 v27, v27
	v_cvt_i32_f32_e32 v28, v29
	s_mov_b32 s2, 0xc2ce8ed0
	v_cmp_ngt_f32_e32 vcc, s2, v26
	s_mov_b32 s2, 0x42b17218
	v_ldexp_f32 v27, v27, v28
	v_cndmask_b32_e32 v27, 0, v27, vcc
	v_mov_b32_e32 v28, 0x7f800000
	v_cmp_nlt_f32_e32 vcc, s2, v26
	v_cndmask_b32_e32 v29, v28, v27, vcc
	v_add_f32_e32 v30, 1.0, v29
	v_cvt_f64_f32_e32 v[26:27], v30
	v_add_f32_e32 v31, -1.0, v30
	v_sub_f32_e32 v32, v31, v30
	v_sub_f32_e32 v31, v29, v31
	v_frexp_exp_i32_f64_e32 v26, v[26:27]
	v_add_f32_e32 v27, 1.0, v32
	v_add_f32_e32 v27, v31, v27
	v_frexp_mant_f32_e32 v31, v30
	s_mov_b32 s4, 0x3f2aaaab
	v_cmp_gt_f32_e32 vcc, s4, v31
	s_mov_b32 s4, 0x3f317218
	s_mov_b32 s2, 0x7f800000
	v_subbrev_co_u32_e32 v26, vcc, 0, v26, vcc
	v_sub_u32_e32 v31, 0, v26
	v_ldexp_f32 v30, v30, v31
	v_ldexp_f32 v27, v27, v31
	v_add_f32_e32 v31, -1.0, v30
	v_add_f32_e32 v34, 1.0, v30
	v_add_f32_e32 v32, 1.0, v31
	v_add_f32_e32 v35, -1.0, v34
	v_sub_f32_e32 v32, v30, v32
	v_sub_f32_e32 v30, v30, v35
	v_add_f32_e32 v32, v27, v32
	v_add_f32_e32 v27, v27, v30
	;; [unrolled: 1-line block ×3, first 2 shown]
	v_rcp_f32_e32 v35, v30
	v_add_f32_e32 v33, v31, v32
	v_sub_f32_e32 v31, v31, v33
	v_add_f32_e32 v31, v32, v31
	v_sub_f32_e32 v32, v34, v30
	v_add_f32_e32 v27, v27, v32
	v_mul_f32_e32 v32, v33, v35
	v_mul_f32_e32 v34, v30, v32
	v_fma_f32 v36, v32, v30, -v34
	v_fmac_f32_e32 v36, v32, v27
	v_add_f32_e32 v37, v34, v36
	v_sub_f32_e32 v38, v33, v37
	v_sub_f32_e32 v33, v33, v38
	;; [unrolled: 1-line block ×4, first 2 shown]
	v_add_f32_e32 v31, v31, v33
	v_sub_f32_e32 v33, v34, v36
	v_add_f32_e32 v31, v33, v31
	v_add_f32_e32 v33, v38, v31
	v_mul_f32_e32 v34, v35, v33
	v_mul_f32_e32 v36, v30, v34
	v_fma_f32 v30, v34, v30, -v36
	v_fmac_f32_e32 v30, v34, v27
	v_sub_f32_e32 v27, v38, v33
	v_add_f32_e32 v27, v31, v27
	v_add_f32_e32 v31, v36, v30
	v_sub_f32_e32 v37, v33, v31
	v_sub_f32_e32 v33, v33, v37
	v_sub_f32_e32 v36, v31, v36
	v_sub_f32_e32 v31, v33, v31
	v_add_f32_e32 v27, v27, v31
	v_sub_f32_e32 v30, v36, v30
	v_add_f32_e32 v27, v30, v27
	v_add_f32_e32 v30, v32, v34
	;; [unrolled: 1-line block ×3, first 2 shown]
	v_sub_f32_e32 v31, v30, v32
	v_mul_f32_e32 v27, v35, v27
	v_sub_f32_e32 v31, v34, v31
	v_add_f32_e32 v27, v31, v27
	v_cvt_f32_i32_e32 v26, v26
	v_add_f32_e32 v31, v30, v27
	v_mul_f32_e32 v32, v31, v31
	v_mov_b32_e32 v33, 0x3ecc95a3
	v_fmac_f32_e32 v33, 0x3e9b6dac, v32
	v_mov_b32_e32 v34, 0x3f2aaada
	v_fmac_f32_e32 v34, v32, v33
	v_mul_f32_e32 v33, 0x3f317218, v26
	v_fma_f32 v35, v26, s4, -v33
	v_fmac_f32_e32 v35, 0xb102e308, v26
	v_sub_f32_e32 v26, v31, v30
	v_sub_f32_e32 v26, v27, v26
	v_add_f32_e32 v27, v33, v35
	v_sub_f32_e32 v30, v27, v33
	v_ldexp_f32 v33, v31, 1
	v_mul_f32_e32 v31, v31, v32
	v_mul_f32_e32 v31, v31, v34
	v_add_f32_e32 v32, v33, v31
	v_sub_f32_e32 v33, v32, v33
	v_ldexp_f32 v26, v26, 1
	v_sub_f32_e32 v31, v31, v33
	v_add_f32_e32 v26, v26, v31
	v_add_f32_e32 v31, v32, v26
	v_sub_f32_e32 v32, v31, v32
	v_sub_f32_e32 v26, v26, v32
	v_add_f32_e32 v32, v27, v31
	v_sub_f32_e32 v33, v32, v27
	v_sub_f32_e32 v34, v32, v33
	;; [unrolled: 1-line block ×5, first 2 shown]
	v_add_f32_e32 v27, v31, v27
	v_add_f32_e32 v31, v30, v26
	v_sub_f32_e32 v33, v31, v30
	v_sub_f32_e32 v34, v31, v33
	;; [unrolled: 1-line block ×4, first 2 shown]
	v_add_f32_e32 v27, v31, v27
	v_add_f32_e32 v26, v26, v30
	;; [unrolled: 1-line block ×3, first 2 shown]
	v_sub_f32_e32 v31, v30, v32
	v_sub_f32_e32 v27, v27, v31
	v_add_f32_e32 v26, v26, v27
	v_add_f32_e32 v26, v30, v26
	v_cmp_neq_f32_e32 vcc, s2, v29
	s_mov_b32 s2, 0x33800000
	v_cndmask_b32_e32 v26, v28, v26, vcc
	v_cmp_lt_f32_e64 vcc, |v29|, s2
	v_cndmask_b32_e32 v26, v26, v29, vcc
	v_add_f32_e32 v26, v25, v26
.LBB459_182:
	s_or_b64 exec, exec, s[0:1]
	v_bfe_u32 v25, v26, 16, 1
	v_add3_u32 v25, v26, v25, s3
	v_cmp_o_f32_e32 vcc, v26, v26
	v_cndmask_b32_sdwa v24, v24, v25, vcc dst_sel:DWORD dst_unused:UNUSED_PAD src0_sel:DWORD src1_sel:WORD_1
	v_lshlrev_b32_e32 v25, 16, v24
	v_max_f32_e32 v27, v25, v25
	v_min_f32_e32 v26, v27, v48
	v_cmp_u_f32_e32 vcc, v25, v25
	v_max_f32_e32 v27, v27, v48
	v_cndmask_b32_e32 v26, v26, v25, vcc
	v_cndmask_b32_e32 v27, v27, v25, vcc
	v_cndmask_b32_e64 v26, v26, v8, s[94:95]
	v_cndmask_b32_e64 v8, v27, v8, s[94:95]
	s_movk_i32 s0, 0x1f8
	v_cmp_neq_f32_e32 vcc, v26, v8
	v_cmp_class_f32_e64 s[0:1], v26, s0
	s_or_b64 s[2:3], vcc, s[0:1]
	s_and_saveexec_b64 s[0:1], s[2:3]
	s_cbranch_execz .LBB459_184
; %bb.183:
	v_sub_f32_e32 v25, v26, v8
	s_mov_b32 s2, 0x3fb8aa3b
	v_mul_f32_e32 v26, 0x3fb8aa3b, v25
	v_fma_f32 v27, v25, s2, -v26
	v_rndne_f32_e32 v28, v26
	v_fmac_f32_e32 v27, 0x32a5705f, v25
	v_sub_f32_e32 v26, v26, v28
	v_add_f32_e32 v26, v26, v27
	v_exp_f32_e32 v26, v26
	v_cvt_i32_f32_e32 v27, v28
	s_mov_b32 s2, 0xc2ce8ed0
	v_cmp_ngt_f32_e32 vcc, s2, v25
	s_mov_b32 s2, 0x42b17218
	v_ldexp_f32 v26, v26, v27
	v_cndmask_b32_e32 v26, 0, v26, vcc
	v_mov_b32_e32 v27, 0x7f800000
	v_cmp_nlt_f32_e32 vcc, s2, v25
	v_cndmask_b32_e32 v28, v27, v26, vcc
	v_add_f32_e32 v29, 1.0, v28
	v_cvt_f64_f32_e32 v[25:26], v29
	v_add_f32_e32 v30, -1.0, v29
	v_sub_f32_e32 v31, v30, v29
	v_sub_f32_e32 v30, v28, v30
	v_frexp_exp_i32_f64_e32 v25, v[25:26]
	v_add_f32_e32 v26, 1.0, v31
	v_add_f32_e32 v26, v30, v26
	v_frexp_mant_f32_e32 v30, v29
	s_mov_b32 s3, 0x3f2aaaab
	v_cmp_gt_f32_e32 vcc, s3, v30
	s_mov_b32 s3, 0x3f317218
	s_mov_b32 s2, 0x7f800000
	v_subbrev_co_u32_e32 v25, vcc, 0, v25, vcc
	v_sub_u32_e32 v30, 0, v25
	v_ldexp_f32 v29, v29, v30
	v_ldexp_f32 v26, v26, v30
	v_add_f32_e32 v30, -1.0, v29
	v_add_f32_e32 v33, 1.0, v29
	v_add_f32_e32 v31, 1.0, v30
	v_add_f32_e32 v34, -1.0, v33
	v_sub_f32_e32 v31, v29, v31
	v_sub_f32_e32 v29, v29, v34
	v_add_f32_e32 v31, v26, v31
	v_add_f32_e32 v26, v26, v29
	;; [unrolled: 1-line block ×3, first 2 shown]
	v_rcp_f32_e32 v34, v29
	v_add_f32_e32 v32, v30, v31
	v_sub_f32_e32 v30, v30, v32
	v_add_f32_e32 v30, v31, v30
	v_sub_f32_e32 v31, v33, v29
	v_add_f32_e32 v26, v26, v31
	v_mul_f32_e32 v31, v32, v34
	v_mul_f32_e32 v33, v29, v31
	v_fma_f32 v35, v31, v29, -v33
	v_fmac_f32_e32 v35, v31, v26
	v_add_f32_e32 v36, v33, v35
	v_sub_f32_e32 v37, v32, v36
	v_sub_f32_e32 v32, v32, v37
	;; [unrolled: 1-line block ×4, first 2 shown]
	v_add_f32_e32 v30, v30, v32
	v_sub_f32_e32 v32, v33, v35
	v_add_f32_e32 v30, v32, v30
	v_add_f32_e32 v32, v37, v30
	v_mul_f32_e32 v33, v34, v32
	v_mul_f32_e32 v35, v29, v33
	v_fma_f32 v29, v33, v29, -v35
	v_fmac_f32_e32 v29, v33, v26
	v_sub_f32_e32 v26, v37, v32
	v_add_f32_e32 v26, v30, v26
	v_add_f32_e32 v30, v35, v29
	v_sub_f32_e32 v36, v32, v30
	v_sub_f32_e32 v32, v32, v36
	;; [unrolled: 1-line block ×4, first 2 shown]
	v_add_f32_e32 v26, v26, v30
	v_sub_f32_e32 v29, v35, v29
	v_add_f32_e32 v26, v29, v26
	v_add_f32_e32 v29, v31, v33
	;; [unrolled: 1-line block ×3, first 2 shown]
	v_sub_f32_e32 v30, v29, v31
	v_mul_f32_e32 v26, v34, v26
	v_sub_f32_e32 v30, v33, v30
	v_add_f32_e32 v26, v30, v26
	v_cvt_f32_i32_e32 v25, v25
	v_add_f32_e32 v30, v29, v26
	v_mul_f32_e32 v31, v30, v30
	v_mov_b32_e32 v32, 0x3ecc95a3
	v_fmac_f32_e32 v32, 0x3e9b6dac, v31
	v_mov_b32_e32 v33, 0x3f2aaada
	v_fmac_f32_e32 v33, v31, v32
	v_mul_f32_e32 v32, 0x3f317218, v25
	v_fma_f32 v34, v25, s3, -v32
	v_fmac_f32_e32 v34, 0xb102e308, v25
	v_sub_f32_e32 v25, v30, v29
	v_sub_f32_e32 v25, v26, v25
	v_add_f32_e32 v26, v32, v34
	v_sub_f32_e32 v29, v26, v32
	v_ldexp_f32 v32, v30, 1
	v_mul_f32_e32 v30, v30, v31
	v_mul_f32_e32 v30, v30, v33
	v_add_f32_e32 v31, v32, v30
	v_sub_f32_e32 v32, v31, v32
	v_ldexp_f32 v25, v25, 1
	v_sub_f32_e32 v30, v30, v32
	v_add_f32_e32 v25, v25, v30
	v_add_f32_e32 v30, v31, v25
	v_sub_f32_e32 v31, v30, v31
	v_sub_f32_e32 v25, v25, v31
	v_add_f32_e32 v31, v26, v30
	v_sub_f32_e32 v32, v31, v26
	v_sub_f32_e32 v33, v31, v32
	;; [unrolled: 1-line block ×5, first 2 shown]
	v_add_f32_e32 v26, v30, v26
	v_add_f32_e32 v30, v29, v25
	v_sub_f32_e32 v32, v30, v29
	v_sub_f32_e32 v33, v30, v32
	;; [unrolled: 1-line block ×4, first 2 shown]
	v_add_f32_e32 v26, v30, v26
	v_add_f32_e32 v25, v25, v29
	;; [unrolled: 1-line block ×3, first 2 shown]
	v_sub_f32_e32 v30, v29, v31
	v_sub_f32_e32 v26, v26, v30
	v_add_f32_e32 v25, v25, v26
	v_add_f32_e32 v25, v29, v25
	v_cmp_neq_f32_e32 vcc, s2, v28
	s_mov_b32 s2, 0x33800000
	v_cndmask_b32_e32 v25, v27, v25, vcc
	v_cmp_lt_f32_e64 vcc, |v28|, s2
	v_cndmask_b32_e32 v25, v25, v28, vcc
	v_add_f32_e32 v25, v8, v25
.LBB459_184:
	s_or_b64 exec, exec, s[0:1]
	v_bfe_u32 v8, v25, 16, 1
	s_movk_i32 s0, 0x7fff
	v_add3_u32 v8, v25, v8, s0
	v_cmp_o_f32_e32 vcc, v25, v25
	v_mov_b32_e32 v25, 0x7fc0
	s_mov_b32 s0, 0x5040100
	v_cndmask_b32_sdwa v8, v25, v8, vcc dst_sel:DWORD dst_unused:UNUSED_PAD src0_sel:DWORD src1_sel:WORD_1
	v_add_u32_e32 v25, v13, v53
	v_perm_b32 v4, v4, v16, s0
	v_perm_b32 v3, v3, v15, s0
	;; [unrolled: 1-line block ×4, first 2 shown]
	s_barrier
	ds_write_b128 v25, v[1:4]
	v_perm_b32 v3, v12, v20, s0
	v_perm_b32 v2, v11, v19, s0
	v_perm_b32 v1, v10, v18, s0
	v_perm_b32 v0, v9, v17, s0
	ds_write_b128 v25, v[0:3] offset:16
	v_perm_b32 v2, v7, v23, s0
	v_perm_b32 v1, v6, v22, s0
	;; [unrolled: 1-line block ×4, first 2 shown]
	ds_write_b128 v25, v[0:3] offset:32
	s_waitcnt lgkmcnt(0)
	s_barrier
	ds_read_u16 v25, v13 offset:512
	ds_read_u16 v24, v13 offset:1024
	;; [unrolled: 1-line block ×23, first 2 shown]
	v_mov_b32_e32 v1, s7
	v_add_co_u32_e32 v0, vcc, s6, v13
	v_addc_co_u32_e32 v1, vcc, 0, v1, vcc
	s_mov_b64 s[0:1], exec
	v_readlane_b32 s2, v73, 0
	v_readlane_b32 s3, v73, 1
	s_and_b64 s[2:3], s[0:1], s[2:3]
	s_mov_b64 exec, s[2:3]
	s_cbranch_execz .LBB459_186
; %bb.185:
	ds_read_u16 v13, v13
	s_waitcnt lgkmcnt(0)
	global_store_short v[0:1], v13, off
.LBB459_186:
	s_or_b64 exec, exec, s[0:1]
	s_mov_b64 s[0:1], exec
	v_readlane_b32 s2, v73, 2
	v_readlane_b32 s3, v73, 3
	s_and_b64 s[2:3], s[0:1], s[2:3]
	s_mov_b64 exec, s[2:3]
	s_cbranch_execz .LBB459_188
; %bb.187:
	s_waitcnt lgkmcnt(14)
	global_store_short v[0:1], v25, off offset:512
.LBB459_188:
	s_or_b64 exec, exec, s[0:1]
	s_mov_b64 s[0:1], exec
	v_readlane_b32 s2, v73, 4
	v_readlane_b32 s3, v73, 5
	s_and_b64 s[2:3], s[0:1], s[2:3]
	s_mov_b64 exec, s[2:3]
	s_cbranch_execz .LBB459_190
; %bb.189:
	s_waitcnt lgkmcnt(14)
	global_store_short v[0:1], v24, off offset:1024
.LBB459_190:
	s_or_b64 exec, exec, s[0:1]
	s_mov_b64 s[0:1], exec
	v_readlane_b32 s2, v73, 6
	v_readlane_b32 s3, v73, 7
	s_and_b64 s[2:3], s[0:1], s[2:3]
	s_mov_b64 exec, s[2:3]
	s_cbranch_execz .LBB459_192
; %bb.191:
	s_waitcnt lgkmcnt(14)
	global_store_short v[0:1], v23, off offset:1536
.LBB459_192:
	s_or_b64 exec, exec, s[0:1]
	s_mov_b64 s[0:1], exec
	v_readlane_b32 s2, v73, 8
	v_readlane_b32 s3, v73, 9
	s_and_b64 s[2:3], s[0:1], s[2:3]
	s_mov_b64 exec, s[2:3]
	s_cbranch_execz .LBB459_194
; %bb.193:
	s_waitcnt lgkmcnt(14)
	global_store_short v[0:1], v22, off offset:2048
.LBB459_194:
	s_or_b64 exec, exec, s[0:1]
	s_mov_b64 s[0:1], exec
	v_readlane_b32 s2, v73, 10
	v_readlane_b32 s3, v73, 11
	s_and_b64 s[2:3], s[0:1], s[2:3]
	s_mov_b64 exec, s[2:3]
	s_cbranch_execz .LBB459_196
; %bb.195:
	s_waitcnt lgkmcnt(14)
	global_store_short v[0:1], v21, off offset:2560
.LBB459_196:
	s_or_b64 exec, exec, s[0:1]
	s_mov_b64 s[0:1], exec
	v_readlane_b32 s2, v73, 12
	v_readlane_b32 s3, v73, 13
	s_and_b64 s[2:3], s[0:1], s[2:3]
	s_mov_b64 exec, s[2:3]
	s_cbranch_execnz .LBB459_215
; %bb.197:
	s_or_b64 exec, exec, s[0:1]
	s_and_saveexec_b64 s[0:1], s[14:15]
	s_cbranch_execnz .LBB459_216
.LBB459_198:
	s_or_b64 exec, exec, s[0:1]
	s_and_saveexec_b64 s[0:1], s[16:17]
	s_cbranch_execnz .LBB459_217
.LBB459_199:
	s_or_b64 exec, exec, s[0:1]
	s_and_saveexec_b64 s[0:1], s[18:19]
	s_cbranch_execnz .LBB459_218
.LBB459_200:
	s_or_b64 exec, exec, s[0:1]
	s_and_saveexec_b64 s[0:1], s[20:21]
	s_cbranch_execnz .LBB459_219
.LBB459_201:
	s_or_b64 exec, exec, s[0:1]
	s_and_saveexec_b64 s[0:1], s[22:23]
	s_cbranch_execnz .LBB459_220
.LBB459_202:
	s_or_b64 exec, exec, s[0:1]
	s_and_saveexec_b64 s[0:1], s[24:25]
	s_cbranch_execnz .LBB459_221
.LBB459_203:
	s_or_b64 exec, exec, s[0:1]
	s_and_saveexec_b64 s[0:1], s[26:27]
	s_cbranch_execnz .LBB459_222
.LBB459_204:
	s_or_b64 exec, exec, s[0:1]
	s_and_saveexec_b64 s[0:1], s[28:29]
	s_cbranch_execnz .LBB459_223
.LBB459_205:
	s_or_b64 exec, exec, s[0:1]
	s_and_saveexec_b64 s[0:1], s[30:31]
	s_cbranch_execnz .LBB459_224
.LBB459_206:
	s_or_b64 exec, exec, s[0:1]
	s_and_saveexec_b64 s[0:1], s[34:35]
	s_cbranch_execnz .LBB459_225
.LBB459_207:
	s_or_b64 exec, exec, s[0:1]
	s_and_saveexec_b64 s[0:1], s[36:37]
	s_cbranch_execnz .LBB459_226
.LBB459_208:
	s_or_b64 exec, exec, s[0:1]
	s_and_saveexec_b64 s[0:1], s[38:39]
	s_cbranch_execnz .LBB459_227
.LBB459_209:
	s_or_b64 exec, exec, s[0:1]
	s_and_saveexec_b64 s[0:1], s[40:41]
	s_cbranch_execnz .LBB459_228
.LBB459_210:
	s_or_b64 exec, exec, s[0:1]
	s_and_saveexec_b64 s[0:1], s[42:43]
	s_cbranch_execnz .LBB459_229
.LBB459_211:
	s_or_b64 exec, exec, s[0:1]
	s_and_saveexec_b64 s[0:1], s[44:45]
	s_cbranch_execnz .LBB459_230
.LBB459_212:
	s_or_b64 exec, exec, s[0:1]
	s_and_saveexec_b64 s[0:1], s[46:47]
	s_cbranch_execnz .LBB459_231
.LBB459_213:
	s_or_b64 exec, exec, s[0:1]
	s_and_saveexec_b64 s[0:1], s[48:49]
	s_cbranch_execnz .LBB459_232
.LBB459_214:
	s_endpgm
.LBB459_215:
	s_waitcnt lgkmcnt(14)
	global_store_short v[0:1], v20, off offset:3072
	s_or_b64 exec, exec, s[0:1]
	s_and_saveexec_b64 s[0:1], s[14:15]
	s_cbranch_execz .LBB459_198
.LBB459_216:
	s_waitcnt lgkmcnt(14)
	global_store_short v[0:1], v19, off offset:3584
	s_or_b64 exec, exec, s[0:1]
	s_and_saveexec_b64 s[0:1], s[16:17]
	s_cbranch_execz .LBB459_199
.LBB459_217:
	s_waitcnt lgkmcnt(14)
	v_add_co_u32_e32 v19, vcc, 0x1000, v0
	v_addc_co_u32_e32 v20, vcc, 0, v1, vcc
	global_store_short v[19:20], v18, off
	s_or_b64 exec, exec, s[0:1]
	s_and_saveexec_b64 s[0:1], s[18:19]
	s_cbranch_execz .LBB459_200
.LBB459_218:
	s_waitcnt lgkmcnt(14)
	v_add_co_u32_e32 v18, vcc, 0x1000, v0
	v_addc_co_u32_e32 v19, vcc, 0, v1, vcc
	global_store_short v[18:19], v17, off offset:512
	s_or_b64 exec, exec, s[0:1]
	s_and_saveexec_b64 s[0:1], s[20:21]
	s_cbranch_execz .LBB459_201
.LBB459_219:
	s_waitcnt lgkmcnt(14)
	v_add_co_u32_e32 v17, vcc, 0x1000, v0
	v_addc_co_u32_e32 v18, vcc, 0, v1, vcc
	s_waitcnt lgkmcnt(13)
	global_store_short v[17:18], v16, off offset:1024
	s_or_b64 exec, exec, s[0:1]
	s_and_saveexec_b64 s[0:1], s[22:23]
	s_cbranch_execz .LBB459_202
.LBB459_220:
	s_waitcnt lgkmcnt(13)
	v_add_co_u32_e32 v16, vcc, 0x1000, v0
	v_addc_co_u32_e32 v17, vcc, 0, v1, vcc
	s_waitcnt lgkmcnt(12)
	global_store_short v[16:17], v15, off offset:1536
	s_or_b64 exec, exec, s[0:1]
	s_and_saveexec_b64 s[0:1], s[24:25]
	s_cbranch_execz .LBB459_203
.LBB459_221:
	s_waitcnt lgkmcnt(12)
	v_add_co_u32_e32 v15, vcc, 0x1000, v0
	v_addc_co_u32_e32 v16, vcc, 0, v1, vcc
	s_waitcnt lgkmcnt(11)
	global_store_short v[15:16], v14, off offset:2048
	s_or_b64 exec, exec, s[0:1]
	s_and_saveexec_b64 s[0:1], s[26:27]
	s_cbranch_execz .LBB459_204
.LBB459_222:
	v_add_co_u32_e32 v13, vcc, 0x1000, v0
	s_waitcnt lgkmcnt(11)
	v_addc_co_u32_e32 v14, vcc, 0, v1, vcc
	s_waitcnt lgkmcnt(10)
	global_store_short v[13:14], v12, off offset:2560
	s_or_b64 exec, exec, s[0:1]
	s_and_saveexec_b64 s[0:1], s[28:29]
	s_cbranch_execz .LBB459_205
.LBB459_223:
	s_waitcnt lgkmcnt(10)
	v_add_co_u32_e32 v12, vcc, 0x1000, v0
	v_addc_co_u32_e32 v13, vcc, 0, v1, vcc
	s_waitcnt lgkmcnt(9)
	global_store_short v[12:13], v11, off offset:3072
	s_or_b64 exec, exec, s[0:1]
	s_and_saveexec_b64 s[0:1], s[30:31]
	s_cbranch_execz .LBB459_206
.LBB459_224:
	s_waitcnt lgkmcnt(9)
	v_add_co_u32_e32 v11, vcc, 0x1000, v0
	v_addc_co_u32_e32 v12, vcc, 0, v1, vcc
	s_waitcnt lgkmcnt(8)
	global_store_short v[11:12], v10, off offset:3584
	s_or_b64 exec, exec, s[0:1]
	s_and_saveexec_b64 s[0:1], s[34:35]
	s_cbranch_execz .LBB459_207
.LBB459_225:
	s_waitcnt lgkmcnt(8)
	v_add_co_u32_e32 v10, vcc, 0x2000, v0
	v_addc_co_u32_e32 v11, vcc, 0, v1, vcc
	s_waitcnt lgkmcnt(7)
	global_store_short v[10:11], v9, off
	s_or_b64 exec, exec, s[0:1]
	s_and_saveexec_b64 s[0:1], s[36:37]
	s_cbranch_execz .LBB459_208
.LBB459_226:
	s_waitcnt lgkmcnt(7)
	v_add_co_u32_e32 v9, vcc, 0x2000, v0
	v_addc_co_u32_e32 v10, vcc, 0, v1, vcc
	s_waitcnt lgkmcnt(6)
	global_store_short v[9:10], v8, off offset:512
	s_or_b64 exec, exec, s[0:1]
	s_and_saveexec_b64 s[0:1], s[38:39]
	s_cbranch_execz .LBB459_209
.LBB459_227:
	s_waitcnt lgkmcnt(6)
	v_add_co_u32_e32 v8, vcc, 0x2000, v0
	v_addc_co_u32_e32 v9, vcc, 0, v1, vcc
	s_waitcnt lgkmcnt(5)
	global_store_short v[8:9], v7, off offset:1024
	s_or_b64 exec, exec, s[0:1]
	s_and_saveexec_b64 s[0:1], s[40:41]
	s_cbranch_execz .LBB459_210
.LBB459_228:
	s_waitcnt lgkmcnt(5)
	v_add_co_u32_e32 v7, vcc, 0x2000, v0
	v_addc_co_u32_e32 v8, vcc, 0, v1, vcc
	s_waitcnt lgkmcnt(4)
	global_store_short v[7:8], v6, off offset:1536
	s_or_b64 exec, exec, s[0:1]
	s_and_saveexec_b64 s[0:1], s[42:43]
	s_cbranch_execz .LBB459_211
.LBB459_229:
	s_waitcnt lgkmcnt(4)
	v_add_co_u32_e32 v6, vcc, 0x2000, v0
	v_addc_co_u32_e32 v7, vcc, 0, v1, vcc
	s_waitcnt lgkmcnt(3)
	global_store_short v[6:7], v5, off offset:2048
	s_or_b64 exec, exec, s[0:1]
	s_and_saveexec_b64 s[0:1], s[44:45]
	s_cbranch_execz .LBB459_212
.LBB459_230:
	s_waitcnt lgkmcnt(3)
	v_add_co_u32_e32 v5, vcc, 0x2000, v0
	v_addc_co_u32_e32 v6, vcc, 0, v1, vcc
	s_waitcnt lgkmcnt(2)
	global_store_short v[5:6], v4, off offset:2560
	s_or_b64 exec, exec, s[0:1]
	s_and_saveexec_b64 s[0:1], s[46:47]
	s_cbranch_execz .LBB459_213
.LBB459_231:
	s_waitcnt lgkmcnt(2)
	v_add_co_u32_e32 v4, vcc, 0x2000, v0
	v_addc_co_u32_e32 v5, vcc, 0, v1, vcc
	s_waitcnt lgkmcnt(1)
	global_store_short v[4:5], v3, off offset:3072
	s_or_b64 exec, exec, s[0:1]
	s_and_saveexec_b64 s[0:1], s[48:49]
	s_cbranch_execz .LBB459_214
.LBB459_232:
	v_add_co_u32_e32 v0, vcc, 0x2000, v0
	v_addc_co_u32_e32 v1, vcc, 0, v1, vcc
	s_waitcnt lgkmcnt(0)
	global_store_short v[0:1], v2, off offset:3584
	s_endpgm
	.section	.rodata,"a",@progbits
	.p2align	6, 0x0
	.amdhsa_kernel _ZN7rocprim17ROCPRIM_400000_NS6detail17trampoline_kernelINS0_14default_configENS1_20scan_config_selectorIN3c108BFloat16EEEZZNS1_9scan_implILNS1_25lookback_scan_determinismE0ELb0ELb0ES3_PKS6_PS6_S6_ZZZN2at6native31launch_logcumsumexp_cuda_kernelERKNSD_10TensorBaseESH_lENKUlvE_clEvENKUlvE4_clEvEUlS6_S6_E_S6_EEDaPvRmT3_T4_T5_mT6_P12ihipStream_tbENKUlT_T0_E_clISt17integral_constantIbLb0EESY_EEDaST_SU_EUlST_E0_NS1_11comp_targetILNS1_3genE2ELNS1_11target_archE906ELNS1_3gpuE6ELNS1_3repE0EEENS1_30default_config_static_selectorELNS0_4arch9wavefront6targetE1EEEvT1_
		.amdhsa_group_segment_fixed_size 12288
		.amdhsa_private_segment_fixed_size 0
		.amdhsa_kernarg_size 32
		.amdhsa_user_sgpr_count 6
		.amdhsa_user_sgpr_private_segment_buffer 1
		.amdhsa_user_sgpr_dispatch_ptr 0
		.amdhsa_user_sgpr_queue_ptr 0
		.amdhsa_user_sgpr_kernarg_segment_ptr 1
		.amdhsa_user_sgpr_dispatch_id 0
		.amdhsa_user_sgpr_flat_scratch_init 0
		.amdhsa_user_sgpr_private_segment_size 0
		.amdhsa_uses_dynamic_stack 0
		.amdhsa_system_sgpr_private_segment_wavefront_offset 0
		.amdhsa_system_sgpr_workgroup_id_x 1
		.amdhsa_system_sgpr_workgroup_id_y 0
		.amdhsa_system_sgpr_workgroup_id_z 0
		.amdhsa_system_sgpr_workgroup_info 0
		.amdhsa_system_vgpr_workitem_id 0
		.amdhsa_next_free_vgpr 74
		.amdhsa_next_free_sgpr 98
		.amdhsa_reserve_vcc 1
		.amdhsa_reserve_flat_scratch 0
		.amdhsa_float_round_mode_32 0
		.amdhsa_float_round_mode_16_64 0
		.amdhsa_float_denorm_mode_32 3
		.amdhsa_float_denorm_mode_16_64 3
		.amdhsa_dx10_clamp 1
		.amdhsa_ieee_mode 1
		.amdhsa_fp16_overflow 0
		.amdhsa_exception_fp_ieee_invalid_op 0
		.amdhsa_exception_fp_denorm_src 0
		.amdhsa_exception_fp_ieee_div_zero 0
		.amdhsa_exception_fp_ieee_overflow 0
		.amdhsa_exception_fp_ieee_underflow 0
		.amdhsa_exception_fp_ieee_inexact 0
		.amdhsa_exception_int_div_zero 0
	.end_amdhsa_kernel
	.section	.text._ZN7rocprim17ROCPRIM_400000_NS6detail17trampoline_kernelINS0_14default_configENS1_20scan_config_selectorIN3c108BFloat16EEEZZNS1_9scan_implILNS1_25lookback_scan_determinismE0ELb0ELb0ES3_PKS6_PS6_S6_ZZZN2at6native31launch_logcumsumexp_cuda_kernelERKNSD_10TensorBaseESH_lENKUlvE_clEvENKUlvE4_clEvEUlS6_S6_E_S6_EEDaPvRmT3_T4_T5_mT6_P12ihipStream_tbENKUlT_T0_E_clISt17integral_constantIbLb0EESY_EEDaST_SU_EUlST_E0_NS1_11comp_targetILNS1_3genE2ELNS1_11target_archE906ELNS1_3gpuE6ELNS1_3repE0EEENS1_30default_config_static_selectorELNS0_4arch9wavefront6targetE1EEEvT1_,"axG",@progbits,_ZN7rocprim17ROCPRIM_400000_NS6detail17trampoline_kernelINS0_14default_configENS1_20scan_config_selectorIN3c108BFloat16EEEZZNS1_9scan_implILNS1_25lookback_scan_determinismE0ELb0ELb0ES3_PKS6_PS6_S6_ZZZN2at6native31launch_logcumsumexp_cuda_kernelERKNSD_10TensorBaseESH_lENKUlvE_clEvENKUlvE4_clEvEUlS6_S6_E_S6_EEDaPvRmT3_T4_T5_mT6_P12ihipStream_tbENKUlT_T0_E_clISt17integral_constantIbLb0EESY_EEDaST_SU_EUlST_E0_NS1_11comp_targetILNS1_3genE2ELNS1_11target_archE906ELNS1_3gpuE6ELNS1_3repE0EEENS1_30default_config_static_selectorELNS0_4arch9wavefront6targetE1EEEvT1_,comdat
.Lfunc_end459:
	.size	_ZN7rocprim17ROCPRIM_400000_NS6detail17trampoline_kernelINS0_14default_configENS1_20scan_config_selectorIN3c108BFloat16EEEZZNS1_9scan_implILNS1_25lookback_scan_determinismE0ELb0ELb0ES3_PKS6_PS6_S6_ZZZN2at6native31launch_logcumsumexp_cuda_kernelERKNSD_10TensorBaseESH_lENKUlvE_clEvENKUlvE4_clEvEUlS6_S6_E_S6_EEDaPvRmT3_T4_T5_mT6_P12ihipStream_tbENKUlT_T0_E_clISt17integral_constantIbLb0EESY_EEDaST_SU_EUlST_E0_NS1_11comp_targetILNS1_3genE2ELNS1_11target_archE906ELNS1_3gpuE6ELNS1_3repE0EEENS1_30default_config_static_selectorELNS0_4arch9wavefront6targetE1EEEvT1_, .Lfunc_end459-_ZN7rocprim17ROCPRIM_400000_NS6detail17trampoline_kernelINS0_14default_configENS1_20scan_config_selectorIN3c108BFloat16EEEZZNS1_9scan_implILNS1_25lookback_scan_determinismE0ELb0ELb0ES3_PKS6_PS6_S6_ZZZN2at6native31launch_logcumsumexp_cuda_kernelERKNSD_10TensorBaseESH_lENKUlvE_clEvENKUlvE4_clEvEUlS6_S6_E_S6_EEDaPvRmT3_T4_T5_mT6_P12ihipStream_tbENKUlT_T0_E_clISt17integral_constantIbLb0EESY_EEDaST_SU_EUlST_E0_NS1_11comp_targetILNS1_3genE2ELNS1_11target_archE906ELNS1_3gpuE6ELNS1_3repE0EEENS1_30default_config_static_selectorELNS0_4arch9wavefront6targetE1EEEvT1_
                                        ; -- End function
	.set _ZN7rocprim17ROCPRIM_400000_NS6detail17trampoline_kernelINS0_14default_configENS1_20scan_config_selectorIN3c108BFloat16EEEZZNS1_9scan_implILNS1_25lookback_scan_determinismE0ELb0ELb0ES3_PKS6_PS6_S6_ZZZN2at6native31launch_logcumsumexp_cuda_kernelERKNSD_10TensorBaseESH_lENKUlvE_clEvENKUlvE4_clEvEUlS6_S6_E_S6_EEDaPvRmT3_T4_T5_mT6_P12ihipStream_tbENKUlT_T0_E_clISt17integral_constantIbLb0EESY_EEDaST_SU_EUlST_E0_NS1_11comp_targetILNS1_3genE2ELNS1_11target_archE906ELNS1_3gpuE6ELNS1_3repE0EEENS1_30default_config_static_selectorELNS0_4arch9wavefront6targetE1EEEvT1_.num_vgpr, 74
	.set _ZN7rocprim17ROCPRIM_400000_NS6detail17trampoline_kernelINS0_14default_configENS1_20scan_config_selectorIN3c108BFloat16EEEZZNS1_9scan_implILNS1_25lookback_scan_determinismE0ELb0ELb0ES3_PKS6_PS6_S6_ZZZN2at6native31launch_logcumsumexp_cuda_kernelERKNSD_10TensorBaseESH_lENKUlvE_clEvENKUlvE4_clEvEUlS6_S6_E_S6_EEDaPvRmT3_T4_T5_mT6_P12ihipStream_tbENKUlT_T0_E_clISt17integral_constantIbLb0EESY_EEDaST_SU_EUlST_E0_NS1_11comp_targetILNS1_3genE2ELNS1_11target_archE906ELNS1_3gpuE6ELNS1_3repE0EEENS1_30default_config_static_selectorELNS0_4arch9wavefront6targetE1EEEvT1_.num_agpr, 0
	.set _ZN7rocprim17ROCPRIM_400000_NS6detail17trampoline_kernelINS0_14default_configENS1_20scan_config_selectorIN3c108BFloat16EEEZZNS1_9scan_implILNS1_25lookback_scan_determinismE0ELb0ELb0ES3_PKS6_PS6_S6_ZZZN2at6native31launch_logcumsumexp_cuda_kernelERKNSD_10TensorBaseESH_lENKUlvE_clEvENKUlvE4_clEvEUlS6_S6_E_S6_EEDaPvRmT3_T4_T5_mT6_P12ihipStream_tbENKUlT_T0_E_clISt17integral_constantIbLb0EESY_EEDaST_SU_EUlST_E0_NS1_11comp_targetILNS1_3genE2ELNS1_11target_archE906ELNS1_3gpuE6ELNS1_3repE0EEENS1_30default_config_static_selectorELNS0_4arch9wavefront6targetE1EEEvT1_.numbered_sgpr, 96
	.set _ZN7rocprim17ROCPRIM_400000_NS6detail17trampoline_kernelINS0_14default_configENS1_20scan_config_selectorIN3c108BFloat16EEEZZNS1_9scan_implILNS1_25lookback_scan_determinismE0ELb0ELb0ES3_PKS6_PS6_S6_ZZZN2at6native31launch_logcumsumexp_cuda_kernelERKNSD_10TensorBaseESH_lENKUlvE_clEvENKUlvE4_clEvEUlS6_S6_E_S6_EEDaPvRmT3_T4_T5_mT6_P12ihipStream_tbENKUlT_T0_E_clISt17integral_constantIbLb0EESY_EEDaST_SU_EUlST_E0_NS1_11comp_targetILNS1_3genE2ELNS1_11target_archE906ELNS1_3gpuE6ELNS1_3repE0EEENS1_30default_config_static_selectorELNS0_4arch9wavefront6targetE1EEEvT1_.num_named_barrier, 0
	.set _ZN7rocprim17ROCPRIM_400000_NS6detail17trampoline_kernelINS0_14default_configENS1_20scan_config_selectorIN3c108BFloat16EEEZZNS1_9scan_implILNS1_25lookback_scan_determinismE0ELb0ELb0ES3_PKS6_PS6_S6_ZZZN2at6native31launch_logcumsumexp_cuda_kernelERKNSD_10TensorBaseESH_lENKUlvE_clEvENKUlvE4_clEvEUlS6_S6_E_S6_EEDaPvRmT3_T4_T5_mT6_P12ihipStream_tbENKUlT_T0_E_clISt17integral_constantIbLb0EESY_EEDaST_SU_EUlST_E0_NS1_11comp_targetILNS1_3genE2ELNS1_11target_archE906ELNS1_3gpuE6ELNS1_3repE0EEENS1_30default_config_static_selectorELNS0_4arch9wavefront6targetE1EEEvT1_.private_seg_size, 0
	.set _ZN7rocprim17ROCPRIM_400000_NS6detail17trampoline_kernelINS0_14default_configENS1_20scan_config_selectorIN3c108BFloat16EEEZZNS1_9scan_implILNS1_25lookback_scan_determinismE0ELb0ELb0ES3_PKS6_PS6_S6_ZZZN2at6native31launch_logcumsumexp_cuda_kernelERKNSD_10TensorBaseESH_lENKUlvE_clEvENKUlvE4_clEvEUlS6_S6_E_S6_EEDaPvRmT3_T4_T5_mT6_P12ihipStream_tbENKUlT_T0_E_clISt17integral_constantIbLb0EESY_EEDaST_SU_EUlST_E0_NS1_11comp_targetILNS1_3genE2ELNS1_11target_archE906ELNS1_3gpuE6ELNS1_3repE0EEENS1_30default_config_static_selectorELNS0_4arch9wavefront6targetE1EEEvT1_.uses_vcc, 1
	.set _ZN7rocprim17ROCPRIM_400000_NS6detail17trampoline_kernelINS0_14default_configENS1_20scan_config_selectorIN3c108BFloat16EEEZZNS1_9scan_implILNS1_25lookback_scan_determinismE0ELb0ELb0ES3_PKS6_PS6_S6_ZZZN2at6native31launch_logcumsumexp_cuda_kernelERKNSD_10TensorBaseESH_lENKUlvE_clEvENKUlvE4_clEvEUlS6_S6_E_S6_EEDaPvRmT3_T4_T5_mT6_P12ihipStream_tbENKUlT_T0_E_clISt17integral_constantIbLb0EESY_EEDaST_SU_EUlST_E0_NS1_11comp_targetILNS1_3genE2ELNS1_11target_archE906ELNS1_3gpuE6ELNS1_3repE0EEENS1_30default_config_static_selectorELNS0_4arch9wavefront6targetE1EEEvT1_.uses_flat_scratch, 0
	.set _ZN7rocprim17ROCPRIM_400000_NS6detail17trampoline_kernelINS0_14default_configENS1_20scan_config_selectorIN3c108BFloat16EEEZZNS1_9scan_implILNS1_25lookback_scan_determinismE0ELb0ELb0ES3_PKS6_PS6_S6_ZZZN2at6native31launch_logcumsumexp_cuda_kernelERKNSD_10TensorBaseESH_lENKUlvE_clEvENKUlvE4_clEvEUlS6_S6_E_S6_EEDaPvRmT3_T4_T5_mT6_P12ihipStream_tbENKUlT_T0_E_clISt17integral_constantIbLb0EESY_EEDaST_SU_EUlST_E0_NS1_11comp_targetILNS1_3genE2ELNS1_11target_archE906ELNS1_3gpuE6ELNS1_3repE0EEENS1_30default_config_static_selectorELNS0_4arch9wavefront6targetE1EEEvT1_.has_dyn_sized_stack, 0
	.set _ZN7rocprim17ROCPRIM_400000_NS6detail17trampoline_kernelINS0_14default_configENS1_20scan_config_selectorIN3c108BFloat16EEEZZNS1_9scan_implILNS1_25lookback_scan_determinismE0ELb0ELb0ES3_PKS6_PS6_S6_ZZZN2at6native31launch_logcumsumexp_cuda_kernelERKNSD_10TensorBaseESH_lENKUlvE_clEvENKUlvE4_clEvEUlS6_S6_E_S6_EEDaPvRmT3_T4_T5_mT6_P12ihipStream_tbENKUlT_T0_E_clISt17integral_constantIbLb0EESY_EEDaST_SU_EUlST_E0_NS1_11comp_targetILNS1_3genE2ELNS1_11target_archE906ELNS1_3gpuE6ELNS1_3repE0EEENS1_30default_config_static_selectorELNS0_4arch9wavefront6targetE1EEEvT1_.has_recursion, 0
	.set _ZN7rocprim17ROCPRIM_400000_NS6detail17trampoline_kernelINS0_14default_configENS1_20scan_config_selectorIN3c108BFloat16EEEZZNS1_9scan_implILNS1_25lookback_scan_determinismE0ELb0ELb0ES3_PKS6_PS6_S6_ZZZN2at6native31launch_logcumsumexp_cuda_kernelERKNSD_10TensorBaseESH_lENKUlvE_clEvENKUlvE4_clEvEUlS6_S6_E_S6_EEDaPvRmT3_T4_T5_mT6_P12ihipStream_tbENKUlT_T0_E_clISt17integral_constantIbLb0EESY_EEDaST_SU_EUlST_E0_NS1_11comp_targetILNS1_3genE2ELNS1_11target_archE906ELNS1_3gpuE6ELNS1_3repE0EEENS1_30default_config_static_selectorELNS0_4arch9wavefront6targetE1EEEvT1_.has_indirect_call, 0
	.section	.AMDGPU.csdata,"",@progbits
; Kernel info:
; codeLenInByte = 48648
; TotalNumSgprs: 100
; NumVgprs: 74
; ScratchSize: 0
; MemoryBound: 0
; FloatMode: 240
; IeeeMode: 1
; LDSByteSize: 12288 bytes/workgroup (compile time only)
; SGPRBlocks: 12
; VGPRBlocks: 18
; NumSGPRsForWavesPerEU: 102
; NumVGPRsForWavesPerEU: 74
; Occupancy: 3
; WaveLimiterHint : 0
; COMPUTE_PGM_RSRC2:SCRATCH_EN: 0
; COMPUTE_PGM_RSRC2:USER_SGPR: 6
; COMPUTE_PGM_RSRC2:TRAP_HANDLER: 0
; COMPUTE_PGM_RSRC2:TGID_X_EN: 1
; COMPUTE_PGM_RSRC2:TGID_Y_EN: 0
; COMPUTE_PGM_RSRC2:TGID_Z_EN: 0
; COMPUTE_PGM_RSRC2:TIDIG_COMP_CNT: 0
	.section	.text._ZN7rocprim17ROCPRIM_400000_NS6detail17trampoline_kernelINS0_14default_configENS1_20scan_config_selectorIN3c108BFloat16EEEZZNS1_9scan_implILNS1_25lookback_scan_determinismE0ELb0ELb0ES3_PKS6_PS6_S6_ZZZN2at6native31launch_logcumsumexp_cuda_kernelERKNSD_10TensorBaseESH_lENKUlvE_clEvENKUlvE4_clEvEUlS6_S6_E_S6_EEDaPvRmT3_T4_T5_mT6_P12ihipStream_tbENKUlT_T0_E_clISt17integral_constantIbLb0EESY_EEDaST_SU_EUlST_E0_NS1_11comp_targetILNS1_3genE10ELNS1_11target_archE1201ELNS1_3gpuE5ELNS1_3repE0EEENS1_30default_config_static_selectorELNS0_4arch9wavefront6targetE1EEEvT1_,"axG",@progbits,_ZN7rocprim17ROCPRIM_400000_NS6detail17trampoline_kernelINS0_14default_configENS1_20scan_config_selectorIN3c108BFloat16EEEZZNS1_9scan_implILNS1_25lookback_scan_determinismE0ELb0ELb0ES3_PKS6_PS6_S6_ZZZN2at6native31launch_logcumsumexp_cuda_kernelERKNSD_10TensorBaseESH_lENKUlvE_clEvENKUlvE4_clEvEUlS6_S6_E_S6_EEDaPvRmT3_T4_T5_mT6_P12ihipStream_tbENKUlT_T0_E_clISt17integral_constantIbLb0EESY_EEDaST_SU_EUlST_E0_NS1_11comp_targetILNS1_3genE10ELNS1_11target_archE1201ELNS1_3gpuE5ELNS1_3repE0EEENS1_30default_config_static_selectorELNS0_4arch9wavefront6targetE1EEEvT1_,comdat
	.globl	_ZN7rocprim17ROCPRIM_400000_NS6detail17trampoline_kernelINS0_14default_configENS1_20scan_config_selectorIN3c108BFloat16EEEZZNS1_9scan_implILNS1_25lookback_scan_determinismE0ELb0ELb0ES3_PKS6_PS6_S6_ZZZN2at6native31launch_logcumsumexp_cuda_kernelERKNSD_10TensorBaseESH_lENKUlvE_clEvENKUlvE4_clEvEUlS6_S6_E_S6_EEDaPvRmT3_T4_T5_mT6_P12ihipStream_tbENKUlT_T0_E_clISt17integral_constantIbLb0EESY_EEDaST_SU_EUlST_E0_NS1_11comp_targetILNS1_3genE10ELNS1_11target_archE1201ELNS1_3gpuE5ELNS1_3repE0EEENS1_30default_config_static_selectorELNS0_4arch9wavefront6targetE1EEEvT1_ ; -- Begin function _ZN7rocprim17ROCPRIM_400000_NS6detail17trampoline_kernelINS0_14default_configENS1_20scan_config_selectorIN3c108BFloat16EEEZZNS1_9scan_implILNS1_25lookback_scan_determinismE0ELb0ELb0ES3_PKS6_PS6_S6_ZZZN2at6native31launch_logcumsumexp_cuda_kernelERKNSD_10TensorBaseESH_lENKUlvE_clEvENKUlvE4_clEvEUlS6_S6_E_S6_EEDaPvRmT3_T4_T5_mT6_P12ihipStream_tbENKUlT_T0_E_clISt17integral_constantIbLb0EESY_EEDaST_SU_EUlST_E0_NS1_11comp_targetILNS1_3genE10ELNS1_11target_archE1201ELNS1_3gpuE5ELNS1_3repE0EEENS1_30default_config_static_selectorELNS0_4arch9wavefront6targetE1EEEvT1_
	.p2align	8
	.type	_ZN7rocprim17ROCPRIM_400000_NS6detail17trampoline_kernelINS0_14default_configENS1_20scan_config_selectorIN3c108BFloat16EEEZZNS1_9scan_implILNS1_25lookback_scan_determinismE0ELb0ELb0ES3_PKS6_PS6_S6_ZZZN2at6native31launch_logcumsumexp_cuda_kernelERKNSD_10TensorBaseESH_lENKUlvE_clEvENKUlvE4_clEvEUlS6_S6_E_S6_EEDaPvRmT3_T4_T5_mT6_P12ihipStream_tbENKUlT_T0_E_clISt17integral_constantIbLb0EESY_EEDaST_SU_EUlST_E0_NS1_11comp_targetILNS1_3genE10ELNS1_11target_archE1201ELNS1_3gpuE5ELNS1_3repE0EEENS1_30default_config_static_selectorELNS0_4arch9wavefront6targetE1EEEvT1_,@function
_ZN7rocprim17ROCPRIM_400000_NS6detail17trampoline_kernelINS0_14default_configENS1_20scan_config_selectorIN3c108BFloat16EEEZZNS1_9scan_implILNS1_25lookback_scan_determinismE0ELb0ELb0ES3_PKS6_PS6_S6_ZZZN2at6native31launch_logcumsumexp_cuda_kernelERKNSD_10TensorBaseESH_lENKUlvE_clEvENKUlvE4_clEvEUlS6_S6_E_S6_EEDaPvRmT3_T4_T5_mT6_P12ihipStream_tbENKUlT_T0_E_clISt17integral_constantIbLb0EESY_EEDaST_SU_EUlST_E0_NS1_11comp_targetILNS1_3genE10ELNS1_11target_archE1201ELNS1_3gpuE5ELNS1_3repE0EEENS1_30default_config_static_selectorELNS0_4arch9wavefront6targetE1EEEvT1_: ; @_ZN7rocprim17ROCPRIM_400000_NS6detail17trampoline_kernelINS0_14default_configENS1_20scan_config_selectorIN3c108BFloat16EEEZZNS1_9scan_implILNS1_25lookback_scan_determinismE0ELb0ELb0ES3_PKS6_PS6_S6_ZZZN2at6native31launch_logcumsumexp_cuda_kernelERKNSD_10TensorBaseESH_lENKUlvE_clEvENKUlvE4_clEvEUlS6_S6_E_S6_EEDaPvRmT3_T4_T5_mT6_P12ihipStream_tbENKUlT_T0_E_clISt17integral_constantIbLb0EESY_EEDaST_SU_EUlST_E0_NS1_11comp_targetILNS1_3genE10ELNS1_11target_archE1201ELNS1_3gpuE5ELNS1_3repE0EEENS1_30default_config_static_selectorELNS0_4arch9wavefront6targetE1EEEvT1_
; %bb.0:
	.section	.rodata,"a",@progbits
	.p2align	6, 0x0
	.amdhsa_kernel _ZN7rocprim17ROCPRIM_400000_NS6detail17trampoline_kernelINS0_14default_configENS1_20scan_config_selectorIN3c108BFloat16EEEZZNS1_9scan_implILNS1_25lookback_scan_determinismE0ELb0ELb0ES3_PKS6_PS6_S6_ZZZN2at6native31launch_logcumsumexp_cuda_kernelERKNSD_10TensorBaseESH_lENKUlvE_clEvENKUlvE4_clEvEUlS6_S6_E_S6_EEDaPvRmT3_T4_T5_mT6_P12ihipStream_tbENKUlT_T0_E_clISt17integral_constantIbLb0EESY_EEDaST_SU_EUlST_E0_NS1_11comp_targetILNS1_3genE10ELNS1_11target_archE1201ELNS1_3gpuE5ELNS1_3repE0EEENS1_30default_config_static_selectorELNS0_4arch9wavefront6targetE1EEEvT1_
		.amdhsa_group_segment_fixed_size 0
		.amdhsa_private_segment_fixed_size 0
		.amdhsa_kernarg_size 32
		.amdhsa_user_sgpr_count 6
		.amdhsa_user_sgpr_private_segment_buffer 1
		.amdhsa_user_sgpr_dispatch_ptr 0
		.amdhsa_user_sgpr_queue_ptr 0
		.amdhsa_user_sgpr_kernarg_segment_ptr 1
		.amdhsa_user_sgpr_dispatch_id 0
		.amdhsa_user_sgpr_flat_scratch_init 0
		.amdhsa_user_sgpr_private_segment_size 0
		.amdhsa_uses_dynamic_stack 0
		.amdhsa_system_sgpr_private_segment_wavefront_offset 0
		.amdhsa_system_sgpr_workgroup_id_x 1
		.amdhsa_system_sgpr_workgroup_id_y 0
		.amdhsa_system_sgpr_workgroup_id_z 0
		.amdhsa_system_sgpr_workgroup_info 0
		.amdhsa_system_vgpr_workitem_id 0
		.amdhsa_next_free_vgpr 1
		.amdhsa_next_free_sgpr 0
		.amdhsa_reserve_vcc 0
		.amdhsa_reserve_flat_scratch 0
		.amdhsa_float_round_mode_32 0
		.amdhsa_float_round_mode_16_64 0
		.amdhsa_float_denorm_mode_32 3
		.amdhsa_float_denorm_mode_16_64 3
		.amdhsa_dx10_clamp 1
		.amdhsa_ieee_mode 1
		.amdhsa_fp16_overflow 0
		.amdhsa_exception_fp_ieee_invalid_op 0
		.amdhsa_exception_fp_denorm_src 0
		.amdhsa_exception_fp_ieee_div_zero 0
		.amdhsa_exception_fp_ieee_overflow 0
		.amdhsa_exception_fp_ieee_underflow 0
		.amdhsa_exception_fp_ieee_inexact 0
		.amdhsa_exception_int_div_zero 0
	.end_amdhsa_kernel
	.section	.text._ZN7rocprim17ROCPRIM_400000_NS6detail17trampoline_kernelINS0_14default_configENS1_20scan_config_selectorIN3c108BFloat16EEEZZNS1_9scan_implILNS1_25lookback_scan_determinismE0ELb0ELb0ES3_PKS6_PS6_S6_ZZZN2at6native31launch_logcumsumexp_cuda_kernelERKNSD_10TensorBaseESH_lENKUlvE_clEvENKUlvE4_clEvEUlS6_S6_E_S6_EEDaPvRmT3_T4_T5_mT6_P12ihipStream_tbENKUlT_T0_E_clISt17integral_constantIbLb0EESY_EEDaST_SU_EUlST_E0_NS1_11comp_targetILNS1_3genE10ELNS1_11target_archE1201ELNS1_3gpuE5ELNS1_3repE0EEENS1_30default_config_static_selectorELNS0_4arch9wavefront6targetE1EEEvT1_,"axG",@progbits,_ZN7rocprim17ROCPRIM_400000_NS6detail17trampoline_kernelINS0_14default_configENS1_20scan_config_selectorIN3c108BFloat16EEEZZNS1_9scan_implILNS1_25lookback_scan_determinismE0ELb0ELb0ES3_PKS6_PS6_S6_ZZZN2at6native31launch_logcumsumexp_cuda_kernelERKNSD_10TensorBaseESH_lENKUlvE_clEvENKUlvE4_clEvEUlS6_S6_E_S6_EEDaPvRmT3_T4_T5_mT6_P12ihipStream_tbENKUlT_T0_E_clISt17integral_constantIbLb0EESY_EEDaST_SU_EUlST_E0_NS1_11comp_targetILNS1_3genE10ELNS1_11target_archE1201ELNS1_3gpuE5ELNS1_3repE0EEENS1_30default_config_static_selectorELNS0_4arch9wavefront6targetE1EEEvT1_,comdat
.Lfunc_end460:
	.size	_ZN7rocprim17ROCPRIM_400000_NS6detail17trampoline_kernelINS0_14default_configENS1_20scan_config_selectorIN3c108BFloat16EEEZZNS1_9scan_implILNS1_25lookback_scan_determinismE0ELb0ELb0ES3_PKS6_PS6_S6_ZZZN2at6native31launch_logcumsumexp_cuda_kernelERKNSD_10TensorBaseESH_lENKUlvE_clEvENKUlvE4_clEvEUlS6_S6_E_S6_EEDaPvRmT3_T4_T5_mT6_P12ihipStream_tbENKUlT_T0_E_clISt17integral_constantIbLb0EESY_EEDaST_SU_EUlST_E0_NS1_11comp_targetILNS1_3genE10ELNS1_11target_archE1201ELNS1_3gpuE5ELNS1_3repE0EEENS1_30default_config_static_selectorELNS0_4arch9wavefront6targetE1EEEvT1_, .Lfunc_end460-_ZN7rocprim17ROCPRIM_400000_NS6detail17trampoline_kernelINS0_14default_configENS1_20scan_config_selectorIN3c108BFloat16EEEZZNS1_9scan_implILNS1_25lookback_scan_determinismE0ELb0ELb0ES3_PKS6_PS6_S6_ZZZN2at6native31launch_logcumsumexp_cuda_kernelERKNSD_10TensorBaseESH_lENKUlvE_clEvENKUlvE4_clEvEUlS6_S6_E_S6_EEDaPvRmT3_T4_T5_mT6_P12ihipStream_tbENKUlT_T0_E_clISt17integral_constantIbLb0EESY_EEDaST_SU_EUlST_E0_NS1_11comp_targetILNS1_3genE10ELNS1_11target_archE1201ELNS1_3gpuE5ELNS1_3repE0EEENS1_30default_config_static_selectorELNS0_4arch9wavefront6targetE1EEEvT1_
                                        ; -- End function
	.set _ZN7rocprim17ROCPRIM_400000_NS6detail17trampoline_kernelINS0_14default_configENS1_20scan_config_selectorIN3c108BFloat16EEEZZNS1_9scan_implILNS1_25lookback_scan_determinismE0ELb0ELb0ES3_PKS6_PS6_S6_ZZZN2at6native31launch_logcumsumexp_cuda_kernelERKNSD_10TensorBaseESH_lENKUlvE_clEvENKUlvE4_clEvEUlS6_S6_E_S6_EEDaPvRmT3_T4_T5_mT6_P12ihipStream_tbENKUlT_T0_E_clISt17integral_constantIbLb0EESY_EEDaST_SU_EUlST_E0_NS1_11comp_targetILNS1_3genE10ELNS1_11target_archE1201ELNS1_3gpuE5ELNS1_3repE0EEENS1_30default_config_static_selectorELNS0_4arch9wavefront6targetE1EEEvT1_.num_vgpr, 0
	.set _ZN7rocprim17ROCPRIM_400000_NS6detail17trampoline_kernelINS0_14default_configENS1_20scan_config_selectorIN3c108BFloat16EEEZZNS1_9scan_implILNS1_25lookback_scan_determinismE0ELb0ELb0ES3_PKS6_PS6_S6_ZZZN2at6native31launch_logcumsumexp_cuda_kernelERKNSD_10TensorBaseESH_lENKUlvE_clEvENKUlvE4_clEvEUlS6_S6_E_S6_EEDaPvRmT3_T4_T5_mT6_P12ihipStream_tbENKUlT_T0_E_clISt17integral_constantIbLb0EESY_EEDaST_SU_EUlST_E0_NS1_11comp_targetILNS1_3genE10ELNS1_11target_archE1201ELNS1_3gpuE5ELNS1_3repE0EEENS1_30default_config_static_selectorELNS0_4arch9wavefront6targetE1EEEvT1_.num_agpr, 0
	.set _ZN7rocprim17ROCPRIM_400000_NS6detail17trampoline_kernelINS0_14default_configENS1_20scan_config_selectorIN3c108BFloat16EEEZZNS1_9scan_implILNS1_25lookback_scan_determinismE0ELb0ELb0ES3_PKS6_PS6_S6_ZZZN2at6native31launch_logcumsumexp_cuda_kernelERKNSD_10TensorBaseESH_lENKUlvE_clEvENKUlvE4_clEvEUlS6_S6_E_S6_EEDaPvRmT3_T4_T5_mT6_P12ihipStream_tbENKUlT_T0_E_clISt17integral_constantIbLb0EESY_EEDaST_SU_EUlST_E0_NS1_11comp_targetILNS1_3genE10ELNS1_11target_archE1201ELNS1_3gpuE5ELNS1_3repE0EEENS1_30default_config_static_selectorELNS0_4arch9wavefront6targetE1EEEvT1_.numbered_sgpr, 0
	.set _ZN7rocprim17ROCPRIM_400000_NS6detail17trampoline_kernelINS0_14default_configENS1_20scan_config_selectorIN3c108BFloat16EEEZZNS1_9scan_implILNS1_25lookback_scan_determinismE0ELb0ELb0ES3_PKS6_PS6_S6_ZZZN2at6native31launch_logcumsumexp_cuda_kernelERKNSD_10TensorBaseESH_lENKUlvE_clEvENKUlvE4_clEvEUlS6_S6_E_S6_EEDaPvRmT3_T4_T5_mT6_P12ihipStream_tbENKUlT_T0_E_clISt17integral_constantIbLb0EESY_EEDaST_SU_EUlST_E0_NS1_11comp_targetILNS1_3genE10ELNS1_11target_archE1201ELNS1_3gpuE5ELNS1_3repE0EEENS1_30default_config_static_selectorELNS0_4arch9wavefront6targetE1EEEvT1_.num_named_barrier, 0
	.set _ZN7rocprim17ROCPRIM_400000_NS6detail17trampoline_kernelINS0_14default_configENS1_20scan_config_selectorIN3c108BFloat16EEEZZNS1_9scan_implILNS1_25lookback_scan_determinismE0ELb0ELb0ES3_PKS6_PS6_S6_ZZZN2at6native31launch_logcumsumexp_cuda_kernelERKNSD_10TensorBaseESH_lENKUlvE_clEvENKUlvE4_clEvEUlS6_S6_E_S6_EEDaPvRmT3_T4_T5_mT6_P12ihipStream_tbENKUlT_T0_E_clISt17integral_constantIbLb0EESY_EEDaST_SU_EUlST_E0_NS1_11comp_targetILNS1_3genE10ELNS1_11target_archE1201ELNS1_3gpuE5ELNS1_3repE0EEENS1_30default_config_static_selectorELNS0_4arch9wavefront6targetE1EEEvT1_.private_seg_size, 0
	.set _ZN7rocprim17ROCPRIM_400000_NS6detail17trampoline_kernelINS0_14default_configENS1_20scan_config_selectorIN3c108BFloat16EEEZZNS1_9scan_implILNS1_25lookback_scan_determinismE0ELb0ELb0ES3_PKS6_PS6_S6_ZZZN2at6native31launch_logcumsumexp_cuda_kernelERKNSD_10TensorBaseESH_lENKUlvE_clEvENKUlvE4_clEvEUlS6_S6_E_S6_EEDaPvRmT3_T4_T5_mT6_P12ihipStream_tbENKUlT_T0_E_clISt17integral_constantIbLb0EESY_EEDaST_SU_EUlST_E0_NS1_11comp_targetILNS1_3genE10ELNS1_11target_archE1201ELNS1_3gpuE5ELNS1_3repE0EEENS1_30default_config_static_selectorELNS0_4arch9wavefront6targetE1EEEvT1_.uses_vcc, 0
	.set _ZN7rocprim17ROCPRIM_400000_NS6detail17trampoline_kernelINS0_14default_configENS1_20scan_config_selectorIN3c108BFloat16EEEZZNS1_9scan_implILNS1_25lookback_scan_determinismE0ELb0ELb0ES3_PKS6_PS6_S6_ZZZN2at6native31launch_logcumsumexp_cuda_kernelERKNSD_10TensorBaseESH_lENKUlvE_clEvENKUlvE4_clEvEUlS6_S6_E_S6_EEDaPvRmT3_T4_T5_mT6_P12ihipStream_tbENKUlT_T0_E_clISt17integral_constantIbLb0EESY_EEDaST_SU_EUlST_E0_NS1_11comp_targetILNS1_3genE10ELNS1_11target_archE1201ELNS1_3gpuE5ELNS1_3repE0EEENS1_30default_config_static_selectorELNS0_4arch9wavefront6targetE1EEEvT1_.uses_flat_scratch, 0
	.set _ZN7rocprim17ROCPRIM_400000_NS6detail17trampoline_kernelINS0_14default_configENS1_20scan_config_selectorIN3c108BFloat16EEEZZNS1_9scan_implILNS1_25lookback_scan_determinismE0ELb0ELb0ES3_PKS6_PS6_S6_ZZZN2at6native31launch_logcumsumexp_cuda_kernelERKNSD_10TensorBaseESH_lENKUlvE_clEvENKUlvE4_clEvEUlS6_S6_E_S6_EEDaPvRmT3_T4_T5_mT6_P12ihipStream_tbENKUlT_T0_E_clISt17integral_constantIbLb0EESY_EEDaST_SU_EUlST_E0_NS1_11comp_targetILNS1_3genE10ELNS1_11target_archE1201ELNS1_3gpuE5ELNS1_3repE0EEENS1_30default_config_static_selectorELNS0_4arch9wavefront6targetE1EEEvT1_.has_dyn_sized_stack, 0
	.set _ZN7rocprim17ROCPRIM_400000_NS6detail17trampoline_kernelINS0_14default_configENS1_20scan_config_selectorIN3c108BFloat16EEEZZNS1_9scan_implILNS1_25lookback_scan_determinismE0ELb0ELb0ES3_PKS6_PS6_S6_ZZZN2at6native31launch_logcumsumexp_cuda_kernelERKNSD_10TensorBaseESH_lENKUlvE_clEvENKUlvE4_clEvEUlS6_S6_E_S6_EEDaPvRmT3_T4_T5_mT6_P12ihipStream_tbENKUlT_T0_E_clISt17integral_constantIbLb0EESY_EEDaST_SU_EUlST_E0_NS1_11comp_targetILNS1_3genE10ELNS1_11target_archE1201ELNS1_3gpuE5ELNS1_3repE0EEENS1_30default_config_static_selectorELNS0_4arch9wavefront6targetE1EEEvT1_.has_recursion, 0
	.set _ZN7rocprim17ROCPRIM_400000_NS6detail17trampoline_kernelINS0_14default_configENS1_20scan_config_selectorIN3c108BFloat16EEEZZNS1_9scan_implILNS1_25lookback_scan_determinismE0ELb0ELb0ES3_PKS6_PS6_S6_ZZZN2at6native31launch_logcumsumexp_cuda_kernelERKNSD_10TensorBaseESH_lENKUlvE_clEvENKUlvE4_clEvEUlS6_S6_E_S6_EEDaPvRmT3_T4_T5_mT6_P12ihipStream_tbENKUlT_T0_E_clISt17integral_constantIbLb0EESY_EEDaST_SU_EUlST_E0_NS1_11comp_targetILNS1_3genE10ELNS1_11target_archE1201ELNS1_3gpuE5ELNS1_3repE0EEENS1_30default_config_static_selectorELNS0_4arch9wavefront6targetE1EEEvT1_.has_indirect_call, 0
	.section	.AMDGPU.csdata,"",@progbits
; Kernel info:
; codeLenInByte = 0
; TotalNumSgprs: 4
; NumVgprs: 0
; ScratchSize: 0
; MemoryBound: 0
; FloatMode: 240
; IeeeMode: 1
; LDSByteSize: 0 bytes/workgroup (compile time only)
; SGPRBlocks: 0
; VGPRBlocks: 0
; NumSGPRsForWavesPerEU: 4
; NumVGPRsForWavesPerEU: 1
; Occupancy: 10
; WaveLimiterHint : 0
; COMPUTE_PGM_RSRC2:SCRATCH_EN: 0
; COMPUTE_PGM_RSRC2:USER_SGPR: 6
; COMPUTE_PGM_RSRC2:TRAP_HANDLER: 0
; COMPUTE_PGM_RSRC2:TGID_X_EN: 1
; COMPUTE_PGM_RSRC2:TGID_Y_EN: 0
; COMPUTE_PGM_RSRC2:TGID_Z_EN: 0
; COMPUTE_PGM_RSRC2:TIDIG_COMP_CNT: 0
	.section	.text._ZN7rocprim17ROCPRIM_400000_NS6detail17trampoline_kernelINS0_14default_configENS1_20scan_config_selectorIN3c108BFloat16EEEZZNS1_9scan_implILNS1_25lookback_scan_determinismE0ELb0ELb0ES3_PKS6_PS6_S6_ZZZN2at6native31launch_logcumsumexp_cuda_kernelERKNSD_10TensorBaseESH_lENKUlvE_clEvENKUlvE4_clEvEUlS6_S6_E_S6_EEDaPvRmT3_T4_T5_mT6_P12ihipStream_tbENKUlT_T0_E_clISt17integral_constantIbLb0EESY_EEDaST_SU_EUlST_E0_NS1_11comp_targetILNS1_3genE10ELNS1_11target_archE1200ELNS1_3gpuE4ELNS1_3repE0EEENS1_30default_config_static_selectorELNS0_4arch9wavefront6targetE1EEEvT1_,"axG",@progbits,_ZN7rocprim17ROCPRIM_400000_NS6detail17trampoline_kernelINS0_14default_configENS1_20scan_config_selectorIN3c108BFloat16EEEZZNS1_9scan_implILNS1_25lookback_scan_determinismE0ELb0ELb0ES3_PKS6_PS6_S6_ZZZN2at6native31launch_logcumsumexp_cuda_kernelERKNSD_10TensorBaseESH_lENKUlvE_clEvENKUlvE4_clEvEUlS6_S6_E_S6_EEDaPvRmT3_T4_T5_mT6_P12ihipStream_tbENKUlT_T0_E_clISt17integral_constantIbLb0EESY_EEDaST_SU_EUlST_E0_NS1_11comp_targetILNS1_3genE10ELNS1_11target_archE1200ELNS1_3gpuE4ELNS1_3repE0EEENS1_30default_config_static_selectorELNS0_4arch9wavefront6targetE1EEEvT1_,comdat
	.globl	_ZN7rocprim17ROCPRIM_400000_NS6detail17trampoline_kernelINS0_14default_configENS1_20scan_config_selectorIN3c108BFloat16EEEZZNS1_9scan_implILNS1_25lookback_scan_determinismE0ELb0ELb0ES3_PKS6_PS6_S6_ZZZN2at6native31launch_logcumsumexp_cuda_kernelERKNSD_10TensorBaseESH_lENKUlvE_clEvENKUlvE4_clEvEUlS6_S6_E_S6_EEDaPvRmT3_T4_T5_mT6_P12ihipStream_tbENKUlT_T0_E_clISt17integral_constantIbLb0EESY_EEDaST_SU_EUlST_E0_NS1_11comp_targetILNS1_3genE10ELNS1_11target_archE1200ELNS1_3gpuE4ELNS1_3repE0EEENS1_30default_config_static_selectorELNS0_4arch9wavefront6targetE1EEEvT1_ ; -- Begin function _ZN7rocprim17ROCPRIM_400000_NS6detail17trampoline_kernelINS0_14default_configENS1_20scan_config_selectorIN3c108BFloat16EEEZZNS1_9scan_implILNS1_25lookback_scan_determinismE0ELb0ELb0ES3_PKS6_PS6_S6_ZZZN2at6native31launch_logcumsumexp_cuda_kernelERKNSD_10TensorBaseESH_lENKUlvE_clEvENKUlvE4_clEvEUlS6_S6_E_S6_EEDaPvRmT3_T4_T5_mT6_P12ihipStream_tbENKUlT_T0_E_clISt17integral_constantIbLb0EESY_EEDaST_SU_EUlST_E0_NS1_11comp_targetILNS1_3genE10ELNS1_11target_archE1200ELNS1_3gpuE4ELNS1_3repE0EEENS1_30default_config_static_selectorELNS0_4arch9wavefront6targetE1EEEvT1_
	.p2align	8
	.type	_ZN7rocprim17ROCPRIM_400000_NS6detail17trampoline_kernelINS0_14default_configENS1_20scan_config_selectorIN3c108BFloat16EEEZZNS1_9scan_implILNS1_25lookback_scan_determinismE0ELb0ELb0ES3_PKS6_PS6_S6_ZZZN2at6native31launch_logcumsumexp_cuda_kernelERKNSD_10TensorBaseESH_lENKUlvE_clEvENKUlvE4_clEvEUlS6_S6_E_S6_EEDaPvRmT3_T4_T5_mT6_P12ihipStream_tbENKUlT_T0_E_clISt17integral_constantIbLb0EESY_EEDaST_SU_EUlST_E0_NS1_11comp_targetILNS1_3genE10ELNS1_11target_archE1200ELNS1_3gpuE4ELNS1_3repE0EEENS1_30default_config_static_selectorELNS0_4arch9wavefront6targetE1EEEvT1_,@function
_ZN7rocprim17ROCPRIM_400000_NS6detail17trampoline_kernelINS0_14default_configENS1_20scan_config_selectorIN3c108BFloat16EEEZZNS1_9scan_implILNS1_25lookback_scan_determinismE0ELb0ELb0ES3_PKS6_PS6_S6_ZZZN2at6native31launch_logcumsumexp_cuda_kernelERKNSD_10TensorBaseESH_lENKUlvE_clEvENKUlvE4_clEvEUlS6_S6_E_S6_EEDaPvRmT3_T4_T5_mT6_P12ihipStream_tbENKUlT_T0_E_clISt17integral_constantIbLb0EESY_EEDaST_SU_EUlST_E0_NS1_11comp_targetILNS1_3genE10ELNS1_11target_archE1200ELNS1_3gpuE4ELNS1_3repE0EEENS1_30default_config_static_selectorELNS0_4arch9wavefront6targetE1EEEvT1_: ; @_ZN7rocprim17ROCPRIM_400000_NS6detail17trampoline_kernelINS0_14default_configENS1_20scan_config_selectorIN3c108BFloat16EEEZZNS1_9scan_implILNS1_25lookback_scan_determinismE0ELb0ELb0ES3_PKS6_PS6_S6_ZZZN2at6native31launch_logcumsumexp_cuda_kernelERKNSD_10TensorBaseESH_lENKUlvE_clEvENKUlvE4_clEvEUlS6_S6_E_S6_EEDaPvRmT3_T4_T5_mT6_P12ihipStream_tbENKUlT_T0_E_clISt17integral_constantIbLb0EESY_EEDaST_SU_EUlST_E0_NS1_11comp_targetILNS1_3genE10ELNS1_11target_archE1200ELNS1_3gpuE4ELNS1_3repE0EEENS1_30default_config_static_selectorELNS0_4arch9wavefront6targetE1EEEvT1_
; %bb.0:
	.section	.rodata,"a",@progbits
	.p2align	6, 0x0
	.amdhsa_kernel _ZN7rocprim17ROCPRIM_400000_NS6detail17trampoline_kernelINS0_14default_configENS1_20scan_config_selectorIN3c108BFloat16EEEZZNS1_9scan_implILNS1_25lookback_scan_determinismE0ELb0ELb0ES3_PKS6_PS6_S6_ZZZN2at6native31launch_logcumsumexp_cuda_kernelERKNSD_10TensorBaseESH_lENKUlvE_clEvENKUlvE4_clEvEUlS6_S6_E_S6_EEDaPvRmT3_T4_T5_mT6_P12ihipStream_tbENKUlT_T0_E_clISt17integral_constantIbLb0EESY_EEDaST_SU_EUlST_E0_NS1_11comp_targetILNS1_3genE10ELNS1_11target_archE1200ELNS1_3gpuE4ELNS1_3repE0EEENS1_30default_config_static_selectorELNS0_4arch9wavefront6targetE1EEEvT1_
		.amdhsa_group_segment_fixed_size 0
		.amdhsa_private_segment_fixed_size 0
		.amdhsa_kernarg_size 32
		.amdhsa_user_sgpr_count 6
		.amdhsa_user_sgpr_private_segment_buffer 1
		.amdhsa_user_sgpr_dispatch_ptr 0
		.amdhsa_user_sgpr_queue_ptr 0
		.amdhsa_user_sgpr_kernarg_segment_ptr 1
		.amdhsa_user_sgpr_dispatch_id 0
		.amdhsa_user_sgpr_flat_scratch_init 0
		.amdhsa_user_sgpr_private_segment_size 0
		.amdhsa_uses_dynamic_stack 0
		.amdhsa_system_sgpr_private_segment_wavefront_offset 0
		.amdhsa_system_sgpr_workgroup_id_x 1
		.amdhsa_system_sgpr_workgroup_id_y 0
		.amdhsa_system_sgpr_workgroup_id_z 0
		.amdhsa_system_sgpr_workgroup_info 0
		.amdhsa_system_vgpr_workitem_id 0
		.amdhsa_next_free_vgpr 1
		.amdhsa_next_free_sgpr 0
		.amdhsa_reserve_vcc 0
		.amdhsa_reserve_flat_scratch 0
		.amdhsa_float_round_mode_32 0
		.amdhsa_float_round_mode_16_64 0
		.amdhsa_float_denorm_mode_32 3
		.amdhsa_float_denorm_mode_16_64 3
		.amdhsa_dx10_clamp 1
		.amdhsa_ieee_mode 1
		.amdhsa_fp16_overflow 0
		.amdhsa_exception_fp_ieee_invalid_op 0
		.amdhsa_exception_fp_denorm_src 0
		.amdhsa_exception_fp_ieee_div_zero 0
		.amdhsa_exception_fp_ieee_overflow 0
		.amdhsa_exception_fp_ieee_underflow 0
		.amdhsa_exception_fp_ieee_inexact 0
		.amdhsa_exception_int_div_zero 0
	.end_amdhsa_kernel
	.section	.text._ZN7rocprim17ROCPRIM_400000_NS6detail17trampoline_kernelINS0_14default_configENS1_20scan_config_selectorIN3c108BFloat16EEEZZNS1_9scan_implILNS1_25lookback_scan_determinismE0ELb0ELb0ES3_PKS6_PS6_S6_ZZZN2at6native31launch_logcumsumexp_cuda_kernelERKNSD_10TensorBaseESH_lENKUlvE_clEvENKUlvE4_clEvEUlS6_S6_E_S6_EEDaPvRmT3_T4_T5_mT6_P12ihipStream_tbENKUlT_T0_E_clISt17integral_constantIbLb0EESY_EEDaST_SU_EUlST_E0_NS1_11comp_targetILNS1_3genE10ELNS1_11target_archE1200ELNS1_3gpuE4ELNS1_3repE0EEENS1_30default_config_static_selectorELNS0_4arch9wavefront6targetE1EEEvT1_,"axG",@progbits,_ZN7rocprim17ROCPRIM_400000_NS6detail17trampoline_kernelINS0_14default_configENS1_20scan_config_selectorIN3c108BFloat16EEEZZNS1_9scan_implILNS1_25lookback_scan_determinismE0ELb0ELb0ES3_PKS6_PS6_S6_ZZZN2at6native31launch_logcumsumexp_cuda_kernelERKNSD_10TensorBaseESH_lENKUlvE_clEvENKUlvE4_clEvEUlS6_S6_E_S6_EEDaPvRmT3_T4_T5_mT6_P12ihipStream_tbENKUlT_T0_E_clISt17integral_constantIbLb0EESY_EEDaST_SU_EUlST_E0_NS1_11comp_targetILNS1_3genE10ELNS1_11target_archE1200ELNS1_3gpuE4ELNS1_3repE0EEENS1_30default_config_static_selectorELNS0_4arch9wavefront6targetE1EEEvT1_,comdat
.Lfunc_end461:
	.size	_ZN7rocprim17ROCPRIM_400000_NS6detail17trampoline_kernelINS0_14default_configENS1_20scan_config_selectorIN3c108BFloat16EEEZZNS1_9scan_implILNS1_25lookback_scan_determinismE0ELb0ELb0ES3_PKS6_PS6_S6_ZZZN2at6native31launch_logcumsumexp_cuda_kernelERKNSD_10TensorBaseESH_lENKUlvE_clEvENKUlvE4_clEvEUlS6_S6_E_S6_EEDaPvRmT3_T4_T5_mT6_P12ihipStream_tbENKUlT_T0_E_clISt17integral_constantIbLb0EESY_EEDaST_SU_EUlST_E0_NS1_11comp_targetILNS1_3genE10ELNS1_11target_archE1200ELNS1_3gpuE4ELNS1_3repE0EEENS1_30default_config_static_selectorELNS0_4arch9wavefront6targetE1EEEvT1_, .Lfunc_end461-_ZN7rocprim17ROCPRIM_400000_NS6detail17trampoline_kernelINS0_14default_configENS1_20scan_config_selectorIN3c108BFloat16EEEZZNS1_9scan_implILNS1_25lookback_scan_determinismE0ELb0ELb0ES3_PKS6_PS6_S6_ZZZN2at6native31launch_logcumsumexp_cuda_kernelERKNSD_10TensorBaseESH_lENKUlvE_clEvENKUlvE4_clEvEUlS6_S6_E_S6_EEDaPvRmT3_T4_T5_mT6_P12ihipStream_tbENKUlT_T0_E_clISt17integral_constantIbLb0EESY_EEDaST_SU_EUlST_E0_NS1_11comp_targetILNS1_3genE10ELNS1_11target_archE1200ELNS1_3gpuE4ELNS1_3repE0EEENS1_30default_config_static_selectorELNS0_4arch9wavefront6targetE1EEEvT1_
                                        ; -- End function
	.set _ZN7rocprim17ROCPRIM_400000_NS6detail17trampoline_kernelINS0_14default_configENS1_20scan_config_selectorIN3c108BFloat16EEEZZNS1_9scan_implILNS1_25lookback_scan_determinismE0ELb0ELb0ES3_PKS6_PS6_S6_ZZZN2at6native31launch_logcumsumexp_cuda_kernelERKNSD_10TensorBaseESH_lENKUlvE_clEvENKUlvE4_clEvEUlS6_S6_E_S6_EEDaPvRmT3_T4_T5_mT6_P12ihipStream_tbENKUlT_T0_E_clISt17integral_constantIbLb0EESY_EEDaST_SU_EUlST_E0_NS1_11comp_targetILNS1_3genE10ELNS1_11target_archE1200ELNS1_3gpuE4ELNS1_3repE0EEENS1_30default_config_static_selectorELNS0_4arch9wavefront6targetE1EEEvT1_.num_vgpr, 0
	.set _ZN7rocprim17ROCPRIM_400000_NS6detail17trampoline_kernelINS0_14default_configENS1_20scan_config_selectorIN3c108BFloat16EEEZZNS1_9scan_implILNS1_25lookback_scan_determinismE0ELb0ELb0ES3_PKS6_PS6_S6_ZZZN2at6native31launch_logcumsumexp_cuda_kernelERKNSD_10TensorBaseESH_lENKUlvE_clEvENKUlvE4_clEvEUlS6_S6_E_S6_EEDaPvRmT3_T4_T5_mT6_P12ihipStream_tbENKUlT_T0_E_clISt17integral_constantIbLb0EESY_EEDaST_SU_EUlST_E0_NS1_11comp_targetILNS1_3genE10ELNS1_11target_archE1200ELNS1_3gpuE4ELNS1_3repE0EEENS1_30default_config_static_selectorELNS0_4arch9wavefront6targetE1EEEvT1_.num_agpr, 0
	.set _ZN7rocprim17ROCPRIM_400000_NS6detail17trampoline_kernelINS0_14default_configENS1_20scan_config_selectorIN3c108BFloat16EEEZZNS1_9scan_implILNS1_25lookback_scan_determinismE0ELb0ELb0ES3_PKS6_PS6_S6_ZZZN2at6native31launch_logcumsumexp_cuda_kernelERKNSD_10TensorBaseESH_lENKUlvE_clEvENKUlvE4_clEvEUlS6_S6_E_S6_EEDaPvRmT3_T4_T5_mT6_P12ihipStream_tbENKUlT_T0_E_clISt17integral_constantIbLb0EESY_EEDaST_SU_EUlST_E0_NS1_11comp_targetILNS1_3genE10ELNS1_11target_archE1200ELNS1_3gpuE4ELNS1_3repE0EEENS1_30default_config_static_selectorELNS0_4arch9wavefront6targetE1EEEvT1_.numbered_sgpr, 0
	.set _ZN7rocprim17ROCPRIM_400000_NS6detail17trampoline_kernelINS0_14default_configENS1_20scan_config_selectorIN3c108BFloat16EEEZZNS1_9scan_implILNS1_25lookback_scan_determinismE0ELb0ELb0ES3_PKS6_PS6_S6_ZZZN2at6native31launch_logcumsumexp_cuda_kernelERKNSD_10TensorBaseESH_lENKUlvE_clEvENKUlvE4_clEvEUlS6_S6_E_S6_EEDaPvRmT3_T4_T5_mT6_P12ihipStream_tbENKUlT_T0_E_clISt17integral_constantIbLb0EESY_EEDaST_SU_EUlST_E0_NS1_11comp_targetILNS1_3genE10ELNS1_11target_archE1200ELNS1_3gpuE4ELNS1_3repE0EEENS1_30default_config_static_selectorELNS0_4arch9wavefront6targetE1EEEvT1_.num_named_barrier, 0
	.set _ZN7rocprim17ROCPRIM_400000_NS6detail17trampoline_kernelINS0_14default_configENS1_20scan_config_selectorIN3c108BFloat16EEEZZNS1_9scan_implILNS1_25lookback_scan_determinismE0ELb0ELb0ES3_PKS6_PS6_S6_ZZZN2at6native31launch_logcumsumexp_cuda_kernelERKNSD_10TensorBaseESH_lENKUlvE_clEvENKUlvE4_clEvEUlS6_S6_E_S6_EEDaPvRmT3_T4_T5_mT6_P12ihipStream_tbENKUlT_T0_E_clISt17integral_constantIbLb0EESY_EEDaST_SU_EUlST_E0_NS1_11comp_targetILNS1_3genE10ELNS1_11target_archE1200ELNS1_3gpuE4ELNS1_3repE0EEENS1_30default_config_static_selectorELNS0_4arch9wavefront6targetE1EEEvT1_.private_seg_size, 0
	.set _ZN7rocprim17ROCPRIM_400000_NS6detail17trampoline_kernelINS0_14default_configENS1_20scan_config_selectorIN3c108BFloat16EEEZZNS1_9scan_implILNS1_25lookback_scan_determinismE0ELb0ELb0ES3_PKS6_PS6_S6_ZZZN2at6native31launch_logcumsumexp_cuda_kernelERKNSD_10TensorBaseESH_lENKUlvE_clEvENKUlvE4_clEvEUlS6_S6_E_S6_EEDaPvRmT3_T4_T5_mT6_P12ihipStream_tbENKUlT_T0_E_clISt17integral_constantIbLb0EESY_EEDaST_SU_EUlST_E0_NS1_11comp_targetILNS1_3genE10ELNS1_11target_archE1200ELNS1_3gpuE4ELNS1_3repE0EEENS1_30default_config_static_selectorELNS0_4arch9wavefront6targetE1EEEvT1_.uses_vcc, 0
	.set _ZN7rocprim17ROCPRIM_400000_NS6detail17trampoline_kernelINS0_14default_configENS1_20scan_config_selectorIN3c108BFloat16EEEZZNS1_9scan_implILNS1_25lookback_scan_determinismE0ELb0ELb0ES3_PKS6_PS6_S6_ZZZN2at6native31launch_logcumsumexp_cuda_kernelERKNSD_10TensorBaseESH_lENKUlvE_clEvENKUlvE4_clEvEUlS6_S6_E_S6_EEDaPvRmT3_T4_T5_mT6_P12ihipStream_tbENKUlT_T0_E_clISt17integral_constantIbLb0EESY_EEDaST_SU_EUlST_E0_NS1_11comp_targetILNS1_3genE10ELNS1_11target_archE1200ELNS1_3gpuE4ELNS1_3repE0EEENS1_30default_config_static_selectorELNS0_4arch9wavefront6targetE1EEEvT1_.uses_flat_scratch, 0
	.set _ZN7rocprim17ROCPRIM_400000_NS6detail17trampoline_kernelINS0_14default_configENS1_20scan_config_selectorIN3c108BFloat16EEEZZNS1_9scan_implILNS1_25lookback_scan_determinismE0ELb0ELb0ES3_PKS6_PS6_S6_ZZZN2at6native31launch_logcumsumexp_cuda_kernelERKNSD_10TensorBaseESH_lENKUlvE_clEvENKUlvE4_clEvEUlS6_S6_E_S6_EEDaPvRmT3_T4_T5_mT6_P12ihipStream_tbENKUlT_T0_E_clISt17integral_constantIbLb0EESY_EEDaST_SU_EUlST_E0_NS1_11comp_targetILNS1_3genE10ELNS1_11target_archE1200ELNS1_3gpuE4ELNS1_3repE0EEENS1_30default_config_static_selectorELNS0_4arch9wavefront6targetE1EEEvT1_.has_dyn_sized_stack, 0
	.set _ZN7rocprim17ROCPRIM_400000_NS6detail17trampoline_kernelINS0_14default_configENS1_20scan_config_selectorIN3c108BFloat16EEEZZNS1_9scan_implILNS1_25lookback_scan_determinismE0ELb0ELb0ES3_PKS6_PS6_S6_ZZZN2at6native31launch_logcumsumexp_cuda_kernelERKNSD_10TensorBaseESH_lENKUlvE_clEvENKUlvE4_clEvEUlS6_S6_E_S6_EEDaPvRmT3_T4_T5_mT6_P12ihipStream_tbENKUlT_T0_E_clISt17integral_constantIbLb0EESY_EEDaST_SU_EUlST_E0_NS1_11comp_targetILNS1_3genE10ELNS1_11target_archE1200ELNS1_3gpuE4ELNS1_3repE0EEENS1_30default_config_static_selectorELNS0_4arch9wavefront6targetE1EEEvT1_.has_recursion, 0
	.set _ZN7rocprim17ROCPRIM_400000_NS6detail17trampoline_kernelINS0_14default_configENS1_20scan_config_selectorIN3c108BFloat16EEEZZNS1_9scan_implILNS1_25lookback_scan_determinismE0ELb0ELb0ES3_PKS6_PS6_S6_ZZZN2at6native31launch_logcumsumexp_cuda_kernelERKNSD_10TensorBaseESH_lENKUlvE_clEvENKUlvE4_clEvEUlS6_S6_E_S6_EEDaPvRmT3_T4_T5_mT6_P12ihipStream_tbENKUlT_T0_E_clISt17integral_constantIbLb0EESY_EEDaST_SU_EUlST_E0_NS1_11comp_targetILNS1_3genE10ELNS1_11target_archE1200ELNS1_3gpuE4ELNS1_3repE0EEENS1_30default_config_static_selectorELNS0_4arch9wavefront6targetE1EEEvT1_.has_indirect_call, 0
	.section	.AMDGPU.csdata,"",@progbits
; Kernel info:
; codeLenInByte = 0
; TotalNumSgprs: 4
; NumVgprs: 0
; ScratchSize: 0
; MemoryBound: 0
; FloatMode: 240
; IeeeMode: 1
; LDSByteSize: 0 bytes/workgroup (compile time only)
; SGPRBlocks: 0
; VGPRBlocks: 0
; NumSGPRsForWavesPerEU: 4
; NumVGPRsForWavesPerEU: 1
; Occupancy: 10
; WaveLimiterHint : 0
; COMPUTE_PGM_RSRC2:SCRATCH_EN: 0
; COMPUTE_PGM_RSRC2:USER_SGPR: 6
; COMPUTE_PGM_RSRC2:TRAP_HANDLER: 0
; COMPUTE_PGM_RSRC2:TGID_X_EN: 1
; COMPUTE_PGM_RSRC2:TGID_Y_EN: 0
; COMPUTE_PGM_RSRC2:TGID_Z_EN: 0
; COMPUTE_PGM_RSRC2:TIDIG_COMP_CNT: 0
	.section	.text._ZN7rocprim17ROCPRIM_400000_NS6detail17trampoline_kernelINS0_14default_configENS1_20scan_config_selectorIN3c108BFloat16EEEZZNS1_9scan_implILNS1_25lookback_scan_determinismE0ELb0ELb0ES3_PKS6_PS6_S6_ZZZN2at6native31launch_logcumsumexp_cuda_kernelERKNSD_10TensorBaseESH_lENKUlvE_clEvENKUlvE4_clEvEUlS6_S6_E_S6_EEDaPvRmT3_T4_T5_mT6_P12ihipStream_tbENKUlT_T0_E_clISt17integral_constantIbLb0EESY_EEDaST_SU_EUlST_E0_NS1_11comp_targetILNS1_3genE9ELNS1_11target_archE1100ELNS1_3gpuE3ELNS1_3repE0EEENS1_30default_config_static_selectorELNS0_4arch9wavefront6targetE1EEEvT1_,"axG",@progbits,_ZN7rocprim17ROCPRIM_400000_NS6detail17trampoline_kernelINS0_14default_configENS1_20scan_config_selectorIN3c108BFloat16EEEZZNS1_9scan_implILNS1_25lookback_scan_determinismE0ELb0ELb0ES3_PKS6_PS6_S6_ZZZN2at6native31launch_logcumsumexp_cuda_kernelERKNSD_10TensorBaseESH_lENKUlvE_clEvENKUlvE4_clEvEUlS6_S6_E_S6_EEDaPvRmT3_T4_T5_mT6_P12ihipStream_tbENKUlT_T0_E_clISt17integral_constantIbLb0EESY_EEDaST_SU_EUlST_E0_NS1_11comp_targetILNS1_3genE9ELNS1_11target_archE1100ELNS1_3gpuE3ELNS1_3repE0EEENS1_30default_config_static_selectorELNS0_4arch9wavefront6targetE1EEEvT1_,comdat
	.globl	_ZN7rocprim17ROCPRIM_400000_NS6detail17trampoline_kernelINS0_14default_configENS1_20scan_config_selectorIN3c108BFloat16EEEZZNS1_9scan_implILNS1_25lookback_scan_determinismE0ELb0ELb0ES3_PKS6_PS6_S6_ZZZN2at6native31launch_logcumsumexp_cuda_kernelERKNSD_10TensorBaseESH_lENKUlvE_clEvENKUlvE4_clEvEUlS6_S6_E_S6_EEDaPvRmT3_T4_T5_mT6_P12ihipStream_tbENKUlT_T0_E_clISt17integral_constantIbLb0EESY_EEDaST_SU_EUlST_E0_NS1_11comp_targetILNS1_3genE9ELNS1_11target_archE1100ELNS1_3gpuE3ELNS1_3repE0EEENS1_30default_config_static_selectorELNS0_4arch9wavefront6targetE1EEEvT1_ ; -- Begin function _ZN7rocprim17ROCPRIM_400000_NS6detail17trampoline_kernelINS0_14default_configENS1_20scan_config_selectorIN3c108BFloat16EEEZZNS1_9scan_implILNS1_25lookback_scan_determinismE0ELb0ELb0ES3_PKS6_PS6_S6_ZZZN2at6native31launch_logcumsumexp_cuda_kernelERKNSD_10TensorBaseESH_lENKUlvE_clEvENKUlvE4_clEvEUlS6_S6_E_S6_EEDaPvRmT3_T4_T5_mT6_P12ihipStream_tbENKUlT_T0_E_clISt17integral_constantIbLb0EESY_EEDaST_SU_EUlST_E0_NS1_11comp_targetILNS1_3genE9ELNS1_11target_archE1100ELNS1_3gpuE3ELNS1_3repE0EEENS1_30default_config_static_selectorELNS0_4arch9wavefront6targetE1EEEvT1_
	.p2align	8
	.type	_ZN7rocprim17ROCPRIM_400000_NS6detail17trampoline_kernelINS0_14default_configENS1_20scan_config_selectorIN3c108BFloat16EEEZZNS1_9scan_implILNS1_25lookback_scan_determinismE0ELb0ELb0ES3_PKS6_PS6_S6_ZZZN2at6native31launch_logcumsumexp_cuda_kernelERKNSD_10TensorBaseESH_lENKUlvE_clEvENKUlvE4_clEvEUlS6_S6_E_S6_EEDaPvRmT3_T4_T5_mT6_P12ihipStream_tbENKUlT_T0_E_clISt17integral_constantIbLb0EESY_EEDaST_SU_EUlST_E0_NS1_11comp_targetILNS1_3genE9ELNS1_11target_archE1100ELNS1_3gpuE3ELNS1_3repE0EEENS1_30default_config_static_selectorELNS0_4arch9wavefront6targetE1EEEvT1_,@function
_ZN7rocprim17ROCPRIM_400000_NS6detail17trampoline_kernelINS0_14default_configENS1_20scan_config_selectorIN3c108BFloat16EEEZZNS1_9scan_implILNS1_25lookback_scan_determinismE0ELb0ELb0ES3_PKS6_PS6_S6_ZZZN2at6native31launch_logcumsumexp_cuda_kernelERKNSD_10TensorBaseESH_lENKUlvE_clEvENKUlvE4_clEvEUlS6_S6_E_S6_EEDaPvRmT3_T4_T5_mT6_P12ihipStream_tbENKUlT_T0_E_clISt17integral_constantIbLb0EESY_EEDaST_SU_EUlST_E0_NS1_11comp_targetILNS1_3genE9ELNS1_11target_archE1100ELNS1_3gpuE3ELNS1_3repE0EEENS1_30default_config_static_selectorELNS0_4arch9wavefront6targetE1EEEvT1_: ; @_ZN7rocprim17ROCPRIM_400000_NS6detail17trampoline_kernelINS0_14default_configENS1_20scan_config_selectorIN3c108BFloat16EEEZZNS1_9scan_implILNS1_25lookback_scan_determinismE0ELb0ELb0ES3_PKS6_PS6_S6_ZZZN2at6native31launch_logcumsumexp_cuda_kernelERKNSD_10TensorBaseESH_lENKUlvE_clEvENKUlvE4_clEvEUlS6_S6_E_S6_EEDaPvRmT3_T4_T5_mT6_P12ihipStream_tbENKUlT_T0_E_clISt17integral_constantIbLb0EESY_EEDaST_SU_EUlST_E0_NS1_11comp_targetILNS1_3genE9ELNS1_11target_archE1100ELNS1_3gpuE3ELNS1_3repE0EEENS1_30default_config_static_selectorELNS0_4arch9wavefront6targetE1EEEvT1_
; %bb.0:
	.section	.rodata,"a",@progbits
	.p2align	6, 0x0
	.amdhsa_kernel _ZN7rocprim17ROCPRIM_400000_NS6detail17trampoline_kernelINS0_14default_configENS1_20scan_config_selectorIN3c108BFloat16EEEZZNS1_9scan_implILNS1_25lookback_scan_determinismE0ELb0ELb0ES3_PKS6_PS6_S6_ZZZN2at6native31launch_logcumsumexp_cuda_kernelERKNSD_10TensorBaseESH_lENKUlvE_clEvENKUlvE4_clEvEUlS6_S6_E_S6_EEDaPvRmT3_T4_T5_mT6_P12ihipStream_tbENKUlT_T0_E_clISt17integral_constantIbLb0EESY_EEDaST_SU_EUlST_E0_NS1_11comp_targetILNS1_3genE9ELNS1_11target_archE1100ELNS1_3gpuE3ELNS1_3repE0EEENS1_30default_config_static_selectorELNS0_4arch9wavefront6targetE1EEEvT1_
		.amdhsa_group_segment_fixed_size 0
		.amdhsa_private_segment_fixed_size 0
		.amdhsa_kernarg_size 32
		.amdhsa_user_sgpr_count 6
		.amdhsa_user_sgpr_private_segment_buffer 1
		.amdhsa_user_sgpr_dispatch_ptr 0
		.amdhsa_user_sgpr_queue_ptr 0
		.amdhsa_user_sgpr_kernarg_segment_ptr 1
		.amdhsa_user_sgpr_dispatch_id 0
		.amdhsa_user_sgpr_flat_scratch_init 0
		.amdhsa_user_sgpr_private_segment_size 0
		.amdhsa_uses_dynamic_stack 0
		.amdhsa_system_sgpr_private_segment_wavefront_offset 0
		.amdhsa_system_sgpr_workgroup_id_x 1
		.amdhsa_system_sgpr_workgroup_id_y 0
		.amdhsa_system_sgpr_workgroup_id_z 0
		.amdhsa_system_sgpr_workgroup_info 0
		.amdhsa_system_vgpr_workitem_id 0
		.amdhsa_next_free_vgpr 1
		.amdhsa_next_free_sgpr 0
		.amdhsa_reserve_vcc 0
		.amdhsa_reserve_flat_scratch 0
		.amdhsa_float_round_mode_32 0
		.amdhsa_float_round_mode_16_64 0
		.amdhsa_float_denorm_mode_32 3
		.amdhsa_float_denorm_mode_16_64 3
		.amdhsa_dx10_clamp 1
		.amdhsa_ieee_mode 1
		.amdhsa_fp16_overflow 0
		.amdhsa_exception_fp_ieee_invalid_op 0
		.amdhsa_exception_fp_denorm_src 0
		.amdhsa_exception_fp_ieee_div_zero 0
		.amdhsa_exception_fp_ieee_overflow 0
		.amdhsa_exception_fp_ieee_underflow 0
		.amdhsa_exception_fp_ieee_inexact 0
		.amdhsa_exception_int_div_zero 0
	.end_amdhsa_kernel
	.section	.text._ZN7rocprim17ROCPRIM_400000_NS6detail17trampoline_kernelINS0_14default_configENS1_20scan_config_selectorIN3c108BFloat16EEEZZNS1_9scan_implILNS1_25lookback_scan_determinismE0ELb0ELb0ES3_PKS6_PS6_S6_ZZZN2at6native31launch_logcumsumexp_cuda_kernelERKNSD_10TensorBaseESH_lENKUlvE_clEvENKUlvE4_clEvEUlS6_S6_E_S6_EEDaPvRmT3_T4_T5_mT6_P12ihipStream_tbENKUlT_T0_E_clISt17integral_constantIbLb0EESY_EEDaST_SU_EUlST_E0_NS1_11comp_targetILNS1_3genE9ELNS1_11target_archE1100ELNS1_3gpuE3ELNS1_3repE0EEENS1_30default_config_static_selectorELNS0_4arch9wavefront6targetE1EEEvT1_,"axG",@progbits,_ZN7rocprim17ROCPRIM_400000_NS6detail17trampoline_kernelINS0_14default_configENS1_20scan_config_selectorIN3c108BFloat16EEEZZNS1_9scan_implILNS1_25lookback_scan_determinismE0ELb0ELb0ES3_PKS6_PS6_S6_ZZZN2at6native31launch_logcumsumexp_cuda_kernelERKNSD_10TensorBaseESH_lENKUlvE_clEvENKUlvE4_clEvEUlS6_S6_E_S6_EEDaPvRmT3_T4_T5_mT6_P12ihipStream_tbENKUlT_T0_E_clISt17integral_constantIbLb0EESY_EEDaST_SU_EUlST_E0_NS1_11comp_targetILNS1_3genE9ELNS1_11target_archE1100ELNS1_3gpuE3ELNS1_3repE0EEENS1_30default_config_static_selectorELNS0_4arch9wavefront6targetE1EEEvT1_,comdat
.Lfunc_end462:
	.size	_ZN7rocprim17ROCPRIM_400000_NS6detail17trampoline_kernelINS0_14default_configENS1_20scan_config_selectorIN3c108BFloat16EEEZZNS1_9scan_implILNS1_25lookback_scan_determinismE0ELb0ELb0ES3_PKS6_PS6_S6_ZZZN2at6native31launch_logcumsumexp_cuda_kernelERKNSD_10TensorBaseESH_lENKUlvE_clEvENKUlvE4_clEvEUlS6_S6_E_S6_EEDaPvRmT3_T4_T5_mT6_P12ihipStream_tbENKUlT_T0_E_clISt17integral_constantIbLb0EESY_EEDaST_SU_EUlST_E0_NS1_11comp_targetILNS1_3genE9ELNS1_11target_archE1100ELNS1_3gpuE3ELNS1_3repE0EEENS1_30default_config_static_selectorELNS0_4arch9wavefront6targetE1EEEvT1_, .Lfunc_end462-_ZN7rocprim17ROCPRIM_400000_NS6detail17trampoline_kernelINS0_14default_configENS1_20scan_config_selectorIN3c108BFloat16EEEZZNS1_9scan_implILNS1_25lookback_scan_determinismE0ELb0ELb0ES3_PKS6_PS6_S6_ZZZN2at6native31launch_logcumsumexp_cuda_kernelERKNSD_10TensorBaseESH_lENKUlvE_clEvENKUlvE4_clEvEUlS6_S6_E_S6_EEDaPvRmT3_T4_T5_mT6_P12ihipStream_tbENKUlT_T0_E_clISt17integral_constantIbLb0EESY_EEDaST_SU_EUlST_E0_NS1_11comp_targetILNS1_3genE9ELNS1_11target_archE1100ELNS1_3gpuE3ELNS1_3repE0EEENS1_30default_config_static_selectorELNS0_4arch9wavefront6targetE1EEEvT1_
                                        ; -- End function
	.set _ZN7rocprim17ROCPRIM_400000_NS6detail17trampoline_kernelINS0_14default_configENS1_20scan_config_selectorIN3c108BFloat16EEEZZNS1_9scan_implILNS1_25lookback_scan_determinismE0ELb0ELb0ES3_PKS6_PS6_S6_ZZZN2at6native31launch_logcumsumexp_cuda_kernelERKNSD_10TensorBaseESH_lENKUlvE_clEvENKUlvE4_clEvEUlS6_S6_E_S6_EEDaPvRmT3_T4_T5_mT6_P12ihipStream_tbENKUlT_T0_E_clISt17integral_constantIbLb0EESY_EEDaST_SU_EUlST_E0_NS1_11comp_targetILNS1_3genE9ELNS1_11target_archE1100ELNS1_3gpuE3ELNS1_3repE0EEENS1_30default_config_static_selectorELNS0_4arch9wavefront6targetE1EEEvT1_.num_vgpr, 0
	.set _ZN7rocprim17ROCPRIM_400000_NS6detail17trampoline_kernelINS0_14default_configENS1_20scan_config_selectorIN3c108BFloat16EEEZZNS1_9scan_implILNS1_25lookback_scan_determinismE0ELb0ELb0ES3_PKS6_PS6_S6_ZZZN2at6native31launch_logcumsumexp_cuda_kernelERKNSD_10TensorBaseESH_lENKUlvE_clEvENKUlvE4_clEvEUlS6_S6_E_S6_EEDaPvRmT3_T4_T5_mT6_P12ihipStream_tbENKUlT_T0_E_clISt17integral_constantIbLb0EESY_EEDaST_SU_EUlST_E0_NS1_11comp_targetILNS1_3genE9ELNS1_11target_archE1100ELNS1_3gpuE3ELNS1_3repE0EEENS1_30default_config_static_selectorELNS0_4arch9wavefront6targetE1EEEvT1_.num_agpr, 0
	.set _ZN7rocprim17ROCPRIM_400000_NS6detail17trampoline_kernelINS0_14default_configENS1_20scan_config_selectorIN3c108BFloat16EEEZZNS1_9scan_implILNS1_25lookback_scan_determinismE0ELb0ELb0ES3_PKS6_PS6_S6_ZZZN2at6native31launch_logcumsumexp_cuda_kernelERKNSD_10TensorBaseESH_lENKUlvE_clEvENKUlvE4_clEvEUlS6_S6_E_S6_EEDaPvRmT3_T4_T5_mT6_P12ihipStream_tbENKUlT_T0_E_clISt17integral_constantIbLb0EESY_EEDaST_SU_EUlST_E0_NS1_11comp_targetILNS1_3genE9ELNS1_11target_archE1100ELNS1_3gpuE3ELNS1_3repE0EEENS1_30default_config_static_selectorELNS0_4arch9wavefront6targetE1EEEvT1_.numbered_sgpr, 0
	.set _ZN7rocprim17ROCPRIM_400000_NS6detail17trampoline_kernelINS0_14default_configENS1_20scan_config_selectorIN3c108BFloat16EEEZZNS1_9scan_implILNS1_25lookback_scan_determinismE0ELb0ELb0ES3_PKS6_PS6_S6_ZZZN2at6native31launch_logcumsumexp_cuda_kernelERKNSD_10TensorBaseESH_lENKUlvE_clEvENKUlvE4_clEvEUlS6_S6_E_S6_EEDaPvRmT3_T4_T5_mT6_P12ihipStream_tbENKUlT_T0_E_clISt17integral_constantIbLb0EESY_EEDaST_SU_EUlST_E0_NS1_11comp_targetILNS1_3genE9ELNS1_11target_archE1100ELNS1_3gpuE3ELNS1_3repE0EEENS1_30default_config_static_selectorELNS0_4arch9wavefront6targetE1EEEvT1_.num_named_barrier, 0
	.set _ZN7rocprim17ROCPRIM_400000_NS6detail17trampoline_kernelINS0_14default_configENS1_20scan_config_selectorIN3c108BFloat16EEEZZNS1_9scan_implILNS1_25lookback_scan_determinismE0ELb0ELb0ES3_PKS6_PS6_S6_ZZZN2at6native31launch_logcumsumexp_cuda_kernelERKNSD_10TensorBaseESH_lENKUlvE_clEvENKUlvE4_clEvEUlS6_S6_E_S6_EEDaPvRmT3_T4_T5_mT6_P12ihipStream_tbENKUlT_T0_E_clISt17integral_constantIbLb0EESY_EEDaST_SU_EUlST_E0_NS1_11comp_targetILNS1_3genE9ELNS1_11target_archE1100ELNS1_3gpuE3ELNS1_3repE0EEENS1_30default_config_static_selectorELNS0_4arch9wavefront6targetE1EEEvT1_.private_seg_size, 0
	.set _ZN7rocprim17ROCPRIM_400000_NS6detail17trampoline_kernelINS0_14default_configENS1_20scan_config_selectorIN3c108BFloat16EEEZZNS1_9scan_implILNS1_25lookback_scan_determinismE0ELb0ELb0ES3_PKS6_PS6_S6_ZZZN2at6native31launch_logcumsumexp_cuda_kernelERKNSD_10TensorBaseESH_lENKUlvE_clEvENKUlvE4_clEvEUlS6_S6_E_S6_EEDaPvRmT3_T4_T5_mT6_P12ihipStream_tbENKUlT_T0_E_clISt17integral_constantIbLb0EESY_EEDaST_SU_EUlST_E0_NS1_11comp_targetILNS1_3genE9ELNS1_11target_archE1100ELNS1_3gpuE3ELNS1_3repE0EEENS1_30default_config_static_selectorELNS0_4arch9wavefront6targetE1EEEvT1_.uses_vcc, 0
	.set _ZN7rocprim17ROCPRIM_400000_NS6detail17trampoline_kernelINS0_14default_configENS1_20scan_config_selectorIN3c108BFloat16EEEZZNS1_9scan_implILNS1_25lookback_scan_determinismE0ELb0ELb0ES3_PKS6_PS6_S6_ZZZN2at6native31launch_logcumsumexp_cuda_kernelERKNSD_10TensorBaseESH_lENKUlvE_clEvENKUlvE4_clEvEUlS6_S6_E_S6_EEDaPvRmT3_T4_T5_mT6_P12ihipStream_tbENKUlT_T0_E_clISt17integral_constantIbLb0EESY_EEDaST_SU_EUlST_E0_NS1_11comp_targetILNS1_3genE9ELNS1_11target_archE1100ELNS1_3gpuE3ELNS1_3repE0EEENS1_30default_config_static_selectorELNS0_4arch9wavefront6targetE1EEEvT1_.uses_flat_scratch, 0
	.set _ZN7rocprim17ROCPRIM_400000_NS6detail17trampoline_kernelINS0_14default_configENS1_20scan_config_selectorIN3c108BFloat16EEEZZNS1_9scan_implILNS1_25lookback_scan_determinismE0ELb0ELb0ES3_PKS6_PS6_S6_ZZZN2at6native31launch_logcumsumexp_cuda_kernelERKNSD_10TensorBaseESH_lENKUlvE_clEvENKUlvE4_clEvEUlS6_S6_E_S6_EEDaPvRmT3_T4_T5_mT6_P12ihipStream_tbENKUlT_T0_E_clISt17integral_constantIbLb0EESY_EEDaST_SU_EUlST_E0_NS1_11comp_targetILNS1_3genE9ELNS1_11target_archE1100ELNS1_3gpuE3ELNS1_3repE0EEENS1_30default_config_static_selectorELNS0_4arch9wavefront6targetE1EEEvT1_.has_dyn_sized_stack, 0
	.set _ZN7rocprim17ROCPRIM_400000_NS6detail17trampoline_kernelINS0_14default_configENS1_20scan_config_selectorIN3c108BFloat16EEEZZNS1_9scan_implILNS1_25lookback_scan_determinismE0ELb0ELb0ES3_PKS6_PS6_S6_ZZZN2at6native31launch_logcumsumexp_cuda_kernelERKNSD_10TensorBaseESH_lENKUlvE_clEvENKUlvE4_clEvEUlS6_S6_E_S6_EEDaPvRmT3_T4_T5_mT6_P12ihipStream_tbENKUlT_T0_E_clISt17integral_constantIbLb0EESY_EEDaST_SU_EUlST_E0_NS1_11comp_targetILNS1_3genE9ELNS1_11target_archE1100ELNS1_3gpuE3ELNS1_3repE0EEENS1_30default_config_static_selectorELNS0_4arch9wavefront6targetE1EEEvT1_.has_recursion, 0
	.set _ZN7rocprim17ROCPRIM_400000_NS6detail17trampoline_kernelINS0_14default_configENS1_20scan_config_selectorIN3c108BFloat16EEEZZNS1_9scan_implILNS1_25lookback_scan_determinismE0ELb0ELb0ES3_PKS6_PS6_S6_ZZZN2at6native31launch_logcumsumexp_cuda_kernelERKNSD_10TensorBaseESH_lENKUlvE_clEvENKUlvE4_clEvEUlS6_S6_E_S6_EEDaPvRmT3_T4_T5_mT6_P12ihipStream_tbENKUlT_T0_E_clISt17integral_constantIbLb0EESY_EEDaST_SU_EUlST_E0_NS1_11comp_targetILNS1_3genE9ELNS1_11target_archE1100ELNS1_3gpuE3ELNS1_3repE0EEENS1_30default_config_static_selectorELNS0_4arch9wavefront6targetE1EEEvT1_.has_indirect_call, 0
	.section	.AMDGPU.csdata,"",@progbits
; Kernel info:
; codeLenInByte = 0
; TotalNumSgprs: 4
; NumVgprs: 0
; ScratchSize: 0
; MemoryBound: 0
; FloatMode: 240
; IeeeMode: 1
; LDSByteSize: 0 bytes/workgroup (compile time only)
; SGPRBlocks: 0
; VGPRBlocks: 0
; NumSGPRsForWavesPerEU: 4
; NumVGPRsForWavesPerEU: 1
; Occupancy: 10
; WaveLimiterHint : 0
; COMPUTE_PGM_RSRC2:SCRATCH_EN: 0
; COMPUTE_PGM_RSRC2:USER_SGPR: 6
; COMPUTE_PGM_RSRC2:TRAP_HANDLER: 0
; COMPUTE_PGM_RSRC2:TGID_X_EN: 1
; COMPUTE_PGM_RSRC2:TGID_Y_EN: 0
; COMPUTE_PGM_RSRC2:TGID_Z_EN: 0
; COMPUTE_PGM_RSRC2:TIDIG_COMP_CNT: 0
	.section	.text._ZN7rocprim17ROCPRIM_400000_NS6detail17trampoline_kernelINS0_14default_configENS1_20scan_config_selectorIN3c108BFloat16EEEZZNS1_9scan_implILNS1_25lookback_scan_determinismE0ELb0ELb0ES3_PKS6_PS6_S6_ZZZN2at6native31launch_logcumsumexp_cuda_kernelERKNSD_10TensorBaseESH_lENKUlvE_clEvENKUlvE4_clEvEUlS6_S6_E_S6_EEDaPvRmT3_T4_T5_mT6_P12ihipStream_tbENKUlT_T0_E_clISt17integral_constantIbLb0EESY_EEDaST_SU_EUlST_E0_NS1_11comp_targetILNS1_3genE8ELNS1_11target_archE1030ELNS1_3gpuE2ELNS1_3repE0EEENS1_30default_config_static_selectorELNS0_4arch9wavefront6targetE1EEEvT1_,"axG",@progbits,_ZN7rocprim17ROCPRIM_400000_NS6detail17trampoline_kernelINS0_14default_configENS1_20scan_config_selectorIN3c108BFloat16EEEZZNS1_9scan_implILNS1_25lookback_scan_determinismE0ELb0ELb0ES3_PKS6_PS6_S6_ZZZN2at6native31launch_logcumsumexp_cuda_kernelERKNSD_10TensorBaseESH_lENKUlvE_clEvENKUlvE4_clEvEUlS6_S6_E_S6_EEDaPvRmT3_T4_T5_mT6_P12ihipStream_tbENKUlT_T0_E_clISt17integral_constantIbLb0EESY_EEDaST_SU_EUlST_E0_NS1_11comp_targetILNS1_3genE8ELNS1_11target_archE1030ELNS1_3gpuE2ELNS1_3repE0EEENS1_30default_config_static_selectorELNS0_4arch9wavefront6targetE1EEEvT1_,comdat
	.globl	_ZN7rocprim17ROCPRIM_400000_NS6detail17trampoline_kernelINS0_14default_configENS1_20scan_config_selectorIN3c108BFloat16EEEZZNS1_9scan_implILNS1_25lookback_scan_determinismE0ELb0ELb0ES3_PKS6_PS6_S6_ZZZN2at6native31launch_logcumsumexp_cuda_kernelERKNSD_10TensorBaseESH_lENKUlvE_clEvENKUlvE4_clEvEUlS6_S6_E_S6_EEDaPvRmT3_T4_T5_mT6_P12ihipStream_tbENKUlT_T0_E_clISt17integral_constantIbLb0EESY_EEDaST_SU_EUlST_E0_NS1_11comp_targetILNS1_3genE8ELNS1_11target_archE1030ELNS1_3gpuE2ELNS1_3repE0EEENS1_30default_config_static_selectorELNS0_4arch9wavefront6targetE1EEEvT1_ ; -- Begin function _ZN7rocprim17ROCPRIM_400000_NS6detail17trampoline_kernelINS0_14default_configENS1_20scan_config_selectorIN3c108BFloat16EEEZZNS1_9scan_implILNS1_25lookback_scan_determinismE0ELb0ELb0ES3_PKS6_PS6_S6_ZZZN2at6native31launch_logcumsumexp_cuda_kernelERKNSD_10TensorBaseESH_lENKUlvE_clEvENKUlvE4_clEvEUlS6_S6_E_S6_EEDaPvRmT3_T4_T5_mT6_P12ihipStream_tbENKUlT_T0_E_clISt17integral_constantIbLb0EESY_EEDaST_SU_EUlST_E0_NS1_11comp_targetILNS1_3genE8ELNS1_11target_archE1030ELNS1_3gpuE2ELNS1_3repE0EEENS1_30default_config_static_selectorELNS0_4arch9wavefront6targetE1EEEvT1_
	.p2align	8
	.type	_ZN7rocprim17ROCPRIM_400000_NS6detail17trampoline_kernelINS0_14default_configENS1_20scan_config_selectorIN3c108BFloat16EEEZZNS1_9scan_implILNS1_25lookback_scan_determinismE0ELb0ELb0ES3_PKS6_PS6_S6_ZZZN2at6native31launch_logcumsumexp_cuda_kernelERKNSD_10TensorBaseESH_lENKUlvE_clEvENKUlvE4_clEvEUlS6_S6_E_S6_EEDaPvRmT3_T4_T5_mT6_P12ihipStream_tbENKUlT_T0_E_clISt17integral_constantIbLb0EESY_EEDaST_SU_EUlST_E0_NS1_11comp_targetILNS1_3genE8ELNS1_11target_archE1030ELNS1_3gpuE2ELNS1_3repE0EEENS1_30default_config_static_selectorELNS0_4arch9wavefront6targetE1EEEvT1_,@function
_ZN7rocprim17ROCPRIM_400000_NS6detail17trampoline_kernelINS0_14default_configENS1_20scan_config_selectorIN3c108BFloat16EEEZZNS1_9scan_implILNS1_25lookback_scan_determinismE0ELb0ELb0ES3_PKS6_PS6_S6_ZZZN2at6native31launch_logcumsumexp_cuda_kernelERKNSD_10TensorBaseESH_lENKUlvE_clEvENKUlvE4_clEvEUlS6_S6_E_S6_EEDaPvRmT3_T4_T5_mT6_P12ihipStream_tbENKUlT_T0_E_clISt17integral_constantIbLb0EESY_EEDaST_SU_EUlST_E0_NS1_11comp_targetILNS1_3genE8ELNS1_11target_archE1030ELNS1_3gpuE2ELNS1_3repE0EEENS1_30default_config_static_selectorELNS0_4arch9wavefront6targetE1EEEvT1_: ; @_ZN7rocprim17ROCPRIM_400000_NS6detail17trampoline_kernelINS0_14default_configENS1_20scan_config_selectorIN3c108BFloat16EEEZZNS1_9scan_implILNS1_25lookback_scan_determinismE0ELb0ELb0ES3_PKS6_PS6_S6_ZZZN2at6native31launch_logcumsumexp_cuda_kernelERKNSD_10TensorBaseESH_lENKUlvE_clEvENKUlvE4_clEvEUlS6_S6_E_S6_EEDaPvRmT3_T4_T5_mT6_P12ihipStream_tbENKUlT_T0_E_clISt17integral_constantIbLb0EESY_EEDaST_SU_EUlST_E0_NS1_11comp_targetILNS1_3genE8ELNS1_11target_archE1030ELNS1_3gpuE2ELNS1_3repE0EEENS1_30default_config_static_selectorELNS0_4arch9wavefront6targetE1EEEvT1_
; %bb.0:
	.section	.rodata,"a",@progbits
	.p2align	6, 0x0
	.amdhsa_kernel _ZN7rocprim17ROCPRIM_400000_NS6detail17trampoline_kernelINS0_14default_configENS1_20scan_config_selectorIN3c108BFloat16EEEZZNS1_9scan_implILNS1_25lookback_scan_determinismE0ELb0ELb0ES3_PKS6_PS6_S6_ZZZN2at6native31launch_logcumsumexp_cuda_kernelERKNSD_10TensorBaseESH_lENKUlvE_clEvENKUlvE4_clEvEUlS6_S6_E_S6_EEDaPvRmT3_T4_T5_mT6_P12ihipStream_tbENKUlT_T0_E_clISt17integral_constantIbLb0EESY_EEDaST_SU_EUlST_E0_NS1_11comp_targetILNS1_3genE8ELNS1_11target_archE1030ELNS1_3gpuE2ELNS1_3repE0EEENS1_30default_config_static_selectorELNS0_4arch9wavefront6targetE1EEEvT1_
		.amdhsa_group_segment_fixed_size 0
		.amdhsa_private_segment_fixed_size 0
		.amdhsa_kernarg_size 32
		.amdhsa_user_sgpr_count 6
		.amdhsa_user_sgpr_private_segment_buffer 1
		.amdhsa_user_sgpr_dispatch_ptr 0
		.amdhsa_user_sgpr_queue_ptr 0
		.amdhsa_user_sgpr_kernarg_segment_ptr 1
		.amdhsa_user_sgpr_dispatch_id 0
		.amdhsa_user_sgpr_flat_scratch_init 0
		.amdhsa_user_sgpr_private_segment_size 0
		.amdhsa_uses_dynamic_stack 0
		.amdhsa_system_sgpr_private_segment_wavefront_offset 0
		.amdhsa_system_sgpr_workgroup_id_x 1
		.amdhsa_system_sgpr_workgroup_id_y 0
		.amdhsa_system_sgpr_workgroup_id_z 0
		.amdhsa_system_sgpr_workgroup_info 0
		.amdhsa_system_vgpr_workitem_id 0
		.amdhsa_next_free_vgpr 1
		.amdhsa_next_free_sgpr 0
		.amdhsa_reserve_vcc 0
		.amdhsa_reserve_flat_scratch 0
		.amdhsa_float_round_mode_32 0
		.amdhsa_float_round_mode_16_64 0
		.amdhsa_float_denorm_mode_32 3
		.amdhsa_float_denorm_mode_16_64 3
		.amdhsa_dx10_clamp 1
		.amdhsa_ieee_mode 1
		.amdhsa_fp16_overflow 0
		.amdhsa_exception_fp_ieee_invalid_op 0
		.amdhsa_exception_fp_denorm_src 0
		.amdhsa_exception_fp_ieee_div_zero 0
		.amdhsa_exception_fp_ieee_overflow 0
		.amdhsa_exception_fp_ieee_underflow 0
		.amdhsa_exception_fp_ieee_inexact 0
		.amdhsa_exception_int_div_zero 0
	.end_amdhsa_kernel
	.section	.text._ZN7rocprim17ROCPRIM_400000_NS6detail17trampoline_kernelINS0_14default_configENS1_20scan_config_selectorIN3c108BFloat16EEEZZNS1_9scan_implILNS1_25lookback_scan_determinismE0ELb0ELb0ES3_PKS6_PS6_S6_ZZZN2at6native31launch_logcumsumexp_cuda_kernelERKNSD_10TensorBaseESH_lENKUlvE_clEvENKUlvE4_clEvEUlS6_S6_E_S6_EEDaPvRmT3_T4_T5_mT6_P12ihipStream_tbENKUlT_T0_E_clISt17integral_constantIbLb0EESY_EEDaST_SU_EUlST_E0_NS1_11comp_targetILNS1_3genE8ELNS1_11target_archE1030ELNS1_3gpuE2ELNS1_3repE0EEENS1_30default_config_static_selectorELNS0_4arch9wavefront6targetE1EEEvT1_,"axG",@progbits,_ZN7rocprim17ROCPRIM_400000_NS6detail17trampoline_kernelINS0_14default_configENS1_20scan_config_selectorIN3c108BFloat16EEEZZNS1_9scan_implILNS1_25lookback_scan_determinismE0ELb0ELb0ES3_PKS6_PS6_S6_ZZZN2at6native31launch_logcumsumexp_cuda_kernelERKNSD_10TensorBaseESH_lENKUlvE_clEvENKUlvE4_clEvEUlS6_S6_E_S6_EEDaPvRmT3_T4_T5_mT6_P12ihipStream_tbENKUlT_T0_E_clISt17integral_constantIbLb0EESY_EEDaST_SU_EUlST_E0_NS1_11comp_targetILNS1_3genE8ELNS1_11target_archE1030ELNS1_3gpuE2ELNS1_3repE0EEENS1_30default_config_static_selectorELNS0_4arch9wavefront6targetE1EEEvT1_,comdat
.Lfunc_end463:
	.size	_ZN7rocprim17ROCPRIM_400000_NS6detail17trampoline_kernelINS0_14default_configENS1_20scan_config_selectorIN3c108BFloat16EEEZZNS1_9scan_implILNS1_25lookback_scan_determinismE0ELb0ELb0ES3_PKS6_PS6_S6_ZZZN2at6native31launch_logcumsumexp_cuda_kernelERKNSD_10TensorBaseESH_lENKUlvE_clEvENKUlvE4_clEvEUlS6_S6_E_S6_EEDaPvRmT3_T4_T5_mT6_P12ihipStream_tbENKUlT_T0_E_clISt17integral_constantIbLb0EESY_EEDaST_SU_EUlST_E0_NS1_11comp_targetILNS1_3genE8ELNS1_11target_archE1030ELNS1_3gpuE2ELNS1_3repE0EEENS1_30default_config_static_selectorELNS0_4arch9wavefront6targetE1EEEvT1_, .Lfunc_end463-_ZN7rocprim17ROCPRIM_400000_NS6detail17trampoline_kernelINS0_14default_configENS1_20scan_config_selectorIN3c108BFloat16EEEZZNS1_9scan_implILNS1_25lookback_scan_determinismE0ELb0ELb0ES3_PKS6_PS6_S6_ZZZN2at6native31launch_logcumsumexp_cuda_kernelERKNSD_10TensorBaseESH_lENKUlvE_clEvENKUlvE4_clEvEUlS6_S6_E_S6_EEDaPvRmT3_T4_T5_mT6_P12ihipStream_tbENKUlT_T0_E_clISt17integral_constantIbLb0EESY_EEDaST_SU_EUlST_E0_NS1_11comp_targetILNS1_3genE8ELNS1_11target_archE1030ELNS1_3gpuE2ELNS1_3repE0EEENS1_30default_config_static_selectorELNS0_4arch9wavefront6targetE1EEEvT1_
                                        ; -- End function
	.set _ZN7rocprim17ROCPRIM_400000_NS6detail17trampoline_kernelINS0_14default_configENS1_20scan_config_selectorIN3c108BFloat16EEEZZNS1_9scan_implILNS1_25lookback_scan_determinismE0ELb0ELb0ES3_PKS6_PS6_S6_ZZZN2at6native31launch_logcumsumexp_cuda_kernelERKNSD_10TensorBaseESH_lENKUlvE_clEvENKUlvE4_clEvEUlS6_S6_E_S6_EEDaPvRmT3_T4_T5_mT6_P12ihipStream_tbENKUlT_T0_E_clISt17integral_constantIbLb0EESY_EEDaST_SU_EUlST_E0_NS1_11comp_targetILNS1_3genE8ELNS1_11target_archE1030ELNS1_3gpuE2ELNS1_3repE0EEENS1_30default_config_static_selectorELNS0_4arch9wavefront6targetE1EEEvT1_.num_vgpr, 0
	.set _ZN7rocprim17ROCPRIM_400000_NS6detail17trampoline_kernelINS0_14default_configENS1_20scan_config_selectorIN3c108BFloat16EEEZZNS1_9scan_implILNS1_25lookback_scan_determinismE0ELb0ELb0ES3_PKS6_PS6_S6_ZZZN2at6native31launch_logcumsumexp_cuda_kernelERKNSD_10TensorBaseESH_lENKUlvE_clEvENKUlvE4_clEvEUlS6_S6_E_S6_EEDaPvRmT3_T4_T5_mT6_P12ihipStream_tbENKUlT_T0_E_clISt17integral_constantIbLb0EESY_EEDaST_SU_EUlST_E0_NS1_11comp_targetILNS1_3genE8ELNS1_11target_archE1030ELNS1_3gpuE2ELNS1_3repE0EEENS1_30default_config_static_selectorELNS0_4arch9wavefront6targetE1EEEvT1_.num_agpr, 0
	.set _ZN7rocprim17ROCPRIM_400000_NS6detail17trampoline_kernelINS0_14default_configENS1_20scan_config_selectorIN3c108BFloat16EEEZZNS1_9scan_implILNS1_25lookback_scan_determinismE0ELb0ELb0ES3_PKS6_PS6_S6_ZZZN2at6native31launch_logcumsumexp_cuda_kernelERKNSD_10TensorBaseESH_lENKUlvE_clEvENKUlvE4_clEvEUlS6_S6_E_S6_EEDaPvRmT3_T4_T5_mT6_P12ihipStream_tbENKUlT_T0_E_clISt17integral_constantIbLb0EESY_EEDaST_SU_EUlST_E0_NS1_11comp_targetILNS1_3genE8ELNS1_11target_archE1030ELNS1_3gpuE2ELNS1_3repE0EEENS1_30default_config_static_selectorELNS0_4arch9wavefront6targetE1EEEvT1_.numbered_sgpr, 0
	.set _ZN7rocprim17ROCPRIM_400000_NS6detail17trampoline_kernelINS0_14default_configENS1_20scan_config_selectorIN3c108BFloat16EEEZZNS1_9scan_implILNS1_25lookback_scan_determinismE0ELb0ELb0ES3_PKS6_PS6_S6_ZZZN2at6native31launch_logcumsumexp_cuda_kernelERKNSD_10TensorBaseESH_lENKUlvE_clEvENKUlvE4_clEvEUlS6_S6_E_S6_EEDaPvRmT3_T4_T5_mT6_P12ihipStream_tbENKUlT_T0_E_clISt17integral_constantIbLb0EESY_EEDaST_SU_EUlST_E0_NS1_11comp_targetILNS1_3genE8ELNS1_11target_archE1030ELNS1_3gpuE2ELNS1_3repE0EEENS1_30default_config_static_selectorELNS0_4arch9wavefront6targetE1EEEvT1_.num_named_barrier, 0
	.set _ZN7rocprim17ROCPRIM_400000_NS6detail17trampoline_kernelINS0_14default_configENS1_20scan_config_selectorIN3c108BFloat16EEEZZNS1_9scan_implILNS1_25lookback_scan_determinismE0ELb0ELb0ES3_PKS6_PS6_S6_ZZZN2at6native31launch_logcumsumexp_cuda_kernelERKNSD_10TensorBaseESH_lENKUlvE_clEvENKUlvE4_clEvEUlS6_S6_E_S6_EEDaPvRmT3_T4_T5_mT6_P12ihipStream_tbENKUlT_T0_E_clISt17integral_constantIbLb0EESY_EEDaST_SU_EUlST_E0_NS1_11comp_targetILNS1_3genE8ELNS1_11target_archE1030ELNS1_3gpuE2ELNS1_3repE0EEENS1_30default_config_static_selectorELNS0_4arch9wavefront6targetE1EEEvT1_.private_seg_size, 0
	.set _ZN7rocprim17ROCPRIM_400000_NS6detail17trampoline_kernelINS0_14default_configENS1_20scan_config_selectorIN3c108BFloat16EEEZZNS1_9scan_implILNS1_25lookback_scan_determinismE0ELb0ELb0ES3_PKS6_PS6_S6_ZZZN2at6native31launch_logcumsumexp_cuda_kernelERKNSD_10TensorBaseESH_lENKUlvE_clEvENKUlvE4_clEvEUlS6_S6_E_S6_EEDaPvRmT3_T4_T5_mT6_P12ihipStream_tbENKUlT_T0_E_clISt17integral_constantIbLb0EESY_EEDaST_SU_EUlST_E0_NS1_11comp_targetILNS1_3genE8ELNS1_11target_archE1030ELNS1_3gpuE2ELNS1_3repE0EEENS1_30default_config_static_selectorELNS0_4arch9wavefront6targetE1EEEvT1_.uses_vcc, 0
	.set _ZN7rocprim17ROCPRIM_400000_NS6detail17trampoline_kernelINS0_14default_configENS1_20scan_config_selectorIN3c108BFloat16EEEZZNS1_9scan_implILNS1_25lookback_scan_determinismE0ELb0ELb0ES3_PKS6_PS6_S6_ZZZN2at6native31launch_logcumsumexp_cuda_kernelERKNSD_10TensorBaseESH_lENKUlvE_clEvENKUlvE4_clEvEUlS6_S6_E_S6_EEDaPvRmT3_T4_T5_mT6_P12ihipStream_tbENKUlT_T0_E_clISt17integral_constantIbLb0EESY_EEDaST_SU_EUlST_E0_NS1_11comp_targetILNS1_3genE8ELNS1_11target_archE1030ELNS1_3gpuE2ELNS1_3repE0EEENS1_30default_config_static_selectorELNS0_4arch9wavefront6targetE1EEEvT1_.uses_flat_scratch, 0
	.set _ZN7rocprim17ROCPRIM_400000_NS6detail17trampoline_kernelINS0_14default_configENS1_20scan_config_selectorIN3c108BFloat16EEEZZNS1_9scan_implILNS1_25lookback_scan_determinismE0ELb0ELb0ES3_PKS6_PS6_S6_ZZZN2at6native31launch_logcumsumexp_cuda_kernelERKNSD_10TensorBaseESH_lENKUlvE_clEvENKUlvE4_clEvEUlS6_S6_E_S6_EEDaPvRmT3_T4_T5_mT6_P12ihipStream_tbENKUlT_T0_E_clISt17integral_constantIbLb0EESY_EEDaST_SU_EUlST_E0_NS1_11comp_targetILNS1_3genE8ELNS1_11target_archE1030ELNS1_3gpuE2ELNS1_3repE0EEENS1_30default_config_static_selectorELNS0_4arch9wavefront6targetE1EEEvT1_.has_dyn_sized_stack, 0
	.set _ZN7rocprim17ROCPRIM_400000_NS6detail17trampoline_kernelINS0_14default_configENS1_20scan_config_selectorIN3c108BFloat16EEEZZNS1_9scan_implILNS1_25lookback_scan_determinismE0ELb0ELb0ES3_PKS6_PS6_S6_ZZZN2at6native31launch_logcumsumexp_cuda_kernelERKNSD_10TensorBaseESH_lENKUlvE_clEvENKUlvE4_clEvEUlS6_S6_E_S6_EEDaPvRmT3_T4_T5_mT6_P12ihipStream_tbENKUlT_T0_E_clISt17integral_constantIbLb0EESY_EEDaST_SU_EUlST_E0_NS1_11comp_targetILNS1_3genE8ELNS1_11target_archE1030ELNS1_3gpuE2ELNS1_3repE0EEENS1_30default_config_static_selectorELNS0_4arch9wavefront6targetE1EEEvT1_.has_recursion, 0
	.set _ZN7rocprim17ROCPRIM_400000_NS6detail17trampoline_kernelINS0_14default_configENS1_20scan_config_selectorIN3c108BFloat16EEEZZNS1_9scan_implILNS1_25lookback_scan_determinismE0ELb0ELb0ES3_PKS6_PS6_S6_ZZZN2at6native31launch_logcumsumexp_cuda_kernelERKNSD_10TensorBaseESH_lENKUlvE_clEvENKUlvE4_clEvEUlS6_S6_E_S6_EEDaPvRmT3_T4_T5_mT6_P12ihipStream_tbENKUlT_T0_E_clISt17integral_constantIbLb0EESY_EEDaST_SU_EUlST_E0_NS1_11comp_targetILNS1_3genE8ELNS1_11target_archE1030ELNS1_3gpuE2ELNS1_3repE0EEENS1_30default_config_static_selectorELNS0_4arch9wavefront6targetE1EEEvT1_.has_indirect_call, 0
	.section	.AMDGPU.csdata,"",@progbits
; Kernel info:
; codeLenInByte = 0
; TotalNumSgprs: 4
; NumVgprs: 0
; ScratchSize: 0
; MemoryBound: 0
; FloatMode: 240
; IeeeMode: 1
; LDSByteSize: 0 bytes/workgroup (compile time only)
; SGPRBlocks: 0
; VGPRBlocks: 0
; NumSGPRsForWavesPerEU: 4
; NumVGPRsForWavesPerEU: 1
; Occupancy: 10
; WaveLimiterHint : 0
; COMPUTE_PGM_RSRC2:SCRATCH_EN: 0
; COMPUTE_PGM_RSRC2:USER_SGPR: 6
; COMPUTE_PGM_RSRC2:TRAP_HANDLER: 0
; COMPUTE_PGM_RSRC2:TGID_X_EN: 1
; COMPUTE_PGM_RSRC2:TGID_Y_EN: 0
; COMPUTE_PGM_RSRC2:TGID_Z_EN: 0
; COMPUTE_PGM_RSRC2:TIDIG_COMP_CNT: 0
	.section	.text._ZN7rocprim17ROCPRIM_400000_NS6detail31init_lookback_scan_state_kernelINS1_19lookback_scan_stateIN3c108BFloat16ELb1ELb1EEENS1_16block_id_wrapperIjLb1EEEEEvT_jT0_jPNS9_10value_typeE,"axG",@progbits,_ZN7rocprim17ROCPRIM_400000_NS6detail31init_lookback_scan_state_kernelINS1_19lookback_scan_stateIN3c108BFloat16ELb1ELb1EEENS1_16block_id_wrapperIjLb1EEEEEvT_jT0_jPNS9_10value_typeE,comdat
	.protected	_ZN7rocprim17ROCPRIM_400000_NS6detail31init_lookback_scan_state_kernelINS1_19lookback_scan_stateIN3c108BFloat16ELb1ELb1EEENS1_16block_id_wrapperIjLb1EEEEEvT_jT0_jPNS9_10value_typeE ; -- Begin function _ZN7rocprim17ROCPRIM_400000_NS6detail31init_lookback_scan_state_kernelINS1_19lookback_scan_stateIN3c108BFloat16ELb1ELb1EEENS1_16block_id_wrapperIjLb1EEEEEvT_jT0_jPNS9_10value_typeE
	.globl	_ZN7rocprim17ROCPRIM_400000_NS6detail31init_lookback_scan_state_kernelINS1_19lookback_scan_stateIN3c108BFloat16ELb1ELb1EEENS1_16block_id_wrapperIjLb1EEEEEvT_jT0_jPNS9_10value_typeE
	.p2align	8
	.type	_ZN7rocprim17ROCPRIM_400000_NS6detail31init_lookback_scan_state_kernelINS1_19lookback_scan_stateIN3c108BFloat16ELb1ELb1EEENS1_16block_id_wrapperIjLb1EEEEEvT_jT0_jPNS9_10value_typeE,@function
_ZN7rocprim17ROCPRIM_400000_NS6detail31init_lookback_scan_state_kernelINS1_19lookback_scan_stateIN3c108BFloat16ELb1ELb1EEENS1_16block_id_wrapperIjLb1EEEEEvT_jT0_jPNS9_10value_typeE: ; @_ZN7rocprim17ROCPRIM_400000_NS6detail31init_lookback_scan_state_kernelINS1_19lookback_scan_stateIN3c108BFloat16ELb1ELb1EEENS1_16block_id_wrapperIjLb1EEEEEvT_jT0_jPNS9_10value_typeE
; %bb.0:
	s_load_dword s7, s[4:5], 0x34
	s_load_dwordx2 s[2:3], s[4:5], 0x20
	s_load_dwordx2 s[0:1], s[4:5], 0x0
	s_load_dword s10, s[4:5], 0x8
	s_waitcnt lgkmcnt(0)
	s_and_b32 s7, s7, 0xffff
	s_mul_i32 s6, s6, s7
	s_cmp_eq_u64 s[2:3], 0
	v_add_u32_e32 v0, s6, v0
	s_cbranch_scc1 .LBB464_9
; %bb.1:
	s_load_dword s8, s[4:5], 0x18
	s_mov_b32 s9, 0
	s_waitcnt lgkmcnt(0)
	s_cmp_lt_u32 s8, s10
	s_cselect_b32 s6, s8, 0
	v_cmp_eq_u32_e32 vcc, s6, v0
	s_and_saveexec_b64 s[6:7], vcc
	s_cbranch_execz .LBB464_8
; %bb.2:
	s_add_i32 s8, s8, 64
	s_lshl_b64 s[8:9], s[8:9], 2
	s_add_u32 s8, s0, s8
	s_addc_u32 s9, s1, s9
	v_mov_b32_e32 v1, 0
	global_load_dword v2, v1, s[8:9] glc
	s_waitcnt vmcnt(0)
	v_and_b32_e32 v3, 0xff0000, v2
	v_cmp_ne_u32_e32 vcc, 0, v3
	s_cbranch_vccnz .LBB464_7
; %bb.3:
	s_mov_b32 s11, 1
.LBB464_4:                              ; =>This Loop Header: Depth=1
                                        ;     Child Loop BB464_5 Depth 2
	s_mov_b32 s12, s11
.LBB464_5:                              ;   Parent Loop BB464_4 Depth=1
                                        ; =>  This Inner Loop Header: Depth=2
	s_add_i32 s12, s12, -1
	s_cmp_eq_u32 s12, 0
	s_sleep 1
	s_cbranch_scc0 .LBB464_5
; %bb.6:                                ;   in Loop: Header=BB464_4 Depth=1
	global_load_dword v2, v1, s[8:9] glc
	s_cmp_lt_u32 s11, 32
	s_cselect_b64 s[12:13], -1, 0
	s_cmp_lg_u64 s[12:13], 0
	s_addc_u32 s11, s11, 0
	s_waitcnt vmcnt(0)
	v_and_b32_e32 v3, 0xff0000, v2
	v_cmp_ne_u32_e32 vcc, 0, v3
	s_cbranch_vccz .LBB464_4
.LBB464_7:
	v_mov_b32_e32 v1, 0
	global_store_short v1, v2, s[2:3]
.LBB464_8:
	s_or_b64 exec, exec, s[6:7]
.LBB464_9:
	v_cmp_eq_u32_e32 vcc, 0, v0
	s_and_saveexec_b64 s[2:3], vcc
	s_cbranch_execnz .LBB464_13
; %bb.10:
	s_or_b64 exec, exec, s[2:3]
	v_cmp_gt_u32_e32 vcc, s10, v0
	s_and_saveexec_b64 s[2:3], vcc
	s_cbranch_execnz .LBB464_14
.LBB464_11:
	s_or_b64 exec, exec, s[2:3]
	v_cmp_gt_u32_e32 vcc, 64, v0
	s_and_saveexec_b64 s[2:3], vcc
	s_cbranch_execnz .LBB464_15
.LBB464_12:
	s_endpgm
.LBB464_13:
	s_load_dwordx2 s[4:5], s[4:5], 0x10
	v_mov_b32_e32 v1, 0
	s_waitcnt lgkmcnt(0)
	global_store_dword v1, v1, s[4:5]
	s_or_b64 exec, exec, s[2:3]
	v_cmp_gt_u32_e32 vcc, s10, v0
	s_and_saveexec_b64 s[2:3], vcc
	s_cbranch_execz .LBB464_11
.LBB464_14:
	v_add_u32_e32 v1, 64, v0
	v_mov_b32_e32 v2, 0
	v_lshlrev_b64 v[3:4], 2, v[1:2]
	v_mov_b32_e32 v1, s1
	v_add_co_u32_e32 v3, vcc, s0, v3
	v_addc_co_u32_e32 v4, vcc, v1, v4, vcc
	global_store_dword v[3:4], v2, off
	s_or_b64 exec, exec, s[2:3]
	v_cmp_gt_u32_e32 vcc, 64, v0
	s_and_saveexec_b64 s[2:3], vcc
	s_cbranch_execz .LBB464_12
.LBB464_15:
	v_mov_b32_e32 v1, 0
	v_lshlrev_b64 v[0:1], 2, v[0:1]
	v_mov_b32_e32 v2, s1
	v_add_co_u32_e32 v0, vcc, s0, v0
	v_addc_co_u32_e32 v1, vcc, v2, v1, vcc
	v_mov_b32_e32 v2, 0xff0000
	global_store_dword v[0:1], v2, off
	s_endpgm
	.section	.rodata,"a",@progbits
	.p2align	6, 0x0
	.amdhsa_kernel _ZN7rocprim17ROCPRIM_400000_NS6detail31init_lookback_scan_state_kernelINS1_19lookback_scan_stateIN3c108BFloat16ELb1ELb1EEENS1_16block_id_wrapperIjLb1EEEEEvT_jT0_jPNS9_10value_typeE
		.amdhsa_group_segment_fixed_size 0
		.amdhsa_private_segment_fixed_size 0
		.amdhsa_kernarg_size 296
		.amdhsa_user_sgpr_count 6
		.amdhsa_user_sgpr_private_segment_buffer 1
		.amdhsa_user_sgpr_dispatch_ptr 0
		.amdhsa_user_sgpr_queue_ptr 0
		.amdhsa_user_sgpr_kernarg_segment_ptr 1
		.amdhsa_user_sgpr_dispatch_id 0
		.amdhsa_user_sgpr_flat_scratch_init 0
		.amdhsa_user_sgpr_private_segment_size 0
		.amdhsa_uses_dynamic_stack 0
		.amdhsa_system_sgpr_private_segment_wavefront_offset 0
		.amdhsa_system_sgpr_workgroup_id_x 1
		.amdhsa_system_sgpr_workgroup_id_y 0
		.amdhsa_system_sgpr_workgroup_id_z 0
		.amdhsa_system_sgpr_workgroup_info 0
		.amdhsa_system_vgpr_workitem_id 0
		.amdhsa_next_free_vgpr 5
		.amdhsa_next_free_sgpr 14
		.amdhsa_reserve_vcc 1
		.amdhsa_reserve_flat_scratch 0
		.amdhsa_float_round_mode_32 0
		.amdhsa_float_round_mode_16_64 0
		.amdhsa_float_denorm_mode_32 3
		.amdhsa_float_denorm_mode_16_64 3
		.amdhsa_dx10_clamp 1
		.amdhsa_ieee_mode 1
		.amdhsa_fp16_overflow 0
		.amdhsa_exception_fp_ieee_invalid_op 0
		.amdhsa_exception_fp_denorm_src 0
		.amdhsa_exception_fp_ieee_div_zero 0
		.amdhsa_exception_fp_ieee_overflow 0
		.amdhsa_exception_fp_ieee_underflow 0
		.amdhsa_exception_fp_ieee_inexact 0
		.amdhsa_exception_int_div_zero 0
	.end_amdhsa_kernel
	.section	.text._ZN7rocprim17ROCPRIM_400000_NS6detail31init_lookback_scan_state_kernelINS1_19lookback_scan_stateIN3c108BFloat16ELb1ELb1EEENS1_16block_id_wrapperIjLb1EEEEEvT_jT0_jPNS9_10value_typeE,"axG",@progbits,_ZN7rocprim17ROCPRIM_400000_NS6detail31init_lookback_scan_state_kernelINS1_19lookback_scan_stateIN3c108BFloat16ELb1ELb1EEENS1_16block_id_wrapperIjLb1EEEEEvT_jT0_jPNS9_10value_typeE,comdat
.Lfunc_end464:
	.size	_ZN7rocprim17ROCPRIM_400000_NS6detail31init_lookback_scan_state_kernelINS1_19lookback_scan_stateIN3c108BFloat16ELb1ELb1EEENS1_16block_id_wrapperIjLb1EEEEEvT_jT0_jPNS9_10value_typeE, .Lfunc_end464-_ZN7rocprim17ROCPRIM_400000_NS6detail31init_lookback_scan_state_kernelINS1_19lookback_scan_stateIN3c108BFloat16ELb1ELb1EEENS1_16block_id_wrapperIjLb1EEEEEvT_jT0_jPNS9_10value_typeE
                                        ; -- End function
	.set _ZN7rocprim17ROCPRIM_400000_NS6detail31init_lookback_scan_state_kernelINS1_19lookback_scan_stateIN3c108BFloat16ELb1ELb1EEENS1_16block_id_wrapperIjLb1EEEEEvT_jT0_jPNS9_10value_typeE.num_vgpr, 5
	.set _ZN7rocprim17ROCPRIM_400000_NS6detail31init_lookback_scan_state_kernelINS1_19lookback_scan_stateIN3c108BFloat16ELb1ELb1EEENS1_16block_id_wrapperIjLb1EEEEEvT_jT0_jPNS9_10value_typeE.num_agpr, 0
	.set _ZN7rocprim17ROCPRIM_400000_NS6detail31init_lookback_scan_state_kernelINS1_19lookback_scan_stateIN3c108BFloat16ELb1ELb1EEENS1_16block_id_wrapperIjLb1EEEEEvT_jT0_jPNS9_10value_typeE.numbered_sgpr, 14
	.set _ZN7rocprim17ROCPRIM_400000_NS6detail31init_lookback_scan_state_kernelINS1_19lookback_scan_stateIN3c108BFloat16ELb1ELb1EEENS1_16block_id_wrapperIjLb1EEEEEvT_jT0_jPNS9_10value_typeE.num_named_barrier, 0
	.set _ZN7rocprim17ROCPRIM_400000_NS6detail31init_lookback_scan_state_kernelINS1_19lookback_scan_stateIN3c108BFloat16ELb1ELb1EEENS1_16block_id_wrapperIjLb1EEEEEvT_jT0_jPNS9_10value_typeE.private_seg_size, 0
	.set _ZN7rocprim17ROCPRIM_400000_NS6detail31init_lookback_scan_state_kernelINS1_19lookback_scan_stateIN3c108BFloat16ELb1ELb1EEENS1_16block_id_wrapperIjLb1EEEEEvT_jT0_jPNS9_10value_typeE.uses_vcc, 1
	.set _ZN7rocprim17ROCPRIM_400000_NS6detail31init_lookback_scan_state_kernelINS1_19lookback_scan_stateIN3c108BFloat16ELb1ELb1EEENS1_16block_id_wrapperIjLb1EEEEEvT_jT0_jPNS9_10value_typeE.uses_flat_scratch, 0
	.set _ZN7rocprim17ROCPRIM_400000_NS6detail31init_lookback_scan_state_kernelINS1_19lookback_scan_stateIN3c108BFloat16ELb1ELb1EEENS1_16block_id_wrapperIjLb1EEEEEvT_jT0_jPNS9_10value_typeE.has_dyn_sized_stack, 0
	.set _ZN7rocprim17ROCPRIM_400000_NS6detail31init_lookback_scan_state_kernelINS1_19lookback_scan_stateIN3c108BFloat16ELb1ELb1EEENS1_16block_id_wrapperIjLb1EEEEEvT_jT0_jPNS9_10value_typeE.has_recursion, 0
	.set _ZN7rocprim17ROCPRIM_400000_NS6detail31init_lookback_scan_state_kernelINS1_19lookback_scan_stateIN3c108BFloat16ELb1ELb1EEENS1_16block_id_wrapperIjLb1EEEEEvT_jT0_jPNS9_10value_typeE.has_indirect_call, 0
	.section	.AMDGPU.csdata,"",@progbits
; Kernel info:
; codeLenInByte = 412
; TotalNumSgprs: 18
; NumVgprs: 5
; ScratchSize: 0
; MemoryBound: 0
; FloatMode: 240
; IeeeMode: 1
; LDSByteSize: 0 bytes/workgroup (compile time only)
; SGPRBlocks: 2
; VGPRBlocks: 1
; NumSGPRsForWavesPerEU: 18
; NumVGPRsForWavesPerEU: 5
; Occupancy: 10
; WaveLimiterHint : 0
; COMPUTE_PGM_RSRC2:SCRATCH_EN: 0
; COMPUTE_PGM_RSRC2:USER_SGPR: 6
; COMPUTE_PGM_RSRC2:TRAP_HANDLER: 0
; COMPUTE_PGM_RSRC2:TGID_X_EN: 1
; COMPUTE_PGM_RSRC2:TGID_Y_EN: 0
; COMPUTE_PGM_RSRC2:TGID_Z_EN: 0
; COMPUTE_PGM_RSRC2:TIDIG_COMP_CNT: 0
	.section	.text._ZN7rocprim17ROCPRIM_400000_NS6detail17trampoline_kernelINS0_14default_configENS1_20scan_config_selectorIN3c108BFloat16EEEZZNS1_9scan_implILNS1_25lookback_scan_determinismE0ELb0ELb0ES3_PKS6_PS6_S6_ZZZN2at6native31launch_logcumsumexp_cuda_kernelERKNSD_10TensorBaseESH_lENKUlvE_clEvENKUlvE4_clEvEUlS6_S6_E_S6_EEDaPvRmT3_T4_T5_mT6_P12ihipStream_tbENKUlT_T0_E_clISt17integral_constantIbLb1EESY_EEDaST_SU_EUlST_E_NS1_11comp_targetILNS1_3genE0ELNS1_11target_archE4294967295ELNS1_3gpuE0ELNS1_3repE0EEENS1_30default_config_static_selectorELNS0_4arch9wavefront6targetE1EEEvT1_,"axG",@progbits,_ZN7rocprim17ROCPRIM_400000_NS6detail17trampoline_kernelINS0_14default_configENS1_20scan_config_selectorIN3c108BFloat16EEEZZNS1_9scan_implILNS1_25lookback_scan_determinismE0ELb0ELb0ES3_PKS6_PS6_S6_ZZZN2at6native31launch_logcumsumexp_cuda_kernelERKNSD_10TensorBaseESH_lENKUlvE_clEvENKUlvE4_clEvEUlS6_S6_E_S6_EEDaPvRmT3_T4_T5_mT6_P12ihipStream_tbENKUlT_T0_E_clISt17integral_constantIbLb1EESY_EEDaST_SU_EUlST_E_NS1_11comp_targetILNS1_3genE0ELNS1_11target_archE4294967295ELNS1_3gpuE0ELNS1_3repE0EEENS1_30default_config_static_selectorELNS0_4arch9wavefront6targetE1EEEvT1_,comdat
	.globl	_ZN7rocprim17ROCPRIM_400000_NS6detail17trampoline_kernelINS0_14default_configENS1_20scan_config_selectorIN3c108BFloat16EEEZZNS1_9scan_implILNS1_25lookback_scan_determinismE0ELb0ELb0ES3_PKS6_PS6_S6_ZZZN2at6native31launch_logcumsumexp_cuda_kernelERKNSD_10TensorBaseESH_lENKUlvE_clEvENKUlvE4_clEvEUlS6_S6_E_S6_EEDaPvRmT3_T4_T5_mT6_P12ihipStream_tbENKUlT_T0_E_clISt17integral_constantIbLb1EESY_EEDaST_SU_EUlST_E_NS1_11comp_targetILNS1_3genE0ELNS1_11target_archE4294967295ELNS1_3gpuE0ELNS1_3repE0EEENS1_30default_config_static_selectorELNS0_4arch9wavefront6targetE1EEEvT1_ ; -- Begin function _ZN7rocprim17ROCPRIM_400000_NS6detail17trampoline_kernelINS0_14default_configENS1_20scan_config_selectorIN3c108BFloat16EEEZZNS1_9scan_implILNS1_25lookback_scan_determinismE0ELb0ELb0ES3_PKS6_PS6_S6_ZZZN2at6native31launch_logcumsumexp_cuda_kernelERKNSD_10TensorBaseESH_lENKUlvE_clEvENKUlvE4_clEvEUlS6_S6_E_S6_EEDaPvRmT3_T4_T5_mT6_P12ihipStream_tbENKUlT_T0_E_clISt17integral_constantIbLb1EESY_EEDaST_SU_EUlST_E_NS1_11comp_targetILNS1_3genE0ELNS1_11target_archE4294967295ELNS1_3gpuE0ELNS1_3repE0EEENS1_30default_config_static_selectorELNS0_4arch9wavefront6targetE1EEEvT1_
	.p2align	8
	.type	_ZN7rocprim17ROCPRIM_400000_NS6detail17trampoline_kernelINS0_14default_configENS1_20scan_config_selectorIN3c108BFloat16EEEZZNS1_9scan_implILNS1_25lookback_scan_determinismE0ELb0ELb0ES3_PKS6_PS6_S6_ZZZN2at6native31launch_logcumsumexp_cuda_kernelERKNSD_10TensorBaseESH_lENKUlvE_clEvENKUlvE4_clEvEUlS6_S6_E_S6_EEDaPvRmT3_T4_T5_mT6_P12ihipStream_tbENKUlT_T0_E_clISt17integral_constantIbLb1EESY_EEDaST_SU_EUlST_E_NS1_11comp_targetILNS1_3genE0ELNS1_11target_archE4294967295ELNS1_3gpuE0ELNS1_3repE0EEENS1_30default_config_static_selectorELNS0_4arch9wavefront6targetE1EEEvT1_,@function
_ZN7rocprim17ROCPRIM_400000_NS6detail17trampoline_kernelINS0_14default_configENS1_20scan_config_selectorIN3c108BFloat16EEEZZNS1_9scan_implILNS1_25lookback_scan_determinismE0ELb0ELb0ES3_PKS6_PS6_S6_ZZZN2at6native31launch_logcumsumexp_cuda_kernelERKNSD_10TensorBaseESH_lENKUlvE_clEvENKUlvE4_clEvEUlS6_S6_E_S6_EEDaPvRmT3_T4_T5_mT6_P12ihipStream_tbENKUlT_T0_E_clISt17integral_constantIbLb1EESY_EEDaST_SU_EUlST_E_NS1_11comp_targetILNS1_3genE0ELNS1_11target_archE4294967295ELNS1_3gpuE0ELNS1_3repE0EEENS1_30default_config_static_selectorELNS0_4arch9wavefront6targetE1EEEvT1_: ; @_ZN7rocprim17ROCPRIM_400000_NS6detail17trampoline_kernelINS0_14default_configENS1_20scan_config_selectorIN3c108BFloat16EEEZZNS1_9scan_implILNS1_25lookback_scan_determinismE0ELb0ELb0ES3_PKS6_PS6_S6_ZZZN2at6native31launch_logcumsumexp_cuda_kernelERKNSD_10TensorBaseESH_lENKUlvE_clEvENKUlvE4_clEvEUlS6_S6_E_S6_EEDaPvRmT3_T4_T5_mT6_P12ihipStream_tbENKUlT_T0_E_clISt17integral_constantIbLb1EESY_EEDaST_SU_EUlST_E_NS1_11comp_targetILNS1_3genE0ELNS1_11target_archE4294967295ELNS1_3gpuE0ELNS1_3repE0EEENS1_30default_config_static_selectorELNS0_4arch9wavefront6targetE1EEEvT1_
; %bb.0:
	.section	.rodata,"a",@progbits
	.p2align	6, 0x0
	.amdhsa_kernel _ZN7rocprim17ROCPRIM_400000_NS6detail17trampoline_kernelINS0_14default_configENS1_20scan_config_selectorIN3c108BFloat16EEEZZNS1_9scan_implILNS1_25lookback_scan_determinismE0ELb0ELb0ES3_PKS6_PS6_S6_ZZZN2at6native31launch_logcumsumexp_cuda_kernelERKNSD_10TensorBaseESH_lENKUlvE_clEvENKUlvE4_clEvEUlS6_S6_E_S6_EEDaPvRmT3_T4_T5_mT6_P12ihipStream_tbENKUlT_T0_E_clISt17integral_constantIbLb1EESY_EEDaST_SU_EUlST_E_NS1_11comp_targetILNS1_3genE0ELNS1_11target_archE4294967295ELNS1_3gpuE0ELNS1_3repE0EEENS1_30default_config_static_selectorELNS0_4arch9wavefront6targetE1EEEvT1_
		.amdhsa_group_segment_fixed_size 0
		.amdhsa_private_segment_fixed_size 0
		.amdhsa_kernarg_size 96
		.amdhsa_user_sgpr_count 6
		.amdhsa_user_sgpr_private_segment_buffer 1
		.amdhsa_user_sgpr_dispatch_ptr 0
		.amdhsa_user_sgpr_queue_ptr 0
		.amdhsa_user_sgpr_kernarg_segment_ptr 1
		.amdhsa_user_sgpr_dispatch_id 0
		.amdhsa_user_sgpr_flat_scratch_init 0
		.amdhsa_user_sgpr_private_segment_size 0
		.amdhsa_uses_dynamic_stack 0
		.amdhsa_system_sgpr_private_segment_wavefront_offset 0
		.amdhsa_system_sgpr_workgroup_id_x 1
		.amdhsa_system_sgpr_workgroup_id_y 0
		.amdhsa_system_sgpr_workgroup_id_z 0
		.amdhsa_system_sgpr_workgroup_info 0
		.amdhsa_system_vgpr_workitem_id 0
		.amdhsa_next_free_vgpr 1
		.amdhsa_next_free_sgpr 0
		.amdhsa_reserve_vcc 0
		.amdhsa_reserve_flat_scratch 0
		.amdhsa_float_round_mode_32 0
		.amdhsa_float_round_mode_16_64 0
		.amdhsa_float_denorm_mode_32 3
		.amdhsa_float_denorm_mode_16_64 3
		.amdhsa_dx10_clamp 1
		.amdhsa_ieee_mode 1
		.amdhsa_fp16_overflow 0
		.amdhsa_exception_fp_ieee_invalid_op 0
		.amdhsa_exception_fp_denorm_src 0
		.amdhsa_exception_fp_ieee_div_zero 0
		.amdhsa_exception_fp_ieee_overflow 0
		.amdhsa_exception_fp_ieee_underflow 0
		.amdhsa_exception_fp_ieee_inexact 0
		.amdhsa_exception_int_div_zero 0
	.end_amdhsa_kernel
	.section	.text._ZN7rocprim17ROCPRIM_400000_NS6detail17trampoline_kernelINS0_14default_configENS1_20scan_config_selectorIN3c108BFloat16EEEZZNS1_9scan_implILNS1_25lookback_scan_determinismE0ELb0ELb0ES3_PKS6_PS6_S6_ZZZN2at6native31launch_logcumsumexp_cuda_kernelERKNSD_10TensorBaseESH_lENKUlvE_clEvENKUlvE4_clEvEUlS6_S6_E_S6_EEDaPvRmT3_T4_T5_mT6_P12ihipStream_tbENKUlT_T0_E_clISt17integral_constantIbLb1EESY_EEDaST_SU_EUlST_E_NS1_11comp_targetILNS1_3genE0ELNS1_11target_archE4294967295ELNS1_3gpuE0ELNS1_3repE0EEENS1_30default_config_static_selectorELNS0_4arch9wavefront6targetE1EEEvT1_,"axG",@progbits,_ZN7rocprim17ROCPRIM_400000_NS6detail17trampoline_kernelINS0_14default_configENS1_20scan_config_selectorIN3c108BFloat16EEEZZNS1_9scan_implILNS1_25lookback_scan_determinismE0ELb0ELb0ES3_PKS6_PS6_S6_ZZZN2at6native31launch_logcumsumexp_cuda_kernelERKNSD_10TensorBaseESH_lENKUlvE_clEvENKUlvE4_clEvEUlS6_S6_E_S6_EEDaPvRmT3_T4_T5_mT6_P12ihipStream_tbENKUlT_T0_E_clISt17integral_constantIbLb1EESY_EEDaST_SU_EUlST_E_NS1_11comp_targetILNS1_3genE0ELNS1_11target_archE4294967295ELNS1_3gpuE0ELNS1_3repE0EEENS1_30default_config_static_selectorELNS0_4arch9wavefront6targetE1EEEvT1_,comdat
.Lfunc_end465:
	.size	_ZN7rocprim17ROCPRIM_400000_NS6detail17trampoline_kernelINS0_14default_configENS1_20scan_config_selectorIN3c108BFloat16EEEZZNS1_9scan_implILNS1_25lookback_scan_determinismE0ELb0ELb0ES3_PKS6_PS6_S6_ZZZN2at6native31launch_logcumsumexp_cuda_kernelERKNSD_10TensorBaseESH_lENKUlvE_clEvENKUlvE4_clEvEUlS6_S6_E_S6_EEDaPvRmT3_T4_T5_mT6_P12ihipStream_tbENKUlT_T0_E_clISt17integral_constantIbLb1EESY_EEDaST_SU_EUlST_E_NS1_11comp_targetILNS1_3genE0ELNS1_11target_archE4294967295ELNS1_3gpuE0ELNS1_3repE0EEENS1_30default_config_static_selectorELNS0_4arch9wavefront6targetE1EEEvT1_, .Lfunc_end465-_ZN7rocprim17ROCPRIM_400000_NS6detail17trampoline_kernelINS0_14default_configENS1_20scan_config_selectorIN3c108BFloat16EEEZZNS1_9scan_implILNS1_25lookback_scan_determinismE0ELb0ELb0ES3_PKS6_PS6_S6_ZZZN2at6native31launch_logcumsumexp_cuda_kernelERKNSD_10TensorBaseESH_lENKUlvE_clEvENKUlvE4_clEvEUlS6_S6_E_S6_EEDaPvRmT3_T4_T5_mT6_P12ihipStream_tbENKUlT_T0_E_clISt17integral_constantIbLb1EESY_EEDaST_SU_EUlST_E_NS1_11comp_targetILNS1_3genE0ELNS1_11target_archE4294967295ELNS1_3gpuE0ELNS1_3repE0EEENS1_30default_config_static_selectorELNS0_4arch9wavefront6targetE1EEEvT1_
                                        ; -- End function
	.set _ZN7rocprim17ROCPRIM_400000_NS6detail17trampoline_kernelINS0_14default_configENS1_20scan_config_selectorIN3c108BFloat16EEEZZNS1_9scan_implILNS1_25lookback_scan_determinismE0ELb0ELb0ES3_PKS6_PS6_S6_ZZZN2at6native31launch_logcumsumexp_cuda_kernelERKNSD_10TensorBaseESH_lENKUlvE_clEvENKUlvE4_clEvEUlS6_S6_E_S6_EEDaPvRmT3_T4_T5_mT6_P12ihipStream_tbENKUlT_T0_E_clISt17integral_constantIbLb1EESY_EEDaST_SU_EUlST_E_NS1_11comp_targetILNS1_3genE0ELNS1_11target_archE4294967295ELNS1_3gpuE0ELNS1_3repE0EEENS1_30default_config_static_selectorELNS0_4arch9wavefront6targetE1EEEvT1_.num_vgpr, 0
	.set _ZN7rocprim17ROCPRIM_400000_NS6detail17trampoline_kernelINS0_14default_configENS1_20scan_config_selectorIN3c108BFloat16EEEZZNS1_9scan_implILNS1_25lookback_scan_determinismE0ELb0ELb0ES3_PKS6_PS6_S6_ZZZN2at6native31launch_logcumsumexp_cuda_kernelERKNSD_10TensorBaseESH_lENKUlvE_clEvENKUlvE4_clEvEUlS6_S6_E_S6_EEDaPvRmT3_T4_T5_mT6_P12ihipStream_tbENKUlT_T0_E_clISt17integral_constantIbLb1EESY_EEDaST_SU_EUlST_E_NS1_11comp_targetILNS1_3genE0ELNS1_11target_archE4294967295ELNS1_3gpuE0ELNS1_3repE0EEENS1_30default_config_static_selectorELNS0_4arch9wavefront6targetE1EEEvT1_.num_agpr, 0
	.set _ZN7rocprim17ROCPRIM_400000_NS6detail17trampoline_kernelINS0_14default_configENS1_20scan_config_selectorIN3c108BFloat16EEEZZNS1_9scan_implILNS1_25lookback_scan_determinismE0ELb0ELb0ES3_PKS6_PS6_S6_ZZZN2at6native31launch_logcumsumexp_cuda_kernelERKNSD_10TensorBaseESH_lENKUlvE_clEvENKUlvE4_clEvEUlS6_S6_E_S6_EEDaPvRmT3_T4_T5_mT6_P12ihipStream_tbENKUlT_T0_E_clISt17integral_constantIbLb1EESY_EEDaST_SU_EUlST_E_NS1_11comp_targetILNS1_3genE0ELNS1_11target_archE4294967295ELNS1_3gpuE0ELNS1_3repE0EEENS1_30default_config_static_selectorELNS0_4arch9wavefront6targetE1EEEvT1_.numbered_sgpr, 0
	.set _ZN7rocprim17ROCPRIM_400000_NS6detail17trampoline_kernelINS0_14default_configENS1_20scan_config_selectorIN3c108BFloat16EEEZZNS1_9scan_implILNS1_25lookback_scan_determinismE0ELb0ELb0ES3_PKS6_PS6_S6_ZZZN2at6native31launch_logcumsumexp_cuda_kernelERKNSD_10TensorBaseESH_lENKUlvE_clEvENKUlvE4_clEvEUlS6_S6_E_S6_EEDaPvRmT3_T4_T5_mT6_P12ihipStream_tbENKUlT_T0_E_clISt17integral_constantIbLb1EESY_EEDaST_SU_EUlST_E_NS1_11comp_targetILNS1_3genE0ELNS1_11target_archE4294967295ELNS1_3gpuE0ELNS1_3repE0EEENS1_30default_config_static_selectorELNS0_4arch9wavefront6targetE1EEEvT1_.num_named_barrier, 0
	.set _ZN7rocprim17ROCPRIM_400000_NS6detail17trampoline_kernelINS0_14default_configENS1_20scan_config_selectorIN3c108BFloat16EEEZZNS1_9scan_implILNS1_25lookback_scan_determinismE0ELb0ELb0ES3_PKS6_PS6_S6_ZZZN2at6native31launch_logcumsumexp_cuda_kernelERKNSD_10TensorBaseESH_lENKUlvE_clEvENKUlvE4_clEvEUlS6_S6_E_S6_EEDaPvRmT3_T4_T5_mT6_P12ihipStream_tbENKUlT_T0_E_clISt17integral_constantIbLb1EESY_EEDaST_SU_EUlST_E_NS1_11comp_targetILNS1_3genE0ELNS1_11target_archE4294967295ELNS1_3gpuE0ELNS1_3repE0EEENS1_30default_config_static_selectorELNS0_4arch9wavefront6targetE1EEEvT1_.private_seg_size, 0
	.set _ZN7rocprim17ROCPRIM_400000_NS6detail17trampoline_kernelINS0_14default_configENS1_20scan_config_selectorIN3c108BFloat16EEEZZNS1_9scan_implILNS1_25lookback_scan_determinismE0ELb0ELb0ES3_PKS6_PS6_S6_ZZZN2at6native31launch_logcumsumexp_cuda_kernelERKNSD_10TensorBaseESH_lENKUlvE_clEvENKUlvE4_clEvEUlS6_S6_E_S6_EEDaPvRmT3_T4_T5_mT6_P12ihipStream_tbENKUlT_T0_E_clISt17integral_constantIbLb1EESY_EEDaST_SU_EUlST_E_NS1_11comp_targetILNS1_3genE0ELNS1_11target_archE4294967295ELNS1_3gpuE0ELNS1_3repE0EEENS1_30default_config_static_selectorELNS0_4arch9wavefront6targetE1EEEvT1_.uses_vcc, 0
	.set _ZN7rocprim17ROCPRIM_400000_NS6detail17trampoline_kernelINS0_14default_configENS1_20scan_config_selectorIN3c108BFloat16EEEZZNS1_9scan_implILNS1_25lookback_scan_determinismE0ELb0ELb0ES3_PKS6_PS6_S6_ZZZN2at6native31launch_logcumsumexp_cuda_kernelERKNSD_10TensorBaseESH_lENKUlvE_clEvENKUlvE4_clEvEUlS6_S6_E_S6_EEDaPvRmT3_T4_T5_mT6_P12ihipStream_tbENKUlT_T0_E_clISt17integral_constantIbLb1EESY_EEDaST_SU_EUlST_E_NS1_11comp_targetILNS1_3genE0ELNS1_11target_archE4294967295ELNS1_3gpuE0ELNS1_3repE0EEENS1_30default_config_static_selectorELNS0_4arch9wavefront6targetE1EEEvT1_.uses_flat_scratch, 0
	.set _ZN7rocprim17ROCPRIM_400000_NS6detail17trampoline_kernelINS0_14default_configENS1_20scan_config_selectorIN3c108BFloat16EEEZZNS1_9scan_implILNS1_25lookback_scan_determinismE0ELb0ELb0ES3_PKS6_PS6_S6_ZZZN2at6native31launch_logcumsumexp_cuda_kernelERKNSD_10TensorBaseESH_lENKUlvE_clEvENKUlvE4_clEvEUlS6_S6_E_S6_EEDaPvRmT3_T4_T5_mT6_P12ihipStream_tbENKUlT_T0_E_clISt17integral_constantIbLb1EESY_EEDaST_SU_EUlST_E_NS1_11comp_targetILNS1_3genE0ELNS1_11target_archE4294967295ELNS1_3gpuE0ELNS1_3repE0EEENS1_30default_config_static_selectorELNS0_4arch9wavefront6targetE1EEEvT1_.has_dyn_sized_stack, 0
	.set _ZN7rocprim17ROCPRIM_400000_NS6detail17trampoline_kernelINS0_14default_configENS1_20scan_config_selectorIN3c108BFloat16EEEZZNS1_9scan_implILNS1_25lookback_scan_determinismE0ELb0ELb0ES3_PKS6_PS6_S6_ZZZN2at6native31launch_logcumsumexp_cuda_kernelERKNSD_10TensorBaseESH_lENKUlvE_clEvENKUlvE4_clEvEUlS6_S6_E_S6_EEDaPvRmT3_T4_T5_mT6_P12ihipStream_tbENKUlT_T0_E_clISt17integral_constantIbLb1EESY_EEDaST_SU_EUlST_E_NS1_11comp_targetILNS1_3genE0ELNS1_11target_archE4294967295ELNS1_3gpuE0ELNS1_3repE0EEENS1_30default_config_static_selectorELNS0_4arch9wavefront6targetE1EEEvT1_.has_recursion, 0
	.set _ZN7rocprim17ROCPRIM_400000_NS6detail17trampoline_kernelINS0_14default_configENS1_20scan_config_selectorIN3c108BFloat16EEEZZNS1_9scan_implILNS1_25lookback_scan_determinismE0ELb0ELb0ES3_PKS6_PS6_S6_ZZZN2at6native31launch_logcumsumexp_cuda_kernelERKNSD_10TensorBaseESH_lENKUlvE_clEvENKUlvE4_clEvEUlS6_S6_E_S6_EEDaPvRmT3_T4_T5_mT6_P12ihipStream_tbENKUlT_T0_E_clISt17integral_constantIbLb1EESY_EEDaST_SU_EUlST_E_NS1_11comp_targetILNS1_3genE0ELNS1_11target_archE4294967295ELNS1_3gpuE0ELNS1_3repE0EEENS1_30default_config_static_selectorELNS0_4arch9wavefront6targetE1EEEvT1_.has_indirect_call, 0
	.section	.AMDGPU.csdata,"",@progbits
; Kernel info:
; codeLenInByte = 0
; TotalNumSgprs: 4
; NumVgprs: 0
; ScratchSize: 0
; MemoryBound: 0
; FloatMode: 240
; IeeeMode: 1
; LDSByteSize: 0 bytes/workgroup (compile time only)
; SGPRBlocks: 0
; VGPRBlocks: 0
; NumSGPRsForWavesPerEU: 4
; NumVGPRsForWavesPerEU: 1
; Occupancy: 10
; WaveLimiterHint : 0
; COMPUTE_PGM_RSRC2:SCRATCH_EN: 0
; COMPUTE_PGM_RSRC2:USER_SGPR: 6
; COMPUTE_PGM_RSRC2:TRAP_HANDLER: 0
; COMPUTE_PGM_RSRC2:TGID_X_EN: 1
; COMPUTE_PGM_RSRC2:TGID_Y_EN: 0
; COMPUTE_PGM_RSRC2:TGID_Z_EN: 0
; COMPUTE_PGM_RSRC2:TIDIG_COMP_CNT: 0
	.section	.text._ZN7rocprim17ROCPRIM_400000_NS6detail17trampoline_kernelINS0_14default_configENS1_20scan_config_selectorIN3c108BFloat16EEEZZNS1_9scan_implILNS1_25lookback_scan_determinismE0ELb0ELb0ES3_PKS6_PS6_S6_ZZZN2at6native31launch_logcumsumexp_cuda_kernelERKNSD_10TensorBaseESH_lENKUlvE_clEvENKUlvE4_clEvEUlS6_S6_E_S6_EEDaPvRmT3_T4_T5_mT6_P12ihipStream_tbENKUlT_T0_E_clISt17integral_constantIbLb1EESY_EEDaST_SU_EUlST_E_NS1_11comp_targetILNS1_3genE5ELNS1_11target_archE942ELNS1_3gpuE9ELNS1_3repE0EEENS1_30default_config_static_selectorELNS0_4arch9wavefront6targetE1EEEvT1_,"axG",@progbits,_ZN7rocprim17ROCPRIM_400000_NS6detail17trampoline_kernelINS0_14default_configENS1_20scan_config_selectorIN3c108BFloat16EEEZZNS1_9scan_implILNS1_25lookback_scan_determinismE0ELb0ELb0ES3_PKS6_PS6_S6_ZZZN2at6native31launch_logcumsumexp_cuda_kernelERKNSD_10TensorBaseESH_lENKUlvE_clEvENKUlvE4_clEvEUlS6_S6_E_S6_EEDaPvRmT3_T4_T5_mT6_P12ihipStream_tbENKUlT_T0_E_clISt17integral_constantIbLb1EESY_EEDaST_SU_EUlST_E_NS1_11comp_targetILNS1_3genE5ELNS1_11target_archE942ELNS1_3gpuE9ELNS1_3repE0EEENS1_30default_config_static_selectorELNS0_4arch9wavefront6targetE1EEEvT1_,comdat
	.globl	_ZN7rocprim17ROCPRIM_400000_NS6detail17trampoline_kernelINS0_14default_configENS1_20scan_config_selectorIN3c108BFloat16EEEZZNS1_9scan_implILNS1_25lookback_scan_determinismE0ELb0ELb0ES3_PKS6_PS6_S6_ZZZN2at6native31launch_logcumsumexp_cuda_kernelERKNSD_10TensorBaseESH_lENKUlvE_clEvENKUlvE4_clEvEUlS6_S6_E_S6_EEDaPvRmT3_T4_T5_mT6_P12ihipStream_tbENKUlT_T0_E_clISt17integral_constantIbLb1EESY_EEDaST_SU_EUlST_E_NS1_11comp_targetILNS1_3genE5ELNS1_11target_archE942ELNS1_3gpuE9ELNS1_3repE0EEENS1_30default_config_static_selectorELNS0_4arch9wavefront6targetE1EEEvT1_ ; -- Begin function _ZN7rocprim17ROCPRIM_400000_NS6detail17trampoline_kernelINS0_14default_configENS1_20scan_config_selectorIN3c108BFloat16EEEZZNS1_9scan_implILNS1_25lookback_scan_determinismE0ELb0ELb0ES3_PKS6_PS6_S6_ZZZN2at6native31launch_logcumsumexp_cuda_kernelERKNSD_10TensorBaseESH_lENKUlvE_clEvENKUlvE4_clEvEUlS6_S6_E_S6_EEDaPvRmT3_T4_T5_mT6_P12ihipStream_tbENKUlT_T0_E_clISt17integral_constantIbLb1EESY_EEDaST_SU_EUlST_E_NS1_11comp_targetILNS1_3genE5ELNS1_11target_archE942ELNS1_3gpuE9ELNS1_3repE0EEENS1_30default_config_static_selectorELNS0_4arch9wavefront6targetE1EEEvT1_
	.p2align	8
	.type	_ZN7rocprim17ROCPRIM_400000_NS6detail17trampoline_kernelINS0_14default_configENS1_20scan_config_selectorIN3c108BFloat16EEEZZNS1_9scan_implILNS1_25lookback_scan_determinismE0ELb0ELb0ES3_PKS6_PS6_S6_ZZZN2at6native31launch_logcumsumexp_cuda_kernelERKNSD_10TensorBaseESH_lENKUlvE_clEvENKUlvE4_clEvEUlS6_S6_E_S6_EEDaPvRmT3_T4_T5_mT6_P12ihipStream_tbENKUlT_T0_E_clISt17integral_constantIbLb1EESY_EEDaST_SU_EUlST_E_NS1_11comp_targetILNS1_3genE5ELNS1_11target_archE942ELNS1_3gpuE9ELNS1_3repE0EEENS1_30default_config_static_selectorELNS0_4arch9wavefront6targetE1EEEvT1_,@function
_ZN7rocprim17ROCPRIM_400000_NS6detail17trampoline_kernelINS0_14default_configENS1_20scan_config_selectorIN3c108BFloat16EEEZZNS1_9scan_implILNS1_25lookback_scan_determinismE0ELb0ELb0ES3_PKS6_PS6_S6_ZZZN2at6native31launch_logcumsumexp_cuda_kernelERKNSD_10TensorBaseESH_lENKUlvE_clEvENKUlvE4_clEvEUlS6_S6_E_S6_EEDaPvRmT3_T4_T5_mT6_P12ihipStream_tbENKUlT_T0_E_clISt17integral_constantIbLb1EESY_EEDaST_SU_EUlST_E_NS1_11comp_targetILNS1_3genE5ELNS1_11target_archE942ELNS1_3gpuE9ELNS1_3repE0EEENS1_30default_config_static_selectorELNS0_4arch9wavefront6targetE1EEEvT1_: ; @_ZN7rocprim17ROCPRIM_400000_NS6detail17trampoline_kernelINS0_14default_configENS1_20scan_config_selectorIN3c108BFloat16EEEZZNS1_9scan_implILNS1_25lookback_scan_determinismE0ELb0ELb0ES3_PKS6_PS6_S6_ZZZN2at6native31launch_logcumsumexp_cuda_kernelERKNSD_10TensorBaseESH_lENKUlvE_clEvENKUlvE4_clEvEUlS6_S6_E_S6_EEDaPvRmT3_T4_T5_mT6_P12ihipStream_tbENKUlT_T0_E_clISt17integral_constantIbLb1EESY_EEDaST_SU_EUlST_E_NS1_11comp_targetILNS1_3genE5ELNS1_11target_archE942ELNS1_3gpuE9ELNS1_3repE0EEENS1_30default_config_static_selectorELNS0_4arch9wavefront6targetE1EEEvT1_
; %bb.0:
	.section	.rodata,"a",@progbits
	.p2align	6, 0x0
	.amdhsa_kernel _ZN7rocprim17ROCPRIM_400000_NS6detail17trampoline_kernelINS0_14default_configENS1_20scan_config_selectorIN3c108BFloat16EEEZZNS1_9scan_implILNS1_25lookback_scan_determinismE0ELb0ELb0ES3_PKS6_PS6_S6_ZZZN2at6native31launch_logcumsumexp_cuda_kernelERKNSD_10TensorBaseESH_lENKUlvE_clEvENKUlvE4_clEvEUlS6_S6_E_S6_EEDaPvRmT3_T4_T5_mT6_P12ihipStream_tbENKUlT_T0_E_clISt17integral_constantIbLb1EESY_EEDaST_SU_EUlST_E_NS1_11comp_targetILNS1_3genE5ELNS1_11target_archE942ELNS1_3gpuE9ELNS1_3repE0EEENS1_30default_config_static_selectorELNS0_4arch9wavefront6targetE1EEEvT1_
		.amdhsa_group_segment_fixed_size 0
		.amdhsa_private_segment_fixed_size 0
		.amdhsa_kernarg_size 96
		.amdhsa_user_sgpr_count 6
		.amdhsa_user_sgpr_private_segment_buffer 1
		.amdhsa_user_sgpr_dispatch_ptr 0
		.amdhsa_user_sgpr_queue_ptr 0
		.amdhsa_user_sgpr_kernarg_segment_ptr 1
		.amdhsa_user_sgpr_dispatch_id 0
		.amdhsa_user_sgpr_flat_scratch_init 0
		.amdhsa_user_sgpr_private_segment_size 0
		.amdhsa_uses_dynamic_stack 0
		.amdhsa_system_sgpr_private_segment_wavefront_offset 0
		.amdhsa_system_sgpr_workgroup_id_x 1
		.amdhsa_system_sgpr_workgroup_id_y 0
		.amdhsa_system_sgpr_workgroup_id_z 0
		.amdhsa_system_sgpr_workgroup_info 0
		.amdhsa_system_vgpr_workitem_id 0
		.amdhsa_next_free_vgpr 1
		.amdhsa_next_free_sgpr 0
		.amdhsa_reserve_vcc 0
		.amdhsa_reserve_flat_scratch 0
		.amdhsa_float_round_mode_32 0
		.amdhsa_float_round_mode_16_64 0
		.amdhsa_float_denorm_mode_32 3
		.amdhsa_float_denorm_mode_16_64 3
		.amdhsa_dx10_clamp 1
		.amdhsa_ieee_mode 1
		.amdhsa_fp16_overflow 0
		.amdhsa_exception_fp_ieee_invalid_op 0
		.amdhsa_exception_fp_denorm_src 0
		.amdhsa_exception_fp_ieee_div_zero 0
		.amdhsa_exception_fp_ieee_overflow 0
		.amdhsa_exception_fp_ieee_underflow 0
		.amdhsa_exception_fp_ieee_inexact 0
		.amdhsa_exception_int_div_zero 0
	.end_amdhsa_kernel
	.section	.text._ZN7rocprim17ROCPRIM_400000_NS6detail17trampoline_kernelINS0_14default_configENS1_20scan_config_selectorIN3c108BFloat16EEEZZNS1_9scan_implILNS1_25lookback_scan_determinismE0ELb0ELb0ES3_PKS6_PS6_S6_ZZZN2at6native31launch_logcumsumexp_cuda_kernelERKNSD_10TensorBaseESH_lENKUlvE_clEvENKUlvE4_clEvEUlS6_S6_E_S6_EEDaPvRmT3_T4_T5_mT6_P12ihipStream_tbENKUlT_T0_E_clISt17integral_constantIbLb1EESY_EEDaST_SU_EUlST_E_NS1_11comp_targetILNS1_3genE5ELNS1_11target_archE942ELNS1_3gpuE9ELNS1_3repE0EEENS1_30default_config_static_selectorELNS0_4arch9wavefront6targetE1EEEvT1_,"axG",@progbits,_ZN7rocprim17ROCPRIM_400000_NS6detail17trampoline_kernelINS0_14default_configENS1_20scan_config_selectorIN3c108BFloat16EEEZZNS1_9scan_implILNS1_25lookback_scan_determinismE0ELb0ELb0ES3_PKS6_PS6_S6_ZZZN2at6native31launch_logcumsumexp_cuda_kernelERKNSD_10TensorBaseESH_lENKUlvE_clEvENKUlvE4_clEvEUlS6_S6_E_S6_EEDaPvRmT3_T4_T5_mT6_P12ihipStream_tbENKUlT_T0_E_clISt17integral_constantIbLb1EESY_EEDaST_SU_EUlST_E_NS1_11comp_targetILNS1_3genE5ELNS1_11target_archE942ELNS1_3gpuE9ELNS1_3repE0EEENS1_30default_config_static_selectorELNS0_4arch9wavefront6targetE1EEEvT1_,comdat
.Lfunc_end466:
	.size	_ZN7rocprim17ROCPRIM_400000_NS6detail17trampoline_kernelINS0_14default_configENS1_20scan_config_selectorIN3c108BFloat16EEEZZNS1_9scan_implILNS1_25lookback_scan_determinismE0ELb0ELb0ES3_PKS6_PS6_S6_ZZZN2at6native31launch_logcumsumexp_cuda_kernelERKNSD_10TensorBaseESH_lENKUlvE_clEvENKUlvE4_clEvEUlS6_S6_E_S6_EEDaPvRmT3_T4_T5_mT6_P12ihipStream_tbENKUlT_T0_E_clISt17integral_constantIbLb1EESY_EEDaST_SU_EUlST_E_NS1_11comp_targetILNS1_3genE5ELNS1_11target_archE942ELNS1_3gpuE9ELNS1_3repE0EEENS1_30default_config_static_selectorELNS0_4arch9wavefront6targetE1EEEvT1_, .Lfunc_end466-_ZN7rocprim17ROCPRIM_400000_NS6detail17trampoline_kernelINS0_14default_configENS1_20scan_config_selectorIN3c108BFloat16EEEZZNS1_9scan_implILNS1_25lookback_scan_determinismE0ELb0ELb0ES3_PKS6_PS6_S6_ZZZN2at6native31launch_logcumsumexp_cuda_kernelERKNSD_10TensorBaseESH_lENKUlvE_clEvENKUlvE4_clEvEUlS6_S6_E_S6_EEDaPvRmT3_T4_T5_mT6_P12ihipStream_tbENKUlT_T0_E_clISt17integral_constantIbLb1EESY_EEDaST_SU_EUlST_E_NS1_11comp_targetILNS1_3genE5ELNS1_11target_archE942ELNS1_3gpuE9ELNS1_3repE0EEENS1_30default_config_static_selectorELNS0_4arch9wavefront6targetE1EEEvT1_
                                        ; -- End function
	.set _ZN7rocprim17ROCPRIM_400000_NS6detail17trampoline_kernelINS0_14default_configENS1_20scan_config_selectorIN3c108BFloat16EEEZZNS1_9scan_implILNS1_25lookback_scan_determinismE0ELb0ELb0ES3_PKS6_PS6_S6_ZZZN2at6native31launch_logcumsumexp_cuda_kernelERKNSD_10TensorBaseESH_lENKUlvE_clEvENKUlvE4_clEvEUlS6_S6_E_S6_EEDaPvRmT3_T4_T5_mT6_P12ihipStream_tbENKUlT_T0_E_clISt17integral_constantIbLb1EESY_EEDaST_SU_EUlST_E_NS1_11comp_targetILNS1_3genE5ELNS1_11target_archE942ELNS1_3gpuE9ELNS1_3repE0EEENS1_30default_config_static_selectorELNS0_4arch9wavefront6targetE1EEEvT1_.num_vgpr, 0
	.set _ZN7rocprim17ROCPRIM_400000_NS6detail17trampoline_kernelINS0_14default_configENS1_20scan_config_selectorIN3c108BFloat16EEEZZNS1_9scan_implILNS1_25lookback_scan_determinismE0ELb0ELb0ES3_PKS6_PS6_S6_ZZZN2at6native31launch_logcumsumexp_cuda_kernelERKNSD_10TensorBaseESH_lENKUlvE_clEvENKUlvE4_clEvEUlS6_S6_E_S6_EEDaPvRmT3_T4_T5_mT6_P12ihipStream_tbENKUlT_T0_E_clISt17integral_constantIbLb1EESY_EEDaST_SU_EUlST_E_NS1_11comp_targetILNS1_3genE5ELNS1_11target_archE942ELNS1_3gpuE9ELNS1_3repE0EEENS1_30default_config_static_selectorELNS0_4arch9wavefront6targetE1EEEvT1_.num_agpr, 0
	.set _ZN7rocprim17ROCPRIM_400000_NS6detail17trampoline_kernelINS0_14default_configENS1_20scan_config_selectorIN3c108BFloat16EEEZZNS1_9scan_implILNS1_25lookback_scan_determinismE0ELb0ELb0ES3_PKS6_PS6_S6_ZZZN2at6native31launch_logcumsumexp_cuda_kernelERKNSD_10TensorBaseESH_lENKUlvE_clEvENKUlvE4_clEvEUlS6_S6_E_S6_EEDaPvRmT3_T4_T5_mT6_P12ihipStream_tbENKUlT_T0_E_clISt17integral_constantIbLb1EESY_EEDaST_SU_EUlST_E_NS1_11comp_targetILNS1_3genE5ELNS1_11target_archE942ELNS1_3gpuE9ELNS1_3repE0EEENS1_30default_config_static_selectorELNS0_4arch9wavefront6targetE1EEEvT1_.numbered_sgpr, 0
	.set _ZN7rocprim17ROCPRIM_400000_NS6detail17trampoline_kernelINS0_14default_configENS1_20scan_config_selectorIN3c108BFloat16EEEZZNS1_9scan_implILNS1_25lookback_scan_determinismE0ELb0ELb0ES3_PKS6_PS6_S6_ZZZN2at6native31launch_logcumsumexp_cuda_kernelERKNSD_10TensorBaseESH_lENKUlvE_clEvENKUlvE4_clEvEUlS6_S6_E_S6_EEDaPvRmT3_T4_T5_mT6_P12ihipStream_tbENKUlT_T0_E_clISt17integral_constantIbLb1EESY_EEDaST_SU_EUlST_E_NS1_11comp_targetILNS1_3genE5ELNS1_11target_archE942ELNS1_3gpuE9ELNS1_3repE0EEENS1_30default_config_static_selectorELNS0_4arch9wavefront6targetE1EEEvT1_.num_named_barrier, 0
	.set _ZN7rocprim17ROCPRIM_400000_NS6detail17trampoline_kernelINS0_14default_configENS1_20scan_config_selectorIN3c108BFloat16EEEZZNS1_9scan_implILNS1_25lookback_scan_determinismE0ELb0ELb0ES3_PKS6_PS6_S6_ZZZN2at6native31launch_logcumsumexp_cuda_kernelERKNSD_10TensorBaseESH_lENKUlvE_clEvENKUlvE4_clEvEUlS6_S6_E_S6_EEDaPvRmT3_T4_T5_mT6_P12ihipStream_tbENKUlT_T0_E_clISt17integral_constantIbLb1EESY_EEDaST_SU_EUlST_E_NS1_11comp_targetILNS1_3genE5ELNS1_11target_archE942ELNS1_3gpuE9ELNS1_3repE0EEENS1_30default_config_static_selectorELNS0_4arch9wavefront6targetE1EEEvT1_.private_seg_size, 0
	.set _ZN7rocprim17ROCPRIM_400000_NS6detail17trampoline_kernelINS0_14default_configENS1_20scan_config_selectorIN3c108BFloat16EEEZZNS1_9scan_implILNS1_25lookback_scan_determinismE0ELb0ELb0ES3_PKS6_PS6_S6_ZZZN2at6native31launch_logcumsumexp_cuda_kernelERKNSD_10TensorBaseESH_lENKUlvE_clEvENKUlvE4_clEvEUlS6_S6_E_S6_EEDaPvRmT3_T4_T5_mT6_P12ihipStream_tbENKUlT_T0_E_clISt17integral_constantIbLb1EESY_EEDaST_SU_EUlST_E_NS1_11comp_targetILNS1_3genE5ELNS1_11target_archE942ELNS1_3gpuE9ELNS1_3repE0EEENS1_30default_config_static_selectorELNS0_4arch9wavefront6targetE1EEEvT1_.uses_vcc, 0
	.set _ZN7rocprim17ROCPRIM_400000_NS6detail17trampoline_kernelINS0_14default_configENS1_20scan_config_selectorIN3c108BFloat16EEEZZNS1_9scan_implILNS1_25lookback_scan_determinismE0ELb0ELb0ES3_PKS6_PS6_S6_ZZZN2at6native31launch_logcumsumexp_cuda_kernelERKNSD_10TensorBaseESH_lENKUlvE_clEvENKUlvE4_clEvEUlS6_S6_E_S6_EEDaPvRmT3_T4_T5_mT6_P12ihipStream_tbENKUlT_T0_E_clISt17integral_constantIbLb1EESY_EEDaST_SU_EUlST_E_NS1_11comp_targetILNS1_3genE5ELNS1_11target_archE942ELNS1_3gpuE9ELNS1_3repE0EEENS1_30default_config_static_selectorELNS0_4arch9wavefront6targetE1EEEvT1_.uses_flat_scratch, 0
	.set _ZN7rocprim17ROCPRIM_400000_NS6detail17trampoline_kernelINS0_14default_configENS1_20scan_config_selectorIN3c108BFloat16EEEZZNS1_9scan_implILNS1_25lookback_scan_determinismE0ELb0ELb0ES3_PKS6_PS6_S6_ZZZN2at6native31launch_logcumsumexp_cuda_kernelERKNSD_10TensorBaseESH_lENKUlvE_clEvENKUlvE4_clEvEUlS6_S6_E_S6_EEDaPvRmT3_T4_T5_mT6_P12ihipStream_tbENKUlT_T0_E_clISt17integral_constantIbLb1EESY_EEDaST_SU_EUlST_E_NS1_11comp_targetILNS1_3genE5ELNS1_11target_archE942ELNS1_3gpuE9ELNS1_3repE0EEENS1_30default_config_static_selectorELNS0_4arch9wavefront6targetE1EEEvT1_.has_dyn_sized_stack, 0
	.set _ZN7rocprim17ROCPRIM_400000_NS6detail17trampoline_kernelINS0_14default_configENS1_20scan_config_selectorIN3c108BFloat16EEEZZNS1_9scan_implILNS1_25lookback_scan_determinismE0ELb0ELb0ES3_PKS6_PS6_S6_ZZZN2at6native31launch_logcumsumexp_cuda_kernelERKNSD_10TensorBaseESH_lENKUlvE_clEvENKUlvE4_clEvEUlS6_S6_E_S6_EEDaPvRmT3_T4_T5_mT6_P12ihipStream_tbENKUlT_T0_E_clISt17integral_constantIbLb1EESY_EEDaST_SU_EUlST_E_NS1_11comp_targetILNS1_3genE5ELNS1_11target_archE942ELNS1_3gpuE9ELNS1_3repE0EEENS1_30default_config_static_selectorELNS0_4arch9wavefront6targetE1EEEvT1_.has_recursion, 0
	.set _ZN7rocprim17ROCPRIM_400000_NS6detail17trampoline_kernelINS0_14default_configENS1_20scan_config_selectorIN3c108BFloat16EEEZZNS1_9scan_implILNS1_25lookback_scan_determinismE0ELb0ELb0ES3_PKS6_PS6_S6_ZZZN2at6native31launch_logcumsumexp_cuda_kernelERKNSD_10TensorBaseESH_lENKUlvE_clEvENKUlvE4_clEvEUlS6_S6_E_S6_EEDaPvRmT3_T4_T5_mT6_P12ihipStream_tbENKUlT_T0_E_clISt17integral_constantIbLb1EESY_EEDaST_SU_EUlST_E_NS1_11comp_targetILNS1_3genE5ELNS1_11target_archE942ELNS1_3gpuE9ELNS1_3repE0EEENS1_30default_config_static_selectorELNS0_4arch9wavefront6targetE1EEEvT1_.has_indirect_call, 0
	.section	.AMDGPU.csdata,"",@progbits
; Kernel info:
; codeLenInByte = 0
; TotalNumSgprs: 4
; NumVgprs: 0
; ScratchSize: 0
; MemoryBound: 0
; FloatMode: 240
; IeeeMode: 1
; LDSByteSize: 0 bytes/workgroup (compile time only)
; SGPRBlocks: 0
; VGPRBlocks: 0
; NumSGPRsForWavesPerEU: 4
; NumVGPRsForWavesPerEU: 1
; Occupancy: 10
; WaveLimiterHint : 0
; COMPUTE_PGM_RSRC2:SCRATCH_EN: 0
; COMPUTE_PGM_RSRC2:USER_SGPR: 6
; COMPUTE_PGM_RSRC2:TRAP_HANDLER: 0
; COMPUTE_PGM_RSRC2:TGID_X_EN: 1
; COMPUTE_PGM_RSRC2:TGID_Y_EN: 0
; COMPUTE_PGM_RSRC2:TGID_Z_EN: 0
; COMPUTE_PGM_RSRC2:TIDIG_COMP_CNT: 0
	.section	.text._ZN7rocprim17ROCPRIM_400000_NS6detail17trampoline_kernelINS0_14default_configENS1_20scan_config_selectorIN3c108BFloat16EEEZZNS1_9scan_implILNS1_25lookback_scan_determinismE0ELb0ELb0ES3_PKS6_PS6_S6_ZZZN2at6native31launch_logcumsumexp_cuda_kernelERKNSD_10TensorBaseESH_lENKUlvE_clEvENKUlvE4_clEvEUlS6_S6_E_S6_EEDaPvRmT3_T4_T5_mT6_P12ihipStream_tbENKUlT_T0_E_clISt17integral_constantIbLb1EESY_EEDaST_SU_EUlST_E_NS1_11comp_targetILNS1_3genE4ELNS1_11target_archE910ELNS1_3gpuE8ELNS1_3repE0EEENS1_30default_config_static_selectorELNS0_4arch9wavefront6targetE1EEEvT1_,"axG",@progbits,_ZN7rocprim17ROCPRIM_400000_NS6detail17trampoline_kernelINS0_14default_configENS1_20scan_config_selectorIN3c108BFloat16EEEZZNS1_9scan_implILNS1_25lookback_scan_determinismE0ELb0ELb0ES3_PKS6_PS6_S6_ZZZN2at6native31launch_logcumsumexp_cuda_kernelERKNSD_10TensorBaseESH_lENKUlvE_clEvENKUlvE4_clEvEUlS6_S6_E_S6_EEDaPvRmT3_T4_T5_mT6_P12ihipStream_tbENKUlT_T0_E_clISt17integral_constantIbLb1EESY_EEDaST_SU_EUlST_E_NS1_11comp_targetILNS1_3genE4ELNS1_11target_archE910ELNS1_3gpuE8ELNS1_3repE0EEENS1_30default_config_static_selectorELNS0_4arch9wavefront6targetE1EEEvT1_,comdat
	.globl	_ZN7rocprim17ROCPRIM_400000_NS6detail17trampoline_kernelINS0_14default_configENS1_20scan_config_selectorIN3c108BFloat16EEEZZNS1_9scan_implILNS1_25lookback_scan_determinismE0ELb0ELb0ES3_PKS6_PS6_S6_ZZZN2at6native31launch_logcumsumexp_cuda_kernelERKNSD_10TensorBaseESH_lENKUlvE_clEvENKUlvE4_clEvEUlS6_S6_E_S6_EEDaPvRmT3_T4_T5_mT6_P12ihipStream_tbENKUlT_T0_E_clISt17integral_constantIbLb1EESY_EEDaST_SU_EUlST_E_NS1_11comp_targetILNS1_3genE4ELNS1_11target_archE910ELNS1_3gpuE8ELNS1_3repE0EEENS1_30default_config_static_selectorELNS0_4arch9wavefront6targetE1EEEvT1_ ; -- Begin function _ZN7rocprim17ROCPRIM_400000_NS6detail17trampoline_kernelINS0_14default_configENS1_20scan_config_selectorIN3c108BFloat16EEEZZNS1_9scan_implILNS1_25lookback_scan_determinismE0ELb0ELb0ES3_PKS6_PS6_S6_ZZZN2at6native31launch_logcumsumexp_cuda_kernelERKNSD_10TensorBaseESH_lENKUlvE_clEvENKUlvE4_clEvEUlS6_S6_E_S6_EEDaPvRmT3_T4_T5_mT6_P12ihipStream_tbENKUlT_T0_E_clISt17integral_constantIbLb1EESY_EEDaST_SU_EUlST_E_NS1_11comp_targetILNS1_3genE4ELNS1_11target_archE910ELNS1_3gpuE8ELNS1_3repE0EEENS1_30default_config_static_selectorELNS0_4arch9wavefront6targetE1EEEvT1_
	.p2align	8
	.type	_ZN7rocprim17ROCPRIM_400000_NS6detail17trampoline_kernelINS0_14default_configENS1_20scan_config_selectorIN3c108BFloat16EEEZZNS1_9scan_implILNS1_25lookback_scan_determinismE0ELb0ELb0ES3_PKS6_PS6_S6_ZZZN2at6native31launch_logcumsumexp_cuda_kernelERKNSD_10TensorBaseESH_lENKUlvE_clEvENKUlvE4_clEvEUlS6_S6_E_S6_EEDaPvRmT3_T4_T5_mT6_P12ihipStream_tbENKUlT_T0_E_clISt17integral_constantIbLb1EESY_EEDaST_SU_EUlST_E_NS1_11comp_targetILNS1_3genE4ELNS1_11target_archE910ELNS1_3gpuE8ELNS1_3repE0EEENS1_30default_config_static_selectorELNS0_4arch9wavefront6targetE1EEEvT1_,@function
_ZN7rocprim17ROCPRIM_400000_NS6detail17trampoline_kernelINS0_14default_configENS1_20scan_config_selectorIN3c108BFloat16EEEZZNS1_9scan_implILNS1_25lookback_scan_determinismE0ELb0ELb0ES3_PKS6_PS6_S6_ZZZN2at6native31launch_logcumsumexp_cuda_kernelERKNSD_10TensorBaseESH_lENKUlvE_clEvENKUlvE4_clEvEUlS6_S6_E_S6_EEDaPvRmT3_T4_T5_mT6_P12ihipStream_tbENKUlT_T0_E_clISt17integral_constantIbLb1EESY_EEDaST_SU_EUlST_E_NS1_11comp_targetILNS1_3genE4ELNS1_11target_archE910ELNS1_3gpuE8ELNS1_3repE0EEENS1_30default_config_static_selectorELNS0_4arch9wavefront6targetE1EEEvT1_: ; @_ZN7rocprim17ROCPRIM_400000_NS6detail17trampoline_kernelINS0_14default_configENS1_20scan_config_selectorIN3c108BFloat16EEEZZNS1_9scan_implILNS1_25lookback_scan_determinismE0ELb0ELb0ES3_PKS6_PS6_S6_ZZZN2at6native31launch_logcumsumexp_cuda_kernelERKNSD_10TensorBaseESH_lENKUlvE_clEvENKUlvE4_clEvEUlS6_S6_E_S6_EEDaPvRmT3_T4_T5_mT6_P12ihipStream_tbENKUlT_T0_E_clISt17integral_constantIbLb1EESY_EEDaST_SU_EUlST_E_NS1_11comp_targetILNS1_3genE4ELNS1_11target_archE910ELNS1_3gpuE8ELNS1_3repE0EEENS1_30default_config_static_selectorELNS0_4arch9wavefront6targetE1EEEvT1_
; %bb.0:
	.section	.rodata,"a",@progbits
	.p2align	6, 0x0
	.amdhsa_kernel _ZN7rocprim17ROCPRIM_400000_NS6detail17trampoline_kernelINS0_14default_configENS1_20scan_config_selectorIN3c108BFloat16EEEZZNS1_9scan_implILNS1_25lookback_scan_determinismE0ELb0ELb0ES3_PKS6_PS6_S6_ZZZN2at6native31launch_logcumsumexp_cuda_kernelERKNSD_10TensorBaseESH_lENKUlvE_clEvENKUlvE4_clEvEUlS6_S6_E_S6_EEDaPvRmT3_T4_T5_mT6_P12ihipStream_tbENKUlT_T0_E_clISt17integral_constantIbLb1EESY_EEDaST_SU_EUlST_E_NS1_11comp_targetILNS1_3genE4ELNS1_11target_archE910ELNS1_3gpuE8ELNS1_3repE0EEENS1_30default_config_static_selectorELNS0_4arch9wavefront6targetE1EEEvT1_
		.amdhsa_group_segment_fixed_size 0
		.amdhsa_private_segment_fixed_size 0
		.amdhsa_kernarg_size 96
		.amdhsa_user_sgpr_count 6
		.amdhsa_user_sgpr_private_segment_buffer 1
		.amdhsa_user_sgpr_dispatch_ptr 0
		.amdhsa_user_sgpr_queue_ptr 0
		.amdhsa_user_sgpr_kernarg_segment_ptr 1
		.amdhsa_user_sgpr_dispatch_id 0
		.amdhsa_user_sgpr_flat_scratch_init 0
		.amdhsa_user_sgpr_private_segment_size 0
		.amdhsa_uses_dynamic_stack 0
		.amdhsa_system_sgpr_private_segment_wavefront_offset 0
		.amdhsa_system_sgpr_workgroup_id_x 1
		.amdhsa_system_sgpr_workgroup_id_y 0
		.amdhsa_system_sgpr_workgroup_id_z 0
		.amdhsa_system_sgpr_workgroup_info 0
		.amdhsa_system_vgpr_workitem_id 0
		.amdhsa_next_free_vgpr 1
		.amdhsa_next_free_sgpr 0
		.amdhsa_reserve_vcc 0
		.amdhsa_reserve_flat_scratch 0
		.amdhsa_float_round_mode_32 0
		.amdhsa_float_round_mode_16_64 0
		.amdhsa_float_denorm_mode_32 3
		.amdhsa_float_denorm_mode_16_64 3
		.amdhsa_dx10_clamp 1
		.amdhsa_ieee_mode 1
		.amdhsa_fp16_overflow 0
		.amdhsa_exception_fp_ieee_invalid_op 0
		.amdhsa_exception_fp_denorm_src 0
		.amdhsa_exception_fp_ieee_div_zero 0
		.amdhsa_exception_fp_ieee_overflow 0
		.amdhsa_exception_fp_ieee_underflow 0
		.amdhsa_exception_fp_ieee_inexact 0
		.amdhsa_exception_int_div_zero 0
	.end_amdhsa_kernel
	.section	.text._ZN7rocprim17ROCPRIM_400000_NS6detail17trampoline_kernelINS0_14default_configENS1_20scan_config_selectorIN3c108BFloat16EEEZZNS1_9scan_implILNS1_25lookback_scan_determinismE0ELb0ELb0ES3_PKS6_PS6_S6_ZZZN2at6native31launch_logcumsumexp_cuda_kernelERKNSD_10TensorBaseESH_lENKUlvE_clEvENKUlvE4_clEvEUlS6_S6_E_S6_EEDaPvRmT3_T4_T5_mT6_P12ihipStream_tbENKUlT_T0_E_clISt17integral_constantIbLb1EESY_EEDaST_SU_EUlST_E_NS1_11comp_targetILNS1_3genE4ELNS1_11target_archE910ELNS1_3gpuE8ELNS1_3repE0EEENS1_30default_config_static_selectorELNS0_4arch9wavefront6targetE1EEEvT1_,"axG",@progbits,_ZN7rocprim17ROCPRIM_400000_NS6detail17trampoline_kernelINS0_14default_configENS1_20scan_config_selectorIN3c108BFloat16EEEZZNS1_9scan_implILNS1_25lookback_scan_determinismE0ELb0ELb0ES3_PKS6_PS6_S6_ZZZN2at6native31launch_logcumsumexp_cuda_kernelERKNSD_10TensorBaseESH_lENKUlvE_clEvENKUlvE4_clEvEUlS6_S6_E_S6_EEDaPvRmT3_T4_T5_mT6_P12ihipStream_tbENKUlT_T0_E_clISt17integral_constantIbLb1EESY_EEDaST_SU_EUlST_E_NS1_11comp_targetILNS1_3genE4ELNS1_11target_archE910ELNS1_3gpuE8ELNS1_3repE0EEENS1_30default_config_static_selectorELNS0_4arch9wavefront6targetE1EEEvT1_,comdat
.Lfunc_end467:
	.size	_ZN7rocprim17ROCPRIM_400000_NS6detail17trampoline_kernelINS0_14default_configENS1_20scan_config_selectorIN3c108BFloat16EEEZZNS1_9scan_implILNS1_25lookback_scan_determinismE0ELb0ELb0ES3_PKS6_PS6_S6_ZZZN2at6native31launch_logcumsumexp_cuda_kernelERKNSD_10TensorBaseESH_lENKUlvE_clEvENKUlvE4_clEvEUlS6_S6_E_S6_EEDaPvRmT3_T4_T5_mT6_P12ihipStream_tbENKUlT_T0_E_clISt17integral_constantIbLb1EESY_EEDaST_SU_EUlST_E_NS1_11comp_targetILNS1_3genE4ELNS1_11target_archE910ELNS1_3gpuE8ELNS1_3repE0EEENS1_30default_config_static_selectorELNS0_4arch9wavefront6targetE1EEEvT1_, .Lfunc_end467-_ZN7rocprim17ROCPRIM_400000_NS6detail17trampoline_kernelINS0_14default_configENS1_20scan_config_selectorIN3c108BFloat16EEEZZNS1_9scan_implILNS1_25lookback_scan_determinismE0ELb0ELb0ES3_PKS6_PS6_S6_ZZZN2at6native31launch_logcumsumexp_cuda_kernelERKNSD_10TensorBaseESH_lENKUlvE_clEvENKUlvE4_clEvEUlS6_S6_E_S6_EEDaPvRmT3_T4_T5_mT6_P12ihipStream_tbENKUlT_T0_E_clISt17integral_constantIbLb1EESY_EEDaST_SU_EUlST_E_NS1_11comp_targetILNS1_3genE4ELNS1_11target_archE910ELNS1_3gpuE8ELNS1_3repE0EEENS1_30default_config_static_selectorELNS0_4arch9wavefront6targetE1EEEvT1_
                                        ; -- End function
	.set _ZN7rocprim17ROCPRIM_400000_NS6detail17trampoline_kernelINS0_14default_configENS1_20scan_config_selectorIN3c108BFloat16EEEZZNS1_9scan_implILNS1_25lookback_scan_determinismE0ELb0ELb0ES3_PKS6_PS6_S6_ZZZN2at6native31launch_logcumsumexp_cuda_kernelERKNSD_10TensorBaseESH_lENKUlvE_clEvENKUlvE4_clEvEUlS6_S6_E_S6_EEDaPvRmT3_T4_T5_mT6_P12ihipStream_tbENKUlT_T0_E_clISt17integral_constantIbLb1EESY_EEDaST_SU_EUlST_E_NS1_11comp_targetILNS1_3genE4ELNS1_11target_archE910ELNS1_3gpuE8ELNS1_3repE0EEENS1_30default_config_static_selectorELNS0_4arch9wavefront6targetE1EEEvT1_.num_vgpr, 0
	.set _ZN7rocprim17ROCPRIM_400000_NS6detail17trampoline_kernelINS0_14default_configENS1_20scan_config_selectorIN3c108BFloat16EEEZZNS1_9scan_implILNS1_25lookback_scan_determinismE0ELb0ELb0ES3_PKS6_PS6_S6_ZZZN2at6native31launch_logcumsumexp_cuda_kernelERKNSD_10TensorBaseESH_lENKUlvE_clEvENKUlvE4_clEvEUlS6_S6_E_S6_EEDaPvRmT3_T4_T5_mT6_P12ihipStream_tbENKUlT_T0_E_clISt17integral_constantIbLb1EESY_EEDaST_SU_EUlST_E_NS1_11comp_targetILNS1_3genE4ELNS1_11target_archE910ELNS1_3gpuE8ELNS1_3repE0EEENS1_30default_config_static_selectorELNS0_4arch9wavefront6targetE1EEEvT1_.num_agpr, 0
	.set _ZN7rocprim17ROCPRIM_400000_NS6detail17trampoline_kernelINS0_14default_configENS1_20scan_config_selectorIN3c108BFloat16EEEZZNS1_9scan_implILNS1_25lookback_scan_determinismE0ELb0ELb0ES3_PKS6_PS6_S6_ZZZN2at6native31launch_logcumsumexp_cuda_kernelERKNSD_10TensorBaseESH_lENKUlvE_clEvENKUlvE4_clEvEUlS6_S6_E_S6_EEDaPvRmT3_T4_T5_mT6_P12ihipStream_tbENKUlT_T0_E_clISt17integral_constantIbLb1EESY_EEDaST_SU_EUlST_E_NS1_11comp_targetILNS1_3genE4ELNS1_11target_archE910ELNS1_3gpuE8ELNS1_3repE0EEENS1_30default_config_static_selectorELNS0_4arch9wavefront6targetE1EEEvT1_.numbered_sgpr, 0
	.set _ZN7rocprim17ROCPRIM_400000_NS6detail17trampoline_kernelINS0_14default_configENS1_20scan_config_selectorIN3c108BFloat16EEEZZNS1_9scan_implILNS1_25lookback_scan_determinismE0ELb0ELb0ES3_PKS6_PS6_S6_ZZZN2at6native31launch_logcumsumexp_cuda_kernelERKNSD_10TensorBaseESH_lENKUlvE_clEvENKUlvE4_clEvEUlS6_S6_E_S6_EEDaPvRmT3_T4_T5_mT6_P12ihipStream_tbENKUlT_T0_E_clISt17integral_constantIbLb1EESY_EEDaST_SU_EUlST_E_NS1_11comp_targetILNS1_3genE4ELNS1_11target_archE910ELNS1_3gpuE8ELNS1_3repE0EEENS1_30default_config_static_selectorELNS0_4arch9wavefront6targetE1EEEvT1_.num_named_barrier, 0
	.set _ZN7rocprim17ROCPRIM_400000_NS6detail17trampoline_kernelINS0_14default_configENS1_20scan_config_selectorIN3c108BFloat16EEEZZNS1_9scan_implILNS1_25lookback_scan_determinismE0ELb0ELb0ES3_PKS6_PS6_S6_ZZZN2at6native31launch_logcumsumexp_cuda_kernelERKNSD_10TensorBaseESH_lENKUlvE_clEvENKUlvE4_clEvEUlS6_S6_E_S6_EEDaPvRmT3_T4_T5_mT6_P12ihipStream_tbENKUlT_T0_E_clISt17integral_constantIbLb1EESY_EEDaST_SU_EUlST_E_NS1_11comp_targetILNS1_3genE4ELNS1_11target_archE910ELNS1_3gpuE8ELNS1_3repE0EEENS1_30default_config_static_selectorELNS0_4arch9wavefront6targetE1EEEvT1_.private_seg_size, 0
	.set _ZN7rocprim17ROCPRIM_400000_NS6detail17trampoline_kernelINS0_14default_configENS1_20scan_config_selectorIN3c108BFloat16EEEZZNS1_9scan_implILNS1_25lookback_scan_determinismE0ELb0ELb0ES3_PKS6_PS6_S6_ZZZN2at6native31launch_logcumsumexp_cuda_kernelERKNSD_10TensorBaseESH_lENKUlvE_clEvENKUlvE4_clEvEUlS6_S6_E_S6_EEDaPvRmT3_T4_T5_mT6_P12ihipStream_tbENKUlT_T0_E_clISt17integral_constantIbLb1EESY_EEDaST_SU_EUlST_E_NS1_11comp_targetILNS1_3genE4ELNS1_11target_archE910ELNS1_3gpuE8ELNS1_3repE0EEENS1_30default_config_static_selectorELNS0_4arch9wavefront6targetE1EEEvT1_.uses_vcc, 0
	.set _ZN7rocprim17ROCPRIM_400000_NS6detail17trampoline_kernelINS0_14default_configENS1_20scan_config_selectorIN3c108BFloat16EEEZZNS1_9scan_implILNS1_25lookback_scan_determinismE0ELb0ELb0ES3_PKS6_PS6_S6_ZZZN2at6native31launch_logcumsumexp_cuda_kernelERKNSD_10TensorBaseESH_lENKUlvE_clEvENKUlvE4_clEvEUlS6_S6_E_S6_EEDaPvRmT3_T4_T5_mT6_P12ihipStream_tbENKUlT_T0_E_clISt17integral_constantIbLb1EESY_EEDaST_SU_EUlST_E_NS1_11comp_targetILNS1_3genE4ELNS1_11target_archE910ELNS1_3gpuE8ELNS1_3repE0EEENS1_30default_config_static_selectorELNS0_4arch9wavefront6targetE1EEEvT1_.uses_flat_scratch, 0
	.set _ZN7rocprim17ROCPRIM_400000_NS6detail17trampoline_kernelINS0_14default_configENS1_20scan_config_selectorIN3c108BFloat16EEEZZNS1_9scan_implILNS1_25lookback_scan_determinismE0ELb0ELb0ES3_PKS6_PS6_S6_ZZZN2at6native31launch_logcumsumexp_cuda_kernelERKNSD_10TensorBaseESH_lENKUlvE_clEvENKUlvE4_clEvEUlS6_S6_E_S6_EEDaPvRmT3_T4_T5_mT6_P12ihipStream_tbENKUlT_T0_E_clISt17integral_constantIbLb1EESY_EEDaST_SU_EUlST_E_NS1_11comp_targetILNS1_3genE4ELNS1_11target_archE910ELNS1_3gpuE8ELNS1_3repE0EEENS1_30default_config_static_selectorELNS0_4arch9wavefront6targetE1EEEvT1_.has_dyn_sized_stack, 0
	.set _ZN7rocprim17ROCPRIM_400000_NS6detail17trampoline_kernelINS0_14default_configENS1_20scan_config_selectorIN3c108BFloat16EEEZZNS1_9scan_implILNS1_25lookback_scan_determinismE0ELb0ELb0ES3_PKS6_PS6_S6_ZZZN2at6native31launch_logcumsumexp_cuda_kernelERKNSD_10TensorBaseESH_lENKUlvE_clEvENKUlvE4_clEvEUlS6_S6_E_S6_EEDaPvRmT3_T4_T5_mT6_P12ihipStream_tbENKUlT_T0_E_clISt17integral_constantIbLb1EESY_EEDaST_SU_EUlST_E_NS1_11comp_targetILNS1_3genE4ELNS1_11target_archE910ELNS1_3gpuE8ELNS1_3repE0EEENS1_30default_config_static_selectorELNS0_4arch9wavefront6targetE1EEEvT1_.has_recursion, 0
	.set _ZN7rocprim17ROCPRIM_400000_NS6detail17trampoline_kernelINS0_14default_configENS1_20scan_config_selectorIN3c108BFloat16EEEZZNS1_9scan_implILNS1_25lookback_scan_determinismE0ELb0ELb0ES3_PKS6_PS6_S6_ZZZN2at6native31launch_logcumsumexp_cuda_kernelERKNSD_10TensorBaseESH_lENKUlvE_clEvENKUlvE4_clEvEUlS6_S6_E_S6_EEDaPvRmT3_T4_T5_mT6_P12ihipStream_tbENKUlT_T0_E_clISt17integral_constantIbLb1EESY_EEDaST_SU_EUlST_E_NS1_11comp_targetILNS1_3genE4ELNS1_11target_archE910ELNS1_3gpuE8ELNS1_3repE0EEENS1_30default_config_static_selectorELNS0_4arch9wavefront6targetE1EEEvT1_.has_indirect_call, 0
	.section	.AMDGPU.csdata,"",@progbits
; Kernel info:
; codeLenInByte = 0
; TotalNumSgprs: 4
; NumVgprs: 0
; ScratchSize: 0
; MemoryBound: 0
; FloatMode: 240
; IeeeMode: 1
; LDSByteSize: 0 bytes/workgroup (compile time only)
; SGPRBlocks: 0
; VGPRBlocks: 0
; NumSGPRsForWavesPerEU: 4
; NumVGPRsForWavesPerEU: 1
; Occupancy: 10
; WaveLimiterHint : 0
; COMPUTE_PGM_RSRC2:SCRATCH_EN: 0
; COMPUTE_PGM_RSRC2:USER_SGPR: 6
; COMPUTE_PGM_RSRC2:TRAP_HANDLER: 0
; COMPUTE_PGM_RSRC2:TGID_X_EN: 1
; COMPUTE_PGM_RSRC2:TGID_Y_EN: 0
; COMPUTE_PGM_RSRC2:TGID_Z_EN: 0
; COMPUTE_PGM_RSRC2:TIDIG_COMP_CNT: 0
	.section	.text._ZN7rocprim17ROCPRIM_400000_NS6detail17trampoline_kernelINS0_14default_configENS1_20scan_config_selectorIN3c108BFloat16EEEZZNS1_9scan_implILNS1_25lookback_scan_determinismE0ELb0ELb0ES3_PKS6_PS6_S6_ZZZN2at6native31launch_logcumsumexp_cuda_kernelERKNSD_10TensorBaseESH_lENKUlvE_clEvENKUlvE4_clEvEUlS6_S6_E_S6_EEDaPvRmT3_T4_T5_mT6_P12ihipStream_tbENKUlT_T0_E_clISt17integral_constantIbLb1EESY_EEDaST_SU_EUlST_E_NS1_11comp_targetILNS1_3genE3ELNS1_11target_archE908ELNS1_3gpuE7ELNS1_3repE0EEENS1_30default_config_static_selectorELNS0_4arch9wavefront6targetE1EEEvT1_,"axG",@progbits,_ZN7rocprim17ROCPRIM_400000_NS6detail17trampoline_kernelINS0_14default_configENS1_20scan_config_selectorIN3c108BFloat16EEEZZNS1_9scan_implILNS1_25lookback_scan_determinismE0ELb0ELb0ES3_PKS6_PS6_S6_ZZZN2at6native31launch_logcumsumexp_cuda_kernelERKNSD_10TensorBaseESH_lENKUlvE_clEvENKUlvE4_clEvEUlS6_S6_E_S6_EEDaPvRmT3_T4_T5_mT6_P12ihipStream_tbENKUlT_T0_E_clISt17integral_constantIbLb1EESY_EEDaST_SU_EUlST_E_NS1_11comp_targetILNS1_3genE3ELNS1_11target_archE908ELNS1_3gpuE7ELNS1_3repE0EEENS1_30default_config_static_selectorELNS0_4arch9wavefront6targetE1EEEvT1_,comdat
	.globl	_ZN7rocprim17ROCPRIM_400000_NS6detail17trampoline_kernelINS0_14default_configENS1_20scan_config_selectorIN3c108BFloat16EEEZZNS1_9scan_implILNS1_25lookback_scan_determinismE0ELb0ELb0ES3_PKS6_PS6_S6_ZZZN2at6native31launch_logcumsumexp_cuda_kernelERKNSD_10TensorBaseESH_lENKUlvE_clEvENKUlvE4_clEvEUlS6_S6_E_S6_EEDaPvRmT3_T4_T5_mT6_P12ihipStream_tbENKUlT_T0_E_clISt17integral_constantIbLb1EESY_EEDaST_SU_EUlST_E_NS1_11comp_targetILNS1_3genE3ELNS1_11target_archE908ELNS1_3gpuE7ELNS1_3repE0EEENS1_30default_config_static_selectorELNS0_4arch9wavefront6targetE1EEEvT1_ ; -- Begin function _ZN7rocprim17ROCPRIM_400000_NS6detail17trampoline_kernelINS0_14default_configENS1_20scan_config_selectorIN3c108BFloat16EEEZZNS1_9scan_implILNS1_25lookback_scan_determinismE0ELb0ELb0ES3_PKS6_PS6_S6_ZZZN2at6native31launch_logcumsumexp_cuda_kernelERKNSD_10TensorBaseESH_lENKUlvE_clEvENKUlvE4_clEvEUlS6_S6_E_S6_EEDaPvRmT3_T4_T5_mT6_P12ihipStream_tbENKUlT_T0_E_clISt17integral_constantIbLb1EESY_EEDaST_SU_EUlST_E_NS1_11comp_targetILNS1_3genE3ELNS1_11target_archE908ELNS1_3gpuE7ELNS1_3repE0EEENS1_30default_config_static_selectorELNS0_4arch9wavefront6targetE1EEEvT1_
	.p2align	8
	.type	_ZN7rocprim17ROCPRIM_400000_NS6detail17trampoline_kernelINS0_14default_configENS1_20scan_config_selectorIN3c108BFloat16EEEZZNS1_9scan_implILNS1_25lookback_scan_determinismE0ELb0ELb0ES3_PKS6_PS6_S6_ZZZN2at6native31launch_logcumsumexp_cuda_kernelERKNSD_10TensorBaseESH_lENKUlvE_clEvENKUlvE4_clEvEUlS6_S6_E_S6_EEDaPvRmT3_T4_T5_mT6_P12ihipStream_tbENKUlT_T0_E_clISt17integral_constantIbLb1EESY_EEDaST_SU_EUlST_E_NS1_11comp_targetILNS1_3genE3ELNS1_11target_archE908ELNS1_3gpuE7ELNS1_3repE0EEENS1_30default_config_static_selectorELNS0_4arch9wavefront6targetE1EEEvT1_,@function
_ZN7rocprim17ROCPRIM_400000_NS6detail17trampoline_kernelINS0_14default_configENS1_20scan_config_selectorIN3c108BFloat16EEEZZNS1_9scan_implILNS1_25lookback_scan_determinismE0ELb0ELb0ES3_PKS6_PS6_S6_ZZZN2at6native31launch_logcumsumexp_cuda_kernelERKNSD_10TensorBaseESH_lENKUlvE_clEvENKUlvE4_clEvEUlS6_S6_E_S6_EEDaPvRmT3_T4_T5_mT6_P12ihipStream_tbENKUlT_T0_E_clISt17integral_constantIbLb1EESY_EEDaST_SU_EUlST_E_NS1_11comp_targetILNS1_3genE3ELNS1_11target_archE908ELNS1_3gpuE7ELNS1_3repE0EEENS1_30default_config_static_selectorELNS0_4arch9wavefront6targetE1EEEvT1_: ; @_ZN7rocprim17ROCPRIM_400000_NS6detail17trampoline_kernelINS0_14default_configENS1_20scan_config_selectorIN3c108BFloat16EEEZZNS1_9scan_implILNS1_25lookback_scan_determinismE0ELb0ELb0ES3_PKS6_PS6_S6_ZZZN2at6native31launch_logcumsumexp_cuda_kernelERKNSD_10TensorBaseESH_lENKUlvE_clEvENKUlvE4_clEvEUlS6_S6_E_S6_EEDaPvRmT3_T4_T5_mT6_P12ihipStream_tbENKUlT_T0_E_clISt17integral_constantIbLb1EESY_EEDaST_SU_EUlST_E_NS1_11comp_targetILNS1_3genE3ELNS1_11target_archE908ELNS1_3gpuE7ELNS1_3repE0EEENS1_30default_config_static_selectorELNS0_4arch9wavefront6targetE1EEEvT1_
; %bb.0:
	.section	.rodata,"a",@progbits
	.p2align	6, 0x0
	.amdhsa_kernel _ZN7rocprim17ROCPRIM_400000_NS6detail17trampoline_kernelINS0_14default_configENS1_20scan_config_selectorIN3c108BFloat16EEEZZNS1_9scan_implILNS1_25lookback_scan_determinismE0ELb0ELb0ES3_PKS6_PS6_S6_ZZZN2at6native31launch_logcumsumexp_cuda_kernelERKNSD_10TensorBaseESH_lENKUlvE_clEvENKUlvE4_clEvEUlS6_S6_E_S6_EEDaPvRmT3_T4_T5_mT6_P12ihipStream_tbENKUlT_T0_E_clISt17integral_constantIbLb1EESY_EEDaST_SU_EUlST_E_NS1_11comp_targetILNS1_3genE3ELNS1_11target_archE908ELNS1_3gpuE7ELNS1_3repE0EEENS1_30default_config_static_selectorELNS0_4arch9wavefront6targetE1EEEvT1_
		.amdhsa_group_segment_fixed_size 0
		.amdhsa_private_segment_fixed_size 0
		.amdhsa_kernarg_size 96
		.amdhsa_user_sgpr_count 6
		.amdhsa_user_sgpr_private_segment_buffer 1
		.amdhsa_user_sgpr_dispatch_ptr 0
		.amdhsa_user_sgpr_queue_ptr 0
		.amdhsa_user_sgpr_kernarg_segment_ptr 1
		.amdhsa_user_sgpr_dispatch_id 0
		.amdhsa_user_sgpr_flat_scratch_init 0
		.amdhsa_user_sgpr_private_segment_size 0
		.amdhsa_uses_dynamic_stack 0
		.amdhsa_system_sgpr_private_segment_wavefront_offset 0
		.amdhsa_system_sgpr_workgroup_id_x 1
		.amdhsa_system_sgpr_workgroup_id_y 0
		.amdhsa_system_sgpr_workgroup_id_z 0
		.amdhsa_system_sgpr_workgroup_info 0
		.amdhsa_system_vgpr_workitem_id 0
		.amdhsa_next_free_vgpr 1
		.amdhsa_next_free_sgpr 0
		.amdhsa_reserve_vcc 0
		.amdhsa_reserve_flat_scratch 0
		.amdhsa_float_round_mode_32 0
		.amdhsa_float_round_mode_16_64 0
		.amdhsa_float_denorm_mode_32 3
		.amdhsa_float_denorm_mode_16_64 3
		.amdhsa_dx10_clamp 1
		.amdhsa_ieee_mode 1
		.amdhsa_fp16_overflow 0
		.amdhsa_exception_fp_ieee_invalid_op 0
		.amdhsa_exception_fp_denorm_src 0
		.amdhsa_exception_fp_ieee_div_zero 0
		.amdhsa_exception_fp_ieee_overflow 0
		.amdhsa_exception_fp_ieee_underflow 0
		.amdhsa_exception_fp_ieee_inexact 0
		.amdhsa_exception_int_div_zero 0
	.end_amdhsa_kernel
	.section	.text._ZN7rocprim17ROCPRIM_400000_NS6detail17trampoline_kernelINS0_14default_configENS1_20scan_config_selectorIN3c108BFloat16EEEZZNS1_9scan_implILNS1_25lookback_scan_determinismE0ELb0ELb0ES3_PKS6_PS6_S6_ZZZN2at6native31launch_logcumsumexp_cuda_kernelERKNSD_10TensorBaseESH_lENKUlvE_clEvENKUlvE4_clEvEUlS6_S6_E_S6_EEDaPvRmT3_T4_T5_mT6_P12ihipStream_tbENKUlT_T0_E_clISt17integral_constantIbLb1EESY_EEDaST_SU_EUlST_E_NS1_11comp_targetILNS1_3genE3ELNS1_11target_archE908ELNS1_3gpuE7ELNS1_3repE0EEENS1_30default_config_static_selectorELNS0_4arch9wavefront6targetE1EEEvT1_,"axG",@progbits,_ZN7rocprim17ROCPRIM_400000_NS6detail17trampoline_kernelINS0_14default_configENS1_20scan_config_selectorIN3c108BFloat16EEEZZNS1_9scan_implILNS1_25lookback_scan_determinismE0ELb0ELb0ES3_PKS6_PS6_S6_ZZZN2at6native31launch_logcumsumexp_cuda_kernelERKNSD_10TensorBaseESH_lENKUlvE_clEvENKUlvE4_clEvEUlS6_S6_E_S6_EEDaPvRmT3_T4_T5_mT6_P12ihipStream_tbENKUlT_T0_E_clISt17integral_constantIbLb1EESY_EEDaST_SU_EUlST_E_NS1_11comp_targetILNS1_3genE3ELNS1_11target_archE908ELNS1_3gpuE7ELNS1_3repE0EEENS1_30default_config_static_selectorELNS0_4arch9wavefront6targetE1EEEvT1_,comdat
.Lfunc_end468:
	.size	_ZN7rocprim17ROCPRIM_400000_NS6detail17trampoline_kernelINS0_14default_configENS1_20scan_config_selectorIN3c108BFloat16EEEZZNS1_9scan_implILNS1_25lookback_scan_determinismE0ELb0ELb0ES3_PKS6_PS6_S6_ZZZN2at6native31launch_logcumsumexp_cuda_kernelERKNSD_10TensorBaseESH_lENKUlvE_clEvENKUlvE4_clEvEUlS6_S6_E_S6_EEDaPvRmT3_T4_T5_mT6_P12ihipStream_tbENKUlT_T0_E_clISt17integral_constantIbLb1EESY_EEDaST_SU_EUlST_E_NS1_11comp_targetILNS1_3genE3ELNS1_11target_archE908ELNS1_3gpuE7ELNS1_3repE0EEENS1_30default_config_static_selectorELNS0_4arch9wavefront6targetE1EEEvT1_, .Lfunc_end468-_ZN7rocprim17ROCPRIM_400000_NS6detail17trampoline_kernelINS0_14default_configENS1_20scan_config_selectorIN3c108BFloat16EEEZZNS1_9scan_implILNS1_25lookback_scan_determinismE0ELb0ELb0ES3_PKS6_PS6_S6_ZZZN2at6native31launch_logcumsumexp_cuda_kernelERKNSD_10TensorBaseESH_lENKUlvE_clEvENKUlvE4_clEvEUlS6_S6_E_S6_EEDaPvRmT3_T4_T5_mT6_P12ihipStream_tbENKUlT_T0_E_clISt17integral_constantIbLb1EESY_EEDaST_SU_EUlST_E_NS1_11comp_targetILNS1_3genE3ELNS1_11target_archE908ELNS1_3gpuE7ELNS1_3repE0EEENS1_30default_config_static_selectorELNS0_4arch9wavefront6targetE1EEEvT1_
                                        ; -- End function
	.set _ZN7rocprim17ROCPRIM_400000_NS6detail17trampoline_kernelINS0_14default_configENS1_20scan_config_selectorIN3c108BFloat16EEEZZNS1_9scan_implILNS1_25lookback_scan_determinismE0ELb0ELb0ES3_PKS6_PS6_S6_ZZZN2at6native31launch_logcumsumexp_cuda_kernelERKNSD_10TensorBaseESH_lENKUlvE_clEvENKUlvE4_clEvEUlS6_S6_E_S6_EEDaPvRmT3_T4_T5_mT6_P12ihipStream_tbENKUlT_T0_E_clISt17integral_constantIbLb1EESY_EEDaST_SU_EUlST_E_NS1_11comp_targetILNS1_3genE3ELNS1_11target_archE908ELNS1_3gpuE7ELNS1_3repE0EEENS1_30default_config_static_selectorELNS0_4arch9wavefront6targetE1EEEvT1_.num_vgpr, 0
	.set _ZN7rocprim17ROCPRIM_400000_NS6detail17trampoline_kernelINS0_14default_configENS1_20scan_config_selectorIN3c108BFloat16EEEZZNS1_9scan_implILNS1_25lookback_scan_determinismE0ELb0ELb0ES3_PKS6_PS6_S6_ZZZN2at6native31launch_logcumsumexp_cuda_kernelERKNSD_10TensorBaseESH_lENKUlvE_clEvENKUlvE4_clEvEUlS6_S6_E_S6_EEDaPvRmT3_T4_T5_mT6_P12ihipStream_tbENKUlT_T0_E_clISt17integral_constantIbLb1EESY_EEDaST_SU_EUlST_E_NS1_11comp_targetILNS1_3genE3ELNS1_11target_archE908ELNS1_3gpuE7ELNS1_3repE0EEENS1_30default_config_static_selectorELNS0_4arch9wavefront6targetE1EEEvT1_.num_agpr, 0
	.set _ZN7rocprim17ROCPRIM_400000_NS6detail17trampoline_kernelINS0_14default_configENS1_20scan_config_selectorIN3c108BFloat16EEEZZNS1_9scan_implILNS1_25lookback_scan_determinismE0ELb0ELb0ES3_PKS6_PS6_S6_ZZZN2at6native31launch_logcumsumexp_cuda_kernelERKNSD_10TensorBaseESH_lENKUlvE_clEvENKUlvE4_clEvEUlS6_S6_E_S6_EEDaPvRmT3_T4_T5_mT6_P12ihipStream_tbENKUlT_T0_E_clISt17integral_constantIbLb1EESY_EEDaST_SU_EUlST_E_NS1_11comp_targetILNS1_3genE3ELNS1_11target_archE908ELNS1_3gpuE7ELNS1_3repE0EEENS1_30default_config_static_selectorELNS0_4arch9wavefront6targetE1EEEvT1_.numbered_sgpr, 0
	.set _ZN7rocprim17ROCPRIM_400000_NS6detail17trampoline_kernelINS0_14default_configENS1_20scan_config_selectorIN3c108BFloat16EEEZZNS1_9scan_implILNS1_25lookback_scan_determinismE0ELb0ELb0ES3_PKS6_PS6_S6_ZZZN2at6native31launch_logcumsumexp_cuda_kernelERKNSD_10TensorBaseESH_lENKUlvE_clEvENKUlvE4_clEvEUlS6_S6_E_S6_EEDaPvRmT3_T4_T5_mT6_P12ihipStream_tbENKUlT_T0_E_clISt17integral_constantIbLb1EESY_EEDaST_SU_EUlST_E_NS1_11comp_targetILNS1_3genE3ELNS1_11target_archE908ELNS1_3gpuE7ELNS1_3repE0EEENS1_30default_config_static_selectorELNS0_4arch9wavefront6targetE1EEEvT1_.num_named_barrier, 0
	.set _ZN7rocprim17ROCPRIM_400000_NS6detail17trampoline_kernelINS0_14default_configENS1_20scan_config_selectorIN3c108BFloat16EEEZZNS1_9scan_implILNS1_25lookback_scan_determinismE0ELb0ELb0ES3_PKS6_PS6_S6_ZZZN2at6native31launch_logcumsumexp_cuda_kernelERKNSD_10TensorBaseESH_lENKUlvE_clEvENKUlvE4_clEvEUlS6_S6_E_S6_EEDaPvRmT3_T4_T5_mT6_P12ihipStream_tbENKUlT_T0_E_clISt17integral_constantIbLb1EESY_EEDaST_SU_EUlST_E_NS1_11comp_targetILNS1_3genE3ELNS1_11target_archE908ELNS1_3gpuE7ELNS1_3repE0EEENS1_30default_config_static_selectorELNS0_4arch9wavefront6targetE1EEEvT1_.private_seg_size, 0
	.set _ZN7rocprim17ROCPRIM_400000_NS6detail17trampoline_kernelINS0_14default_configENS1_20scan_config_selectorIN3c108BFloat16EEEZZNS1_9scan_implILNS1_25lookback_scan_determinismE0ELb0ELb0ES3_PKS6_PS6_S6_ZZZN2at6native31launch_logcumsumexp_cuda_kernelERKNSD_10TensorBaseESH_lENKUlvE_clEvENKUlvE4_clEvEUlS6_S6_E_S6_EEDaPvRmT3_T4_T5_mT6_P12ihipStream_tbENKUlT_T0_E_clISt17integral_constantIbLb1EESY_EEDaST_SU_EUlST_E_NS1_11comp_targetILNS1_3genE3ELNS1_11target_archE908ELNS1_3gpuE7ELNS1_3repE0EEENS1_30default_config_static_selectorELNS0_4arch9wavefront6targetE1EEEvT1_.uses_vcc, 0
	.set _ZN7rocprim17ROCPRIM_400000_NS6detail17trampoline_kernelINS0_14default_configENS1_20scan_config_selectorIN3c108BFloat16EEEZZNS1_9scan_implILNS1_25lookback_scan_determinismE0ELb0ELb0ES3_PKS6_PS6_S6_ZZZN2at6native31launch_logcumsumexp_cuda_kernelERKNSD_10TensorBaseESH_lENKUlvE_clEvENKUlvE4_clEvEUlS6_S6_E_S6_EEDaPvRmT3_T4_T5_mT6_P12ihipStream_tbENKUlT_T0_E_clISt17integral_constantIbLb1EESY_EEDaST_SU_EUlST_E_NS1_11comp_targetILNS1_3genE3ELNS1_11target_archE908ELNS1_3gpuE7ELNS1_3repE0EEENS1_30default_config_static_selectorELNS0_4arch9wavefront6targetE1EEEvT1_.uses_flat_scratch, 0
	.set _ZN7rocprim17ROCPRIM_400000_NS6detail17trampoline_kernelINS0_14default_configENS1_20scan_config_selectorIN3c108BFloat16EEEZZNS1_9scan_implILNS1_25lookback_scan_determinismE0ELb0ELb0ES3_PKS6_PS6_S6_ZZZN2at6native31launch_logcumsumexp_cuda_kernelERKNSD_10TensorBaseESH_lENKUlvE_clEvENKUlvE4_clEvEUlS6_S6_E_S6_EEDaPvRmT3_T4_T5_mT6_P12ihipStream_tbENKUlT_T0_E_clISt17integral_constantIbLb1EESY_EEDaST_SU_EUlST_E_NS1_11comp_targetILNS1_3genE3ELNS1_11target_archE908ELNS1_3gpuE7ELNS1_3repE0EEENS1_30default_config_static_selectorELNS0_4arch9wavefront6targetE1EEEvT1_.has_dyn_sized_stack, 0
	.set _ZN7rocprim17ROCPRIM_400000_NS6detail17trampoline_kernelINS0_14default_configENS1_20scan_config_selectorIN3c108BFloat16EEEZZNS1_9scan_implILNS1_25lookback_scan_determinismE0ELb0ELb0ES3_PKS6_PS6_S6_ZZZN2at6native31launch_logcumsumexp_cuda_kernelERKNSD_10TensorBaseESH_lENKUlvE_clEvENKUlvE4_clEvEUlS6_S6_E_S6_EEDaPvRmT3_T4_T5_mT6_P12ihipStream_tbENKUlT_T0_E_clISt17integral_constantIbLb1EESY_EEDaST_SU_EUlST_E_NS1_11comp_targetILNS1_3genE3ELNS1_11target_archE908ELNS1_3gpuE7ELNS1_3repE0EEENS1_30default_config_static_selectorELNS0_4arch9wavefront6targetE1EEEvT1_.has_recursion, 0
	.set _ZN7rocprim17ROCPRIM_400000_NS6detail17trampoline_kernelINS0_14default_configENS1_20scan_config_selectorIN3c108BFloat16EEEZZNS1_9scan_implILNS1_25lookback_scan_determinismE0ELb0ELb0ES3_PKS6_PS6_S6_ZZZN2at6native31launch_logcumsumexp_cuda_kernelERKNSD_10TensorBaseESH_lENKUlvE_clEvENKUlvE4_clEvEUlS6_S6_E_S6_EEDaPvRmT3_T4_T5_mT6_P12ihipStream_tbENKUlT_T0_E_clISt17integral_constantIbLb1EESY_EEDaST_SU_EUlST_E_NS1_11comp_targetILNS1_3genE3ELNS1_11target_archE908ELNS1_3gpuE7ELNS1_3repE0EEENS1_30default_config_static_selectorELNS0_4arch9wavefront6targetE1EEEvT1_.has_indirect_call, 0
	.section	.AMDGPU.csdata,"",@progbits
; Kernel info:
; codeLenInByte = 0
; TotalNumSgprs: 4
; NumVgprs: 0
; ScratchSize: 0
; MemoryBound: 0
; FloatMode: 240
; IeeeMode: 1
; LDSByteSize: 0 bytes/workgroup (compile time only)
; SGPRBlocks: 0
; VGPRBlocks: 0
; NumSGPRsForWavesPerEU: 4
; NumVGPRsForWavesPerEU: 1
; Occupancy: 10
; WaveLimiterHint : 0
; COMPUTE_PGM_RSRC2:SCRATCH_EN: 0
; COMPUTE_PGM_RSRC2:USER_SGPR: 6
; COMPUTE_PGM_RSRC2:TRAP_HANDLER: 0
; COMPUTE_PGM_RSRC2:TGID_X_EN: 1
; COMPUTE_PGM_RSRC2:TGID_Y_EN: 0
; COMPUTE_PGM_RSRC2:TGID_Z_EN: 0
; COMPUTE_PGM_RSRC2:TIDIG_COMP_CNT: 0
	.section	.text._ZN7rocprim17ROCPRIM_400000_NS6detail17trampoline_kernelINS0_14default_configENS1_20scan_config_selectorIN3c108BFloat16EEEZZNS1_9scan_implILNS1_25lookback_scan_determinismE0ELb0ELb0ES3_PKS6_PS6_S6_ZZZN2at6native31launch_logcumsumexp_cuda_kernelERKNSD_10TensorBaseESH_lENKUlvE_clEvENKUlvE4_clEvEUlS6_S6_E_S6_EEDaPvRmT3_T4_T5_mT6_P12ihipStream_tbENKUlT_T0_E_clISt17integral_constantIbLb1EESY_EEDaST_SU_EUlST_E_NS1_11comp_targetILNS1_3genE2ELNS1_11target_archE906ELNS1_3gpuE6ELNS1_3repE0EEENS1_30default_config_static_selectorELNS0_4arch9wavefront6targetE1EEEvT1_,"axG",@progbits,_ZN7rocprim17ROCPRIM_400000_NS6detail17trampoline_kernelINS0_14default_configENS1_20scan_config_selectorIN3c108BFloat16EEEZZNS1_9scan_implILNS1_25lookback_scan_determinismE0ELb0ELb0ES3_PKS6_PS6_S6_ZZZN2at6native31launch_logcumsumexp_cuda_kernelERKNSD_10TensorBaseESH_lENKUlvE_clEvENKUlvE4_clEvEUlS6_S6_E_S6_EEDaPvRmT3_T4_T5_mT6_P12ihipStream_tbENKUlT_T0_E_clISt17integral_constantIbLb1EESY_EEDaST_SU_EUlST_E_NS1_11comp_targetILNS1_3genE2ELNS1_11target_archE906ELNS1_3gpuE6ELNS1_3repE0EEENS1_30default_config_static_selectorELNS0_4arch9wavefront6targetE1EEEvT1_,comdat
	.globl	_ZN7rocprim17ROCPRIM_400000_NS6detail17trampoline_kernelINS0_14default_configENS1_20scan_config_selectorIN3c108BFloat16EEEZZNS1_9scan_implILNS1_25lookback_scan_determinismE0ELb0ELb0ES3_PKS6_PS6_S6_ZZZN2at6native31launch_logcumsumexp_cuda_kernelERKNSD_10TensorBaseESH_lENKUlvE_clEvENKUlvE4_clEvEUlS6_S6_E_S6_EEDaPvRmT3_T4_T5_mT6_P12ihipStream_tbENKUlT_T0_E_clISt17integral_constantIbLb1EESY_EEDaST_SU_EUlST_E_NS1_11comp_targetILNS1_3genE2ELNS1_11target_archE906ELNS1_3gpuE6ELNS1_3repE0EEENS1_30default_config_static_selectorELNS0_4arch9wavefront6targetE1EEEvT1_ ; -- Begin function _ZN7rocprim17ROCPRIM_400000_NS6detail17trampoline_kernelINS0_14default_configENS1_20scan_config_selectorIN3c108BFloat16EEEZZNS1_9scan_implILNS1_25lookback_scan_determinismE0ELb0ELb0ES3_PKS6_PS6_S6_ZZZN2at6native31launch_logcumsumexp_cuda_kernelERKNSD_10TensorBaseESH_lENKUlvE_clEvENKUlvE4_clEvEUlS6_S6_E_S6_EEDaPvRmT3_T4_T5_mT6_P12ihipStream_tbENKUlT_T0_E_clISt17integral_constantIbLb1EESY_EEDaST_SU_EUlST_E_NS1_11comp_targetILNS1_3genE2ELNS1_11target_archE906ELNS1_3gpuE6ELNS1_3repE0EEENS1_30default_config_static_selectorELNS0_4arch9wavefront6targetE1EEEvT1_
	.p2align	8
	.type	_ZN7rocprim17ROCPRIM_400000_NS6detail17trampoline_kernelINS0_14default_configENS1_20scan_config_selectorIN3c108BFloat16EEEZZNS1_9scan_implILNS1_25lookback_scan_determinismE0ELb0ELb0ES3_PKS6_PS6_S6_ZZZN2at6native31launch_logcumsumexp_cuda_kernelERKNSD_10TensorBaseESH_lENKUlvE_clEvENKUlvE4_clEvEUlS6_S6_E_S6_EEDaPvRmT3_T4_T5_mT6_P12ihipStream_tbENKUlT_T0_E_clISt17integral_constantIbLb1EESY_EEDaST_SU_EUlST_E_NS1_11comp_targetILNS1_3genE2ELNS1_11target_archE906ELNS1_3gpuE6ELNS1_3repE0EEENS1_30default_config_static_selectorELNS0_4arch9wavefront6targetE1EEEvT1_,@function
_ZN7rocprim17ROCPRIM_400000_NS6detail17trampoline_kernelINS0_14default_configENS1_20scan_config_selectorIN3c108BFloat16EEEZZNS1_9scan_implILNS1_25lookback_scan_determinismE0ELb0ELb0ES3_PKS6_PS6_S6_ZZZN2at6native31launch_logcumsumexp_cuda_kernelERKNSD_10TensorBaseESH_lENKUlvE_clEvENKUlvE4_clEvEUlS6_S6_E_S6_EEDaPvRmT3_T4_T5_mT6_P12ihipStream_tbENKUlT_T0_E_clISt17integral_constantIbLb1EESY_EEDaST_SU_EUlST_E_NS1_11comp_targetILNS1_3genE2ELNS1_11target_archE906ELNS1_3gpuE6ELNS1_3repE0EEENS1_30default_config_static_selectorELNS0_4arch9wavefront6targetE1EEEvT1_: ; @_ZN7rocprim17ROCPRIM_400000_NS6detail17trampoline_kernelINS0_14default_configENS1_20scan_config_selectorIN3c108BFloat16EEEZZNS1_9scan_implILNS1_25lookback_scan_determinismE0ELb0ELb0ES3_PKS6_PS6_S6_ZZZN2at6native31launch_logcumsumexp_cuda_kernelERKNSD_10TensorBaseESH_lENKUlvE_clEvENKUlvE4_clEvEUlS6_S6_E_S6_EEDaPvRmT3_T4_T5_mT6_P12ihipStream_tbENKUlT_T0_E_clISt17integral_constantIbLb1EESY_EEDaST_SU_EUlST_E_NS1_11comp_targetILNS1_3genE2ELNS1_11target_archE906ELNS1_3gpuE6ELNS1_3repE0EEENS1_30default_config_static_selectorELNS0_4arch9wavefront6targetE1EEEvT1_
; %bb.0:
	s_endpgm
	.section	.rodata,"a",@progbits
	.p2align	6, 0x0
	.amdhsa_kernel _ZN7rocprim17ROCPRIM_400000_NS6detail17trampoline_kernelINS0_14default_configENS1_20scan_config_selectorIN3c108BFloat16EEEZZNS1_9scan_implILNS1_25lookback_scan_determinismE0ELb0ELb0ES3_PKS6_PS6_S6_ZZZN2at6native31launch_logcumsumexp_cuda_kernelERKNSD_10TensorBaseESH_lENKUlvE_clEvENKUlvE4_clEvEUlS6_S6_E_S6_EEDaPvRmT3_T4_T5_mT6_P12ihipStream_tbENKUlT_T0_E_clISt17integral_constantIbLb1EESY_EEDaST_SU_EUlST_E_NS1_11comp_targetILNS1_3genE2ELNS1_11target_archE906ELNS1_3gpuE6ELNS1_3repE0EEENS1_30default_config_static_selectorELNS0_4arch9wavefront6targetE1EEEvT1_
		.amdhsa_group_segment_fixed_size 0
		.amdhsa_private_segment_fixed_size 0
		.amdhsa_kernarg_size 96
		.amdhsa_user_sgpr_count 6
		.amdhsa_user_sgpr_private_segment_buffer 1
		.amdhsa_user_sgpr_dispatch_ptr 0
		.amdhsa_user_sgpr_queue_ptr 0
		.amdhsa_user_sgpr_kernarg_segment_ptr 1
		.amdhsa_user_sgpr_dispatch_id 0
		.amdhsa_user_sgpr_flat_scratch_init 0
		.amdhsa_user_sgpr_private_segment_size 0
		.amdhsa_uses_dynamic_stack 0
		.amdhsa_system_sgpr_private_segment_wavefront_offset 0
		.amdhsa_system_sgpr_workgroup_id_x 1
		.amdhsa_system_sgpr_workgroup_id_y 0
		.amdhsa_system_sgpr_workgroup_id_z 0
		.amdhsa_system_sgpr_workgroup_info 0
		.amdhsa_system_vgpr_workitem_id 0
		.amdhsa_next_free_vgpr 1
		.amdhsa_next_free_sgpr 0
		.amdhsa_reserve_vcc 0
		.amdhsa_reserve_flat_scratch 0
		.amdhsa_float_round_mode_32 0
		.amdhsa_float_round_mode_16_64 0
		.amdhsa_float_denorm_mode_32 3
		.amdhsa_float_denorm_mode_16_64 3
		.amdhsa_dx10_clamp 1
		.amdhsa_ieee_mode 1
		.amdhsa_fp16_overflow 0
		.amdhsa_exception_fp_ieee_invalid_op 0
		.amdhsa_exception_fp_denorm_src 0
		.amdhsa_exception_fp_ieee_div_zero 0
		.amdhsa_exception_fp_ieee_overflow 0
		.amdhsa_exception_fp_ieee_underflow 0
		.amdhsa_exception_fp_ieee_inexact 0
		.amdhsa_exception_int_div_zero 0
	.end_amdhsa_kernel
	.section	.text._ZN7rocprim17ROCPRIM_400000_NS6detail17trampoline_kernelINS0_14default_configENS1_20scan_config_selectorIN3c108BFloat16EEEZZNS1_9scan_implILNS1_25lookback_scan_determinismE0ELb0ELb0ES3_PKS6_PS6_S6_ZZZN2at6native31launch_logcumsumexp_cuda_kernelERKNSD_10TensorBaseESH_lENKUlvE_clEvENKUlvE4_clEvEUlS6_S6_E_S6_EEDaPvRmT3_T4_T5_mT6_P12ihipStream_tbENKUlT_T0_E_clISt17integral_constantIbLb1EESY_EEDaST_SU_EUlST_E_NS1_11comp_targetILNS1_3genE2ELNS1_11target_archE906ELNS1_3gpuE6ELNS1_3repE0EEENS1_30default_config_static_selectorELNS0_4arch9wavefront6targetE1EEEvT1_,"axG",@progbits,_ZN7rocprim17ROCPRIM_400000_NS6detail17trampoline_kernelINS0_14default_configENS1_20scan_config_selectorIN3c108BFloat16EEEZZNS1_9scan_implILNS1_25lookback_scan_determinismE0ELb0ELb0ES3_PKS6_PS6_S6_ZZZN2at6native31launch_logcumsumexp_cuda_kernelERKNSD_10TensorBaseESH_lENKUlvE_clEvENKUlvE4_clEvEUlS6_S6_E_S6_EEDaPvRmT3_T4_T5_mT6_P12ihipStream_tbENKUlT_T0_E_clISt17integral_constantIbLb1EESY_EEDaST_SU_EUlST_E_NS1_11comp_targetILNS1_3genE2ELNS1_11target_archE906ELNS1_3gpuE6ELNS1_3repE0EEENS1_30default_config_static_selectorELNS0_4arch9wavefront6targetE1EEEvT1_,comdat
.Lfunc_end469:
	.size	_ZN7rocprim17ROCPRIM_400000_NS6detail17trampoline_kernelINS0_14default_configENS1_20scan_config_selectorIN3c108BFloat16EEEZZNS1_9scan_implILNS1_25lookback_scan_determinismE0ELb0ELb0ES3_PKS6_PS6_S6_ZZZN2at6native31launch_logcumsumexp_cuda_kernelERKNSD_10TensorBaseESH_lENKUlvE_clEvENKUlvE4_clEvEUlS6_S6_E_S6_EEDaPvRmT3_T4_T5_mT6_P12ihipStream_tbENKUlT_T0_E_clISt17integral_constantIbLb1EESY_EEDaST_SU_EUlST_E_NS1_11comp_targetILNS1_3genE2ELNS1_11target_archE906ELNS1_3gpuE6ELNS1_3repE0EEENS1_30default_config_static_selectorELNS0_4arch9wavefront6targetE1EEEvT1_, .Lfunc_end469-_ZN7rocprim17ROCPRIM_400000_NS6detail17trampoline_kernelINS0_14default_configENS1_20scan_config_selectorIN3c108BFloat16EEEZZNS1_9scan_implILNS1_25lookback_scan_determinismE0ELb0ELb0ES3_PKS6_PS6_S6_ZZZN2at6native31launch_logcumsumexp_cuda_kernelERKNSD_10TensorBaseESH_lENKUlvE_clEvENKUlvE4_clEvEUlS6_S6_E_S6_EEDaPvRmT3_T4_T5_mT6_P12ihipStream_tbENKUlT_T0_E_clISt17integral_constantIbLb1EESY_EEDaST_SU_EUlST_E_NS1_11comp_targetILNS1_3genE2ELNS1_11target_archE906ELNS1_3gpuE6ELNS1_3repE0EEENS1_30default_config_static_selectorELNS0_4arch9wavefront6targetE1EEEvT1_
                                        ; -- End function
	.set _ZN7rocprim17ROCPRIM_400000_NS6detail17trampoline_kernelINS0_14default_configENS1_20scan_config_selectorIN3c108BFloat16EEEZZNS1_9scan_implILNS1_25lookback_scan_determinismE0ELb0ELb0ES3_PKS6_PS6_S6_ZZZN2at6native31launch_logcumsumexp_cuda_kernelERKNSD_10TensorBaseESH_lENKUlvE_clEvENKUlvE4_clEvEUlS6_S6_E_S6_EEDaPvRmT3_T4_T5_mT6_P12ihipStream_tbENKUlT_T0_E_clISt17integral_constantIbLb1EESY_EEDaST_SU_EUlST_E_NS1_11comp_targetILNS1_3genE2ELNS1_11target_archE906ELNS1_3gpuE6ELNS1_3repE0EEENS1_30default_config_static_selectorELNS0_4arch9wavefront6targetE1EEEvT1_.num_vgpr, 0
	.set _ZN7rocprim17ROCPRIM_400000_NS6detail17trampoline_kernelINS0_14default_configENS1_20scan_config_selectorIN3c108BFloat16EEEZZNS1_9scan_implILNS1_25lookback_scan_determinismE0ELb0ELb0ES3_PKS6_PS6_S6_ZZZN2at6native31launch_logcumsumexp_cuda_kernelERKNSD_10TensorBaseESH_lENKUlvE_clEvENKUlvE4_clEvEUlS6_S6_E_S6_EEDaPvRmT3_T4_T5_mT6_P12ihipStream_tbENKUlT_T0_E_clISt17integral_constantIbLb1EESY_EEDaST_SU_EUlST_E_NS1_11comp_targetILNS1_3genE2ELNS1_11target_archE906ELNS1_3gpuE6ELNS1_3repE0EEENS1_30default_config_static_selectorELNS0_4arch9wavefront6targetE1EEEvT1_.num_agpr, 0
	.set _ZN7rocprim17ROCPRIM_400000_NS6detail17trampoline_kernelINS0_14default_configENS1_20scan_config_selectorIN3c108BFloat16EEEZZNS1_9scan_implILNS1_25lookback_scan_determinismE0ELb0ELb0ES3_PKS6_PS6_S6_ZZZN2at6native31launch_logcumsumexp_cuda_kernelERKNSD_10TensorBaseESH_lENKUlvE_clEvENKUlvE4_clEvEUlS6_S6_E_S6_EEDaPvRmT3_T4_T5_mT6_P12ihipStream_tbENKUlT_T0_E_clISt17integral_constantIbLb1EESY_EEDaST_SU_EUlST_E_NS1_11comp_targetILNS1_3genE2ELNS1_11target_archE906ELNS1_3gpuE6ELNS1_3repE0EEENS1_30default_config_static_selectorELNS0_4arch9wavefront6targetE1EEEvT1_.numbered_sgpr, 0
	.set _ZN7rocprim17ROCPRIM_400000_NS6detail17trampoline_kernelINS0_14default_configENS1_20scan_config_selectorIN3c108BFloat16EEEZZNS1_9scan_implILNS1_25lookback_scan_determinismE0ELb0ELb0ES3_PKS6_PS6_S6_ZZZN2at6native31launch_logcumsumexp_cuda_kernelERKNSD_10TensorBaseESH_lENKUlvE_clEvENKUlvE4_clEvEUlS6_S6_E_S6_EEDaPvRmT3_T4_T5_mT6_P12ihipStream_tbENKUlT_T0_E_clISt17integral_constantIbLb1EESY_EEDaST_SU_EUlST_E_NS1_11comp_targetILNS1_3genE2ELNS1_11target_archE906ELNS1_3gpuE6ELNS1_3repE0EEENS1_30default_config_static_selectorELNS0_4arch9wavefront6targetE1EEEvT1_.num_named_barrier, 0
	.set _ZN7rocprim17ROCPRIM_400000_NS6detail17trampoline_kernelINS0_14default_configENS1_20scan_config_selectorIN3c108BFloat16EEEZZNS1_9scan_implILNS1_25lookback_scan_determinismE0ELb0ELb0ES3_PKS6_PS6_S6_ZZZN2at6native31launch_logcumsumexp_cuda_kernelERKNSD_10TensorBaseESH_lENKUlvE_clEvENKUlvE4_clEvEUlS6_S6_E_S6_EEDaPvRmT3_T4_T5_mT6_P12ihipStream_tbENKUlT_T0_E_clISt17integral_constantIbLb1EESY_EEDaST_SU_EUlST_E_NS1_11comp_targetILNS1_3genE2ELNS1_11target_archE906ELNS1_3gpuE6ELNS1_3repE0EEENS1_30default_config_static_selectorELNS0_4arch9wavefront6targetE1EEEvT1_.private_seg_size, 0
	.set _ZN7rocprim17ROCPRIM_400000_NS6detail17trampoline_kernelINS0_14default_configENS1_20scan_config_selectorIN3c108BFloat16EEEZZNS1_9scan_implILNS1_25lookback_scan_determinismE0ELb0ELb0ES3_PKS6_PS6_S6_ZZZN2at6native31launch_logcumsumexp_cuda_kernelERKNSD_10TensorBaseESH_lENKUlvE_clEvENKUlvE4_clEvEUlS6_S6_E_S6_EEDaPvRmT3_T4_T5_mT6_P12ihipStream_tbENKUlT_T0_E_clISt17integral_constantIbLb1EESY_EEDaST_SU_EUlST_E_NS1_11comp_targetILNS1_3genE2ELNS1_11target_archE906ELNS1_3gpuE6ELNS1_3repE0EEENS1_30default_config_static_selectorELNS0_4arch9wavefront6targetE1EEEvT1_.uses_vcc, 0
	.set _ZN7rocprim17ROCPRIM_400000_NS6detail17trampoline_kernelINS0_14default_configENS1_20scan_config_selectorIN3c108BFloat16EEEZZNS1_9scan_implILNS1_25lookback_scan_determinismE0ELb0ELb0ES3_PKS6_PS6_S6_ZZZN2at6native31launch_logcumsumexp_cuda_kernelERKNSD_10TensorBaseESH_lENKUlvE_clEvENKUlvE4_clEvEUlS6_S6_E_S6_EEDaPvRmT3_T4_T5_mT6_P12ihipStream_tbENKUlT_T0_E_clISt17integral_constantIbLb1EESY_EEDaST_SU_EUlST_E_NS1_11comp_targetILNS1_3genE2ELNS1_11target_archE906ELNS1_3gpuE6ELNS1_3repE0EEENS1_30default_config_static_selectorELNS0_4arch9wavefront6targetE1EEEvT1_.uses_flat_scratch, 0
	.set _ZN7rocprim17ROCPRIM_400000_NS6detail17trampoline_kernelINS0_14default_configENS1_20scan_config_selectorIN3c108BFloat16EEEZZNS1_9scan_implILNS1_25lookback_scan_determinismE0ELb0ELb0ES3_PKS6_PS6_S6_ZZZN2at6native31launch_logcumsumexp_cuda_kernelERKNSD_10TensorBaseESH_lENKUlvE_clEvENKUlvE4_clEvEUlS6_S6_E_S6_EEDaPvRmT3_T4_T5_mT6_P12ihipStream_tbENKUlT_T0_E_clISt17integral_constantIbLb1EESY_EEDaST_SU_EUlST_E_NS1_11comp_targetILNS1_3genE2ELNS1_11target_archE906ELNS1_3gpuE6ELNS1_3repE0EEENS1_30default_config_static_selectorELNS0_4arch9wavefront6targetE1EEEvT1_.has_dyn_sized_stack, 0
	.set _ZN7rocprim17ROCPRIM_400000_NS6detail17trampoline_kernelINS0_14default_configENS1_20scan_config_selectorIN3c108BFloat16EEEZZNS1_9scan_implILNS1_25lookback_scan_determinismE0ELb0ELb0ES3_PKS6_PS6_S6_ZZZN2at6native31launch_logcumsumexp_cuda_kernelERKNSD_10TensorBaseESH_lENKUlvE_clEvENKUlvE4_clEvEUlS6_S6_E_S6_EEDaPvRmT3_T4_T5_mT6_P12ihipStream_tbENKUlT_T0_E_clISt17integral_constantIbLb1EESY_EEDaST_SU_EUlST_E_NS1_11comp_targetILNS1_3genE2ELNS1_11target_archE906ELNS1_3gpuE6ELNS1_3repE0EEENS1_30default_config_static_selectorELNS0_4arch9wavefront6targetE1EEEvT1_.has_recursion, 0
	.set _ZN7rocprim17ROCPRIM_400000_NS6detail17trampoline_kernelINS0_14default_configENS1_20scan_config_selectorIN3c108BFloat16EEEZZNS1_9scan_implILNS1_25lookback_scan_determinismE0ELb0ELb0ES3_PKS6_PS6_S6_ZZZN2at6native31launch_logcumsumexp_cuda_kernelERKNSD_10TensorBaseESH_lENKUlvE_clEvENKUlvE4_clEvEUlS6_S6_E_S6_EEDaPvRmT3_T4_T5_mT6_P12ihipStream_tbENKUlT_T0_E_clISt17integral_constantIbLb1EESY_EEDaST_SU_EUlST_E_NS1_11comp_targetILNS1_3genE2ELNS1_11target_archE906ELNS1_3gpuE6ELNS1_3repE0EEENS1_30default_config_static_selectorELNS0_4arch9wavefront6targetE1EEEvT1_.has_indirect_call, 0
	.section	.AMDGPU.csdata,"",@progbits
; Kernel info:
; codeLenInByte = 4
; TotalNumSgprs: 4
; NumVgprs: 0
; ScratchSize: 0
; MemoryBound: 0
; FloatMode: 240
; IeeeMode: 1
; LDSByteSize: 0 bytes/workgroup (compile time only)
; SGPRBlocks: 0
; VGPRBlocks: 0
; NumSGPRsForWavesPerEU: 4
; NumVGPRsForWavesPerEU: 1
; Occupancy: 10
; WaveLimiterHint : 0
; COMPUTE_PGM_RSRC2:SCRATCH_EN: 0
; COMPUTE_PGM_RSRC2:USER_SGPR: 6
; COMPUTE_PGM_RSRC2:TRAP_HANDLER: 0
; COMPUTE_PGM_RSRC2:TGID_X_EN: 1
; COMPUTE_PGM_RSRC2:TGID_Y_EN: 0
; COMPUTE_PGM_RSRC2:TGID_Z_EN: 0
; COMPUTE_PGM_RSRC2:TIDIG_COMP_CNT: 0
	.section	.text._ZN7rocprim17ROCPRIM_400000_NS6detail17trampoline_kernelINS0_14default_configENS1_20scan_config_selectorIN3c108BFloat16EEEZZNS1_9scan_implILNS1_25lookback_scan_determinismE0ELb0ELb0ES3_PKS6_PS6_S6_ZZZN2at6native31launch_logcumsumexp_cuda_kernelERKNSD_10TensorBaseESH_lENKUlvE_clEvENKUlvE4_clEvEUlS6_S6_E_S6_EEDaPvRmT3_T4_T5_mT6_P12ihipStream_tbENKUlT_T0_E_clISt17integral_constantIbLb1EESY_EEDaST_SU_EUlST_E_NS1_11comp_targetILNS1_3genE10ELNS1_11target_archE1201ELNS1_3gpuE5ELNS1_3repE0EEENS1_30default_config_static_selectorELNS0_4arch9wavefront6targetE1EEEvT1_,"axG",@progbits,_ZN7rocprim17ROCPRIM_400000_NS6detail17trampoline_kernelINS0_14default_configENS1_20scan_config_selectorIN3c108BFloat16EEEZZNS1_9scan_implILNS1_25lookback_scan_determinismE0ELb0ELb0ES3_PKS6_PS6_S6_ZZZN2at6native31launch_logcumsumexp_cuda_kernelERKNSD_10TensorBaseESH_lENKUlvE_clEvENKUlvE4_clEvEUlS6_S6_E_S6_EEDaPvRmT3_T4_T5_mT6_P12ihipStream_tbENKUlT_T0_E_clISt17integral_constantIbLb1EESY_EEDaST_SU_EUlST_E_NS1_11comp_targetILNS1_3genE10ELNS1_11target_archE1201ELNS1_3gpuE5ELNS1_3repE0EEENS1_30default_config_static_selectorELNS0_4arch9wavefront6targetE1EEEvT1_,comdat
	.globl	_ZN7rocprim17ROCPRIM_400000_NS6detail17trampoline_kernelINS0_14default_configENS1_20scan_config_selectorIN3c108BFloat16EEEZZNS1_9scan_implILNS1_25lookback_scan_determinismE0ELb0ELb0ES3_PKS6_PS6_S6_ZZZN2at6native31launch_logcumsumexp_cuda_kernelERKNSD_10TensorBaseESH_lENKUlvE_clEvENKUlvE4_clEvEUlS6_S6_E_S6_EEDaPvRmT3_T4_T5_mT6_P12ihipStream_tbENKUlT_T0_E_clISt17integral_constantIbLb1EESY_EEDaST_SU_EUlST_E_NS1_11comp_targetILNS1_3genE10ELNS1_11target_archE1201ELNS1_3gpuE5ELNS1_3repE0EEENS1_30default_config_static_selectorELNS0_4arch9wavefront6targetE1EEEvT1_ ; -- Begin function _ZN7rocprim17ROCPRIM_400000_NS6detail17trampoline_kernelINS0_14default_configENS1_20scan_config_selectorIN3c108BFloat16EEEZZNS1_9scan_implILNS1_25lookback_scan_determinismE0ELb0ELb0ES3_PKS6_PS6_S6_ZZZN2at6native31launch_logcumsumexp_cuda_kernelERKNSD_10TensorBaseESH_lENKUlvE_clEvENKUlvE4_clEvEUlS6_S6_E_S6_EEDaPvRmT3_T4_T5_mT6_P12ihipStream_tbENKUlT_T0_E_clISt17integral_constantIbLb1EESY_EEDaST_SU_EUlST_E_NS1_11comp_targetILNS1_3genE10ELNS1_11target_archE1201ELNS1_3gpuE5ELNS1_3repE0EEENS1_30default_config_static_selectorELNS0_4arch9wavefront6targetE1EEEvT1_
	.p2align	8
	.type	_ZN7rocprim17ROCPRIM_400000_NS6detail17trampoline_kernelINS0_14default_configENS1_20scan_config_selectorIN3c108BFloat16EEEZZNS1_9scan_implILNS1_25lookback_scan_determinismE0ELb0ELb0ES3_PKS6_PS6_S6_ZZZN2at6native31launch_logcumsumexp_cuda_kernelERKNSD_10TensorBaseESH_lENKUlvE_clEvENKUlvE4_clEvEUlS6_S6_E_S6_EEDaPvRmT3_T4_T5_mT6_P12ihipStream_tbENKUlT_T0_E_clISt17integral_constantIbLb1EESY_EEDaST_SU_EUlST_E_NS1_11comp_targetILNS1_3genE10ELNS1_11target_archE1201ELNS1_3gpuE5ELNS1_3repE0EEENS1_30default_config_static_selectorELNS0_4arch9wavefront6targetE1EEEvT1_,@function
_ZN7rocprim17ROCPRIM_400000_NS6detail17trampoline_kernelINS0_14default_configENS1_20scan_config_selectorIN3c108BFloat16EEEZZNS1_9scan_implILNS1_25lookback_scan_determinismE0ELb0ELb0ES3_PKS6_PS6_S6_ZZZN2at6native31launch_logcumsumexp_cuda_kernelERKNSD_10TensorBaseESH_lENKUlvE_clEvENKUlvE4_clEvEUlS6_S6_E_S6_EEDaPvRmT3_T4_T5_mT6_P12ihipStream_tbENKUlT_T0_E_clISt17integral_constantIbLb1EESY_EEDaST_SU_EUlST_E_NS1_11comp_targetILNS1_3genE10ELNS1_11target_archE1201ELNS1_3gpuE5ELNS1_3repE0EEENS1_30default_config_static_selectorELNS0_4arch9wavefront6targetE1EEEvT1_: ; @_ZN7rocprim17ROCPRIM_400000_NS6detail17trampoline_kernelINS0_14default_configENS1_20scan_config_selectorIN3c108BFloat16EEEZZNS1_9scan_implILNS1_25lookback_scan_determinismE0ELb0ELb0ES3_PKS6_PS6_S6_ZZZN2at6native31launch_logcumsumexp_cuda_kernelERKNSD_10TensorBaseESH_lENKUlvE_clEvENKUlvE4_clEvEUlS6_S6_E_S6_EEDaPvRmT3_T4_T5_mT6_P12ihipStream_tbENKUlT_T0_E_clISt17integral_constantIbLb1EESY_EEDaST_SU_EUlST_E_NS1_11comp_targetILNS1_3genE10ELNS1_11target_archE1201ELNS1_3gpuE5ELNS1_3repE0EEENS1_30default_config_static_selectorELNS0_4arch9wavefront6targetE1EEEvT1_
; %bb.0:
	.section	.rodata,"a",@progbits
	.p2align	6, 0x0
	.amdhsa_kernel _ZN7rocprim17ROCPRIM_400000_NS6detail17trampoline_kernelINS0_14default_configENS1_20scan_config_selectorIN3c108BFloat16EEEZZNS1_9scan_implILNS1_25lookback_scan_determinismE0ELb0ELb0ES3_PKS6_PS6_S6_ZZZN2at6native31launch_logcumsumexp_cuda_kernelERKNSD_10TensorBaseESH_lENKUlvE_clEvENKUlvE4_clEvEUlS6_S6_E_S6_EEDaPvRmT3_T4_T5_mT6_P12ihipStream_tbENKUlT_T0_E_clISt17integral_constantIbLb1EESY_EEDaST_SU_EUlST_E_NS1_11comp_targetILNS1_3genE10ELNS1_11target_archE1201ELNS1_3gpuE5ELNS1_3repE0EEENS1_30default_config_static_selectorELNS0_4arch9wavefront6targetE1EEEvT1_
		.amdhsa_group_segment_fixed_size 0
		.amdhsa_private_segment_fixed_size 0
		.amdhsa_kernarg_size 96
		.amdhsa_user_sgpr_count 6
		.amdhsa_user_sgpr_private_segment_buffer 1
		.amdhsa_user_sgpr_dispatch_ptr 0
		.amdhsa_user_sgpr_queue_ptr 0
		.amdhsa_user_sgpr_kernarg_segment_ptr 1
		.amdhsa_user_sgpr_dispatch_id 0
		.amdhsa_user_sgpr_flat_scratch_init 0
		.amdhsa_user_sgpr_private_segment_size 0
		.amdhsa_uses_dynamic_stack 0
		.amdhsa_system_sgpr_private_segment_wavefront_offset 0
		.amdhsa_system_sgpr_workgroup_id_x 1
		.amdhsa_system_sgpr_workgroup_id_y 0
		.amdhsa_system_sgpr_workgroup_id_z 0
		.amdhsa_system_sgpr_workgroup_info 0
		.amdhsa_system_vgpr_workitem_id 0
		.amdhsa_next_free_vgpr 1
		.amdhsa_next_free_sgpr 0
		.amdhsa_reserve_vcc 0
		.amdhsa_reserve_flat_scratch 0
		.amdhsa_float_round_mode_32 0
		.amdhsa_float_round_mode_16_64 0
		.amdhsa_float_denorm_mode_32 3
		.amdhsa_float_denorm_mode_16_64 3
		.amdhsa_dx10_clamp 1
		.amdhsa_ieee_mode 1
		.amdhsa_fp16_overflow 0
		.amdhsa_exception_fp_ieee_invalid_op 0
		.amdhsa_exception_fp_denorm_src 0
		.amdhsa_exception_fp_ieee_div_zero 0
		.amdhsa_exception_fp_ieee_overflow 0
		.amdhsa_exception_fp_ieee_underflow 0
		.amdhsa_exception_fp_ieee_inexact 0
		.amdhsa_exception_int_div_zero 0
	.end_amdhsa_kernel
	.section	.text._ZN7rocprim17ROCPRIM_400000_NS6detail17trampoline_kernelINS0_14default_configENS1_20scan_config_selectorIN3c108BFloat16EEEZZNS1_9scan_implILNS1_25lookback_scan_determinismE0ELb0ELb0ES3_PKS6_PS6_S6_ZZZN2at6native31launch_logcumsumexp_cuda_kernelERKNSD_10TensorBaseESH_lENKUlvE_clEvENKUlvE4_clEvEUlS6_S6_E_S6_EEDaPvRmT3_T4_T5_mT6_P12ihipStream_tbENKUlT_T0_E_clISt17integral_constantIbLb1EESY_EEDaST_SU_EUlST_E_NS1_11comp_targetILNS1_3genE10ELNS1_11target_archE1201ELNS1_3gpuE5ELNS1_3repE0EEENS1_30default_config_static_selectorELNS0_4arch9wavefront6targetE1EEEvT1_,"axG",@progbits,_ZN7rocprim17ROCPRIM_400000_NS6detail17trampoline_kernelINS0_14default_configENS1_20scan_config_selectorIN3c108BFloat16EEEZZNS1_9scan_implILNS1_25lookback_scan_determinismE0ELb0ELb0ES3_PKS6_PS6_S6_ZZZN2at6native31launch_logcumsumexp_cuda_kernelERKNSD_10TensorBaseESH_lENKUlvE_clEvENKUlvE4_clEvEUlS6_S6_E_S6_EEDaPvRmT3_T4_T5_mT6_P12ihipStream_tbENKUlT_T0_E_clISt17integral_constantIbLb1EESY_EEDaST_SU_EUlST_E_NS1_11comp_targetILNS1_3genE10ELNS1_11target_archE1201ELNS1_3gpuE5ELNS1_3repE0EEENS1_30default_config_static_selectorELNS0_4arch9wavefront6targetE1EEEvT1_,comdat
.Lfunc_end470:
	.size	_ZN7rocprim17ROCPRIM_400000_NS6detail17trampoline_kernelINS0_14default_configENS1_20scan_config_selectorIN3c108BFloat16EEEZZNS1_9scan_implILNS1_25lookback_scan_determinismE0ELb0ELb0ES3_PKS6_PS6_S6_ZZZN2at6native31launch_logcumsumexp_cuda_kernelERKNSD_10TensorBaseESH_lENKUlvE_clEvENKUlvE4_clEvEUlS6_S6_E_S6_EEDaPvRmT3_T4_T5_mT6_P12ihipStream_tbENKUlT_T0_E_clISt17integral_constantIbLb1EESY_EEDaST_SU_EUlST_E_NS1_11comp_targetILNS1_3genE10ELNS1_11target_archE1201ELNS1_3gpuE5ELNS1_3repE0EEENS1_30default_config_static_selectorELNS0_4arch9wavefront6targetE1EEEvT1_, .Lfunc_end470-_ZN7rocprim17ROCPRIM_400000_NS6detail17trampoline_kernelINS0_14default_configENS1_20scan_config_selectorIN3c108BFloat16EEEZZNS1_9scan_implILNS1_25lookback_scan_determinismE0ELb0ELb0ES3_PKS6_PS6_S6_ZZZN2at6native31launch_logcumsumexp_cuda_kernelERKNSD_10TensorBaseESH_lENKUlvE_clEvENKUlvE4_clEvEUlS6_S6_E_S6_EEDaPvRmT3_T4_T5_mT6_P12ihipStream_tbENKUlT_T0_E_clISt17integral_constantIbLb1EESY_EEDaST_SU_EUlST_E_NS1_11comp_targetILNS1_3genE10ELNS1_11target_archE1201ELNS1_3gpuE5ELNS1_3repE0EEENS1_30default_config_static_selectorELNS0_4arch9wavefront6targetE1EEEvT1_
                                        ; -- End function
	.set _ZN7rocprim17ROCPRIM_400000_NS6detail17trampoline_kernelINS0_14default_configENS1_20scan_config_selectorIN3c108BFloat16EEEZZNS1_9scan_implILNS1_25lookback_scan_determinismE0ELb0ELb0ES3_PKS6_PS6_S6_ZZZN2at6native31launch_logcumsumexp_cuda_kernelERKNSD_10TensorBaseESH_lENKUlvE_clEvENKUlvE4_clEvEUlS6_S6_E_S6_EEDaPvRmT3_T4_T5_mT6_P12ihipStream_tbENKUlT_T0_E_clISt17integral_constantIbLb1EESY_EEDaST_SU_EUlST_E_NS1_11comp_targetILNS1_3genE10ELNS1_11target_archE1201ELNS1_3gpuE5ELNS1_3repE0EEENS1_30default_config_static_selectorELNS0_4arch9wavefront6targetE1EEEvT1_.num_vgpr, 0
	.set _ZN7rocprim17ROCPRIM_400000_NS6detail17trampoline_kernelINS0_14default_configENS1_20scan_config_selectorIN3c108BFloat16EEEZZNS1_9scan_implILNS1_25lookback_scan_determinismE0ELb0ELb0ES3_PKS6_PS6_S6_ZZZN2at6native31launch_logcumsumexp_cuda_kernelERKNSD_10TensorBaseESH_lENKUlvE_clEvENKUlvE4_clEvEUlS6_S6_E_S6_EEDaPvRmT3_T4_T5_mT6_P12ihipStream_tbENKUlT_T0_E_clISt17integral_constantIbLb1EESY_EEDaST_SU_EUlST_E_NS1_11comp_targetILNS1_3genE10ELNS1_11target_archE1201ELNS1_3gpuE5ELNS1_3repE0EEENS1_30default_config_static_selectorELNS0_4arch9wavefront6targetE1EEEvT1_.num_agpr, 0
	.set _ZN7rocprim17ROCPRIM_400000_NS6detail17trampoline_kernelINS0_14default_configENS1_20scan_config_selectorIN3c108BFloat16EEEZZNS1_9scan_implILNS1_25lookback_scan_determinismE0ELb0ELb0ES3_PKS6_PS6_S6_ZZZN2at6native31launch_logcumsumexp_cuda_kernelERKNSD_10TensorBaseESH_lENKUlvE_clEvENKUlvE4_clEvEUlS6_S6_E_S6_EEDaPvRmT3_T4_T5_mT6_P12ihipStream_tbENKUlT_T0_E_clISt17integral_constantIbLb1EESY_EEDaST_SU_EUlST_E_NS1_11comp_targetILNS1_3genE10ELNS1_11target_archE1201ELNS1_3gpuE5ELNS1_3repE0EEENS1_30default_config_static_selectorELNS0_4arch9wavefront6targetE1EEEvT1_.numbered_sgpr, 0
	.set _ZN7rocprim17ROCPRIM_400000_NS6detail17trampoline_kernelINS0_14default_configENS1_20scan_config_selectorIN3c108BFloat16EEEZZNS1_9scan_implILNS1_25lookback_scan_determinismE0ELb0ELb0ES3_PKS6_PS6_S6_ZZZN2at6native31launch_logcumsumexp_cuda_kernelERKNSD_10TensorBaseESH_lENKUlvE_clEvENKUlvE4_clEvEUlS6_S6_E_S6_EEDaPvRmT3_T4_T5_mT6_P12ihipStream_tbENKUlT_T0_E_clISt17integral_constantIbLb1EESY_EEDaST_SU_EUlST_E_NS1_11comp_targetILNS1_3genE10ELNS1_11target_archE1201ELNS1_3gpuE5ELNS1_3repE0EEENS1_30default_config_static_selectorELNS0_4arch9wavefront6targetE1EEEvT1_.num_named_barrier, 0
	.set _ZN7rocprim17ROCPRIM_400000_NS6detail17trampoline_kernelINS0_14default_configENS1_20scan_config_selectorIN3c108BFloat16EEEZZNS1_9scan_implILNS1_25lookback_scan_determinismE0ELb0ELb0ES3_PKS6_PS6_S6_ZZZN2at6native31launch_logcumsumexp_cuda_kernelERKNSD_10TensorBaseESH_lENKUlvE_clEvENKUlvE4_clEvEUlS6_S6_E_S6_EEDaPvRmT3_T4_T5_mT6_P12ihipStream_tbENKUlT_T0_E_clISt17integral_constantIbLb1EESY_EEDaST_SU_EUlST_E_NS1_11comp_targetILNS1_3genE10ELNS1_11target_archE1201ELNS1_3gpuE5ELNS1_3repE0EEENS1_30default_config_static_selectorELNS0_4arch9wavefront6targetE1EEEvT1_.private_seg_size, 0
	.set _ZN7rocprim17ROCPRIM_400000_NS6detail17trampoline_kernelINS0_14default_configENS1_20scan_config_selectorIN3c108BFloat16EEEZZNS1_9scan_implILNS1_25lookback_scan_determinismE0ELb0ELb0ES3_PKS6_PS6_S6_ZZZN2at6native31launch_logcumsumexp_cuda_kernelERKNSD_10TensorBaseESH_lENKUlvE_clEvENKUlvE4_clEvEUlS6_S6_E_S6_EEDaPvRmT3_T4_T5_mT6_P12ihipStream_tbENKUlT_T0_E_clISt17integral_constantIbLb1EESY_EEDaST_SU_EUlST_E_NS1_11comp_targetILNS1_3genE10ELNS1_11target_archE1201ELNS1_3gpuE5ELNS1_3repE0EEENS1_30default_config_static_selectorELNS0_4arch9wavefront6targetE1EEEvT1_.uses_vcc, 0
	.set _ZN7rocprim17ROCPRIM_400000_NS6detail17trampoline_kernelINS0_14default_configENS1_20scan_config_selectorIN3c108BFloat16EEEZZNS1_9scan_implILNS1_25lookback_scan_determinismE0ELb0ELb0ES3_PKS6_PS6_S6_ZZZN2at6native31launch_logcumsumexp_cuda_kernelERKNSD_10TensorBaseESH_lENKUlvE_clEvENKUlvE4_clEvEUlS6_S6_E_S6_EEDaPvRmT3_T4_T5_mT6_P12ihipStream_tbENKUlT_T0_E_clISt17integral_constantIbLb1EESY_EEDaST_SU_EUlST_E_NS1_11comp_targetILNS1_3genE10ELNS1_11target_archE1201ELNS1_3gpuE5ELNS1_3repE0EEENS1_30default_config_static_selectorELNS0_4arch9wavefront6targetE1EEEvT1_.uses_flat_scratch, 0
	.set _ZN7rocprim17ROCPRIM_400000_NS6detail17trampoline_kernelINS0_14default_configENS1_20scan_config_selectorIN3c108BFloat16EEEZZNS1_9scan_implILNS1_25lookback_scan_determinismE0ELb0ELb0ES3_PKS6_PS6_S6_ZZZN2at6native31launch_logcumsumexp_cuda_kernelERKNSD_10TensorBaseESH_lENKUlvE_clEvENKUlvE4_clEvEUlS6_S6_E_S6_EEDaPvRmT3_T4_T5_mT6_P12ihipStream_tbENKUlT_T0_E_clISt17integral_constantIbLb1EESY_EEDaST_SU_EUlST_E_NS1_11comp_targetILNS1_3genE10ELNS1_11target_archE1201ELNS1_3gpuE5ELNS1_3repE0EEENS1_30default_config_static_selectorELNS0_4arch9wavefront6targetE1EEEvT1_.has_dyn_sized_stack, 0
	.set _ZN7rocprim17ROCPRIM_400000_NS6detail17trampoline_kernelINS0_14default_configENS1_20scan_config_selectorIN3c108BFloat16EEEZZNS1_9scan_implILNS1_25lookback_scan_determinismE0ELb0ELb0ES3_PKS6_PS6_S6_ZZZN2at6native31launch_logcumsumexp_cuda_kernelERKNSD_10TensorBaseESH_lENKUlvE_clEvENKUlvE4_clEvEUlS6_S6_E_S6_EEDaPvRmT3_T4_T5_mT6_P12ihipStream_tbENKUlT_T0_E_clISt17integral_constantIbLb1EESY_EEDaST_SU_EUlST_E_NS1_11comp_targetILNS1_3genE10ELNS1_11target_archE1201ELNS1_3gpuE5ELNS1_3repE0EEENS1_30default_config_static_selectorELNS0_4arch9wavefront6targetE1EEEvT1_.has_recursion, 0
	.set _ZN7rocprim17ROCPRIM_400000_NS6detail17trampoline_kernelINS0_14default_configENS1_20scan_config_selectorIN3c108BFloat16EEEZZNS1_9scan_implILNS1_25lookback_scan_determinismE0ELb0ELb0ES3_PKS6_PS6_S6_ZZZN2at6native31launch_logcumsumexp_cuda_kernelERKNSD_10TensorBaseESH_lENKUlvE_clEvENKUlvE4_clEvEUlS6_S6_E_S6_EEDaPvRmT3_T4_T5_mT6_P12ihipStream_tbENKUlT_T0_E_clISt17integral_constantIbLb1EESY_EEDaST_SU_EUlST_E_NS1_11comp_targetILNS1_3genE10ELNS1_11target_archE1201ELNS1_3gpuE5ELNS1_3repE0EEENS1_30default_config_static_selectorELNS0_4arch9wavefront6targetE1EEEvT1_.has_indirect_call, 0
	.section	.AMDGPU.csdata,"",@progbits
; Kernel info:
; codeLenInByte = 0
; TotalNumSgprs: 4
; NumVgprs: 0
; ScratchSize: 0
; MemoryBound: 0
; FloatMode: 240
; IeeeMode: 1
; LDSByteSize: 0 bytes/workgroup (compile time only)
; SGPRBlocks: 0
; VGPRBlocks: 0
; NumSGPRsForWavesPerEU: 4
; NumVGPRsForWavesPerEU: 1
; Occupancy: 10
; WaveLimiterHint : 0
; COMPUTE_PGM_RSRC2:SCRATCH_EN: 0
; COMPUTE_PGM_RSRC2:USER_SGPR: 6
; COMPUTE_PGM_RSRC2:TRAP_HANDLER: 0
; COMPUTE_PGM_RSRC2:TGID_X_EN: 1
; COMPUTE_PGM_RSRC2:TGID_Y_EN: 0
; COMPUTE_PGM_RSRC2:TGID_Z_EN: 0
; COMPUTE_PGM_RSRC2:TIDIG_COMP_CNT: 0
	.section	.text._ZN7rocprim17ROCPRIM_400000_NS6detail17trampoline_kernelINS0_14default_configENS1_20scan_config_selectorIN3c108BFloat16EEEZZNS1_9scan_implILNS1_25lookback_scan_determinismE0ELb0ELb0ES3_PKS6_PS6_S6_ZZZN2at6native31launch_logcumsumexp_cuda_kernelERKNSD_10TensorBaseESH_lENKUlvE_clEvENKUlvE4_clEvEUlS6_S6_E_S6_EEDaPvRmT3_T4_T5_mT6_P12ihipStream_tbENKUlT_T0_E_clISt17integral_constantIbLb1EESY_EEDaST_SU_EUlST_E_NS1_11comp_targetILNS1_3genE10ELNS1_11target_archE1200ELNS1_3gpuE4ELNS1_3repE0EEENS1_30default_config_static_selectorELNS0_4arch9wavefront6targetE1EEEvT1_,"axG",@progbits,_ZN7rocprim17ROCPRIM_400000_NS6detail17trampoline_kernelINS0_14default_configENS1_20scan_config_selectorIN3c108BFloat16EEEZZNS1_9scan_implILNS1_25lookback_scan_determinismE0ELb0ELb0ES3_PKS6_PS6_S6_ZZZN2at6native31launch_logcumsumexp_cuda_kernelERKNSD_10TensorBaseESH_lENKUlvE_clEvENKUlvE4_clEvEUlS6_S6_E_S6_EEDaPvRmT3_T4_T5_mT6_P12ihipStream_tbENKUlT_T0_E_clISt17integral_constantIbLb1EESY_EEDaST_SU_EUlST_E_NS1_11comp_targetILNS1_3genE10ELNS1_11target_archE1200ELNS1_3gpuE4ELNS1_3repE0EEENS1_30default_config_static_selectorELNS0_4arch9wavefront6targetE1EEEvT1_,comdat
	.globl	_ZN7rocprim17ROCPRIM_400000_NS6detail17trampoline_kernelINS0_14default_configENS1_20scan_config_selectorIN3c108BFloat16EEEZZNS1_9scan_implILNS1_25lookback_scan_determinismE0ELb0ELb0ES3_PKS6_PS6_S6_ZZZN2at6native31launch_logcumsumexp_cuda_kernelERKNSD_10TensorBaseESH_lENKUlvE_clEvENKUlvE4_clEvEUlS6_S6_E_S6_EEDaPvRmT3_T4_T5_mT6_P12ihipStream_tbENKUlT_T0_E_clISt17integral_constantIbLb1EESY_EEDaST_SU_EUlST_E_NS1_11comp_targetILNS1_3genE10ELNS1_11target_archE1200ELNS1_3gpuE4ELNS1_3repE0EEENS1_30default_config_static_selectorELNS0_4arch9wavefront6targetE1EEEvT1_ ; -- Begin function _ZN7rocprim17ROCPRIM_400000_NS6detail17trampoline_kernelINS0_14default_configENS1_20scan_config_selectorIN3c108BFloat16EEEZZNS1_9scan_implILNS1_25lookback_scan_determinismE0ELb0ELb0ES3_PKS6_PS6_S6_ZZZN2at6native31launch_logcumsumexp_cuda_kernelERKNSD_10TensorBaseESH_lENKUlvE_clEvENKUlvE4_clEvEUlS6_S6_E_S6_EEDaPvRmT3_T4_T5_mT6_P12ihipStream_tbENKUlT_T0_E_clISt17integral_constantIbLb1EESY_EEDaST_SU_EUlST_E_NS1_11comp_targetILNS1_3genE10ELNS1_11target_archE1200ELNS1_3gpuE4ELNS1_3repE0EEENS1_30default_config_static_selectorELNS0_4arch9wavefront6targetE1EEEvT1_
	.p2align	8
	.type	_ZN7rocprim17ROCPRIM_400000_NS6detail17trampoline_kernelINS0_14default_configENS1_20scan_config_selectorIN3c108BFloat16EEEZZNS1_9scan_implILNS1_25lookback_scan_determinismE0ELb0ELb0ES3_PKS6_PS6_S6_ZZZN2at6native31launch_logcumsumexp_cuda_kernelERKNSD_10TensorBaseESH_lENKUlvE_clEvENKUlvE4_clEvEUlS6_S6_E_S6_EEDaPvRmT3_T4_T5_mT6_P12ihipStream_tbENKUlT_T0_E_clISt17integral_constantIbLb1EESY_EEDaST_SU_EUlST_E_NS1_11comp_targetILNS1_3genE10ELNS1_11target_archE1200ELNS1_3gpuE4ELNS1_3repE0EEENS1_30default_config_static_selectorELNS0_4arch9wavefront6targetE1EEEvT1_,@function
_ZN7rocprim17ROCPRIM_400000_NS6detail17trampoline_kernelINS0_14default_configENS1_20scan_config_selectorIN3c108BFloat16EEEZZNS1_9scan_implILNS1_25lookback_scan_determinismE0ELb0ELb0ES3_PKS6_PS6_S6_ZZZN2at6native31launch_logcumsumexp_cuda_kernelERKNSD_10TensorBaseESH_lENKUlvE_clEvENKUlvE4_clEvEUlS6_S6_E_S6_EEDaPvRmT3_T4_T5_mT6_P12ihipStream_tbENKUlT_T0_E_clISt17integral_constantIbLb1EESY_EEDaST_SU_EUlST_E_NS1_11comp_targetILNS1_3genE10ELNS1_11target_archE1200ELNS1_3gpuE4ELNS1_3repE0EEENS1_30default_config_static_selectorELNS0_4arch9wavefront6targetE1EEEvT1_: ; @_ZN7rocprim17ROCPRIM_400000_NS6detail17trampoline_kernelINS0_14default_configENS1_20scan_config_selectorIN3c108BFloat16EEEZZNS1_9scan_implILNS1_25lookback_scan_determinismE0ELb0ELb0ES3_PKS6_PS6_S6_ZZZN2at6native31launch_logcumsumexp_cuda_kernelERKNSD_10TensorBaseESH_lENKUlvE_clEvENKUlvE4_clEvEUlS6_S6_E_S6_EEDaPvRmT3_T4_T5_mT6_P12ihipStream_tbENKUlT_T0_E_clISt17integral_constantIbLb1EESY_EEDaST_SU_EUlST_E_NS1_11comp_targetILNS1_3genE10ELNS1_11target_archE1200ELNS1_3gpuE4ELNS1_3repE0EEENS1_30default_config_static_selectorELNS0_4arch9wavefront6targetE1EEEvT1_
; %bb.0:
	.section	.rodata,"a",@progbits
	.p2align	6, 0x0
	.amdhsa_kernel _ZN7rocprim17ROCPRIM_400000_NS6detail17trampoline_kernelINS0_14default_configENS1_20scan_config_selectorIN3c108BFloat16EEEZZNS1_9scan_implILNS1_25lookback_scan_determinismE0ELb0ELb0ES3_PKS6_PS6_S6_ZZZN2at6native31launch_logcumsumexp_cuda_kernelERKNSD_10TensorBaseESH_lENKUlvE_clEvENKUlvE4_clEvEUlS6_S6_E_S6_EEDaPvRmT3_T4_T5_mT6_P12ihipStream_tbENKUlT_T0_E_clISt17integral_constantIbLb1EESY_EEDaST_SU_EUlST_E_NS1_11comp_targetILNS1_3genE10ELNS1_11target_archE1200ELNS1_3gpuE4ELNS1_3repE0EEENS1_30default_config_static_selectorELNS0_4arch9wavefront6targetE1EEEvT1_
		.amdhsa_group_segment_fixed_size 0
		.amdhsa_private_segment_fixed_size 0
		.amdhsa_kernarg_size 96
		.amdhsa_user_sgpr_count 6
		.amdhsa_user_sgpr_private_segment_buffer 1
		.amdhsa_user_sgpr_dispatch_ptr 0
		.amdhsa_user_sgpr_queue_ptr 0
		.amdhsa_user_sgpr_kernarg_segment_ptr 1
		.amdhsa_user_sgpr_dispatch_id 0
		.amdhsa_user_sgpr_flat_scratch_init 0
		.amdhsa_user_sgpr_private_segment_size 0
		.amdhsa_uses_dynamic_stack 0
		.amdhsa_system_sgpr_private_segment_wavefront_offset 0
		.amdhsa_system_sgpr_workgroup_id_x 1
		.amdhsa_system_sgpr_workgroup_id_y 0
		.amdhsa_system_sgpr_workgroup_id_z 0
		.amdhsa_system_sgpr_workgroup_info 0
		.amdhsa_system_vgpr_workitem_id 0
		.amdhsa_next_free_vgpr 1
		.amdhsa_next_free_sgpr 0
		.amdhsa_reserve_vcc 0
		.amdhsa_reserve_flat_scratch 0
		.amdhsa_float_round_mode_32 0
		.amdhsa_float_round_mode_16_64 0
		.amdhsa_float_denorm_mode_32 3
		.amdhsa_float_denorm_mode_16_64 3
		.amdhsa_dx10_clamp 1
		.amdhsa_ieee_mode 1
		.amdhsa_fp16_overflow 0
		.amdhsa_exception_fp_ieee_invalid_op 0
		.amdhsa_exception_fp_denorm_src 0
		.amdhsa_exception_fp_ieee_div_zero 0
		.amdhsa_exception_fp_ieee_overflow 0
		.amdhsa_exception_fp_ieee_underflow 0
		.amdhsa_exception_fp_ieee_inexact 0
		.amdhsa_exception_int_div_zero 0
	.end_amdhsa_kernel
	.section	.text._ZN7rocprim17ROCPRIM_400000_NS6detail17trampoline_kernelINS0_14default_configENS1_20scan_config_selectorIN3c108BFloat16EEEZZNS1_9scan_implILNS1_25lookback_scan_determinismE0ELb0ELb0ES3_PKS6_PS6_S6_ZZZN2at6native31launch_logcumsumexp_cuda_kernelERKNSD_10TensorBaseESH_lENKUlvE_clEvENKUlvE4_clEvEUlS6_S6_E_S6_EEDaPvRmT3_T4_T5_mT6_P12ihipStream_tbENKUlT_T0_E_clISt17integral_constantIbLb1EESY_EEDaST_SU_EUlST_E_NS1_11comp_targetILNS1_3genE10ELNS1_11target_archE1200ELNS1_3gpuE4ELNS1_3repE0EEENS1_30default_config_static_selectorELNS0_4arch9wavefront6targetE1EEEvT1_,"axG",@progbits,_ZN7rocprim17ROCPRIM_400000_NS6detail17trampoline_kernelINS0_14default_configENS1_20scan_config_selectorIN3c108BFloat16EEEZZNS1_9scan_implILNS1_25lookback_scan_determinismE0ELb0ELb0ES3_PKS6_PS6_S6_ZZZN2at6native31launch_logcumsumexp_cuda_kernelERKNSD_10TensorBaseESH_lENKUlvE_clEvENKUlvE4_clEvEUlS6_S6_E_S6_EEDaPvRmT3_T4_T5_mT6_P12ihipStream_tbENKUlT_T0_E_clISt17integral_constantIbLb1EESY_EEDaST_SU_EUlST_E_NS1_11comp_targetILNS1_3genE10ELNS1_11target_archE1200ELNS1_3gpuE4ELNS1_3repE0EEENS1_30default_config_static_selectorELNS0_4arch9wavefront6targetE1EEEvT1_,comdat
.Lfunc_end471:
	.size	_ZN7rocprim17ROCPRIM_400000_NS6detail17trampoline_kernelINS0_14default_configENS1_20scan_config_selectorIN3c108BFloat16EEEZZNS1_9scan_implILNS1_25lookback_scan_determinismE0ELb0ELb0ES3_PKS6_PS6_S6_ZZZN2at6native31launch_logcumsumexp_cuda_kernelERKNSD_10TensorBaseESH_lENKUlvE_clEvENKUlvE4_clEvEUlS6_S6_E_S6_EEDaPvRmT3_T4_T5_mT6_P12ihipStream_tbENKUlT_T0_E_clISt17integral_constantIbLb1EESY_EEDaST_SU_EUlST_E_NS1_11comp_targetILNS1_3genE10ELNS1_11target_archE1200ELNS1_3gpuE4ELNS1_3repE0EEENS1_30default_config_static_selectorELNS0_4arch9wavefront6targetE1EEEvT1_, .Lfunc_end471-_ZN7rocprim17ROCPRIM_400000_NS6detail17trampoline_kernelINS0_14default_configENS1_20scan_config_selectorIN3c108BFloat16EEEZZNS1_9scan_implILNS1_25lookback_scan_determinismE0ELb0ELb0ES3_PKS6_PS6_S6_ZZZN2at6native31launch_logcumsumexp_cuda_kernelERKNSD_10TensorBaseESH_lENKUlvE_clEvENKUlvE4_clEvEUlS6_S6_E_S6_EEDaPvRmT3_T4_T5_mT6_P12ihipStream_tbENKUlT_T0_E_clISt17integral_constantIbLb1EESY_EEDaST_SU_EUlST_E_NS1_11comp_targetILNS1_3genE10ELNS1_11target_archE1200ELNS1_3gpuE4ELNS1_3repE0EEENS1_30default_config_static_selectorELNS0_4arch9wavefront6targetE1EEEvT1_
                                        ; -- End function
	.set _ZN7rocprim17ROCPRIM_400000_NS6detail17trampoline_kernelINS0_14default_configENS1_20scan_config_selectorIN3c108BFloat16EEEZZNS1_9scan_implILNS1_25lookback_scan_determinismE0ELb0ELb0ES3_PKS6_PS6_S6_ZZZN2at6native31launch_logcumsumexp_cuda_kernelERKNSD_10TensorBaseESH_lENKUlvE_clEvENKUlvE4_clEvEUlS6_S6_E_S6_EEDaPvRmT3_T4_T5_mT6_P12ihipStream_tbENKUlT_T0_E_clISt17integral_constantIbLb1EESY_EEDaST_SU_EUlST_E_NS1_11comp_targetILNS1_3genE10ELNS1_11target_archE1200ELNS1_3gpuE4ELNS1_3repE0EEENS1_30default_config_static_selectorELNS0_4arch9wavefront6targetE1EEEvT1_.num_vgpr, 0
	.set _ZN7rocprim17ROCPRIM_400000_NS6detail17trampoline_kernelINS0_14default_configENS1_20scan_config_selectorIN3c108BFloat16EEEZZNS1_9scan_implILNS1_25lookback_scan_determinismE0ELb0ELb0ES3_PKS6_PS6_S6_ZZZN2at6native31launch_logcumsumexp_cuda_kernelERKNSD_10TensorBaseESH_lENKUlvE_clEvENKUlvE4_clEvEUlS6_S6_E_S6_EEDaPvRmT3_T4_T5_mT6_P12ihipStream_tbENKUlT_T0_E_clISt17integral_constantIbLb1EESY_EEDaST_SU_EUlST_E_NS1_11comp_targetILNS1_3genE10ELNS1_11target_archE1200ELNS1_3gpuE4ELNS1_3repE0EEENS1_30default_config_static_selectorELNS0_4arch9wavefront6targetE1EEEvT1_.num_agpr, 0
	.set _ZN7rocprim17ROCPRIM_400000_NS6detail17trampoline_kernelINS0_14default_configENS1_20scan_config_selectorIN3c108BFloat16EEEZZNS1_9scan_implILNS1_25lookback_scan_determinismE0ELb0ELb0ES3_PKS6_PS6_S6_ZZZN2at6native31launch_logcumsumexp_cuda_kernelERKNSD_10TensorBaseESH_lENKUlvE_clEvENKUlvE4_clEvEUlS6_S6_E_S6_EEDaPvRmT3_T4_T5_mT6_P12ihipStream_tbENKUlT_T0_E_clISt17integral_constantIbLb1EESY_EEDaST_SU_EUlST_E_NS1_11comp_targetILNS1_3genE10ELNS1_11target_archE1200ELNS1_3gpuE4ELNS1_3repE0EEENS1_30default_config_static_selectorELNS0_4arch9wavefront6targetE1EEEvT1_.numbered_sgpr, 0
	.set _ZN7rocprim17ROCPRIM_400000_NS6detail17trampoline_kernelINS0_14default_configENS1_20scan_config_selectorIN3c108BFloat16EEEZZNS1_9scan_implILNS1_25lookback_scan_determinismE0ELb0ELb0ES3_PKS6_PS6_S6_ZZZN2at6native31launch_logcumsumexp_cuda_kernelERKNSD_10TensorBaseESH_lENKUlvE_clEvENKUlvE4_clEvEUlS6_S6_E_S6_EEDaPvRmT3_T4_T5_mT6_P12ihipStream_tbENKUlT_T0_E_clISt17integral_constantIbLb1EESY_EEDaST_SU_EUlST_E_NS1_11comp_targetILNS1_3genE10ELNS1_11target_archE1200ELNS1_3gpuE4ELNS1_3repE0EEENS1_30default_config_static_selectorELNS0_4arch9wavefront6targetE1EEEvT1_.num_named_barrier, 0
	.set _ZN7rocprim17ROCPRIM_400000_NS6detail17trampoline_kernelINS0_14default_configENS1_20scan_config_selectorIN3c108BFloat16EEEZZNS1_9scan_implILNS1_25lookback_scan_determinismE0ELb0ELb0ES3_PKS6_PS6_S6_ZZZN2at6native31launch_logcumsumexp_cuda_kernelERKNSD_10TensorBaseESH_lENKUlvE_clEvENKUlvE4_clEvEUlS6_S6_E_S6_EEDaPvRmT3_T4_T5_mT6_P12ihipStream_tbENKUlT_T0_E_clISt17integral_constantIbLb1EESY_EEDaST_SU_EUlST_E_NS1_11comp_targetILNS1_3genE10ELNS1_11target_archE1200ELNS1_3gpuE4ELNS1_3repE0EEENS1_30default_config_static_selectorELNS0_4arch9wavefront6targetE1EEEvT1_.private_seg_size, 0
	.set _ZN7rocprim17ROCPRIM_400000_NS6detail17trampoline_kernelINS0_14default_configENS1_20scan_config_selectorIN3c108BFloat16EEEZZNS1_9scan_implILNS1_25lookback_scan_determinismE0ELb0ELb0ES3_PKS6_PS6_S6_ZZZN2at6native31launch_logcumsumexp_cuda_kernelERKNSD_10TensorBaseESH_lENKUlvE_clEvENKUlvE4_clEvEUlS6_S6_E_S6_EEDaPvRmT3_T4_T5_mT6_P12ihipStream_tbENKUlT_T0_E_clISt17integral_constantIbLb1EESY_EEDaST_SU_EUlST_E_NS1_11comp_targetILNS1_3genE10ELNS1_11target_archE1200ELNS1_3gpuE4ELNS1_3repE0EEENS1_30default_config_static_selectorELNS0_4arch9wavefront6targetE1EEEvT1_.uses_vcc, 0
	.set _ZN7rocprim17ROCPRIM_400000_NS6detail17trampoline_kernelINS0_14default_configENS1_20scan_config_selectorIN3c108BFloat16EEEZZNS1_9scan_implILNS1_25lookback_scan_determinismE0ELb0ELb0ES3_PKS6_PS6_S6_ZZZN2at6native31launch_logcumsumexp_cuda_kernelERKNSD_10TensorBaseESH_lENKUlvE_clEvENKUlvE4_clEvEUlS6_S6_E_S6_EEDaPvRmT3_T4_T5_mT6_P12ihipStream_tbENKUlT_T0_E_clISt17integral_constantIbLb1EESY_EEDaST_SU_EUlST_E_NS1_11comp_targetILNS1_3genE10ELNS1_11target_archE1200ELNS1_3gpuE4ELNS1_3repE0EEENS1_30default_config_static_selectorELNS0_4arch9wavefront6targetE1EEEvT1_.uses_flat_scratch, 0
	.set _ZN7rocprim17ROCPRIM_400000_NS6detail17trampoline_kernelINS0_14default_configENS1_20scan_config_selectorIN3c108BFloat16EEEZZNS1_9scan_implILNS1_25lookback_scan_determinismE0ELb0ELb0ES3_PKS6_PS6_S6_ZZZN2at6native31launch_logcumsumexp_cuda_kernelERKNSD_10TensorBaseESH_lENKUlvE_clEvENKUlvE4_clEvEUlS6_S6_E_S6_EEDaPvRmT3_T4_T5_mT6_P12ihipStream_tbENKUlT_T0_E_clISt17integral_constantIbLb1EESY_EEDaST_SU_EUlST_E_NS1_11comp_targetILNS1_3genE10ELNS1_11target_archE1200ELNS1_3gpuE4ELNS1_3repE0EEENS1_30default_config_static_selectorELNS0_4arch9wavefront6targetE1EEEvT1_.has_dyn_sized_stack, 0
	.set _ZN7rocprim17ROCPRIM_400000_NS6detail17trampoline_kernelINS0_14default_configENS1_20scan_config_selectorIN3c108BFloat16EEEZZNS1_9scan_implILNS1_25lookback_scan_determinismE0ELb0ELb0ES3_PKS6_PS6_S6_ZZZN2at6native31launch_logcumsumexp_cuda_kernelERKNSD_10TensorBaseESH_lENKUlvE_clEvENKUlvE4_clEvEUlS6_S6_E_S6_EEDaPvRmT3_T4_T5_mT6_P12ihipStream_tbENKUlT_T0_E_clISt17integral_constantIbLb1EESY_EEDaST_SU_EUlST_E_NS1_11comp_targetILNS1_3genE10ELNS1_11target_archE1200ELNS1_3gpuE4ELNS1_3repE0EEENS1_30default_config_static_selectorELNS0_4arch9wavefront6targetE1EEEvT1_.has_recursion, 0
	.set _ZN7rocprim17ROCPRIM_400000_NS6detail17trampoline_kernelINS0_14default_configENS1_20scan_config_selectorIN3c108BFloat16EEEZZNS1_9scan_implILNS1_25lookback_scan_determinismE0ELb0ELb0ES3_PKS6_PS6_S6_ZZZN2at6native31launch_logcumsumexp_cuda_kernelERKNSD_10TensorBaseESH_lENKUlvE_clEvENKUlvE4_clEvEUlS6_S6_E_S6_EEDaPvRmT3_T4_T5_mT6_P12ihipStream_tbENKUlT_T0_E_clISt17integral_constantIbLb1EESY_EEDaST_SU_EUlST_E_NS1_11comp_targetILNS1_3genE10ELNS1_11target_archE1200ELNS1_3gpuE4ELNS1_3repE0EEENS1_30default_config_static_selectorELNS0_4arch9wavefront6targetE1EEEvT1_.has_indirect_call, 0
	.section	.AMDGPU.csdata,"",@progbits
; Kernel info:
; codeLenInByte = 0
; TotalNumSgprs: 4
; NumVgprs: 0
; ScratchSize: 0
; MemoryBound: 0
; FloatMode: 240
; IeeeMode: 1
; LDSByteSize: 0 bytes/workgroup (compile time only)
; SGPRBlocks: 0
; VGPRBlocks: 0
; NumSGPRsForWavesPerEU: 4
; NumVGPRsForWavesPerEU: 1
; Occupancy: 10
; WaveLimiterHint : 0
; COMPUTE_PGM_RSRC2:SCRATCH_EN: 0
; COMPUTE_PGM_RSRC2:USER_SGPR: 6
; COMPUTE_PGM_RSRC2:TRAP_HANDLER: 0
; COMPUTE_PGM_RSRC2:TGID_X_EN: 1
; COMPUTE_PGM_RSRC2:TGID_Y_EN: 0
; COMPUTE_PGM_RSRC2:TGID_Z_EN: 0
; COMPUTE_PGM_RSRC2:TIDIG_COMP_CNT: 0
	.section	.text._ZN7rocprim17ROCPRIM_400000_NS6detail17trampoline_kernelINS0_14default_configENS1_20scan_config_selectorIN3c108BFloat16EEEZZNS1_9scan_implILNS1_25lookback_scan_determinismE0ELb0ELb0ES3_PKS6_PS6_S6_ZZZN2at6native31launch_logcumsumexp_cuda_kernelERKNSD_10TensorBaseESH_lENKUlvE_clEvENKUlvE4_clEvEUlS6_S6_E_S6_EEDaPvRmT3_T4_T5_mT6_P12ihipStream_tbENKUlT_T0_E_clISt17integral_constantIbLb1EESY_EEDaST_SU_EUlST_E_NS1_11comp_targetILNS1_3genE9ELNS1_11target_archE1100ELNS1_3gpuE3ELNS1_3repE0EEENS1_30default_config_static_selectorELNS0_4arch9wavefront6targetE1EEEvT1_,"axG",@progbits,_ZN7rocprim17ROCPRIM_400000_NS6detail17trampoline_kernelINS0_14default_configENS1_20scan_config_selectorIN3c108BFloat16EEEZZNS1_9scan_implILNS1_25lookback_scan_determinismE0ELb0ELb0ES3_PKS6_PS6_S6_ZZZN2at6native31launch_logcumsumexp_cuda_kernelERKNSD_10TensorBaseESH_lENKUlvE_clEvENKUlvE4_clEvEUlS6_S6_E_S6_EEDaPvRmT3_T4_T5_mT6_P12ihipStream_tbENKUlT_T0_E_clISt17integral_constantIbLb1EESY_EEDaST_SU_EUlST_E_NS1_11comp_targetILNS1_3genE9ELNS1_11target_archE1100ELNS1_3gpuE3ELNS1_3repE0EEENS1_30default_config_static_selectorELNS0_4arch9wavefront6targetE1EEEvT1_,comdat
	.globl	_ZN7rocprim17ROCPRIM_400000_NS6detail17trampoline_kernelINS0_14default_configENS1_20scan_config_selectorIN3c108BFloat16EEEZZNS1_9scan_implILNS1_25lookback_scan_determinismE0ELb0ELb0ES3_PKS6_PS6_S6_ZZZN2at6native31launch_logcumsumexp_cuda_kernelERKNSD_10TensorBaseESH_lENKUlvE_clEvENKUlvE4_clEvEUlS6_S6_E_S6_EEDaPvRmT3_T4_T5_mT6_P12ihipStream_tbENKUlT_T0_E_clISt17integral_constantIbLb1EESY_EEDaST_SU_EUlST_E_NS1_11comp_targetILNS1_3genE9ELNS1_11target_archE1100ELNS1_3gpuE3ELNS1_3repE0EEENS1_30default_config_static_selectorELNS0_4arch9wavefront6targetE1EEEvT1_ ; -- Begin function _ZN7rocprim17ROCPRIM_400000_NS6detail17trampoline_kernelINS0_14default_configENS1_20scan_config_selectorIN3c108BFloat16EEEZZNS1_9scan_implILNS1_25lookback_scan_determinismE0ELb0ELb0ES3_PKS6_PS6_S6_ZZZN2at6native31launch_logcumsumexp_cuda_kernelERKNSD_10TensorBaseESH_lENKUlvE_clEvENKUlvE4_clEvEUlS6_S6_E_S6_EEDaPvRmT3_T4_T5_mT6_P12ihipStream_tbENKUlT_T0_E_clISt17integral_constantIbLb1EESY_EEDaST_SU_EUlST_E_NS1_11comp_targetILNS1_3genE9ELNS1_11target_archE1100ELNS1_3gpuE3ELNS1_3repE0EEENS1_30default_config_static_selectorELNS0_4arch9wavefront6targetE1EEEvT1_
	.p2align	8
	.type	_ZN7rocprim17ROCPRIM_400000_NS6detail17trampoline_kernelINS0_14default_configENS1_20scan_config_selectorIN3c108BFloat16EEEZZNS1_9scan_implILNS1_25lookback_scan_determinismE0ELb0ELb0ES3_PKS6_PS6_S6_ZZZN2at6native31launch_logcumsumexp_cuda_kernelERKNSD_10TensorBaseESH_lENKUlvE_clEvENKUlvE4_clEvEUlS6_S6_E_S6_EEDaPvRmT3_T4_T5_mT6_P12ihipStream_tbENKUlT_T0_E_clISt17integral_constantIbLb1EESY_EEDaST_SU_EUlST_E_NS1_11comp_targetILNS1_3genE9ELNS1_11target_archE1100ELNS1_3gpuE3ELNS1_3repE0EEENS1_30default_config_static_selectorELNS0_4arch9wavefront6targetE1EEEvT1_,@function
_ZN7rocprim17ROCPRIM_400000_NS6detail17trampoline_kernelINS0_14default_configENS1_20scan_config_selectorIN3c108BFloat16EEEZZNS1_9scan_implILNS1_25lookback_scan_determinismE0ELb0ELb0ES3_PKS6_PS6_S6_ZZZN2at6native31launch_logcumsumexp_cuda_kernelERKNSD_10TensorBaseESH_lENKUlvE_clEvENKUlvE4_clEvEUlS6_S6_E_S6_EEDaPvRmT3_T4_T5_mT6_P12ihipStream_tbENKUlT_T0_E_clISt17integral_constantIbLb1EESY_EEDaST_SU_EUlST_E_NS1_11comp_targetILNS1_3genE9ELNS1_11target_archE1100ELNS1_3gpuE3ELNS1_3repE0EEENS1_30default_config_static_selectorELNS0_4arch9wavefront6targetE1EEEvT1_: ; @_ZN7rocprim17ROCPRIM_400000_NS6detail17trampoline_kernelINS0_14default_configENS1_20scan_config_selectorIN3c108BFloat16EEEZZNS1_9scan_implILNS1_25lookback_scan_determinismE0ELb0ELb0ES3_PKS6_PS6_S6_ZZZN2at6native31launch_logcumsumexp_cuda_kernelERKNSD_10TensorBaseESH_lENKUlvE_clEvENKUlvE4_clEvEUlS6_S6_E_S6_EEDaPvRmT3_T4_T5_mT6_P12ihipStream_tbENKUlT_T0_E_clISt17integral_constantIbLb1EESY_EEDaST_SU_EUlST_E_NS1_11comp_targetILNS1_3genE9ELNS1_11target_archE1100ELNS1_3gpuE3ELNS1_3repE0EEENS1_30default_config_static_selectorELNS0_4arch9wavefront6targetE1EEEvT1_
; %bb.0:
	.section	.rodata,"a",@progbits
	.p2align	6, 0x0
	.amdhsa_kernel _ZN7rocprim17ROCPRIM_400000_NS6detail17trampoline_kernelINS0_14default_configENS1_20scan_config_selectorIN3c108BFloat16EEEZZNS1_9scan_implILNS1_25lookback_scan_determinismE0ELb0ELb0ES3_PKS6_PS6_S6_ZZZN2at6native31launch_logcumsumexp_cuda_kernelERKNSD_10TensorBaseESH_lENKUlvE_clEvENKUlvE4_clEvEUlS6_S6_E_S6_EEDaPvRmT3_T4_T5_mT6_P12ihipStream_tbENKUlT_T0_E_clISt17integral_constantIbLb1EESY_EEDaST_SU_EUlST_E_NS1_11comp_targetILNS1_3genE9ELNS1_11target_archE1100ELNS1_3gpuE3ELNS1_3repE0EEENS1_30default_config_static_selectorELNS0_4arch9wavefront6targetE1EEEvT1_
		.amdhsa_group_segment_fixed_size 0
		.amdhsa_private_segment_fixed_size 0
		.amdhsa_kernarg_size 96
		.amdhsa_user_sgpr_count 6
		.amdhsa_user_sgpr_private_segment_buffer 1
		.amdhsa_user_sgpr_dispatch_ptr 0
		.amdhsa_user_sgpr_queue_ptr 0
		.amdhsa_user_sgpr_kernarg_segment_ptr 1
		.amdhsa_user_sgpr_dispatch_id 0
		.amdhsa_user_sgpr_flat_scratch_init 0
		.amdhsa_user_sgpr_private_segment_size 0
		.amdhsa_uses_dynamic_stack 0
		.amdhsa_system_sgpr_private_segment_wavefront_offset 0
		.amdhsa_system_sgpr_workgroup_id_x 1
		.amdhsa_system_sgpr_workgroup_id_y 0
		.amdhsa_system_sgpr_workgroup_id_z 0
		.amdhsa_system_sgpr_workgroup_info 0
		.amdhsa_system_vgpr_workitem_id 0
		.amdhsa_next_free_vgpr 1
		.amdhsa_next_free_sgpr 0
		.amdhsa_reserve_vcc 0
		.amdhsa_reserve_flat_scratch 0
		.amdhsa_float_round_mode_32 0
		.amdhsa_float_round_mode_16_64 0
		.amdhsa_float_denorm_mode_32 3
		.amdhsa_float_denorm_mode_16_64 3
		.amdhsa_dx10_clamp 1
		.amdhsa_ieee_mode 1
		.amdhsa_fp16_overflow 0
		.amdhsa_exception_fp_ieee_invalid_op 0
		.amdhsa_exception_fp_denorm_src 0
		.amdhsa_exception_fp_ieee_div_zero 0
		.amdhsa_exception_fp_ieee_overflow 0
		.amdhsa_exception_fp_ieee_underflow 0
		.amdhsa_exception_fp_ieee_inexact 0
		.amdhsa_exception_int_div_zero 0
	.end_amdhsa_kernel
	.section	.text._ZN7rocprim17ROCPRIM_400000_NS6detail17trampoline_kernelINS0_14default_configENS1_20scan_config_selectorIN3c108BFloat16EEEZZNS1_9scan_implILNS1_25lookback_scan_determinismE0ELb0ELb0ES3_PKS6_PS6_S6_ZZZN2at6native31launch_logcumsumexp_cuda_kernelERKNSD_10TensorBaseESH_lENKUlvE_clEvENKUlvE4_clEvEUlS6_S6_E_S6_EEDaPvRmT3_T4_T5_mT6_P12ihipStream_tbENKUlT_T0_E_clISt17integral_constantIbLb1EESY_EEDaST_SU_EUlST_E_NS1_11comp_targetILNS1_3genE9ELNS1_11target_archE1100ELNS1_3gpuE3ELNS1_3repE0EEENS1_30default_config_static_selectorELNS0_4arch9wavefront6targetE1EEEvT1_,"axG",@progbits,_ZN7rocprim17ROCPRIM_400000_NS6detail17trampoline_kernelINS0_14default_configENS1_20scan_config_selectorIN3c108BFloat16EEEZZNS1_9scan_implILNS1_25lookback_scan_determinismE0ELb0ELb0ES3_PKS6_PS6_S6_ZZZN2at6native31launch_logcumsumexp_cuda_kernelERKNSD_10TensorBaseESH_lENKUlvE_clEvENKUlvE4_clEvEUlS6_S6_E_S6_EEDaPvRmT3_T4_T5_mT6_P12ihipStream_tbENKUlT_T0_E_clISt17integral_constantIbLb1EESY_EEDaST_SU_EUlST_E_NS1_11comp_targetILNS1_3genE9ELNS1_11target_archE1100ELNS1_3gpuE3ELNS1_3repE0EEENS1_30default_config_static_selectorELNS0_4arch9wavefront6targetE1EEEvT1_,comdat
.Lfunc_end472:
	.size	_ZN7rocprim17ROCPRIM_400000_NS6detail17trampoline_kernelINS0_14default_configENS1_20scan_config_selectorIN3c108BFloat16EEEZZNS1_9scan_implILNS1_25lookback_scan_determinismE0ELb0ELb0ES3_PKS6_PS6_S6_ZZZN2at6native31launch_logcumsumexp_cuda_kernelERKNSD_10TensorBaseESH_lENKUlvE_clEvENKUlvE4_clEvEUlS6_S6_E_S6_EEDaPvRmT3_T4_T5_mT6_P12ihipStream_tbENKUlT_T0_E_clISt17integral_constantIbLb1EESY_EEDaST_SU_EUlST_E_NS1_11comp_targetILNS1_3genE9ELNS1_11target_archE1100ELNS1_3gpuE3ELNS1_3repE0EEENS1_30default_config_static_selectorELNS0_4arch9wavefront6targetE1EEEvT1_, .Lfunc_end472-_ZN7rocprim17ROCPRIM_400000_NS6detail17trampoline_kernelINS0_14default_configENS1_20scan_config_selectorIN3c108BFloat16EEEZZNS1_9scan_implILNS1_25lookback_scan_determinismE0ELb0ELb0ES3_PKS6_PS6_S6_ZZZN2at6native31launch_logcumsumexp_cuda_kernelERKNSD_10TensorBaseESH_lENKUlvE_clEvENKUlvE4_clEvEUlS6_S6_E_S6_EEDaPvRmT3_T4_T5_mT6_P12ihipStream_tbENKUlT_T0_E_clISt17integral_constantIbLb1EESY_EEDaST_SU_EUlST_E_NS1_11comp_targetILNS1_3genE9ELNS1_11target_archE1100ELNS1_3gpuE3ELNS1_3repE0EEENS1_30default_config_static_selectorELNS0_4arch9wavefront6targetE1EEEvT1_
                                        ; -- End function
	.set _ZN7rocprim17ROCPRIM_400000_NS6detail17trampoline_kernelINS0_14default_configENS1_20scan_config_selectorIN3c108BFloat16EEEZZNS1_9scan_implILNS1_25lookback_scan_determinismE0ELb0ELb0ES3_PKS6_PS6_S6_ZZZN2at6native31launch_logcumsumexp_cuda_kernelERKNSD_10TensorBaseESH_lENKUlvE_clEvENKUlvE4_clEvEUlS6_S6_E_S6_EEDaPvRmT3_T4_T5_mT6_P12ihipStream_tbENKUlT_T0_E_clISt17integral_constantIbLb1EESY_EEDaST_SU_EUlST_E_NS1_11comp_targetILNS1_3genE9ELNS1_11target_archE1100ELNS1_3gpuE3ELNS1_3repE0EEENS1_30default_config_static_selectorELNS0_4arch9wavefront6targetE1EEEvT1_.num_vgpr, 0
	.set _ZN7rocprim17ROCPRIM_400000_NS6detail17trampoline_kernelINS0_14default_configENS1_20scan_config_selectorIN3c108BFloat16EEEZZNS1_9scan_implILNS1_25lookback_scan_determinismE0ELb0ELb0ES3_PKS6_PS6_S6_ZZZN2at6native31launch_logcumsumexp_cuda_kernelERKNSD_10TensorBaseESH_lENKUlvE_clEvENKUlvE4_clEvEUlS6_S6_E_S6_EEDaPvRmT3_T4_T5_mT6_P12ihipStream_tbENKUlT_T0_E_clISt17integral_constantIbLb1EESY_EEDaST_SU_EUlST_E_NS1_11comp_targetILNS1_3genE9ELNS1_11target_archE1100ELNS1_3gpuE3ELNS1_3repE0EEENS1_30default_config_static_selectorELNS0_4arch9wavefront6targetE1EEEvT1_.num_agpr, 0
	.set _ZN7rocprim17ROCPRIM_400000_NS6detail17trampoline_kernelINS0_14default_configENS1_20scan_config_selectorIN3c108BFloat16EEEZZNS1_9scan_implILNS1_25lookback_scan_determinismE0ELb0ELb0ES3_PKS6_PS6_S6_ZZZN2at6native31launch_logcumsumexp_cuda_kernelERKNSD_10TensorBaseESH_lENKUlvE_clEvENKUlvE4_clEvEUlS6_S6_E_S6_EEDaPvRmT3_T4_T5_mT6_P12ihipStream_tbENKUlT_T0_E_clISt17integral_constantIbLb1EESY_EEDaST_SU_EUlST_E_NS1_11comp_targetILNS1_3genE9ELNS1_11target_archE1100ELNS1_3gpuE3ELNS1_3repE0EEENS1_30default_config_static_selectorELNS0_4arch9wavefront6targetE1EEEvT1_.numbered_sgpr, 0
	.set _ZN7rocprim17ROCPRIM_400000_NS6detail17trampoline_kernelINS0_14default_configENS1_20scan_config_selectorIN3c108BFloat16EEEZZNS1_9scan_implILNS1_25lookback_scan_determinismE0ELb0ELb0ES3_PKS6_PS6_S6_ZZZN2at6native31launch_logcumsumexp_cuda_kernelERKNSD_10TensorBaseESH_lENKUlvE_clEvENKUlvE4_clEvEUlS6_S6_E_S6_EEDaPvRmT3_T4_T5_mT6_P12ihipStream_tbENKUlT_T0_E_clISt17integral_constantIbLb1EESY_EEDaST_SU_EUlST_E_NS1_11comp_targetILNS1_3genE9ELNS1_11target_archE1100ELNS1_3gpuE3ELNS1_3repE0EEENS1_30default_config_static_selectorELNS0_4arch9wavefront6targetE1EEEvT1_.num_named_barrier, 0
	.set _ZN7rocprim17ROCPRIM_400000_NS6detail17trampoline_kernelINS0_14default_configENS1_20scan_config_selectorIN3c108BFloat16EEEZZNS1_9scan_implILNS1_25lookback_scan_determinismE0ELb0ELb0ES3_PKS6_PS6_S6_ZZZN2at6native31launch_logcumsumexp_cuda_kernelERKNSD_10TensorBaseESH_lENKUlvE_clEvENKUlvE4_clEvEUlS6_S6_E_S6_EEDaPvRmT3_T4_T5_mT6_P12ihipStream_tbENKUlT_T0_E_clISt17integral_constantIbLb1EESY_EEDaST_SU_EUlST_E_NS1_11comp_targetILNS1_3genE9ELNS1_11target_archE1100ELNS1_3gpuE3ELNS1_3repE0EEENS1_30default_config_static_selectorELNS0_4arch9wavefront6targetE1EEEvT1_.private_seg_size, 0
	.set _ZN7rocprim17ROCPRIM_400000_NS6detail17trampoline_kernelINS0_14default_configENS1_20scan_config_selectorIN3c108BFloat16EEEZZNS1_9scan_implILNS1_25lookback_scan_determinismE0ELb0ELb0ES3_PKS6_PS6_S6_ZZZN2at6native31launch_logcumsumexp_cuda_kernelERKNSD_10TensorBaseESH_lENKUlvE_clEvENKUlvE4_clEvEUlS6_S6_E_S6_EEDaPvRmT3_T4_T5_mT6_P12ihipStream_tbENKUlT_T0_E_clISt17integral_constantIbLb1EESY_EEDaST_SU_EUlST_E_NS1_11comp_targetILNS1_3genE9ELNS1_11target_archE1100ELNS1_3gpuE3ELNS1_3repE0EEENS1_30default_config_static_selectorELNS0_4arch9wavefront6targetE1EEEvT1_.uses_vcc, 0
	.set _ZN7rocprim17ROCPRIM_400000_NS6detail17trampoline_kernelINS0_14default_configENS1_20scan_config_selectorIN3c108BFloat16EEEZZNS1_9scan_implILNS1_25lookback_scan_determinismE0ELb0ELb0ES3_PKS6_PS6_S6_ZZZN2at6native31launch_logcumsumexp_cuda_kernelERKNSD_10TensorBaseESH_lENKUlvE_clEvENKUlvE4_clEvEUlS6_S6_E_S6_EEDaPvRmT3_T4_T5_mT6_P12ihipStream_tbENKUlT_T0_E_clISt17integral_constantIbLb1EESY_EEDaST_SU_EUlST_E_NS1_11comp_targetILNS1_3genE9ELNS1_11target_archE1100ELNS1_3gpuE3ELNS1_3repE0EEENS1_30default_config_static_selectorELNS0_4arch9wavefront6targetE1EEEvT1_.uses_flat_scratch, 0
	.set _ZN7rocprim17ROCPRIM_400000_NS6detail17trampoline_kernelINS0_14default_configENS1_20scan_config_selectorIN3c108BFloat16EEEZZNS1_9scan_implILNS1_25lookback_scan_determinismE0ELb0ELb0ES3_PKS6_PS6_S6_ZZZN2at6native31launch_logcumsumexp_cuda_kernelERKNSD_10TensorBaseESH_lENKUlvE_clEvENKUlvE4_clEvEUlS6_S6_E_S6_EEDaPvRmT3_T4_T5_mT6_P12ihipStream_tbENKUlT_T0_E_clISt17integral_constantIbLb1EESY_EEDaST_SU_EUlST_E_NS1_11comp_targetILNS1_3genE9ELNS1_11target_archE1100ELNS1_3gpuE3ELNS1_3repE0EEENS1_30default_config_static_selectorELNS0_4arch9wavefront6targetE1EEEvT1_.has_dyn_sized_stack, 0
	.set _ZN7rocprim17ROCPRIM_400000_NS6detail17trampoline_kernelINS0_14default_configENS1_20scan_config_selectorIN3c108BFloat16EEEZZNS1_9scan_implILNS1_25lookback_scan_determinismE0ELb0ELb0ES3_PKS6_PS6_S6_ZZZN2at6native31launch_logcumsumexp_cuda_kernelERKNSD_10TensorBaseESH_lENKUlvE_clEvENKUlvE4_clEvEUlS6_S6_E_S6_EEDaPvRmT3_T4_T5_mT6_P12ihipStream_tbENKUlT_T0_E_clISt17integral_constantIbLb1EESY_EEDaST_SU_EUlST_E_NS1_11comp_targetILNS1_3genE9ELNS1_11target_archE1100ELNS1_3gpuE3ELNS1_3repE0EEENS1_30default_config_static_selectorELNS0_4arch9wavefront6targetE1EEEvT1_.has_recursion, 0
	.set _ZN7rocprim17ROCPRIM_400000_NS6detail17trampoline_kernelINS0_14default_configENS1_20scan_config_selectorIN3c108BFloat16EEEZZNS1_9scan_implILNS1_25lookback_scan_determinismE0ELb0ELb0ES3_PKS6_PS6_S6_ZZZN2at6native31launch_logcumsumexp_cuda_kernelERKNSD_10TensorBaseESH_lENKUlvE_clEvENKUlvE4_clEvEUlS6_S6_E_S6_EEDaPvRmT3_T4_T5_mT6_P12ihipStream_tbENKUlT_T0_E_clISt17integral_constantIbLb1EESY_EEDaST_SU_EUlST_E_NS1_11comp_targetILNS1_3genE9ELNS1_11target_archE1100ELNS1_3gpuE3ELNS1_3repE0EEENS1_30default_config_static_selectorELNS0_4arch9wavefront6targetE1EEEvT1_.has_indirect_call, 0
	.section	.AMDGPU.csdata,"",@progbits
; Kernel info:
; codeLenInByte = 0
; TotalNumSgprs: 4
; NumVgprs: 0
; ScratchSize: 0
; MemoryBound: 0
; FloatMode: 240
; IeeeMode: 1
; LDSByteSize: 0 bytes/workgroup (compile time only)
; SGPRBlocks: 0
; VGPRBlocks: 0
; NumSGPRsForWavesPerEU: 4
; NumVGPRsForWavesPerEU: 1
; Occupancy: 10
; WaveLimiterHint : 0
; COMPUTE_PGM_RSRC2:SCRATCH_EN: 0
; COMPUTE_PGM_RSRC2:USER_SGPR: 6
; COMPUTE_PGM_RSRC2:TRAP_HANDLER: 0
; COMPUTE_PGM_RSRC2:TGID_X_EN: 1
; COMPUTE_PGM_RSRC2:TGID_Y_EN: 0
; COMPUTE_PGM_RSRC2:TGID_Z_EN: 0
; COMPUTE_PGM_RSRC2:TIDIG_COMP_CNT: 0
	.section	.text._ZN7rocprim17ROCPRIM_400000_NS6detail17trampoline_kernelINS0_14default_configENS1_20scan_config_selectorIN3c108BFloat16EEEZZNS1_9scan_implILNS1_25lookback_scan_determinismE0ELb0ELb0ES3_PKS6_PS6_S6_ZZZN2at6native31launch_logcumsumexp_cuda_kernelERKNSD_10TensorBaseESH_lENKUlvE_clEvENKUlvE4_clEvEUlS6_S6_E_S6_EEDaPvRmT3_T4_T5_mT6_P12ihipStream_tbENKUlT_T0_E_clISt17integral_constantIbLb1EESY_EEDaST_SU_EUlST_E_NS1_11comp_targetILNS1_3genE8ELNS1_11target_archE1030ELNS1_3gpuE2ELNS1_3repE0EEENS1_30default_config_static_selectorELNS0_4arch9wavefront6targetE1EEEvT1_,"axG",@progbits,_ZN7rocprim17ROCPRIM_400000_NS6detail17trampoline_kernelINS0_14default_configENS1_20scan_config_selectorIN3c108BFloat16EEEZZNS1_9scan_implILNS1_25lookback_scan_determinismE0ELb0ELb0ES3_PKS6_PS6_S6_ZZZN2at6native31launch_logcumsumexp_cuda_kernelERKNSD_10TensorBaseESH_lENKUlvE_clEvENKUlvE4_clEvEUlS6_S6_E_S6_EEDaPvRmT3_T4_T5_mT6_P12ihipStream_tbENKUlT_T0_E_clISt17integral_constantIbLb1EESY_EEDaST_SU_EUlST_E_NS1_11comp_targetILNS1_3genE8ELNS1_11target_archE1030ELNS1_3gpuE2ELNS1_3repE0EEENS1_30default_config_static_selectorELNS0_4arch9wavefront6targetE1EEEvT1_,comdat
	.globl	_ZN7rocprim17ROCPRIM_400000_NS6detail17trampoline_kernelINS0_14default_configENS1_20scan_config_selectorIN3c108BFloat16EEEZZNS1_9scan_implILNS1_25lookback_scan_determinismE0ELb0ELb0ES3_PKS6_PS6_S6_ZZZN2at6native31launch_logcumsumexp_cuda_kernelERKNSD_10TensorBaseESH_lENKUlvE_clEvENKUlvE4_clEvEUlS6_S6_E_S6_EEDaPvRmT3_T4_T5_mT6_P12ihipStream_tbENKUlT_T0_E_clISt17integral_constantIbLb1EESY_EEDaST_SU_EUlST_E_NS1_11comp_targetILNS1_3genE8ELNS1_11target_archE1030ELNS1_3gpuE2ELNS1_3repE0EEENS1_30default_config_static_selectorELNS0_4arch9wavefront6targetE1EEEvT1_ ; -- Begin function _ZN7rocprim17ROCPRIM_400000_NS6detail17trampoline_kernelINS0_14default_configENS1_20scan_config_selectorIN3c108BFloat16EEEZZNS1_9scan_implILNS1_25lookback_scan_determinismE0ELb0ELb0ES3_PKS6_PS6_S6_ZZZN2at6native31launch_logcumsumexp_cuda_kernelERKNSD_10TensorBaseESH_lENKUlvE_clEvENKUlvE4_clEvEUlS6_S6_E_S6_EEDaPvRmT3_T4_T5_mT6_P12ihipStream_tbENKUlT_T0_E_clISt17integral_constantIbLb1EESY_EEDaST_SU_EUlST_E_NS1_11comp_targetILNS1_3genE8ELNS1_11target_archE1030ELNS1_3gpuE2ELNS1_3repE0EEENS1_30default_config_static_selectorELNS0_4arch9wavefront6targetE1EEEvT1_
	.p2align	8
	.type	_ZN7rocprim17ROCPRIM_400000_NS6detail17trampoline_kernelINS0_14default_configENS1_20scan_config_selectorIN3c108BFloat16EEEZZNS1_9scan_implILNS1_25lookback_scan_determinismE0ELb0ELb0ES3_PKS6_PS6_S6_ZZZN2at6native31launch_logcumsumexp_cuda_kernelERKNSD_10TensorBaseESH_lENKUlvE_clEvENKUlvE4_clEvEUlS6_S6_E_S6_EEDaPvRmT3_T4_T5_mT6_P12ihipStream_tbENKUlT_T0_E_clISt17integral_constantIbLb1EESY_EEDaST_SU_EUlST_E_NS1_11comp_targetILNS1_3genE8ELNS1_11target_archE1030ELNS1_3gpuE2ELNS1_3repE0EEENS1_30default_config_static_selectorELNS0_4arch9wavefront6targetE1EEEvT1_,@function
_ZN7rocprim17ROCPRIM_400000_NS6detail17trampoline_kernelINS0_14default_configENS1_20scan_config_selectorIN3c108BFloat16EEEZZNS1_9scan_implILNS1_25lookback_scan_determinismE0ELb0ELb0ES3_PKS6_PS6_S6_ZZZN2at6native31launch_logcumsumexp_cuda_kernelERKNSD_10TensorBaseESH_lENKUlvE_clEvENKUlvE4_clEvEUlS6_S6_E_S6_EEDaPvRmT3_T4_T5_mT6_P12ihipStream_tbENKUlT_T0_E_clISt17integral_constantIbLb1EESY_EEDaST_SU_EUlST_E_NS1_11comp_targetILNS1_3genE8ELNS1_11target_archE1030ELNS1_3gpuE2ELNS1_3repE0EEENS1_30default_config_static_selectorELNS0_4arch9wavefront6targetE1EEEvT1_: ; @_ZN7rocprim17ROCPRIM_400000_NS6detail17trampoline_kernelINS0_14default_configENS1_20scan_config_selectorIN3c108BFloat16EEEZZNS1_9scan_implILNS1_25lookback_scan_determinismE0ELb0ELb0ES3_PKS6_PS6_S6_ZZZN2at6native31launch_logcumsumexp_cuda_kernelERKNSD_10TensorBaseESH_lENKUlvE_clEvENKUlvE4_clEvEUlS6_S6_E_S6_EEDaPvRmT3_T4_T5_mT6_P12ihipStream_tbENKUlT_T0_E_clISt17integral_constantIbLb1EESY_EEDaST_SU_EUlST_E_NS1_11comp_targetILNS1_3genE8ELNS1_11target_archE1030ELNS1_3gpuE2ELNS1_3repE0EEENS1_30default_config_static_selectorELNS0_4arch9wavefront6targetE1EEEvT1_
; %bb.0:
	.section	.rodata,"a",@progbits
	.p2align	6, 0x0
	.amdhsa_kernel _ZN7rocprim17ROCPRIM_400000_NS6detail17trampoline_kernelINS0_14default_configENS1_20scan_config_selectorIN3c108BFloat16EEEZZNS1_9scan_implILNS1_25lookback_scan_determinismE0ELb0ELb0ES3_PKS6_PS6_S6_ZZZN2at6native31launch_logcumsumexp_cuda_kernelERKNSD_10TensorBaseESH_lENKUlvE_clEvENKUlvE4_clEvEUlS6_S6_E_S6_EEDaPvRmT3_T4_T5_mT6_P12ihipStream_tbENKUlT_T0_E_clISt17integral_constantIbLb1EESY_EEDaST_SU_EUlST_E_NS1_11comp_targetILNS1_3genE8ELNS1_11target_archE1030ELNS1_3gpuE2ELNS1_3repE0EEENS1_30default_config_static_selectorELNS0_4arch9wavefront6targetE1EEEvT1_
		.amdhsa_group_segment_fixed_size 0
		.amdhsa_private_segment_fixed_size 0
		.amdhsa_kernarg_size 96
		.amdhsa_user_sgpr_count 6
		.amdhsa_user_sgpr_private_segment_buffer 1
		.amdhsa_user_sgpr_dispatch_ptr 0
		.amdhsa_user_sgpr_queue_ptr 0
		.amdhsa_user_sgpr_kernarg_segment_ptr 1
		.amdhsa_user_sgpr_dispatch_id 0
		.amdhsa_user_sgpr_flat_scratch_init 0
		.amdhsa_user_sgpr_private_segment_size 0
		.amdhsa_uses_dynamic_stack 0
		.amdhsa_system_sgpr_private_segment_wavefront_offset 0
		.amdhsa_system_sgpr_workgroup_id_x 1
		.amdhsa_system_sgpr_workgroup_id_y 0
		.amdhsa_system_sgpr_workgroup_id_z 0
		.amdhsa_system_sgpr_workgroup_info 0
		.amdhsa_system_vgpr_workitem_id 0
		.amdhsa_next_free_vgpr 1
		.amdhsa_next_free_sgpr 0
		.amdhsa_reserve_vcc 0
		.amdhsa_reserve_flat_scratch 0
		.amdhsa_float_round_mode_32 0
		.amdhsa_float_round_mode_16_64 0
		.amdhsa_float_denorm_mode_32 3
		.amdhsa_float_denorm_mode_16_64 3
		.amdhsa_dx10_clamp 1
		.amdhsa_ieee_mode 1
		.amdhsa_fp16_overflow 0
		.amdhsa_exception_fp_ieee_invalid_op 0
		.amdhsa_exception_fp_denorm_src 0
		.amdhsa_exception_fp_ieee_div_zero 0
		.amdhsa_exception_fp_ieee_overflow 0
		.amdhsa_exception_fp_ieee_underflow 0
		.amdhsa_exception_fp_ieee_inexact 0
		.amdhsa_exception_int_div_zero 0
	.end_amdhsa_kernel
	.section	.text._ZN7rocprim17ROCPRIM_400000_NS6detail17trampoline_kernelINS0_14default_configENS1_20scan_config_selectorIN3c108BFloat16EEEZZNS1_9scan_implILNS1_25lookback_scan_determinismE0ELb0ELb0ES3_PKS6_PS6_S6_ZZZN2at6native31launch_logcumsumexp_cuda_kernelERKNSD_10TensorBaseESH_lENKUlvE_clEvENKUlvE4_clEvEUlS6_S6_E_S6_EEDaPvRmT3_T4_T5_mT6_P12ihipStream_tbENKUlT_T0_E_clISt17integral_constantIbLb1EESY_EEDaST_SU_EUlST_E_NS1_11comp_targetILNS1_3genE8ELNS1_11target_archE1030ELNS1_3gpuE2ELNS1_3repE0EEENS1_30default_config_static_selectorELNS0_4arch9wavefront6targetE1EEEvT1_,"axG",@progbits,_ZN7rocprim17ROCPRIM_400000_NS6detail17trampoline_kernelINS0_14default_configENS1_20scan_config_selectorIN3c108BFloat16EEEZZNS1_9scan_implILNS1_25lookback_scan_determinismE0ELb0ELb0ES3_PKS6_PS6_S6_ZZZN2at6native31launch_logcumsumexp_cuda_kernelERKNSD_10TensorBaseESH_lENKUlvE_clEvENKUlvE4_clEvEUlS6_S6_E_S6_EEDaPvRmT3_T4_T5_mT6_P12ihipStream_tbENKUlT_T0_E_clISt17integral_constantIbLb1EESY_EEDaST_SU_EUlST_E_NS1_11comp_targetILNS1_3genE8ELNS1_11target_archE1030ELNS1_3gpuE2ELNS1_3repE0EEENS1_30default_config_static_selectorELNS0_4arch9wavefront6targetE1EEEvT1_,comdat
.Lfunc_end473:
	.size	_ZN7rocprim17ROCPRIM_400000_NS6detail17trampoline_kernelINS0_14default_configENS1_20scan_config_selectorIN3c108BFloat16EEEZZNS1_9scan_implILNS1_25lookback_scan_determinismE0ELb0ELb0ES3_PKS6_PS6_S6_ZZZN2at6native31launch_logcumsumexp_cuda_kernelERKNSD_10TensorBaseESH_lENKUlvE_clEvENKUlvE4_clEvEUlS6_S6_E_S6_EEDaPvRmT3_T4_T5_mT6_P12ihipStream_tbENKUlT_T0_E_clISt17integral_constantIbLb1EESY_EEDaST_SU_EUlST_E_NS1_11comp_targetILNS1_3genE8ELNS1_11target_archE1030ELNS1_3gpuE2ELNS1_3repE0EEENS1_30default_config_static_selectorELNS0_4arch9wavefront6targetE1EEEvT1_, .Lfunc_end473-_ZN7rocprim17ROCPRIM_400000_NS6detail17trampoline_kernelINS0_14default_configENS1_20scan_config_selectorIN3c108BFloat16EEEZZNS1_9scan_implILNS1_25lookback_scan_determinismE0ELb0ELb0ES3_PKS6_PS6_S6_ZZZN2at6native31launch_logcumsumexp_cuda_kernelERKNSD_10TensorBaseESH_lENKUlvE_clEvENKUlvE4_clEvEUlS6_S6_E_S6_EEDaPvRmT3_T4_T5_mT6_P12ihipStream_tbENKUlT_T0_E_clISt17integral_constantIbLb1EESY_EEDaST_SU_EUlST_E_NS1_11comp_targetILNS1_3genE8ELNS1_11target_archE1030ELNS1_3gpuE2ELNS1_3repE0EEENS1_30default_config_static_selectorELNS0_4arch9wavefront6targetE1EEEvT1_
                                        ; -- End function
	.set _ZN7rocprim17ROCPRIM_400000_NS6detail17trampoline_kernelINS0_14default_configENS1_20scan_config_selectorIN3c108BFloat16EEEZZNS1_9scan_implILNS1_25lookback_scan_determinismE0ELb0ELb0ES3_PKS6_PS6_S6_ZZZN2at6native31launch_logcumsumexp_cuda_kernelERKNSD_10TensorBaseESH_lENKUlvE_clEvENKUlvE4_clEvEUlS6_S6_E_S6_EEDaPvRmT3_T4_T5_mT6_P12ihipStream_tbENKUlT_T0_E_clISt17integral_constantIbLb1EESY_EEDaST_SU_EUlST_E_NS1_11comp_targetILNS1_3genE8ELNS1_11target_archE1030ELNS1_3gpuE2ELNS1_3repE0EEENS1_30default_config_static_selectorELNS0_4arch9wavefront6targetE1EEEvT1_.num_vgpr, 0
	.set _ZN7rocprim17ROCPRIM_400000_NS6detail17trampoline_kernelINS0_14default_configENS1_20scan_config_selectorIN3c108BFloat16EEEZZNS1_9scan_implILNS1_25lookback_scan_determinismE0ELb0ELb0ES3_PKS6_PS6_S6_ZZZN2at6native31launch_logcumsumexp_cuda_kernelERKNSD_10TensorBaseESH_lENKUlvE_clEvENKUlvE4_clEvEUlS6_S6_E_S6_EEDaPvRmT3_T4_T5_mT6_P12ihipStream_tbENKUlT_T0_E_clISt17integral_constantIbLb1EESY_EEDaST_SU_EUlST_E_NS1_11comp_targetILNS1_3genE8ELNS1_11target_archE1030ELNS1_3gpuE2ELNS1_3repE0EEENS1_30default_config_static_selectorELNS0_4arch9wavefront6targetE1EEEvT1_.num_agpr, 0
	.set _ZN7rocprim17ROCPRIM_400000_NS6detail17trampoline_kernelINS0_14default_configENS1_20scan_config_selectorIN3c108BFloat16EEEZZNS1_9scan_implILNS1_25lookback_scan_determinismE0ELb0ELb0ES3_PKS6_PS6_S6_ZZZN2at6native31launch_logcumsumexp_cuda_kernelERKNSD_10TensorBaseESH_lENKUlvE_clEvENKUlvE4_clEvEUlS6_S6_E_S6_EEDaPvRmT3_T4_T5_mT6_P12ihipStream_tbENKUlT_T0_E_clISt17integral_constantIbLb1EESY_EEDaST_SU_EUlST_E_NS1_11comp_targetILNS1_3genE8ELNS1_11target_archE1030ELNS1_3gpuE2ELNS1_3repE0EEENS1_30default_config_static_selectorELNS0_4arch9wavefront6targetE1EEEvT1_.numbered_sgpr, 0
	.set _ZN7rocprim17ROCPRIM_400000_NS6detail17trampoline_kernelINS0_14default_configENS1_20scan_config_selectorIN3c108BFloat16EEEZZNS1_9scan_implILNS1_25lookback_scan_determinismE0ELb0ELb0ES3_PKS6_PS6_S6_ZZZN2at6native31launch_logcumsumexp_cuda_kernelERKNSD_10TensorBaseESH_lENKUlvE_clEvENKUlvE4_clEvEUlS6_S6_E_S6_EEDaPvRmT3_T4_T5_mT6_P12ihipStream_tbENKUlT_T0_E_clISt17integral_constantIbLb1EESY_EEDaST_SU_EUlST_E_NS1_11comp_targetILNS1_3genE8ELNS1_11target_archE1030ELNS1_3gpuE2ELNS1_3repE0EEENS1_30default_config_static_selectorELNS0_4arch9wavefront6targetE1EEEvT1_.num_named_barrier, 0
	.set _ZN7rocprim17ROCPRIM_400000_NS6detail17trampoline_kernelINS0_14default_configENS1_20scan_config_selectorIN3c108BFloat16EEEZZNS1_9scan_implILNS1_25lookback_scan_determinismE0ELb0ELb0ES3_PKS6_PS6_S6_ZZZN2at6native31launch_logcumsumexp_cuda_kernelERKNSD_10TensorBaseESH_lENKUlvE_clEvENKUlvE4_clEvEUlS6_S6_E_S6_EEDaPvRmT3_T4_T5_mT6_P12ihipStream_tbENKUlT_T0_E_clISt17integral_constantIbLb1EESY_EEDaST_SU_EUlST_E_NS1_11comp_targetILNS1_3genE8ELNS1_11target_archE1030ELNS1_3gpuE2ELNS1_3repE0EEENS1_30default_config_static_selectorELNS0_4arch9wavefront6targetE1EEEvT1_.private_seg_size, 0
	.set _ZN7rocprim17ROCPRIM_400000_NS6detail17trampoline_kernelINS0_14default_configENS1_20scan_config_selectorIN3c108BFloat16EEEZZNS1_9scan_implILNS1_25lookback_scan_determinismE0ELb0ELb0ES3_PKS6_PS6_S6_ZZZN2at6native31launch_logcumsumexp_cuda_kernelERKNSD_10TensorBaseESH_lENKUlvE_clEvENKUlvE4_clEvEUlS6_S6_E_S6_EEDaPvRmT3_T4_T5_mT6_P12ihipStream_tbENKUlT_T0_E_clISt17integral_constantIbLb1EESY_EEDaST_SU_EUlST_E_NS1_11comp_targetILNS1_3genE8ELNS1_11target_archE1030ELNS1_3gpuE2ELNS1_3repE0EEENS1_30default_config_static_selectorELNS0_4arch9wavefront6targetE1EEEvT1_.uses_vcc, 0
	.set _ZN7rocprim17ROCPRIM_400000_NS6detail17trampoline_kernelINS0_14default_configENS1_20scan_config_selectorIN3c108BFloat16EEEZZNS1_9scan_implILNS1_25lookback_scan_determinismE0ELb0ELb0ES3_PKS6_PS6_S6_ZZZN2at6native31launch_logcumsumexp_cuda_kernelERKNSD_10TensorBaseESH_lENKUlvE_clEvENKUlvE4_clEvEUlS6_S6_E_S6_EEDaPvRmT3_T4_T5_mT6_P12ihipStream_tbENKUlT_T0_E_clISt17integral_constantIbLb1EESY_EEDaST_SU_EUlST_E_NS1_11comp_targetILNS1_3genE8ELNS1_11target_archE1030ELNS1_3gpuE2ELNS1_3repE0EEENS1_30default_config_static_selectorELNS0_4arch9wavefront6targetE1EEEvT1_.uses_flat_scratch, 0
	.set _ZN7rocprim17ROCPRIM_400000_NS6detail17trampoline_kernelINS0_14default_configENS1_20scan_config_selectorIN3c108BFloat16EEEZZNS1_9scan_implILNS1_25lookback_scan_determinismE0ELb0ELb0ES3_PKS6_PS6_S6_ZZZN2at6native31launch_logcumsumexp_cuda_kernelERKNSD_10TensorBaseESH_lENKUlvE_clEvENKUlvE4_clEvEUlS6_S6_E_S6_EEDaPvRmT3_T4_T5_mT6_P12ihipStream_tbENKUlT_T0_E_clISt17integral_constantIbLb1EESY_EEDaST_SU_EUlST_E_NS1_11comp_targetILNS1_3genE8ELNS1_11target_archE1030ELNS1_3gpuE2ELNS1_3repE0EEENS1_30default_config_static_selectorELNS0_4arch9wavefront6targetE1EEEvT1_.has_dyn_sized_stack, 0
	.set _ZN7rocprim17ROCPRIM_400000_NS6detail17trampoline_kernelINS0_14default_configENS1_20scan_config_selectorIN3c108BFloat16EEEZZNS1_9scan_implILNS1_25lookback_scan_determinismE0ELb0ELb0ES3_PKS6_PS6_S6_ZZZN2at6native31launch_logcumsumexp_cuda_kernelERKNSD_10TensorBaseESH_lENKUlvE_clEvENKUlvE4_clEvEUlS6_S6_E_S6_EEDaPvRmT3_T4_T5_mT6_P12ihipStream_tbENKUlT_T0_E_clISt17integral_constantIbLb1EESY_EEDaST_SU_EUlST_E_NS1_11comp_targetILNS1_3genE8ELNS1_11target_archE1030ELNS1_3gpuE2ELNS1_3repE0EEENS1_30default_config_static_selectorELNS0_4arch9wavefront6targetE1EEEvT1_.has_recursion, 0
	.set _ZN7rocprim17ROCPRIM_400000_NS6detail17trampoline_kernelINS0_14default_configENS1_20scan_config_selectorIN3c108BFloat16EEEZZNS1_9scan_implILNS1_25lookback_scan_determinismE0ELb0ELb0ES3_PKS6_PS6_S6_ZZZN2at6native31launch_logcumsumexp_cuda_kernelERKNSD_10TensorBaseESH_lENKUlvE_clEvENKUlvE4_clEvEUlS6_S6_E_S6_EEDaPvRmT3_T4_T5_mT6_P12ihipStream_tbENKUlT_T0_E_clISt17integral_constantIbLb1EESY_EEDaST_SU_EUlST_E_NS1_11comp_targetILNS1_3genE8ELNS1_11target_archE1030ELNS1_3gpuE2ELNS1_3repE0EEENS1_30default_config_static_selectorELNS0_4arch9wavefront6targetE1EEEvT1_.has_indirect_call, 0
	.section	.AMDGPU.csdata,"",@progbits
; Kernel info:
; codeLenInByte = 0
; TotalNumSgprs: 4
; NumVgprs: 0
; ScratchSize: 0
; MemoryBound: 0
; FloatMode: 240
; IeeeMode: 1
; LDSByteSize: 0 bytes/workgroup (compile time only)
; SGPRBlocks: 0
; VGPRBlocks: 0
; NumSGPRsForWavesPerEU: 4
; NumVGPRsForWavesPerEU: 1
; Occupancy: 10
; WaveLimiterHint : 0
; COMPUTE_PGM_RSRC2:SCRATCH_EN: 0
; COMPUTE_PGM_RSRC2:USER_SGPR: 6
; COMPUTE_PGM_RSRC2:TRAP_HANDLER: 0
; COMPUTE_PGM_RSRC2:TGID_X_EN: 1
; COMPUTE_PGM_RSRC2:TGID_Y_EN: 0
; COMPUTE_PGM_RSRC2:TGID_Z_EN: 0
; COMPUTE_PGM_RSRC2:TIDIG_COMP_CNT: 0
	.section	.text._ZN7rocprim17ROCPRIM_400000_NS6detail17trampoline_kernelINS0_14default_configENS1_20scan_config_selectorIN3c108BFloat16EEEZZNS1_9scan_implILNS1_25lookback_scan_determinismE0ELb0ELb0ES3_PKS6_PS6_S6_ZZZN2at6native31launch_logcumsumexp_cuda_kernelERKNSD_10TensorBaseESH_lENKUlvE_clEvENKUlvE4_clEvEUlS6_S6_E_S6_EEDaPvRmT3_T4_T5_mT6_P12ihipStream_tbENKUlT_T0_E_clISt17integral_constantIbLb1EESY_EEDaST_SU_EUlST_E0_NS1_11comp_targetILNS1_3genE0ELNS1_11target_archE4294967295ELNS1_3gpuE0ELNS1_3repE0EEENS1_30default_config_static_selectorELNS0_4arch9wavefront6targetE1EEEvT1_,"axG",@progbits,_ZN7rocprim17ROCPRIM_400000_NS6detail17trampoline_kernelINS0_14default_configENS1_20scan_config_selectorIN3c108BFloat16EEEZZNS1_9scan_implILNS1_25lookback_scan_determinismE0ELb0ELb0ES3_PKS6_PS6_S6_ZZZN2at6native31launch_logcumsumexp_cuda_kernelERKNSD_10TensorBaseESH_lENKUlvE_clEvENKUlvE4_clEvEUlS6_S6_E_S6_EEDaPvRmT3_T4_T5_mT6_P12ihipStream_tbENKUlT_T0_E_clISt17integral_constantIbLb1EESY_EEDaST_SU_EUlST_E0_NS1_11comp_targetILNS1_3genE0ELNS1_11target_archE4294967295ELNS1_3gpuE0ELNS1_3repE0EEENS1_30default_config_static_selectorELNS0_4arch9wavefront6targetE1EEEvT1_,comdat
	.globl	_ZN7rocprim17ROCPRIM_400000_NS6detail17trampoline_kernelINS0_14default_configENS1_20scan_config_selectorIN3c108BFloat16EEEZZNS1_9scan_implILNS1_25lookback_scan_determinismE0ELb0ELb0ES3_PKS6_PS6_S6_ZZZN2at6native31launch_logcumsumexp_cuda_kernelERKNSD_10TensorBaseESH_lENKUlvE_clEvENKUlvE4_clEvEUlS6_S6_E_S6_EEDaPvRmT3_T4_T5_mT6_P12ihipStream_tbENKUlT_T0_E_clISt17integral_constantIbLb1EESY_EEDaST_SU_EUlST_E0_NS1_11comp_targetILNS1_3genE0ELNS1_11target_archE4294967295ELNS1_3gpuE0ELNS1_3repE0EEENS1_30default_config_static_selectorELNS0_4arch9wavefront6targetE1EEEvT1_ ; -- Begin function _ZN7rocprim17ROCPRIM_400000_NS6detail17trampoline_kernelINS0_14default_configENS1_20scan_config_selectorIN3c108BFloat16EEEZZNS1_9scan_implILNS1_25lookback_scan_determinismE0ELb0ELb0ES3_PKS6_PS6_S6_ZZZN2at6native31launch_logcumsumexp_cuda_kernelERKNSD_10TensorBaseESH_lENKUlvE_clEvENKUlvE4_clEvEUlS6_S6_E_S6_EEDaPvRmT3_T4_T5_mT6_P12ihipStream_tbENKUlT_T0_E_clISt17integral_constantIbLb1EESY_EEDaST_SU_EUlST_E0_NS1_11comp_targetILNS1_3genE0ELNS1_11target_archE4294967295ELNS1_3gpuE0ELNS1_3repE0EEENS1_30default_config_static_selectorELNS0_4arch9wavefront6targetE1EEEvT1_
	.p2align	8
	.type	_ZN7rocprim17ROCPRIM_400000_NS6detail17trampoline_kernelINS0_14default_configENS1_20scan_config_selectorIN3c108BFloat16EEEZZNS1_9scan_implILNS1_25lookback_scan_determinismE0ELb0ELb0ES3_PKS6_PS6_S6_ZZZN2at6native31launch_logcumsumexp_cuda_kernelERKNSD_10TensorBaseESH_lENKUlvE_clEvENKUlvE4_clEvEUlS6_S6_E_S6_EEDaPvRmT3_T4_T5_mT6_P12ihipStream_tbENKUlT_T0_E_clISt17integral_constantIbLb1EESY_EEDaST_SU_EUlST_E0_NS1_11comp_targetILNS1_3genE0ELNS1_11target_archE4294967295ELNS1_3gpuE0ELNS1_3repE0EEENS1_30default_config_static_selectorELNS0_4arch9wavefront6targetE1EEEvT1_,@function
_ZN7rocprim17ROCPRIM_400000_NS6detail17trampoline_kernelINS0_14default_configENS1_20scan_config_selectorIN3c108BFloat16EEEZZNS1_9scan_implILNS1_25lookback_scan_determinismE0ELb0ELb0ES3_PKS6_PS6_S6_ZZZN2at6native31launch_logcumsumexp_cuda_kernelERKNSD_10TensorBaseESH_lENKUlvE_clEvENKUlvE4_clEvEUlS6_S6_E_S6_EEDaPvRmT3_T4_T5_mT6_P12ihipStream_tbENKUlT_T0_E_clISt17integral_constantIbLb1EESY_EEDaST_SU_EUlST_E0_NS1_11comp_targetILNS1_3genE0ELNS1_11target_archE4294967295ELNS1_3gpuE0ELNS1_3repE0EEENS1_30default_config_static_selectorELNS0_4arch9wavefront6targetE1EEEvT1_: ; @_ZN7rocprim17ROCPRIM_400000_NS6detail17trampoline_kernelINS0_14default_configENS1_20scan_config_selectorIN3c108BFloat16EEEZZNS1_9scan_implILNS1_25lookback_scan_determinismE0ELb0ELb0ES3_PKS6_PS6_S6_ZZZN2at6native31launch_logcumsumexp_cuda_kernelERKNSD_10TensorBaseESH_lENKUlvE_clEvENKUlvE4_clEvEUlS6_S6_E_S6_EEDaPvRmT3_T4_T5_mT6_P12ihipStream_tbENKUlT_T0_E_clISt17integral_constantIbLb1EESY_EEDaST_SU_EUlST_E0_NS1_11comp_targetILNS1_3genE0ELNS1_11target_archE4294967295ELNS1_3gpuE0ELNS1_3repE0EEENS1_30default_config_static_selectorELNS0_4arch9wavefront6targetE1EEEvT1_
; %bb.0:
	.section	.rodata,"a",@progbits
	.p2align	6, 0x0
	.amdhsa_kernel _ZN7rocprim17ROCPRIM_400000_NS6detail17trampoline_kernelINS0_14default_configENS1_20scan_config_selectorIN3c108BFloat16EEEZZNS1_9scan_implILNS1_25lookback_scan_determinismE0ELb0ELb0ES3_PKS6_PS6_S6_ZZZN2at6native31launch_logcumsumexp_cuda_kernelERKNSD_10TensorBaseESH_lENKUlvE_clEvENKUlvE4_clEvEUlS6_S6_E_S6_EEDaPvRmT3_T4_T5_mT6_P12ihipStream_tbENKUlT_T0_E_clISt17integral_constantIbLb1EESY_EEDaST_SU_EUlST_E0_NS1_11comp_targetILNS1_3genE0ELNS1_11target_archE4294967295ELNS1_3gpuE0ELNS1_3repE0EEENS1_30default_config_static_selectorELNS0_4arch9wavefront6targetE1EEEvT1_
		.amdhsa_group_segment_fixed_size 0
		.amdhsa_private_segment_fixed_size 0
		.amdhsa_kernarg_size 32
		.amdhsa_user_sgpr_count 6
		.amdhsa_user_sgpr_private_segment_buffer 1
		.amdhsa_user_sgpr_dispatch_ptr 0
		.amdhsa_user_sgpr_queue_ptr 0
		.amdhsa_user_sgpr_kernarg_segment_ptr 1
		.amdhsa_user_sgpr_dispatch_id 0
		.amdhsa_user_sgpr_flat_scratch_init 0
		.amdhsa_user_sgpr_private_segment_size 0
		.amdhsa_uses_dynamic_stack 0
		.amdhsa_system_sgpr_private_segment_wavefront_offset 0
		.amdhsa_system_sgpr_workgroup_id_x 1
		.amdhsa_system_sgpr_workgroup_id_y 0
		.amdhsa_system_sgpr_workgroup_id_z 0
		.amdhsa_system_sgpr_workgroup_info 0
		.amdhsa_system_vgpr_workitem_id 0
		.amdhsa_next_free_vgpr 1
		.amdhsa_next_free_sgpr 0
		.amdhsa_reserve_vcc 0
		.amdhsa_reserve_flat_scratch 0
		.amdhsa_float_round_mode_32 0
		.amdhsa_float_round_mode_16_64 0
		.amdhsa_float_denorm_mode_32 3
		.amdhsa_float_denorm_mode_16_64 3
		.amdhsa_dx10_clamp 1
		.amdhsa_ieee_mode 1
		.amdhsa_fp16_overflow 0
		.amdhsa_exception_fp_ieee_invalid_op 0
		.amdhsa_exception_fp_denorm_src 0
		.amdhsa_exception_fp_ieee_div_zero 0
		.amdhsa_exception_fp_ieee_overflow 0
		.amdhsa_exception_fp_ieee_underflow 0
		.amdhsa_exception_fp_ieee_inexact 0
		.amdhsa_exception_int_div_zero 0
	.end_amdhsa_kernel
	.section	.text._ZN7rocprim17ROCPRIM_400000_NS6detail17trampoline_kernelINS0_14default_configENS1_20scan_config_selectorIN3c108BFloat16EEEZZNS1_9scan_implILNS1_25lookback_scan_determinismE0ELb0ELb0ES3_PKS6_PS6_S6_ZZZN2at6native31launch_logcumsumexp_cuda_kernelERKNSD_10TensorBaseESH_lENKUlvE_clEvENKUlvE4_clEvEUlS6_S6_E_S6_EEDaPvRmT3_T4_T5_mT6_P12ihipStream_tbENKUlT_T0_E_clISt17integral_constantIbLb1EESY_EEDaST_SU_EUlST_E0_NS1_11comp_targetILNS1_3genE0ELNS1_11target_archE4294967295ELNS1_3gpuE0ELNS1_3repE0EEENS1_30default_config_static_selectorELNS0_4arch9wavefront6targetE1EEEvT1_,"axG",@progbits,_ZN7rocprim17ROCPRIM_400000_NS6detail17trampoline_kernelINS0_14default_configENS1_20scan_config_selectorIN3c108BFloat16EEEZZNS1_9scan_implILNS1_25lookback_scan_determinismE0ELb0ELb0ES3_PKS6_PS6_S6_ZZZN2at6native31launch_logcumsumexp_cuda_kernelERKNSD_10TensorBaseESH_lENKUlvE_clEvENKUlvE4_clEvEUlS6_S6_E_S6_EEDaPvRmT3_T4_T5_mT6_P12ihipStream_tbENKUlT_T0_E_clISt17integral_constantIbLb1EESY_EEDaST_SU_EUlST_E0_NS1_11comp_targetILNS1_3genE0ELNS1_11target_archE4294967295ELNS1_3gpuE0ELNS1_3repE0EEENS1_30default_config_static_selectorELNS0_4arch9wavefront6targetE1EEEvT1_,comdat
.Lfunc_end474:
	.size	_ZN7rocprim17ROCPRIM_400000_NS6detail17trampoline_kernelINS0_14default_configENS1_20scan_config_selectorIN3c108BFloat16EEEZZNS1_9scan_implILNS1_25lookback_scan_determinismE0ELb0ELb0ES3_PKS6_PS6_S6_ZZZN2at6native31launch_logcumsumexp_cuda_kernelERKNSD_10TensorBaseESH_lENKUlvE_clEvENKUlvE4_clEvEUlS6_S6_E_S6_EEDaPvRmT3_T4_T5_mT6_P12ihipStream_tbENKUlT_T0_E_clISt17integral_constantIbLb1EESY_EEDaST_SU_EUlST_E0_NS1_11comp_targetILNS1_3genE0ELNS1_11target_archE4294967295ELNS1_3gpuE0ELNS1_3repE0EEENS1_30default_config_static_selectorELNS0_4arch9wavefront6targetE1EEEvT1_, .Lfunc_end474-_ZN7rocprim17ROCPRIM_400000_NS6detail17trampoline_kernelINS0_14default_configENS1_20scan_config_selectorIN3c108BFloat16EEEZZNS1_9scan_implILNS1_25lookback_scan_determinismE0ELb0ELb0ES3_PKS6_PS6_S6_ZZZN2at6native31launch_logcumsumexp_cuda_kernelERKNSD_10TensorBaseESH_lENKUlvE_clEvENKUlvE4_clEvEUlS6_S6_E_S6_EEDaPvRmT3_T4_T5_mT6_P12ihipStream_tbENKUlT_T0_E_clISt17integral_constantIbLb1EESY_EEDaST_SU_EUlST_E0_NS1_11comp_targetILNS1_3genE0ELNS1_11target_archE4294967295ELNS1_3gpuE0ELNS1_3repE0EEENS1_30default_config_static_selectorELNS0_4arch9wavefront6targetE1EEEvT1_
                                        ; -- End function
	.set _ZN7rocprim17ROCPRIM_400000_NS6detail17trampoline_kernelINS0_14default_configENS1_20scan_config_selectorIN3c108BFloat16EEEZZNS1_9scan_implILNS1_25lookback_scan_determinismE0ELb0ELb0ES3_PKS6_PS6_S6_ZZZN2at6native31launch_logcumsumexp_cuda_kernelERKNSD_10TensorBaseESH_lENKUlvE_clEvENKUlvE4_clEvEUlS6_S6_E_S6_EEDaPvRmT3_T4_T5_mT6_P12ihipStream_tbENKUlT_T0_E_clISt17integral_constantIbLb1EESY_EEDaST_SU_EUlST_E0_NS1_11comp_targetILNS1_3genE0ELNS1_11target_archE4294967295ELNS1_3gpuE0ELNS1_3repE0EEENS1_30default_config_static_selectorELNS0_4arch9wavefront6targetE1EEEvT1_.num_vgpr, 0
	.set _ZN7rocprim17ROCPRIM_400000_NS6detail17trampoline_kernelINS0_14default_configENS1_20scan_config_selectorIN3c108BFloat16EEEZZNS1_9scan_implILNS1_25lookback_scan_determinismE0ELb0ELb0ES3_PKS6_PS6_S6_ZZZN2at6native31launch_logcumsumexp_cuda_kernelERKNSD_10TensorBaseESH_lENKUlvE_clEvENKUlvE4_clEvEUlS6_S6_E_S6_EEDaPvRmT3_T4_T5_mT6_P12ihipStream_tbENKUlT_T0_E_clISt17integral_constantIbLb1EESY_EEDaST_SU_EUlST_E0_NS1_11comp_targetILNS1_3genE0ELNS1_11target_archE4294967295ELNS1_3gpuE0ELNS1_3repE0EEENS1_30default_config_static_selectorELNS0_4arch9wavefront6targetE1EEEvT1_.num_agpr, 0
	.set _ZN7rocprim17ROCPRIM_400000_NS6detail17trampoline_kernelINS0_14default_configENS1_20scan_config_selectorIN3c108BFloat16EEEZZNS1_9scan_implILNS1_25lookback_scan_determinismE0ELb0ELb0ES3_PKS6_PS6_S6_ZZZN2at6native31launch_logcumsumexp_cuda_kernelERKNSD_10TensorBaseESH_lENKUlvE_clEvENKUlvE4_clEvEUlS6_S6_E_S6_EEDaPvRmT3_T4_T5_mT6_P12ihipStream_tbENKUlT_T0_E_clISt17integral_constantIbLb1EESY_EEDaST_SU_EUlST_E0_NS1_11comp_targetILNS1_3genE0ELNS1_11target_archE4294967295ELNS1_3gpuE0ELNS1_3repE0EEENS1_30default_config_static_selectorELNS0_4arch9wavefront6targetE1EEEvT1_.numbered_sgpr, 0
	.set _ZN7rocprim17ROCPRIM_400000_NS6detail17trampoline_kernelINS0_14default_configENS1_20scan_config_selectorIN3c108BFloat16EEEZZNS1_9scan_implILNS1_25lookback_scan_determinismE0ELb0ELb0ES3_PKS6_PS6_S6_ZZZN2at6native31launch_logcumsumexp_cuda_kernelERKNSD_10TensorBaseESH_lENKUlvE_clEvENKUlvE4_clEvEUlS6_S6_E_S6_EEDaPvRmT3_T4_T5_mT6_P12ihipStream_tbENKUlT_T0_E_clISt17integral_constantIbLb1EESY_EEDaST_SU_EUlST_E0_NS1_11comp_targetILNS1_3genE0ELNS1_11target_archE4294967295ELNS1_3gpuE0ELNS1_3repE0EEENS1_30default_config_static_selectorELNS0_4arch9wavefront6targetE1EEEvT1_.num_named_barrier, 0
	.set _ZN7rocprim17ROCPRIM_400000_NS6detail17trampoline_kernelINS0_14default_configENS1_20scan_config_selectorIN3c108BFloat16EEEZZNS1_9scan_implILNS1_25lookback_scan_determinismE0ELb0ELb0ES3_PKS6_PS6_S6_ZZZN2at6native31launch_logcumsumexp_cuda_kernelERKNSD_10TensorBaseESH_lENKUlvE_clEvENKUlvE4_clEvEUlS6_S6_E_S6_EEDaPvRmT3_T4_T5_mT6_P12ihipStream_tbENKUlT_T0_E_clISt17integral_constantIbLb1EESY_EEDaST_SU_EUlST_E0_NS1_11comp_targetILNS1_3genE0ELNS1_11target_archE4294967295ELNS1_3gpuE0ELNS1_3repE0EEENS1_30default_config_static_selectorELNS0_4arch9wavefront6targetE1EEEvT1_.private_seg_size, 0
	.set _ZN7rocprim17ROCPRIM_400000_NS6detail17trampoline_kernelINS0_14default_configENS1_20scan_config_selectorIN3c108BFloat16EEEZZNS1_9scan_implILNS1_25lookback_scan_determinismE0ELb0ELb0ES3_PKS6_PS6_S6_ZZZN2at6native31launch_logcumsumexp_cuda_kernelERKNSD_10TensorBaseESH_lENKUlvE_clEvENKUlvE4_clEvEUlS6_S6_E_S6_EEDaPvRmT3_T4_T5_mT6_P12ihipStream_tbENKUlT_T0_E_clISt17integral_constantIbLb1EESY_EEDaST_SU_EUlST_E0_NS1_11comp_targetILNS1_3genE0ELNS1_11target_archE4294967295ELNS1_3gpuE0ELNS1_3repE0EEENS1_30default_config_static_selectorELNS0_4arch9wavefront6targetE1EEEvT1_.uses_vcc, 0
	.set _ZN7rocprim17ROCPRIM_400000_NS6detail17trampoline_kernelINS0_14default_configENS1_20scan_config_selectorIN3c108BFloat16EEEZZNS1_9scan_implILNS1_25lookback_scan_determinismE0ELb0ELb0ES3_PKS6_PS6_S6_ZZZN2at6native31launch_logcumsumexp_cuda_kernelERKNSD_10TensorBaseESH_lENKUlvE_clEvENKUlvE4_clEvEUlS6_S6_E_S6_EEDaPvRmT3_T4_T5_mT6_P12ihipStream_tbENKUlT_T0_E_clISt17integral_constantIbLb1EESY_EEDaST_SU_EUlST_E0_NS1_11comp_targetILNS1_3genE0ELNS1_11target_archE4294967295ELNS1_3gpuE0ELNS1_3repE0EEENS1_30default_config_static_selectorELNS0_4arch9wavefront6targetE1EEEvT1_.uses_flat_scratch, 0
	.set _ZN7rocprim17ROCPRIM_400000_NS6detail17trampoline_kernelINS0_14default_configENS1_20scan_config_selectorIN3c108BFloat16EEEZZNS1_9scan_implILNS1_25lookback_scan_determinismE0ELb0ELb0ES3_PKS6_PS6_S6_ZZZN2at6native31launch_logcumsumexp_cuda_kernelERKNSD_10TensorBaseESH_lENKUlvE_clEvENKUlvE4_clEvEUlS6_S6_E_S6_EEDaPvRmT3_T4_T5_mT6_P12ihipStream_tbENKUlT_T0_E_clISt17integral_constantIbLb1EESY_EEDaST_SU_EUlST_E0_NS1_11comp_targetILNS1_3genE0ELNS1_11target_archE4294967295ELNS1_3gpuE0ELNS1_3repE0EEENS1_30default_config_static_selectorELNS0_4arch9wavefront6targetE1EEEvT1_.has_dyn_sized_stack, 0
	.set _ZN7rocprim17ROCPRIM_400000_NS6detail17trampoline_kernelINS0_14default_configENS1_20scan_config_selectorIN3c108BFloat16EEEZZNS1_9scan_implILNS1_25lookback_scan_determinismE0ELb0ELb0ES3_PKS6_PS6_S6_ZZZN2at6native31launch_logcumsumexp_cuda_kernelERKNSD_10TensorBaseESH_lENKUlvE_clEvENKUlvE4_clEvEUlS6_S6_E_S6_EEDaPvRmT3_T4_T5_mT6_P12ihipStream_tbENKUlT_T0_E_clISt17integral_constantIbLb1EESY_EEDaST_SU_EUlST_E0_NS1_11comp_targetILNS1_3genE0ELNS1_11target_archE4294967295ELNS1_3gpuE0ELNS1_3repE0EEENS1_30default_config_static_selectorELNS0_4arch9wavefront6targetE1EEEvT1_.has_recursion, 0
	.set _ZN7rocprim17ROCPRIM_400000_NS6detail17trampoline_kernelINS0_14default_configENS1_20scan_config_selectorIN3c108BFloat16EEEZZNS1_9scan_implILNS1_25lookback_scan_determinismE0ELb0ELb0ES3_PKS6_PS6_S6_ZZZN2at6native31launch_logcumsumexp_cuda_kernelERKNSD_10TensorBaseESH_lENKUlvE_clEvENKUlvE4_clEvEUlS6_S6_E_S6_EEDaPvRmT3_T4_T5_mT6_P12ihipStream_tbENKUlT_T0_E_clISt17integral_constantIbLb1EESY_EEDaST_SU_EUlST_E0_NS1_11comp_targetILNS1_3genE0ELNS1_11target_archE4294967295ELNS1_3gpuE0ELNS1_3repE0EEENS1_30default_config_static_selectorELNS0_4arch9wavefront6targetE1EEEvT1_.has_indirect_call, 0
	.section	.AMDGPU.csdata,"",@progbits
; Kernel info:
; codeLenInByte = 0
; TotalNumSgprs: 4
; NumVgprs: 0
; ScratchSize: 0
; MemoryBound: 0
; FloatMode: 240
; IeeeMode: 1
; LDSByteSize: 0 bytes/workgroup (compile time only)
; SGPRBlocks: 0
; VGPRBlocks: 0
; NumSGPRsForWavesPerEU: 4
; NumVGPRsForWavesPerEU: 1
; Occupancy: 10
; WaveLimiterHint : 0
; COMPUTE_PGM_RSRC2:SCRATCH_EN: 0
; COMPUTE_PGM_RSRC2:USER_SGPR: 6
; COMPUTE_PGM_RSRC2:TRAP_HANDLER: 0
; COMPUTE_PGM_RSRC2:TGID_X_EN: 1
; COMPUTE_PGM_RSRC2:TGID_Y_EN: 0
; COMPUTE_PGM_RSRC2:TGID_Z_EN: 0
; COMPUTE_PGM_RSRC2:TIDIG_COMP_CNT: 0
	.section	.text._ZN7rocprim17ROCPRIM_400000_NS6detail17trampoline_kernelINS0_14default_configENS1_20scan_config_selectorIN3c108BFloat16EEEZZNS1_9scan_implILNS1_25lookback_scan_determinismE0ELb0ELb0ES3_PKS6_PS6_S6_ZZZN2at6native31launch_logcumsumexp_cuda_kernelERKNSD_10TensorBaseESH_lENKUlvE_clEvENKUlvE4_clEvEUlS6_S6_E_S6_EEDaPvRmT3_T4_T5_mT6_P12ihipStream_tbENKUlT_T0_E_clISt17integral_constantIbLb1EESY_EEDaST_SU_EUlST_E0_NS1_11comp_targetILNS1_3genE5ELNS1_11target_archE942ELNS1_3gpuE9ELNS1_3repE0EEENS1_30default_config_static_selectorELNS0_4arch9wavefront6targetE1EEEvT1_,"axG",@progbits,_ZN7rocprim17ROCPRIM_400000_NS6detail17trampoline_kernelINS0_14default_configENS1_20scan_config_selectorIN3c108BFloat16EEEZZNS1_9scan_implILNS1_25lookback_scan_determinismE0ELb0ELb0ES3_PKS6_PS6_S6_ZZZN2at6native31launch_logcumsumexp_cuda_kernelERKNSD_10TensorBaseESH_lENKUlvE_clEvENKUlvE4_clEvEUlS6_S6_E_S6_EEDaPvRmT3_T4_T5_mT6_P12ihipStream_tbENKUlT_T0_E_clISt17integral_constantIbLb1EESY_EEDaST_SU_EUlST_E0_NS1_11comp_targetILNS1_3genE5ELNS1_11target_archE942ELNS1_3gpuE9ELNS1_3repE0EEENS1_30default_config_static_selectorELNS0_4arch9wavefront6targetE1EEEvT1_,comdat
	.globl	_ZN7rocprim17ROCPRIM_400000_NS6detail17trampoline_kernelINS0_14default_configENS1_20scan_config_selectorIN3c108BFloat16EEEZZNS1_9scan_implILNS1_25lookback_scan_determinismE0ELb0ELb0ES3_PKS6_PS6_S6_ZZZN2at6native31launch_logcumsumexp_cuda_kernelERKNSD_10TensorBaseESH_lENKUlvE_clEvENKUlvE4_clEvEUlS6_S6_E_S6_EEDaPvRmT3_T4_T5_mT6_P12ihipStream_tbENKUlT_T0_E_clISt17integral_constantIbLb1EESY_EEDaST_SU_EUlST_E0_NS1_11comp_targetILNS1_3genE5ELNS1_11target_archE942ELNS1_3gpuE9ELNS1_3repE0EEENS1_30default_config_static_selectorELNS0_4arch9wavefront6targetE1EEEvT1_ ; -- Begin function _ZN7rocprim17ROCPRIM_400000_NS6detail17trampoline_kernelINS0_14default_configENS1_20scan_config_selectorIN3c108BFloat16EEEZZNS1_9scan_implILNS1_25lookback_scan_determinismE0ELb0ELb0ES3_PKS6_PS6_S6_ZZZN2at6native31launch_logcumsumexp_cuda_kernelERKNSD_10TensorBaseESH_lENKUlvE_clEvENKUlvE4_clEvEUlS6_S6_E_S6_EEDaPvRmT3_T4_T5_mT6_P12ihipStream_tbENKUlT_T0_E_clISt17integral_constantIbLb1EESY_EEDaST_SU_EUlST_E0_NS1_11comp_targetILNS1_3genE5ELNS1_11target_archE942ELNS1_3gpuE9ELNS1_3repE0EEENS1_30default_config_static_selectorELNS0_4arch9wavefront6targetE1EEEvT1_
	.p2align	8
	.type	_ZN7rocprim17ROCPRIM_400000_NS6detail17trampoline_kernelINS0_14default_configENS1_20scan_config_selectorIN3c108BFloat16EEEZZNS1_9scan_implILNS1_25lookback_scan_determinismE0ELb0ELb0ES3_PKS6_PS6_S6_ZZZN2at6native31launch_logcumsumexp_cuda_kernelERKNSD_10TensorBaseESH_lENKUlvE_clEvENKUlvE4_clEvEUlS6_S6_E_S6_EEDaPvRmT3_T4_T5_mT6_P12ihipStream_tbENKUlT_T0_E_clISt17integral_constantIbLb1EESY_EEDaST_SU_EUlST_E0_NS1_11comp_targetILNS1_3genE5ELNS1_11target_archE942ELNS1_3gpuE9ELNS1_3repE0EEENS1_30default_config_static_selectorELNS0_4arch9wavefront6targetE1EEEvT1_,@function
_ZN7rocprim17ROCPRIM_400000_NS6detail17trampoline_kernelINS0_14default_configENS1_20scan_config_selectorIN3c108BFloat16EEEZZNS1_9scan_implILNS1_25lookback_scan_determinismE0ELb0ELb0ES3_PKS6_PS6_S6_ZZZN2at6native31launch_logcumsumexp_cuda_kernelERKNSD_10TensorBaseESH_lENKUlvE_clEvENKUlvE4_clEvEUlS6_S6_E_S6_EEDaPvRmT3_T4_T5_mT6_P12ihipStream_tbENKUlT_T0_E_clISt17integral_constantIbLb1EESY_EEDaST_SU_EUlST_E0_NS1_11comp_targetILNS1_3genE5ELNS1_11target_archE942ELNS1_3gpuE9ELNS1_3repE0EEENS1_30default_config_static_selectorELNS0_4arch9wavefront6targetE1EEEvT1_: ; @_ZN7rocprim17ROCPRIM_400000_NS6detail17trampoline_kernelINS0_14default_configENS1_20scan_config_selectorIN3c108BFloat16EEEZZNS1_9scan_implILNS1_25lookback_scan_determinismE0ELb0ELb0ES3_PKS6_PS6_S6_ZZZN2at6native31launch_logcumsumexp_cuda_kernelERKNSD_10TensorBaseESH_lENKUlvE_clEvENKUlvE4_clEvEUlS6_S6_E_S6_EEDaPvRmT3_T4_T5_mT6_P12ihipStream_tbENKUlT_T0_E_clISt17integral_constantIbLb1EESY_EEDaST_SU_EUlST_E0_NS1_11comp_targetILNS1_3genE5ELNS1_11target_archE942ELNS1_3gpuE9ELNS1_3repE0EEENS1_30default_config_static_selectorELNS0_4arch9wavefront6targetE1EEEvT1_
; %bb.0:
	.section	.rodata,"a",@progbits
	.p2align	6, 0x0
	.amdhsa_kernel _ZN7rocprim17ROCPRIM_400000_NS6detail17trampoline_kernelINS0_14default_configENS1_20scan_config_selectorIN3c108BFloat16EEEZZNS1_9scan_implILNS1_25lookback_scan_determinismE0ELb0ELb0ES3_PKS6_PS6_S6_ZZZN2at6native31launch_logcumsumexp_cuda_kernelERKNSD_10TensorBaseESH_lENKUlvE_clEvENKUlvE4_clEvEUlS6_S6_E_S6_EEDaPvRmT3_T4_T5_mT6_P12ihipStream_tbENKUlT_T0_E_clISt17integral_constantIbLb1EESY_EEDaST_SU_EUlST_E0_NS1_11comp_targetILNS1_3genE5ELNS1_11target_archE942ELNS1_3gpuE9ELNS1_3repE0EEENS1_30default_config_static_selectorELNS0_4arch9wavefront6targetE1EEEvT1_
		.amdhsa_group_segment_fixed_size 0
		.amdhsa_private_segment_fixed_size 0
		.amdhsa_kernarg_size 32
		.amdhsa_user_sgpr_count 6
		.amdhsa_user_sgpr_private_segment_buffer 1
		.amdhsa_user_sgpr_dispatch_ptr 0
		.amdhsa_user_sgpr_queue_ptr 0
		.amdhsa_user_sgpr_kernarg_segment_ptr 1
		.amdhsa_user_sgpr_dispatch_id 0
		.amdhsa_user_sgpr_flat_scratch_init 0
		.amdhsa_user_sgpr_private_segment_size 0
		.amdhsa_uses_dynamic_stack 0
		.amdhsa_system_sgpr_private_segment_wavefront_offset 0
		.amdhsa_system_sgpr_workgroup_id_x 1
		.amdhsa_system_sgpr_workgroup_id_y 0
		.amdhsa_system_sgpr_workgroup_id_z 0
		.amdhsa_system_sgpr_workgroup_info 0
		.amdhsa_system_vgpr_workitem_id 0
		.amdhsa_next_free_vgpr 1
		.amdhsa_next_free_sgpr 0
		.amdhsa_reserve_vcc 0
		.amdhsa_reserve_flat_scratch 0
		.amdhsa_float_round_mode_32 0
		.amdhsa_float_round_mode_16_64 0
		.amdhsa_float_denorm_mode_32 3
		.amdhsa_float_denorm_mode_16_64 3
		.amdhsa_dx10_clamp 1
		.amdhsa_ieee_mode 1
		.amdhsa_fp16_overflow 0
		.amdhsa_exception_fp_ieee_invalid_op 0
		.amdhsa_exception_fp_denorm_src 0
		.amdhsa_exception_fp_ieee_div_zero 0
		.amdhsa_exception_fp_ieee_overflow 0
		.amdhsa_exception_fp_ieee_underflow 0
		.amdhsa_exception_fp_ieee_inexact 0
		.amdhsa_exception_int_div_zero 0
	.end_amdhsa_kernel
	.section	.text._ZN7rocprim17ROCPRIM_400000_NS6detail17trampoline_kernelINS0_14default_configENS1_20scan_config_selectorIN3c108BFloat16EEEZZNS1_9scan_implILNS1_25lookback_scan_determinismE0ELb0ELb0ES3_PKS6_PS6_S6_ZZZN2at6native31launch_logcumsumexp_cuda_kernelERKNSD_10TensorBaseESH_lENKUlvE_clEvENKUlvE4_clEvEUlS6_S6_E_S6_EEDaPvRmT3_T4_T5_mT6_P12ihipStream_tbENKUlT_T0_E_clISt17integral_constantIbLb1EESY_EEDaST_SU_EUlST_E0_NS1_11comp_targetILNS1_3genE5ELNS1_11target_archE942ELNS1_3gpuE9ELNS1_3repE0EEENS1_30default_config_static_selectorELNS0_4arch9wavefront6targetE1EEEvT1_,"axG",@progbits,_ZN7rocprim17ROCPRIM_400000_NS6detail17trampoline_kernelINS0_14default_configENS1_20scan_config_selectorIN3c108BFloat16EEEZZNS1_9scan_implILNS1_25lookback_scan_determinismE0ELb0ELb0ES3_PKS6_PS6_S6_ZZZN2at6native31launch_logcumsumexp_cuda_kernelERKNSD_10TensorBaseESH_lENKUlvE_clEvENKUlvE4_clEvEUlS6_S6_E_S6_EEDaPvRmT3_T4_T5_mT6_P12ihipStream_tbENKUlT_T0_E_clISt17integral_constantIbLb1EESY_EEDaST_SU_EUlST_E0_NS1_11comp_targetILNS1_3genE5ELNS1_11target_archE942ELNS1_3gpuE9ELNS1_3repE0EEENS1_30default_config_static_selectorELNS0_4arch9wavefront6targetE1EEEvT1_,comdat
.Lfunc_end475:
	.size	_ZN7rocprim17ROCPRIM_400000_NS6detail17trampoline_kernelINS0_14default_configENS1_20scan_config_selectorIN3c108BFloat16EEEZZNS1_9scan_implILNS1_25lookback_scan_determinismE0ELb0ELb0ES3_PKS6_PS6_S6_ZZZN2at6native31launch_logcumsumexp_cuda_kernelERKNSD_10TensorBaseESH_lENKUlvE_clEvENKUlvE4_clEvEUlS6_S6_E_S6_EEDaPvRmT3_T4_T5_mT6_P12ihipStream_tbENKUlT_T0_E_clISt17integral_constantIbLb1EESY_EEDaST_SU_EUlST_E0_NS1_11comp_targetILNS1_3genE5ELNS1_11target_archE942ELNS1_3gpuE9ELNS1_3repE0EEENS1_30default_config_static_selectorELNS0_4arch9wavefront6targetE1EEEvT1_, .Lfunc_end475-_ZN7rocprim17ROCPRIM_400000_NS6detail17trampoline_kernelINS0_14default_configENS1_20scan_config_selectorIN3c108BFloat16EEEZZNS1_9scan_implILNS1_25lookback_scan_determinismE0ELb0ELb0ES3_PKS6_PS6_S6_ZZZN2at6native31launch_logcumsumexp_cuda_kernelERKNSD_10TensorBaseESH_lENKUlvE_clEvENKUlvE4_clEvEUlS6_S6_E_S6_EEDaPvRmT3_T4_T5_mT6_P12ihipStream_tbENKUlT_T0_E_clISt17integral_constantIbLb1EESY_EEDaST_SU_EUlST_E0_NS1_11comp_targetILNS1_3genE5ELNS1_11target_archE942ELNS1_3gpuE9ELNS1_3repE0EEENS1_30default_config_static_selectorELNS0_4arch9wavefront6targetE1EEEvT1_
                                        ; -- End function
	.set _ZN7rocprim17ROCPRIM_400000_NS6detail17trampoline_kernelINS0_14default_configENS1_20scan_config_selectorIN3c108BFloat16EEEZZNS1_9scan_implILNS1_25lookback_scan_determinismE0ELb0ELb0ES3_PKS6_PS6_S6_ZZZN2at6native31launch_logcumsumexp_cuda_kernelERKNSD_10TensorBaseESH_lENKUlvE_clEvENKUlvE4_clEvEUlS6_S6_E_S6_EEDaPvRmT3_T4_T5_mT6_P12ihipStream_tbENKUlT_T0_E_clISt17integral_constantIbLb1EESY_EEDaST_SU_EUlST_E0_NS1_11comp_targetILNS1_3genE5ELNS1_11target_archE942ELNS1_3gpuE9ELNS1_3repE0EEENS1_30default_config_static_selectorELNS0_4arch9wavefront6targetE1EEEvT1_.num_vgpr, 0
	.set _ZN7rocprim17ROCPRIM_400000_NS6detail17trampoline_kernelINS0_14default_configENS1_20scan_config_selectorIN3c108BFloat16EEEZZNS1_9scan_implILNS1_25lookback_scan_determinismE0ELb0ELb0ES3_PKS6_PS6_S6_ZZZN2at6native31launch_logcumsumexp_cuda_kernelERKNSD_10TensorBaseESH_lENKUlvE_clEvENKUlvE4_clEvEUlS6_S6_E_S6_EEDaPvRmT3_T4_T5_mT6_P12ihipStream_tbENKUlT_T0_E_clISt17integral_constantIbLb1EESY_EEDaST_SU_EUlST_E0_NS1_11comp_targetILNS1_3genE5ELNS1_11target_archE942ELNS1_3gpuE9ELNS1_3repE0EEENS1_30default_config_static_selectorELNS0_4arch9wavefront6targetE1EEEvT1_.num_agpr, 0
	.set _ZN7rocprim17ROCPRIM_400000_NS6detail17trampoline_kernelINS0_14default_configENS1_20scan_config_selectorIN3c108BFloat16EEEZZNS1_9scan_implILNS1_25lookback_scan_determinismE0ELb0ELb0ES3_PKS6_PS6_S6_ZZZN2at6native31launch_logcumsumexp_cuda_kernelERKNSD_10TensorBaseESH_lENKUlvE_clEvENKUlvE4_clEvEUlS6_S6_E_S6_EEDaPvRmT3_T4_T5_mT6_P12ihipStream_tbENKUlT_T0_E_clISt17integral_constantIbLb1EESY_EEDaST_SU_EUlST_E0_NS1_11comp_targetILNS1_3genE5ELNS1_11target_archE942ELNS1_3gpuE9ELNS1_3repE0EEENS1_30default_config_static_selectorELNS0_4arch9wavefront6targetE1EEEvT1_.numbered_sgpr, 0
	.set _ZN7rocprim17ROCPRIM_400000_NS6detail17trampoline_kernelINS0_14default_configENS1_20scan_config_selectorIN3c108BFloat16EEEZZNS1_9scan_implILNS1_25lookback_scan_determinismE0ELb0ELb0ES3_PKS6_PS6_S6_ZZZN2at6native31launch_logcumsumexp_cuda_kernelERKNSD_10TensorBaseESH_lENKUlvE_clEvENKUlvE4_clEvEUlS6_S6_E_S6_EEDaPvRmT3_T4_T5_mT6_P12ihipStream_tbENKUlT_T0_E_clISt17integral_constantIbLb1EESY_EEDaST_SU_EUlST_E0_NS1_11comp_targetILNS1_3genE5ELNS1_11target_archE942ELNS1_3gpuE9ELNS1_3repE0EEENS1_30default_config_static_selectorELNS0_4arch9wavefront6targetE1EEEvT1_.num_named_barrier, 0
	.set _ZN7rocprim17ROCPRIM_400000_NS6detail17trampoline_kernelINS0_14default_configENS1_20scan_config_selectorIN3c108BFloat16EEEZZNS1_9scan_implILNS1_25lookback_scan_determinismE0ELb0ELb0ES3_PKS6_PS6_S6_ZZZN2at6native31launch_logcumsumexp_cuda_kernelERKNSD_10TensorBaseESH_lENKUlvE_clEvENKUlvE4_clEvEUlS6_S6_E_S6_EEDaPvRmT3_T4_T5_mT6_P12ihipStream_tbENKUlT_T0_E_clISt17integral_constantIbLb1EESY_EEDaST_SU_EUlST_E0_NS1_11comp_targetILNS1_3genE5ELNS1_11target_archE942ELNS1_3gpuE9ELNS1_3repE0EEENS1_30default_config_static_selectorELNS0_4arch9wavefront6targetE1EEEvT1_.private_seg_size, 0
	.set _ZN7rocprim17ROCPRIM_400000_NS6detail17trampoline_kernelINS0_14default_configENS1_20scan_config_selectorIN3c108BFloat16EEEZZNS1_9scan_implILNS1_25lookback_scan_determinismE0ELb0ELb0ES3_PKS6_PS6_S6_ZZZN2at6native31launch_logcumsumexp_cuda_kernelERKNSD_10TensorBaseESH_lENKUlvE_clEvENKUlvE4_clEvEUlS6_S6_E_S6_EEDaPvRmT3_T4_T5_mT6_P12ihipStream_tbENKUlT_T0_E_clISt17integral_constantIbLb1EESY_EEDaST_SU_EUlST_E0_NS1_11comp_targetILNS1_3genE5ELNS1_11target_archE942ELNS1_3gpuE9ELNS1_3repE0EEENS1_30default_config_static_selectorELNS0_4arch9wavefront6targetE1EEEvT1_.uses_vcc, 0
	.set _ZN7rocprim17ROCPRIM_400000_NS6detail17trampoline_kernelINS0_14default_configENS1_20scan_config_selectorIN3c108BFloat16EEEZZNS1_9scan_implILNS1_25lookback_scan_determinismE0ELb0ELb0ES3_PKS6_PS6_S6_ZZZN2at6native31launch_logcumsumexp_cuda_kernelERKNSD_10TensorBaseESH_lENKUlvE_clEvENKUlvE4_clEvEUlS6_S6_E_S6_EEDaPvRmT3_T4_T5_mT6_P12ihipStream_tbENKUlT_T0_E_clISt17integral_constantIbLb1EESY_EEDaST_SU_EUlST_E0_NS1_11comp_targetILNS1_3genE5ELNS1_11target_archE942ELNS1_3gpuE9ELNS1_3repE0EEENS1_30default_config_static_selectorELNS0_4arch9wavefront6targetE1EEEvT1_.uses_flat_scratch, 0
	.set _ZN7rocprim17ROCPRIM_400000_NS6detail17trampoline_kernelINS0_14default_configENS1_20scan_config_selectorIN3c108BFloat16EEEZZNS1_9scan_implILNS1_25lookback_scan_determinismE0ELb0ELb0ES3_PKS6_PS6_S6_ZZZN2at6native31launch_logcumsumexp_cuda_kernelERKNSD_10TensorBaseESH_lENKUlvE_clEvENKUlvE4_clEvEUlS6_S6_E_S6_EEDaPvRmT3_T4_T5_mT6_P12ihipStream_tbENKUlT_T0_E_clISt17integral_constantIbLb1EESY_EEDaST_SU_EUlST_E0_NS1_11comp_targetILNS1_3genE5ELNS1_11target_archE942ELNS1_3gpuE9ELNS1_3repE0EEENS1_30default_config_static_selectorELNS0_4arch9wavefront6targetE1EEEvT1_.has_dyn_sized_stack, 0
	.set _ZN7rocprim17ROCPRIM_400000_NS6detail17trampoline_kernelINS0_14default_configENS1_20scan_config_selectorIN3c108BFloat16EEEZZNS1_9scan_implILNS1_25lookback_scan_determinismE0ELb0ELb0ES3_PKS6_PS6_S6_ZZZN2at6native31launch_logcumsumexp_cuda_kernelERKNSD_10TensorBaseESH_lENKUlvE_clEvENKUlvE4_clEvEUlS6_S6_E_S6_EEDaPvRmT3_T4_T5_mT6_P12ihipStream_tbENKUlT_T0_E_clISt17integral_constantIbLb1EESY_EEDaST_SU_EUlST_E0_NS1_11comp_targetILNS1_3genE5ELNS1_11target_archE942ELNS1_3gpuE9ELNS1_3repE0EEENS1_30default_config_static_selectorELNS0_4arch9wavefront6targetE1EEEvT1_.has_recursion, 0
	.set _ZN7rocprim17ROCPRIM_400000_NS6detail17trampoline_kernelINS0_14default_configENS1_20scan_config_selectorIN3c108BFloat16EEEZZNS1_9scan_implILNS1_25lookback_scan_determinismE0ELb0ELb0ES3_PKS6_PS6_S6_ZZZN2at6native31launch_logcumsumexp_cuda_kernelERKNSD_10TensorBaseESH_lENKUlvE_clEvENKUlvE4_clEvEUlS6_S6_E_S6_EEDaPvRmT3_T4_T5_mT6_P12ihipStream_tbENKUlT_T0_E_clISt17integral_constantIbLb1EESY_EEDaST_SU_EUlST_E0_NS1_11comp_targetILNS1_3genE5ELNS1_11target_archE942ELNS1_3gpuE9ELNS1_3repE0EEENS1_30default_config_static_selectorELNS0_4arch9wavefront6targetE1EEEvT1_.has_indirect_call, 0
	.section	.AMDGPU.csdata,"",@progbits
; Kernel info:
; codeLenInByte = 0
; TotalNumSgprs: 4
; NumVgprs: 0
; ScratchSize: 0
; MemoryBound: 0
; FloatMode: 240
; IeeeMode: 1
; LDSByteSize: 0 bytes/workgroup (compile time only)
; SGPRBlocks: 0
; VGPRBlocks: 0
; NumSGPRsForWavesPerEU: 4
; NumVGPRsForWavesPerEU: 1
; Occupancy: 10
; WaveLimiterHint : 0
; COMPUTE_PGM_RSRC2:SCRATCH_EN: 0
; COMPUTE_PGM_RSRC2:USER_SGPR: 6
; COMPUTE_PGM_RSRC2:TRAP_HANDLER: 0
; COMPUTE_PGM_RSRC2:TGID_X_EN: 1
; COMPUTE_PGM_RSRC2:TGID_Y_EN: 0
; COMPUTE_PGM_RSRC2:TGID_Z_EN: 0
; COMPUTE_PGM_RSRC2:TIDIG_COMP_CNT: 0
	.section	.text._ZN7rocprim17ROCPRIM_400000_NS6detail17trampoline_kernelINS0_14default_configENS1_20scan_config_selectorIN3c108BFloat16EEEZZNS1_9scan_implILNS1_25lookback_scan_determinismE0ELb0ELb0ES3_PKS6_PS6_S6_ZZZN2at6native31launch_logcumsumexp_cuda_kernelERKNSD_10TensorBaseESH_lENKUlvE_clEvENKUlvE4_clEvEUlS6_S6_E_S6_EEDaPvRmT3_T4_T5_mT6_P12ihipStream_tbENKUlT_T0_E_clISt17integral_constantIbLb1EESY_EEDaST_SU_EUlST_E0_NS1_11comp_targetILNS1_3genE4ELNS1_11target_archE910ELNS1_3gpuE8ELNS1_3repE0EEENS1_30default_config_static_selectorELNS0_4arch9wavefront6targetE1EEEvT1_,"axG",@progbits,_ZN7rocprim17ROCPRIM_400000_NS6detail17trampoline_kernelINS0_14default_configENS1_20scan_config_selectorIN3c108BFloat16EEEZZNS1_9scan_implILNS1_25lookback_scan_determinismE0ELb0ELb0ES3_PKS6_PS6_S6_ZZZN2at6native31launch_logcumsumexp_cuda_kernelERKNSD_10TensorBaseESH_lENKUlvE_clEvENKUlvE4_clEvEUlS6_S6_E_S6_EEDaPvRmT3_T4_T5_mT6_P12ihipStream_tbENKUlT_T0_E_clISt17integral_constantIbLb1EESY_EEDaST_SU_EUlST_E0_NS1_11comp_targetILNS1_3genE4ELNS1_11target_archE910ELNS1_3gpuE8ELNS1_3repE0EEENS1_30default_config_static_selectorELNS0_4arch9wavefront6targetE1EEEvT1_,comdat
	.globl	_ZN7rocprim17ROCPRIM_400000_NS6detail17trampoline_kernelINS0_14default_configENS1_20scan_config_selectorIN3c108BFloat16EEEZZNS1_9scan_implILNS1_25lookback_scan_determinismE0ELb0ELb0ES3_PKS6_PS6_S6_ZZZN2at6native31launch_logcumsumexp_cuda_kernelERKNSD_10TensorBaseESH_lENKUlvE_clEvENKUlvE4_clEvEUlS6_S6_E_S6_EEDaPvRmT3_T4_T5_mT6_P12ihipStream_tbENKUlT_T0_E_clISt17integral_constantIbLb1EESY_EEDaST_SU_EUlST_E0_NS1_11comp_targetILNS1_3genE4ELNS1_11target_archE910ELNS1_3gpuE8ELNS1_3repE0EEENS1_30default_config_static_selectorELNS0_4arch9wavefront6targetE1EEEvT1_ ; -- Begin function _ZN7rocprim17ROCPRIM_400000_NS6detail17trampoline_kernelINS0_14default_configENS1_20scan_config_selectorIN3c108BFloat16EEEZZNS1_9scan_implILNS1_25lookback_scan_determinismE0ELb0ELb0ES3_PKS6_PS6_S6_ZZZN2at6native31launch_logcumsumexp_cuda_kernelERKNSD_10TensorBaseESH_lENKUlvE_clEvENKUlvE4_clEvEUlS6_S6_E_S6_EEDaPvRmT3_T4_T5_mT6_P12ihipStream_tbENKUlT_T0_E_clISt17integral_constantIbLb1EESY_EEDaST_SU_EUlST_E0_NS1_11comp_targetILNS1_3genE4ELNS1_11target_archE910ELNS1_3gpuE8ELNS1_3repE0EEENS1_30default_config_static_selectorELNS0_4arch9wavefront6targetE1EEEvT1_
	.p2align	8
	.type	_ZN7rocprim17ROCPRIM_400000_NS6detail17trampoline_kernelINS0_14default_configENS1_20scan_config_selectorIN3c108BFloat16EEEZZNS1_9scan_implILNS1_25lookback_scan_determinismE0ELb0ELb0ES3_PKS6_PS6_S6_ZZZN2at6native31launch_logcumsumexp_cuda_kernelERKNSD_10TensorBaseESH_lENKUlvE_clEvENKUlvE4_clEvEUlS6_S6_E_S6_EEDaPvRmT3_T4_T5_mT6_P12ihipStream_tbENKUlT_T0_E_clISt17integral_constantIbLb1EESY_EEDaST_SU_EUlST_E0_NS1_11comp_targetILNS1_3genE4ELNS1_11target_archE910ELNS1_3gpuE8ELNS1_3repE0EEENS1_30default_config_static_selectorELNS0_4arch9wavefront6targetE1EEEvT1_,@function
_ZN7rocprim17ROCPRIM_400000_NS6detail17trampoline_kernelINS0_14default_configENS1_20scan_config_selectorIN3c108BFloat16EEEZZNS1_9scan_implILNS1_25lookback_scan_determinismE0ELb0ELb0ES3_PKS6_PS6_S6_ZZZN2at6native31launch_logcumsumexp_cuda_kernelERKNSD_10TensorBaseESH_lENKUlvE_clEvENKUlvE4_clEvEUlS6_S6_E_S6_EEDaPvRmT3_T4_T5_mT6_P12ihipStream_tbENKUlT_T0_E_clISt17integral_constantIbLb1EESY_EEDaST_SU_EUlST_E0_NS1_11comp_targetILNS1_3genE4ELNS1_11target_archE910ELNS1_3gpuE8ELNS1_3repE0EEENS1_30default_config_static_selectorELNS0_4arch9wavefront6targetE1EEEvT1_: ; @_ZN7rocprim17ROCPRIM_400000_NS6detail17trampoline_kernelINS0_14default_configENS1_20scan_config_selectorIN3c108BFloat16EEEZZNS1_9scan_implILNS1_25lookback_scan_determinismE0ELb0ELb0ES3_PKS6_PS6_S6_ZZZN2at6native31launch_logcumsumexp_cuda_kernelERKNSD_10TensorBaseESH_lENKUlvE_clEvENKUlvE4_clEvEUlS6_S6_E_S6_EEDaPvRmT3_T4_T5_mT6_P12ihipStream_tbENKUlT_T0_E_clISt17integral_constantIbLb1EESY_EEDaST_SU_EUlST_E0_NS1_11comp_targetILNS1_3genE4ELNS1_11target_archE910ELNS1_3gpuE8ELNS1_3repE0EEENS1_30default_config_static_selectorELNS0_4arch9wavefront6targetE1EEEvT1_
; %bb.0:
	.section	.rodata,"a",@progbits
	.p2align	6, 0x0
	.amdhsa_kernel _ZN7rocprim17ROCPRIM_400000_NS6detail17trampoline_kernelINS0_14default_configENS1_20scan_config_selectorIN3c108BFloat16EEEZZNS1_9scan_implILNS1_25lookback_scan_determinismE0ELb0ELb0ES3_PKS6_PS6_S6_ZZZN2at6native31launch_logcumsumexp_cuda_kernelERKNSD_10TensorBaseESH_lENKUlvE_clEvENKUlvE4_clEvEUlS6_S6_E_S6_EEDaPvRmT3_T4_T5_mT6_P12ihipStream_tbENKUlT_T0_E_clISt17integral_constantIbLb1EESY_EEDaST_SU_EUlST_E0_NS1_11comp_targetILNS1_3genE4ELNS1_11target_archE910ELNS1_3gpuE8ELNS1_3repE0EEENS1_30default_config_static_selectorELNS0_4arch9wavefront6targetE1EEEvT1_
		.amdhsa_group_segment_fixed_size 0
		.amdhsa_private_segment_fixed_size 0
		.amdhsa_kernarg_size 32
		.amdhsa_user_sgpr_count 6
		.amdhsa_user_sgpr_private_segment_buffer 1
		.amdhsa_user_sgpr_dispatch_ptr 0
		.amdhsa_user_sgpr_queue_ptr 0
		.amdhsa_user_sgpr_kernarg_segment_ptr 1
		.amdhsa_user_sgpr_dispatch_id 0
		.amdhsa_user_sgpr_flat_scratch_init 0
		.amdhsa_user_sgpr_private_segment_size 0
		.amdhsa_uses_dynamic_stack 0
		.amdhsa_system_sgpr_private_segment_wavefront_offset 0
		.amdhsa_system_sgpr_workgroup_id_x 1
		.amdhsa_system_sgpr_workgroup_id_y 0
		.amdhsa_system_sgpr_workgroup_id_z 0
		.amdhsa_system_sgpr_workgroup_info 0
		.amdhsa_system_vgpr_workitem_id 0
		.amdhsa_next_free_vgpr 1
		.amdhsa_next_free_sgpr 0
		.amdhsa_reserve_vcc 0
		.amdhsa_reserve_flat_scratch 0
		.amdhsa_float_round_mode_32 0
		.amdhsa_float_round_mode_16_64 0
		.amdhsa_float_denorm_mode_32 3
		.amdhsa_float_denorm_mode_16_64 3
		.amdhsa_dx10_clamp 1
		.amdhsa_ieee_mode 1
		.amdhsa_fp16_overflow 0
		.amdhsa_exception_fp_ieee_invalid_op 0
		.amdhsa_exception_fp_denorm_src 0
		.amdhsa_exception_fp_ieee_div_zero 0
		.amdhsa_exception_fp_ieee_overflow 0
		.amdhsa_exception_fp_ieee_underflow 0
		.amdhsa_exception_fp_ieee_inexact 0
		.amdhsa_exception_int_div_zero 0
	.end_amdhsa_kernel
	.section	.text._ZN7rocprim17ROCPRIM_400000_NS6detail17trampoline_kernelINS0_14default_configENS1_20scan_config_selectorIN3c108BFloat16EEEZZNS1_9scan_implILNS1_25lookback_scan_determinismE0ELb0ELb0ES3_PKS6_PS6_S6_ZZZN2at6native31launch_logcumsumexp_cuda_kernelERKNSD_10TensorBaseESH_lENKUlvE_clEvENKUlvE4_clEvEUlS6_S6_E_S6_EEDaPvRmT3_T4_T5_mT6_P12ihipStream_tbENKUlT_T0_E_clISt17integral_constantIbLb1EESY_EEDaST_SU_EUlST_E0_NS1_11comp_targetILNS1_3genE4ELNS1_11target_archE910ELNS1_3gpuE8ELNS1_3repE0EEENS1_30default_config_static_selectorELNS0_4arch9wavefront6targetE1EEEvT1_,"axG",@progbits,_ZN7rocprim17ROCPRIM_400000_NS6detail17trampoline_kernelINS0_14default_configENS1_20scan_config_selectorIN3c108BFloat16EEEZZNS1_9scan_implILNS1_25lookback_scan_determinismE0ELb0ELb0ES3_PKS6_PS6_S6_ZZZN2at6native31launch_logcumsumexp_cuda_kernelERKNSD_10TensorBaseESH_lENKUlvE_clEvENKUlvE4_clEvEUlS6_S6_E_S6_EEDaPvRmT3_T4_T5_mT6_P12ihipStream_tbENKUlT_T0_E_clISt17integral_constantIbLb1EESY_EEDaST_SU_EUlST_E0_NS1_11comp_targetILNS1_3genE4ELNS1_11target_archE910ELNS1_3gpuE8ELNS1_3repE0EEENS1_30default_config_static_selectorELNS0_4arch9wavefront6targetE1EEEvT1_,comdat
.Lfunc_end476:
	.size	_ZN7rocprim17ROCPRIM_400000_NS6detail17trampoline_kernelINS0_14default_configENS1_20scan_config_selectorIN3c108BFloat16EEEZZNS1_9scan_implILNS1_25lookback_scan_determinismE0ELb0ELb0ES3_PKS6_PS6_S6_ZZZN2at6native31launch_logcumsumexp_cuda_kernelERKNSD_10TensorBaseESH_lENKUlvE_clEvENKUlvE4_clEvEUlS6_S6_E_S6_EEDaPvRmT3_T4_T5_mT6_P12ihipStream_tbENKUlT_T0_E_clISt17integral_constantIbLb1EESY_EEDaST_SU_EUlST_E0_NS1_11comp_targetILNS1_3genE4ELNS1_11target_archE910ELNS1_3gpuE8ELNS1_3repE0EEENS1_30default_config_static_selectorELNS0_4arch9wavefront6targetE1EEEvT1_, .Lfunc_end476-_ZN7rocprim17ROCPRIM_400000_NS6detail17trampoline_kernelINS0_14default_configENS1_20scan_config_selectorIN3c108BFloat16EEEZZNS1_9scan_implILNS1_25lookback_scan_determinismE0ELb0ELb0ES3_PKS6_PS6_S6_ZZZN2at6native31launch_logcumsumexp_cuda_kernelERKNSD_10TensorBaseESH_lENKUlvE_clEvENKUlvE4_clEvEUlS6_S6_E_S6_EEDaPvRmT3_T4_T5_mT6_P12ihipStream_tbENKUlT_T0_E_clISt17integral_constantIbLb1EESY_EEDaST_SU_EUlST_E0_NS1_11comp_targetILNS1_3genE4ELNS1_11target_archE910ELNS1_3gpuE8ELNS1_3repE0EEENS1_30default_config_static_selectorELNS0_4arch9wavefront6targetE1EEEvT1_
                                        ; -- End function
	.set _ZN7rocprim17ROCPRIM_400000_NS6detail17trampoline_kernelINS0_14default_configENS1_20scan_config_selectorIN3c108BFloat16EEEZZNS1_9scan_implILNS1_25lookback_scan_determinismE0ELb0ELb0ES3_PKS6_PS6_S6_ZZZN2at6native31launch_logcumsumexp_cuda_kernelERKNSD_10TensorBaseESH_lENKUlvE_clEvENKUlvE4_clEvEUlS6_S6_E_S6_EEDaPvRmT3_T4_T5_mT6_P12ihipStream_tbENKUlT_T0_E_clISt17integral_constantIbLb1EESY_EEDaST_SU_EUlST_E0_NS1_11comp_targetILNS1_3genE4ELNS1_11target_archE910ELNS1_3gpuE8ELNS1_3repE0EEENS1_30default_config_static_selectorELNS0_4arch9wavefront6targetE1EEEvT1_.num_vgpr, 0
	.set _ZN7rocprim17ROCPRIM_400000_NS6detail17trampoline_kernelINS0_14default_configENS1_20scan_config_selectorIN3c108BFloat16EEEZZNS1_9scan_implILNS1_25lookback_scan_determinismE0ELb0ELb0ES3_PKS6_PS6_S6_ZZZN2at6native31launch_logcumsumexp_cuda_kernelERKNSD_10TensorBaseESH_lENKUlvE_clEvENKUlvE4_clEvEUlS6_S6_E_S6_EEDaPvRmT3_T4_T5_mT6_P12ihipStream_tbENKUlT_T0_E_clISt17integral_constantIbLb1EESY_EEDaST_SU_EUlST_E0_NS1_11comp_targetILNS1_3genE4ELNS1_11target_archE910ELNS1_3gpuE8ELNS1_3repE0EEENS1_30default_config_static_selectorELNS0_4arch9wavefront6targetE1EEEvT1_.num_agpr, 0
	.set _ZN7rocprim17ROCPRIM_400000_NS6detail17trampoline_kernelINS0_14default_configENS1_20scan_config_selectorIN3c108BFloat16EEEZZNS1_9scan_implILNS1_25lookback_scan_determinismE0ELb0ELb0ES3_PKS6_PS6_S6_ZZZN2at6native31launch_logcumsumexp_cuda_kernelERKNSD_10TensorBaseESH_lENKUlvE_clEvENKUlvE4_clEvEUlS6_S6_E_S6_EEDaPvRmT3_T4_T5_mT6_P12ihipStream_tbENKUlT_T0_E_clISt17integral_constantIbLb1EESY_EEDaST_SU_EUlST_E0_NS1_11comp_targetILNS1_3genE4ELNS1_11target_archE910ELNS1_3gpuE8ELNS1_3repE0EEENS1_30default_config_static_selectorELNS0_4arch9wavefront6targetE1EEEvT1_.numbered_sgpr, 0
	.set _ZN7rocprim17ROCPRIM_400000_NS6detail17trampoline_kernelINS0_14default_configENS1_20scan_config_selectorIN3c108BFloat16EEEZZNS1_9scan_implILNS1_25lookback_scan_determinismE0ELb0ELb0ES3_PKS6_PS6_S6_ZZZN2at6native31launch_logcumsumexp_cuda_kernelERKNSD_10TensorBaseESH_lENKUlvE_clEvENKUlvE4_clEvEUlS6_S6_E_S6_EEDaPvRmT3_T4_T5_mT6_P12ihipStream_tbENKUlT_T0_E_clISt17integral_constantIbLb1EESY_EEDaST_SU_EUlST_E0_NS1_11comp_targetILNS1_3genE4ELNS1_11target_archE910ELNS1_3gpuE8ELNS1_3repE0EEENS1_30default_config_static_selectorELNS0_4arch9wavefront6targetE1EEEvT1_.num_named_barrier, 0
	.set _ZN7rocprim17ROCPRIM_400000_NS6detail17trampoline_kernelINS0_14default_configENS1_20scan_config_selectorIN3c108BFloat16EEEZZNS1_9scan_implILNS1_25lookback_scan_determinismE0ELb0ELb0ES3_PKS6_PS6_S6_ZZZN2at6native31launch_logcumsumexp_cuda_kernelERKNSD_10TensorBaseESH_lENKUlvE_clEvENKUlvE4_clEvEUlS6_S6_E_S6_EEDaPvRmT3_T4_T5_mT6_P12ihipStream_tbENKUlT_T0_E_clISt17integral_constantIbLb1EESY_EEDaST_SU_EUlST_E0_NS1_11comp_targetILNS1_3genE4ELNS1_11target_archE910ELNS1_3gpuE8ELNS1_3repE0EEENS1_30default_config_static_selectorELNS0_4arch9wavefront6targetE1EEEvT1_.private_seg_size, 0
	.set _ZN7rocprim17ROCPRIM_400000_NS6detail17trampoline_kernelINS0_14default_configENS1_20scan_config_selectorIN3c108BFloat16EEEZZNS1_9scan_implILNS1_25lookback_scan_determinismE0ELb0ELb0ES3_PKS6_PS6_S6_ZZZN2at6native31launch_logcumsumexp_cuda_kernelERKNSD_10TensorBaseESH_lENKUlvE_clEvENKUlvE4_clEvEUlS6_S6_E_S6_EEDaPvRmT3_T4_T5_mT6_P12ihipStream_tbENKUlT_T0_E_clISt17integral_constantIbLb1EESY_EEDaST_SU_EUlST_E0_NS1_11comp_targetILNS1_3genE4ELNS1_11target_archE910ELNS1_3gpuE8ELNS1_3repE0EEENS1_30default_config_static_selectorELNS0_4arch9wavefront6targetE1EEEvT1_.uses_vcc, 0
	.set _ZN7rocprim17ROCPRIM_400000_NS6detail17trampoline_kernelINS0_14default_configENS1_20scan_config_selectorIN3c108BFloat16EEEZZNS1_9scan_implILNS1_25lookback_scan_determinismE0ELb0ELb0ES3_PKS6_PS6_S6_ZZZN2at6native31launch_logcumsumexp_cuda_kernelERKNSD_10TensorBaseESH_lENKUlvE_clEvENKUlvE4_clEvEUlS6_S6_E_S6_EEDaPvRmT3_T4_T5_mT6_P12ihipStream_tbENKUlT_T0_E_clISt17integral_constantIbLb1EESY_EEDaST_SU_EUlST_E0_NS1_11comp_targetILNS1_3genE4ELNS1_11target_archE910ELNS1_3gpuE8ELNS1_3repE0EEENS1_30default_config_static_selectorELNS0_4arch9wavefront6targetE1EEEvT1_.uses_flat_scratch, 0
	.set _ZN7rocprim17ROCPRIM_400000_NS6detail17trampoline_kernelINS0_14default_configENS1_20scan_config_selectorIN3c108BFloat16EEEZZNS1_9scan_implILNS1_25lookback_scan_determinismE0ELb0ELb0ES3_PKS6_PS6_S6_ZZZN2at6native31launch_logcumsumexp_cuda_kernelERKNSD_10TensorBaseESH_lENKUlvE_clEvENKUlvE4_clEvEUlS6_S6_E_S6_EEDaPvRmT3_T4_T5_mT6_P12ihipStream_tbENKUlT_T0_E_clISt17integral_constantIbLb1EESY_EEDaST_SU_EUlST_E0_NS1_11comp_targetILNS1_3genE4ELNS1_11target_archE910ELNS1_3gpuE8ELNS1_3repE0EEENS1_30default_config_static_selectorELNS0_4arch9wavefront6targetE1EEEvT1_.has_dyn_sized_stack, 0
	.set _ZN7rocprim17ROCPRIM_400000_NS6detail17trampoline_kernelINS0_14default_configENS1_20scan_config_selectorIN3c108BFloat16EEEZZNS1_9scan_implILNS1_25lookback_scan_determinismE0ELb0ELb0ES3_PKS6_PS6_S6_ZZZN2at6native31launch_logcumsumexp_cuda_kernelERKNSD_10TensorBaseESH_lENKUlvE_clEvENKUlvE4_clEvEUlS6_S6_E_S6_EEDaPvRmT3_T4_T5_mT6_P12ihipStream_tbENKUlT_T0_E_clISt17integral_constantIbLb1EESY_EEDaST_SU_EUlST_E0_NS1_11comp_targetILNS1_3genE4ELNS1_11target_archE910ELNS1_3gpuE8ELNS1_3repE0EEENS1_30default_config_static_selectorELNS0_4arch9wavefront6targetE1EEEvT1_.has_recursion, 0
	.set _ZN7rocprim17ROCPRIM_400000_NS6detail17trampoline_kernelINS0_14default_configENS1_20scan_config_selectorIN3c108BFloat16EEEZZNS1_9scan_implILNS1_25lookback_scan_determinismE0ELb0ELb0ES3_PKS6_PS6_S6_ZZZN2at6native31launch_logcumsumexp_cuda_kernelERKNSD_10TensorBaseESH_lENKUlvE_clEvENKUlvE4_clEvEUlS6_S6_E_S6_EEDaPvRmT3_T4_T5_mT6_P12ihipStream_tbENKUlT_T0_E_clISt17integral_constantIbLb1EESY_EEDaST_SU_EUlST_E0_NS1_11comp_targetILNS1_3genE4ELNS1_11target_archE910ELNS1_3gpuE8ELNS1_3repE0EEENS1_30default_config_static_selectorELNS0_4arch9wavefront6targetE1EEEvT1_.has_indirect_call, 0
	.section	.AMDGPU.csdata,"",@progbits
; Kernel info:
; codeLenInByte = 0
; TotalNumSgprs: 4
; NumVgprs: 0
; ScratchSize: 0
; MemoryBound: 0
; FloatMode: 240
; IeeeMode: 1
; LDSByteSize: 0 bytes/workgroup (compile time only)
; SGPRBlocks: 0
; VGPRBlocks: 0
; NumSGPRsForWavesPerEU: 4
; NumVGPRsForWavesPerEU: 1
; Occupancy: 10
; WaveLimiterHint : 0
; COMPUTE_PGM_RSRC2:SCRATCH_EN: 0
; COMPUTE_PGM_RSRC2:USER_SGPR: 6
; COMPUTE_PGM_RSRC2:TRAP_HANDLER: 0
; COMPUTE_PGM_RSRC2:TGID_X_EN: 1
; COMPUTE_PGM_RSRC2:TGID_Y_EN: 0
; COMPUTE_PGM_RSRC2:TGID_Z_EN: 0
; COMPUTE_PGM_RSRC2:TIDIG_COMP_CNT: 0
	.section	.text._ZN7rocprim17ROCPRIM_400000_NS6detail17trampoline_kernelINS0_14default_configENS1_20scan_config_selectorIN3c108BFloat16EEEZZNS1_9scan_implILNS1_25lookback_scan_determinismE0ELb0ELb0ES3_PKS6_PS6_S6_ZZZN2at6native31launch_logcumsumexp_cuda_kernelERKNSD_10TensorBaseESH_lENKUlvE_clEvENKUlvE4_clEvEUlS6_S6_E_S6_EEDaPvRmT3_T4_T5_mT6_P12ihipStream_tbENKUlT_T0_E_clISt17integral_constantIbLb1EESY_EEDaST_SU_EUlST_E0_NS1_11comp_targetILNS1_3genE3ELNS1_11target_archE908ELNS1_3gpuE7ELNS1_3repE0EEENS1_30default_config_static_selectorELNS0_4arch9wavefront6targetE1EEEvT1_,"axG",@progbits,_ZN7rocprim17ROCPRIM_400000_NS6detail17trampoline_kernelINS0_14default_configENS1_20scan_config_selectorIN3c108BFloat16EEEZZNS1_9scan_implILNS1_25lookback_scan_determinismE0ELb0ELb0ES3_PKS6_PS6_S6_ZZZN2at6native31launch_logcumsumexp_cuda_kernelERKNSD_10TensorBaseESH_lENKUlvE_clEvENKUlvE4_clEvEUlS6_S6_E_S6_EEDaPvRmT3_T4_T5_mT6_P12ihipStream_tbENKUlT_T0_E_clISt17integral_constantIbLb1EESY_EEDaST_SU_EUlST_E0_NS1_11comp_targetILNS1_3genE3ELNS1_11target_archE908ELNS1_3gpuE7ELNS1_3repE0EEENS1_30default_config_static_selectorELNS0_4arch9wavefront6targetE1EEEvT1_,comdat
	.globl	_ZN7rocprim17ROCPRIM_400000_NS6detail17trampoline_kernelINS0_14default_configENS1_20scan_config_selectorIN3c108BFloat16EEEZZNS1_9scan_implILNS1_25lookback_scan_determinismE0ELb0ELb0ES3_PKS6_PS6_S6_ZZZN2at6native31launch_logcumsumexp_cuda_kernelERKNSD_10TensorBaseESH_lENKUlvE_clEvENKUlvE4_clEvEUlS6_S6_E_S6_EEDaPvRmT3_T4_T5_mT6_P12ihipStream_tbENKUlT_T0_E_clISt17integral_constantIbLb1EESY_EEDaST_SU_EUlST_E0_NS1_11comp_targetILNS1_3genE3ELNS1_11target_archE908ELNS1_3gpuE7ELNS1_3repE0EEENS1_30default_config_static_selectorELNS0_4arch9wavefront6targetE1EEEvT1_ ; -- Begin function _ZN7rocprim17ROCPRIM_400000_NS6detail17trampoline_kernelINS0_14default_configENS1_20scan_config_selectorIN3c108BFloat16EEEZZNS1_9scan_implILNS1_25lookback_scan_determinismE0ELb0ELb0ES3_PKS6_PS6_S6_ZZZN2at6native31launch_logcumsumexp_cuda_kernelERKNSD_10TensorBaseESH_lENKUlvE_clEvENKUlvE4_clEvEUlS6_S6_E_S6_EEDaPvRmT3_T4_T5_mT6_P12ihipStream_tbENKUlT_T0_E_clISt17integral_constantIbLb1EESY_EEDaST_SU_EUlST_E0_NS1_11comp_targetILNS1_3genE3ELNS1_11target_archE908ELNS1_3gpuE7ELNS1_3repE0EEENS1_30default_config_static_selectorELNS0_4arch9wavefront6targetE1EEEvT1_
	.p2align	8
	.type	_ZN7rocprim17ROCPRIM_400000_NS6detail17trampoline_kernelINS0_14default_configENS1_20scan_config_selectorIN3c108BFloat16EEEZZNS1_9scan_implILNS1_25lookback_scan_determinismE0ELb0ELb0ES3_PKS6_PS6_S6_ZZZN2at6native31launch_logcumsumexp_cuda_kernelERKNSD_10TensorBaseESH_lENKUlvE_clEvENKUlvE4_clEvEUlS6_S6_E_S6_EEDaPvRmT3_T4_T5_mT6_P12ihipStream_tbENKUlT_T0_E_clISt17integral_constantIbLb1EESY_EEDaST_SU_EUlST_E0_NS1_11comp_targetILNS1_3genE3ELNS1_11target_archE908ELNS1_3gpuE7ELNS1_3repE0EEENS1_30default_config_static_selectorELNS0_4arch9wavefront6targetE1EEEvT1_,@function
_ZN7rocprim17ROCPRIM_400000_NS6detail17trampoline_kernelINS0_14default_configENS1_20scan_config_selectorIN3c108BFloat16EEEZZNS1_9scan_implILNS1_25lookback_scan_determinismE0ELb0ELb0ES3_PKS6_PS6_S6_ZZZN2at6native31launch_logcumsumexp_cuda_kernelERKNSD_10TensorBaseESH_lENKUlvE_clEvENKUlvE4_clEvEUlS6_S6_E_S6_EEDaPvRmT3_T4_T5_mT6_P12ihipStream_tbENKUlT_T0_E_clISt17integral_constantIbLb1EESY_EEDaST_SU_EUlST_E0_NS1_11comp_targetILNS1_3genE3ELNS1_11target_archE908ELNS1_3gpuE7ELNS1_3repE0EEENS1_30default_config_static_selectorELNS0_4arch9wavefront6targetE1EEEvT1_: ; @_ZN7rocprim17ROCPRIM_400000_NS6detail17trampoline_kernelINS0_14default_configENS1_20scan_config_selectorIN3c108BFloat16EEEZZNS1_9scan_implILNS1_25lookback_scan_determinismE0ELb0ELb0ES3_PKS6_PS6_S6_ZZZN2at6native31launch_logcumsumexp_cuda_kernelERKNSD_10TensorBaseESH_lENKUlvE_clEvENKUlvE4_clEvEUlS6_S6_E_S6_EEDaPvRmT3_T4_T5_mT6_P12ihipStream_tbENKUlT_T0_E_clISt17integral_constantIbLb1EESY_EEDaST_SU_EUlST_E0_NS1_11comp_targetILNS1_3genE3ELNS1_11target_archE908ELNS1_3gpuE7ELNS1_3repE0EEENS1_30default_config_static_selectorELNS0_4arch9wavefront6targetE1EEEvT1_
; %bb.0:
	.section	.rodata,"a",@progbits
	.p2align	6, 0x0
	.amdhsa_kernel _ZN7rocprim17ROCPRIM_400000_NS6detail17trampoline_kernelINS0_14default_configENS1_20scan_config_selectorIN3c108BFloat16EEEZZNS1_9scan_implILNS1_25lookback_scan_determinismE0ELb0ELb0ES3_PKS6_PS6_S6_ZZZN2at6native31launch_logcumsumexp_cuda_kernelERKNSD_10TensorBaseESH_lENKUlvE_clEvENKUlvE4_clEvEUlS6_S6_E_S6_EEDaPvRmT3_T4_T5_mT6_P12ihipStream_tbENKUlT_T0_E_clISt17integral_constantIbLb1EESY_EEDaST_SU_EUlST_E0_NS1_11comp_targetILNS1_3genE3ELNS1_11target_archE908ELNS1_3gpuE7ELNS1_3repE0EEENS1_30default_config_static_selectorELNS0_4arch9wavefront6targetE1EEEvT1_
		.amdhsa_group_segment_fixed_size 0
		.amdhsa_private_segment_fixed_size 0
		.amdhsa_kernarg_size 32
		.amdhsa_user_sgpr_count 6
		.amdhsa_user_sgpr_private_segment_buffer 1
		.amdhsa_user_sgpr_dispatch_ptr 0
		.amdhsa_user_sgpr_queue_ptr 0
		.amdhsa_user_sgpr_kernarg_segment_ptr 1
		.amdhsa_user_sgpr_dispatch_id 0
		.amdhsa_user_sgpr_flat_scratch_init 0
		.amdhsa_user_sgpr_private_segment_size 0
		.amdhsa_uses_dynamic_stack 0
		.amdhsa_system_sgpr_private_segment_wavefront_offset 0
		.amdhsa_system_sgpr_workgroup_id_x 1
		.amdhsa_system_sgpr_workgroup_id_y 0
		.amdhsa_system_sgpr_workgroup_id_z 0
		.amdhsa_system_sgpr_workgroup_info 0
		.amdhsa_system_vgpr_workitem_id 0
		.amdhsa_next_free_vgpr 1
		.amdhsa_next_free_sgpr 0
		.amdhsa_reserve_vcc 0
		.amdhsa_reserve_flat_scratch 0
		.amdhsa_float_round_mode_32 0
		.amdhsa_float_round_mode_16_64 0
		.amdhsa_float_denorm_mode_32 3
		.amdhsa_float_denorm_mode_16_64 3
		.amdhsa_dx10_clamp 1
		.amdhsa_ieee_mode 1
		.amdhsa_fp16_overflow 0
		.amdhsa_exception_fp_ieee_invalid_op 0
		.amdhsa_exception_fp_denorm_src 0
		.amdhsa_exception_fp_ieee_div_zero 0
		.amdhsa_exception_fp_ieee_overflow 0
		.amdhsa_exception_fp_ieee_underflow 0
		.amdhsa_exception_fp_ieee_inexact 0
		.amdhsa_exception_int_div_zero 0
	.end_amdhsa_kernel
	.section	.text._ZN7rocprim17ROCPRIM_400000_NS6detail17trampoline_kernelINS0_14default_configENS1_20scan_config_selectorIN3c108BFloat16EEEZZNS1_9scan_implILNS1_25lookback_scan_determinismE0ELb0ELb0ES3_PKS6_PS6_S6_ZZZN2at6native31launch_logcumsumexp_cuda_kernelERKNSD_10TensorBaseESH_lENKUlvE_clEvENKUlvE4_clEvEUlS6_S6_E_S6_EEDaPvRmT3_T4_T5_mT6_P12ihipStream_tbENKUlT_T0_E_clISt17integral_constantIbLb1EESY_EEDaST_SU_EUlST_E0_NS1_11comp_targetILNS1_3genE3ELNS1_11target_archE908ELNS1_3gpuE7ELNS1_3repE0EEENS1_30default_config_static_selectorELNS0_4arch9wavefront6targetE1EEEvT1_,"axG",@progbits,_ZN7rocprim17ROCPRIM_400000_NS6detail17trampoline_kernelINS0_14default_configENS1_20scan_config_selectorIN3c108BFloat16EEEZZNS1_9scan_implILNS1_25lookback_scan_determinismE0ELb0ELb0ES3_PKS6_PS6_S6_ZZZN2at6native31launch_logcumsumexp_cuda_kernelERKNSD_10TensorBaseESH_lENKUlvE_clEvENKUlvE4_clEvEUlS6_S6_E_S6_EEDaPvRmT3_T4_T5_mT6_P12ihipStream_tbENKUlT_T0_E_clISt17integral_constantIbLb1EESY_EEDaST_SU_EUlST_E0_NS1_11comp_targetILNS1_3genE3ELNS1_11target_archE908ELNS1_3gpuE7ELNS1_3repE0EEENS1_30default_config_static_selectorELNS0_4arch9wavefront6targetE1EEEvT1_,comdat
.Lfunc_end477:
	.size	_ZN7rocprim17ROCPRIM_400000_NS6detail17trampoline_kernelINS0_14default_configENS1_20scan_config_selectorIN3c108BFloat16EEEZZNS1_9scan_implILNS1_25lookback_scan_determinismE0ELb0ELb0ES3_PKS6_PS6_S6_ZZZN2at6native31launch_logcumsumexp_cuda_kernelERKNSD_10TensorBaseESH_lENKUlvE_clEvENKUlvE4_clEvEUlS6_S6_E_S6_EEDaPvRmT3_T4_T5_mT6_P12ihipStream_tbENKUlT_T0_E_clISt17integral_constantIbLb1EESY_EEDaST_SU_EUlST_E0_NS1_11comp_targetILNS1_3genE3ELNS1_11target_archE908ELNS1_3gpuE7ELNS1_3repE0EEENS1_30default_config_static_selectorELNS0_4arch9wavefront6targetE1EEEvT1_, .Lfunc_end477-_ZN7rocprim17ROCPRIM_400000_NS6detail17trampoline_kernelINS0_14default_configENS1_20scan_config_selectorIN3c108BFloat16EEEZZNS1_9scan_implILNS1_25lookback_scan_determinismE0ELb0ELb0ES3_PKS6_PS6_S6_ZZZN2at6native31launch_logcumsumexp_cuda_kernelERKNSD_10TensorBaseESH_lENKUlvE_clEvENKUlvE4_clEvEUlS6_S6_E_S6_EEDaPvRmT3_T4_T5_mT6_P12ihipStream_tbENKUlT_T0_E_clISt17integral_constantIbLb1EESY_EEDaST_SU_EUlST_E0_NS1_11comp_targetILNS1_3genE3ELNS1_11target_archE908ELNS1_3gpuE7ELNS1_3repE0EEENS1_30default_config_static_selectorELNS0_4arch9wavefront6targetE1EEEvT1_
                                        ; -- End function
	.set _ZN7rocprim17ROCPRIM_400000_NS6detail17trampoline_kernelINS0_14default_configENS1_20scan_config_selectorIN3c108BFloat16EEEZZNS1_9scan_implILNS1_25lookback_scan_determinismE0ELb0ELb0ES3_PKS6_PS6_S6_ZZZN2at6native31launch_logcumsumexp_cuda_kernelERKNSD_10TensorBaseESH_lENKUlvE_clEvENKUlvE4_clEvEUlS6_S6_E_S6_EEDaPvRmT3_T4_T5_mT6_P12ihipStream_tbENKUlT_T0_E_clISt17integral_constantIbLb1EESY_EEDaST_SU_EUlST_E0_NS1_11comp_targetILNS1_3genE3ELNS1_11target_archE908ELNS1_3gpuE7ELNS1_3repE0EEENS1_30default_config_static_selectorELNS0_4arch9wavefront6targetE1EEEvT1_.num_vgpr, 0
	.set _ZN7rocprim17ROCPRIM_400000_NS6detail17trampoline_kernelINS0_14default_configENS1_20scan_config_selectorIN3c108BFloat16EEEZZNS1_9scan_implILNS1_25lookback_scan_determinismE0ELb0ELb0ES3_PKS6_PS6_S6_ZZZN2at6native31launch_logcumsumexp_cuda_kernelERKNSD_10TensorBaseESH_lENKUlvE_clEvENKUlvE4_clEvEUlS6_S6_E_S6_EEDaPvRmT3_T4_T5_mT6_P12ihipStream_tbENKUlT_T0_E_clISt17integral_constantIbLb1EESY_EEDaST_SU_EUlST_E0_NS1_11comp_targetILNS1_3genE3ELNS1_11target_archE908ELNS1_3gpuE7ELNS1_3repE0EEENS1_30default_config_static_selectorELNS0_4arch9wavefront6targetE1EEEvT1_.num_agpr, 0
	.set _ZN7rocprim17ROCPRIM_400000_NS6detail17trampoline_kernelINS0_14default_configENS1_20scan_config_selectorIN3c108BFloat16EEEZZNS1_9scan_implILNS1_25lookback_scan_determinismE0ELb0ELb0ES3_PKS6_PS6_S6_ZZZN2at6native31launch_logcumsumexp_cuda_kernelERKNSD_10TensorBaseESH_lENKUlvE_clEvENKUlvE4_clEvEUlS6_S6_E_S6_EEDaPvRmT3_T4_T5_mT6_P12ihipStream_tbENKUlT_T0_E_clISt17integral_constantIbLb1EESY_EEDaST_SU_EUlST_E0_NS1_11comp_targetILNS1_3genE3ELNS1_11target_archE908ELNS1_3gpuE7ELNS1_3repE0EEENS1_30default_config_static_selectorELNS0_4arch9wavefront6targetE1EEEvT1_.numbered_sgpr, 0
	.set _ZN7rocprim17ROCPRIM_400000_NS6detail17trampoline_kernelINS0_14default_configENS1_20scan_config_selectorIN3c108BFloat16EEEZZNS1_9scan_implILNS1_25lookback_scan_determinismE0ELb0ELb0ES3_PKS6_PS6_S6_ZZZN2at6native31launch_logcumsumexp_cuda_kernelERKNSD_10TensorBaseESH_lENKUlvE_clEvENKUlvE4_clEvEUlS6_S6_E_S6_EEDaPvRmT3_T4_T5_mT6_P12ihipStream_tbENKUlT_T0_E_clISt17integral_constantIbLb1EESY_EEDaST_SU_EUlST_E0_NS1_11comp_targetILNS1_3genE3ELNS1_11target_archE908ELNS1_3gpuE7ELNS1_3repE0EEENS1_30default_config_static_selectorELNS0_4arch9wavefront6targetE1EEEvT1_.num_named_barrier, 0
	.set _ZN7rocprim17ROCPRIM_400000_NS6detail17trampoline_kernelINS0_14default_configENS1_20scan_config_selectorIN3c108BFloat16EEEZZNS1_9scan_implILNS1_25lookback_scan_determinismE0ELb0ELb0ES3_PKS6_PS6_S6_ZZZN2at6native31launch_logcumsumexp_cuda_kernelERKNSD_10TensorBaseESH_lENKUlvE_clEvENKUlvE4_clEvEUlS6_S6_E_S6_EEDaPvRmT3_T4_T5_mT6_P12ihipStream_tbENKUlT_T0_E_clISt17integral_constantIbLb1EESY_EEDaST_SU_EUlST_E0_NS1_11comp_targetILNS1_3genE3ELNS1_11target_archE908ELNS1_3gpuE7ELNS1_3repE0EEENS1_30default_config_static_selectorELNS0_4arch9wavefront6targetE1EEEvT1_.private_seg_size, 0
	.set _ZN7rocprim17ROCPRIM_400000_NS6detail17trampoline_kernelINS0_14default_configENS1_20scan_config_selectorIN3c108BFloat16EEEZZNS1_9scan_implILNS1_25lookback_scan_determinismE0ELb0ELb0ES3_PKS6_PS6_S6_ZZZN2at6native31launch_logcumsumexp_cuda_kernelERKNSD_10TensorBaseESH_lENKUlvE_clEvENKUlvE4_clEvEUlS6_S6_E_S6_EEDaPvRmT3_T4_T5_mT6_P12ihipStream_tbENKUlT_T0_E_clISt17integral_constantIbLb1EESY_EEDaST_SU_EUlST_E0_NS1_11comp_targetILNS1_3genE3ELNS1_11target_archE908ELNS1_3gpuE7ELNS1_3repE0EEENS1_30default_config_static_selectorELNS0_4arch9wavefront6targetE1EEEvT1_.uses_vcc, 0
	.set _ZN7rocprim17ROCPRIM_400000_NS6detail17trampoline_kernelINS0_14default_configENS1_20scan_config_selectorIN3c108BFloat16EEEZZNS1_9scan_implILNS1_25lookback_scan_determinismE0ELb0ELb0ES3_PKS6_PS6_S6_ZZZN2at6native31launch_logcumsumexp_cuda_kernelERKNSD_10TensorBaseESH_lENKUlvE_clEvENKUlvE4_clEvEUlS6_S6_E_S6_EEDaPvRmT3_T4_T5_mT6_P12ihipStream_tbENKUlT_T0_E_clISt17integral_constantIbLb1EESY_EEDaST_SU_EUlST_E0_NS1_11comp_targetILNS1_3genE3ELNS1_11target_archE908ELNS1_3gpuE7ELNS1_3repE0EEENS1_30default_config_static_selectorELNS0_4arch9wavefront6targetE1EEEvT1_.uses_flat_scratch, 0
	.set _ZN7rocprim17ROCPRIM_400000_NS6detail17trampoline_kernelINS0_14default_configENS1_20scan_config_selectorIN3c108BFloat16EEEZZNS1_9scan_implILNS1_25lookback_scan_determinismE0ELb0ELb0ES3_PKS6_PS6_S6_ZZZN2at6native31launch_logcumsumexp_cuda_kernelERKNSD_10TensorBaseESH_lENKUlvE_clEvENKUlvE4_clEvEUlS6_S6_E_S6_EEDaPvRmT3_T4_T5_mT6_P12ihipStream_tbENKUlT_T0_E_clISt17integral_constantIbLb1EESY_EEDaST_SU_EUlST_E0_NS1_11comp_targetILNS1_3genE3ELNS1_11target_archE908ELNS1_3gpuE7ELNS1_3repE0EEENS1_30default_config_static_selectorELNS0_4arch9wavefront6targetE1EEEvT1_.has_dyn_sized_stack, 0
	.set _ZN7rocprim17ROCPRIM_400000_NS6detail17trampoline_kernelINS0_14default_configENS1_20scan_config_selectorIN3c108BFloat16EEEZZNS1_9scan_implILNS1_25lookback_scan_determinismE0ELb0ELb0ES3_PKS6_PS6_S6_ZZZN2at6native31launch_logcumsumexp_cuda_kernelERKNSD_10TensorBaseESH_lENKUlvE_clEvENKUlvE4_clEvEUlS6_S6_E_S6_EEDaPvRmT3_T4_T5_mT6_P12ihipStream_tbENKUlT_T0_E_clISt17integral_constantIbLb1EESY_EEDaST_SU_EUlST_E0_NS1_11comp_targetILNS1_3genE3ELNS1_11target_archE908ELNS1_3gpuE7ELNS1_3repE0EEENS1_30default_config_static_selectorELNS0_4arch9wavefront6targetE1EEEvT1_.has_recursion, 0
	.set _ZN7rocprim17ROCPRIM_400000_NS6detail17trampoline_kernelINS0_14default_configENS1_20scan_config_selectorIN3c108BFloat16EEEZZNS1_9scan_implILNS1_25lookback_scan_determinismE0ELb0ELb0ES3_PKS6_PS6_S6_ZZZN2at6native31launch_logcumsumexp_cuda_kernelERKNSD_10TensorBaseESH_lENKUlvE_clEvENKUlvE4_clEvEUlS6_S6_E_S6_EEDaPvRmT3_T4_T5_mT6_P12ihipStream_tbENKUlT_T0_E_clISt17integral_constantIbLb1EESY_EEDaST_SU_EUlST_E0_NS1_11comp_targetILNS1_3genE3ELNS1_11target_archE908ELNS1_3gpuE7ELNS1_3repE0EEENS1_30default_config_static_selectorELNS0_4arch9wavefront6targetE1EEEvT1_.has_indirect_call, 0
	.section	.AMDGPU.csdata,"",@progbits
; Kernel info:
; codeLenInByte = 0
; TotalNumSgprs: 4
; NumVgprs: 0
; ScratchSize: 0
; MemoryBound: 0
; FloatMode: 240
; IeeeMode: 1
; LDSByteSize: 0 bytes/workgroup (compile time only)
; SGPRBlocks: 0
; VGPRBlocks: 0
; NumSGPRsForWavesPerEU: 4
; NumVGPRsForWavesPerEU: 1
; Occupancy: 10
; WaveLimiterHint : 0
; COMPUTE_PGM_RSRC2:SCRATCH_EN: 0
; COMPUTE_PGM_RSRC2:USER_SGPR: 6
; COMPUTE_PGM_RSRC2:TRAP_HANDLER: 0
; COMPUTE_PGM_RSRC2:TGID_X_EN: 1
; COMPUTE_PGM_RSRC2:TGID_Y_EN: 0
; COMPUTE_PGM_RSRC2:TGID_Z_EN: 0
; COMPUTE_PGM_RSRC2:TIDIG_COMP_CNT: 0
	.section	.text._ZN7rocprim17ROCPRIM_400000_NS6detail17trampoline_kernelINS0_14default_configENS1_20scan_config_selectorIN3c108BFloat16EEEZZNS1_9scan_implILNS1_25lookback_scan_determinismE0ELb0ELb0ES3_PKS6_PS6_S6_ZZZN2at6native31launch_logcumsumexp_cuda_kernelERKNSD_10TensorBaseESH_lENKUlvE_clEvENKUlvE4_clEvEUlS6_S6_E_S6_EEDaPvRmT3_T4_T5_mT6_P12ihipStream_tbENKUlT_T0_E_clISt17integral_constantIbLb1EESY_EEDaST_SU_EUlST_E0_NS1_11comp_targetILNS1_3genE2ELNS1_11target_archE906ELNS1_3gpuE6ELNS1_3repE0EEENS1_30default_config_static_selectorELNS0_4arch9wavefront6targetE1EEEvT1_,"axG",@progbits,_ZN7rocprim17ROCPRIM_400000_NS6detail17trampoline_kernelINS0_14default_configENS1_20scan_config_selectorIN3c108BFloat16EEEZZNS1_9scan_implILNS1_25lookback_scan_determinismE0ELb0ELb0ES3_PKS6_PS6_S6_ZZZN2at6native31launch_logcumsumexp_cuda_kernelERKNSD_10TensorBaseESH_lENKUlvE_clEvENKUlvE4_clEvEUlS6_S6_E_S6_EEDaPvRmT3_T4_T5_mT6_P12ihipStream_tbENKUlT_T0_E_clISt17integral_constantIbLb1EESY_EEDaST_SU_EUlST_E0_NS1_11comp_targetILNS1_3genE2ELNS1_11target_archE906ELNS1_3gpuE6ELNS1_3repE0EEENS1_30default_config_static_selectorELNS0_4arch9wavefront6targetE1EEEvT1_,comdat
	.globl	_ZN7rocprim17ROCPRIM_400000_NS6detail17trampoline_kernelINS0_14default_configENS1_20scan_config_selectorIN3c108BFloat16EEEZZNS1_9scan_implILNS1_25lookback_scan_determinismE0ELb0ELb0ES3_PKS6_PS6_S6_ZZZN2at6native31launch_logcumsumexp_cuda_kernelERKNSD_10TensorBaseESH_lENKUlvE_clEvENKUlvE4_clEvEUlS6_S6_E_S6_EEDaPvRmT3_T4_T5_mT6_P12ihipStream_tbENKUlT_T0_E_clISt17integral_constantIbLb1EESY_EEDaST_SU_EUlST_E0_NS1_11comp_targetILNS1_3genE2ELNS1_11target_archE906ELNS1_3gpuE6ELNS1_3repE0EEENS1_30default_config_static_selectorELNS0_4arch9wavefront6targetE1EEEvT1_ ; -- Begin function _ZN7rocprim17ROCPRIM_400000_NS6detail17trampoline_kernelINS0_14default_configENS1_20scan_config_selectorIN3c108BFloat16EEEZZNS1_9scan_implILNS1_25lookback_scan_determinismE0ELb0ELb0ES3_PKS6_PS6_S6_ZZZN2at6native31launch_logcumsumexp_cuda_kernelERKNSD_10TensorBaseESH_lENKUlvE_clEvENKUlvE4_clEvEUlS6_S6_E_S6_EEDaPvRmT3_T4_T5_mT6_P12ihipStream_tbENKUlT_T0_E_clISt17integral_constantIbLb1EESY_EEDaST_SU_EUlST_E0_NS1_11comp_targetILNS1_3genE2ELNS1_11target_archE906ELNS1_3gpuE6ELNS1_3repE0EEENS1_30default_config_static_selectorELNS0_4arch9wavefront6targetE1EEEvT1_
	.p2align	8
	.type	_ZN7rocprim17ROCPRIM_400000_NS6detail17trampoline_kernelINS0_14default_configENS1_20scan_config_selectorIN3c108BFloat16EEEZZNS1_9scan_implILNS1_25lookback_scan_determinismE0ELb0ELb0ES3_PKS6_PS6_S6_ZZZN2at6native31launch_logcumsumexp_cuda_kernelERKNSD_10TensorBaseESH_lENKUlvE_clEvENKUlvE4_clEvEUlS6_S6_E_S6_EEDaPvRmT3_T4_T5_mT6_P12ihipStream_tbENKUlT_T0_E_clISt17integral_constantIbLb1EESY_EEDaST_SU_EUlST_E0_NS1_11comp_targetILNS1_3genE2ELNS1_11target_archE906ELNS1_3gpuE6ELNS1_3repE0EEENS1_30default_config_static_selectorELNS0_4arch9wavefront6targetE1EEEvT1_,@function
_ZN7rocprim17ROCPRIM_400000_NS6detail17trampoline_kernelINS0_14default_configENS1_20scan_config_selectorIN3c108BFloat16EEEZZNS1_9scan_implILNS1_25lookback_scan_determinismE0ELb0ELb0ES3_PKS6_PS6_S6_ZZZN2at6native31launch_logcumsumexp_cuda_kernelERKNSD_10TensorBaseESH_lENKUlvE_clEvENKUlvE4_clEvEUlS6_S6_E_S6_EEDaPvRmT3_T4_T5_mT6_P12ihipStream_tbENKUlT_T0_E_clISt17integral_constantIbLb1EESY_EEDaST_SU_EUlST_E0_NS1_11comp_targetILNS1_3genE2ELNS1_11target_archE906ELNS1_3gpuE6ELNS1_3repE0EEENS1_30default_config_static_selectorELNS0_4arch9wavefront6targetE1EEEvT1_: ; @_ZN7rocprim17ROCPRIM_400000_NS6detail17trampoline_kernelINS0_14default_configENS1_20scan_config_selectorIN3c108BFloat16EEEZZNS1_9scan_implILNS1_25lookback_scan_determinismE0ELb0ELb0ES3_PKS6_PS6_S6_ZZZN2at6native31launch_logcumsumexp_cuda_kernelERKNSD_10TensorBaseESH_lENKUlvE_clEvENKUlvE4_clEvEUlS6_S6_E_S6_EEDaPvRmT3_T4_T5_mT6_P12ihipStream_tbENKUlT_T0_E_clISt17integral_constantIbLb1EESY_EEDaST_SU_EUlST_E0_NS1_11comp_targetILNS1_3genE2ELNS1_11target_archE906ELNS1_3gpuE6ELNS1_3repE0EEENS1_30default_config_static_selectorELNS0_4arch9wavefront6targetE1EEEvT1_
; %bb.0:
	s_load_dwordx4 s[0:3], s[4:5], 0x0
	v_mov_b32_e32 v1, 0
	v_lshlrev_b32_e32 v13, 1, v0
	s_waitcnt lgkmcnt(0)
	global_load_ushort v1, v1, s[0:1]
	v_cmp_gt_u32_e64 s[8:9], s2, v0
	s_waitcnt vmcnt(0)
	v_mov_b32_e32 v2, v1
	s_mov_b64 s[6:7], exec
                                        ; implicit-def: $vgpr73 : SGPR spill to VGPR lane
	v_writelane_b32 v73, s8, 0
	v_writelane_b32 v73, s9, 1
	s_and_b64 s[8:9], s[6:7], s[8:9]
	s_mov_b64 exec, s[8:9]
	s_cbranch_execz .LBB478_2
; %bb.1:
	global_load_ushort v2, v13, s[0:1]
.LBB478_2:
	s_or_b64 exec, exec, s[6:7]
	v_or_b32_e32 v3, 0x100, v0
	v_cmp_gt_u32_e64 s[8:9], s2, v3
	v_mov_b32_e32 v3, v1
	s_mov_b64 s[6:7], exec
	v_writelane_b32 v73, s8, 2
	v_writelane_b32 v73, s9, 3
	s_and_b64 s[8:9], s[6:7], s[8:9]
	s_mov_b64 exec, s[8:9]
	s_cbranch_execz .LBB478_4
; %bb.3:
	global_load_ushort v3, v13, s[0:1] offset:512
.LBB478_4:
	s_or_b64 exec, exec, s[6:7]
	v_or_b32_e32 v4, 0x200, v0
	v_cmp_gt_u32_e64 s[8:9], s2, v4
	v_mov_b32_e32 v4, v1
	s_mov_b64 s[6:7], exec
	v_writelane_b32 v73, s8, 4
	v_writelane_b32 v73, s9, 5
	s_and_b64 s[8:9], s[6:7], s[8:9]
	s_mov_b64 exec, s[8:9]
	s_cbranch_execz .LBB478_6
; %bb.5:
	global_load_ushort v4, v13, s[0:1] offset:1024
.LBB478_6:
	s_or_b64 exec, exec, s[6:7]
	v_or_b32_e32 v5, 0x300, v0
	v_cmp_gt_u32_e64 s[8:9], s2, v5
	v_mov_b32_e32 v5, v1
	s_mov_b64 s[6:7], exec
	v_writelane_b32 v73, s8, 6
	v_writelane_b32 v73, s9, 7
	s_and_b64 s[8:9], s[6:7], s[8:9]
	s_mov_b64 exec, s[8:9]
	s_cbranch_execz .LBB478_8
; %bb.7:
	global_load_ushort v5, v13, s[0:1] offset:1536
.LBB478_8:
	s_or_b64 exec, exec, s[6:7]
	v_or_b32_e32 v6, 0x400, v0
	v_cmp_gt_u32_e64 s[8:9], s2, v6
	v_mov_b32_e32 v6, v1
	s_mov_b64 s[6:7], exec
	v_writelane_b32 v73, s8, 8
	v_writelane_b32 v73, s9, 9
	s_and_b64 s[8:9], s[6:7], s[8:9]
	s_mov_b64 exec, s[8:9]
	s_cbranch_execz .LBB478_10
; %bb.9:
	global_load_ushort v6, v13, s[0:1] offset:2048
.LBB478_10:
	s_or_b64 exec, exec, s[6:7]
	v_or_b32_e32 v7, 0x500, v0
	v_cmp_gt_u32_e64 s[8:9], s2, v7
	v_mov_b32_e32 v7, v1
	s_mov_b64 s[6:7], exec
	v_writelane_b32 v73, s8, 10
	v_writelane_b32 v73, s9, 11
	s_and_b64 s[8:9], s[6:7], s[8:9]
	s_mov_b64 exec, s[8:9]
	s_cbranch_execz .LBB478_12
; %bb.11:
	global_load_ushort v7, v13, s[0:1] offset:2560
.LBB478_12:
	s_or_b64 exec, exec, s[6:7]
	v_or_b32_e32 v8, 0x600, v0
	v_cmp_gt_u32_e64 s[8:9], s2, v8
	v_mov_b32_e32 v8, v1
	s_mov_b64 s[6:7], exec
	v_writelane_b32 v73, s8, 12
	v_writelane_b32 v73, s9, 13
	s_and_b64 s[8:9], s[6:7], s[8:9]
	s_mov_b64 exec, s[8:9]
	s_cbranch_execz .LBB478_14
; %bb.13:
	global_load_ushort v8, v13, s[0:1] offset:3072
.LBB478_14:
	s_or_b64 exec, exec, s[6:7]
	v_or_b32_e32 v9, 0x700, v0
	v_cmp_gt_u32_e64 s[14:15], s2, v9
	v_mov_b32_e32 v9, v1
	s_and_saveexec_b64 s[6:7], s[14:15]
	s_cbranch_execz .LBB478_16
; %bb.15:
	global_load_ushort v9, v13, s[0:1] offset:3584
.LBB478_16:
	s_or_b64 exec, exec, s[6:7]
	v_or_b32_e32 v11, 0x800, v0
	v_cmp_gt_u32_e64 s[16:17], s2, v11
	v_mov_b32_e32 v10, v1
	s_and_saveexec_b64 s[6:7], s[16:17]
	s_cbranch_execz .LBB478_18
; %bb.17:
	v_lshlrev_b32_e32 v10, 1, v11
	global_load_ushort v10, v10, s[0:1]
.LBB478_18:
	s_or_b64 exec, exec, s[6:7]
	v_or_b32_e32 v12, 0x900, v0
	v_cmp_gt_u32_e64 s[18:19], s2, v12
	v_mov_b32_e32 v11, v1
	s_and_saveexec_b64 s[6:7], s[18:19]
	s_cbranch_execz .LBB478_20
; %bb.19:
	v_lshlrev_b32_e32 v11, 1, v12
	global_load_ushort v11, v11, s[0:1]
.LBB478_20:
	;; [unrolled: 10-line block ×15, first 2 shown]
	s_or_b64 exec, exec, s[6:7]
	v_or_b32_e32 v26, 0x1700, v0
	v_cmp_gt_u32_e64 s[48:49], s2, v26
	s_and_saveexec_b64 s[2:3], s[48:49]
	s_cbranch_execz .LBB478_48
; %bb.47:
	v_lshlrev_b32_e32 v1, 1, v26
	global_load_ushort v1, v1, s[0:1]
.LBB478_48:
	s_or_b64 exec, exec, s[2:3]
	s_waitcnt vmcnt(0)
	ds_write_b16 v13, v2
	ds_write_b16 v13, v3 offset:512
	ds_write_b16 v13, v4 offset:1024
	;; [unrolled: 1-line block ×23, first 2 shown]
	v_mad_u32_u24 v5, v0, 46, v13
	s_waitcnt lgkmcnt(0)
	s_barrier
	ds_read_b128 v[1:4], v5
	ds_read_b128 v[9:12], v5 offset:16
	ds_read_b128 v[5:8], v5 offset:32
	s_movk_i32 s6, 0x1f8
	s_waitcnt lgkmcnt(0)
	v_lshlrev_b32_e32 v49, 16, v1
	v_and_b32_e32 v14, 0xffff0000, v1
	v_max_f32_e32 v22, v14, v14
	v_max_f32_e32 v50, v49, v49
	v_min_f32_e32 v51, v50, v22
	v_cmp_u_f32_e64 s[0:1], v49, v49
	v_cndmask_b32_e64 v15, v51, v49, s[0:1]
	v_cmp_u_f32_e64 s[50:51], v14, v14
	v_max_f32_e32 v52, v50, v22
	v_cndmask_b32_e64 v17, v15, v14, s[50:51]
	v_cndmask_b32_e64 v15, v52, v49, s[0:1]
	;; [unrolled: 1-line block ×3, first 2 shown]
	v_cmp_neq_f32_e32 vcc, v17, v15
	v_cmp_class_f32_e64 s[2:3], v17, s6
	s_or_b64 s[8:9], vcc, s[2:3]
	v_mov_b32_e32 v16, v49
	s_barrier
	s_and_saveexec_b64 s[2:3], s[8:9]
	s_cbranch_execz .LBB478_50
; %bb.49:
	v_sub_f32_e32 v16, v17, v15
	s_mov_b32 s7, 0x3fb8aa3b
	v_mul_f32_e32 v17, 0x3fb8aa3b, v16
	v_fma_f32 v18, v16, s7, -v17
	v_rndne_f32_e32 v19, v17
	v_fmac_f32_e32 v18, 0x32a5705f, v16
	v_sub_f32_e32 v17, v17, v19
	v_add_f32_e32 v17, v17, v18
	v_exp_f32_e32 v17, v17
	v_cvt_i32_f32_e32 v18, v19
	s_mov_b32 s7, 0xc2ce8ed0
	v_cmp_ngt_f32_e32 vcc, s7, v16
	s_mov_b32 s7, 0x42b17218
	v_ldexp_f32 v17, v17, v18
	v_cndmask_b32_e32 v17, 0, v17, vcc
	v_mov_b32_e32 v18, 0x7f800000
	v_cmp_nlt_f32_e32 vcc, s7, v16
	v_cndmask_b32_e32 v19, v18, v17, vcc
	v_add_f32_e32 v20, 1.0, v19
	v_cvt_f64_f32_e32 v[16:17], v20
	v_add_f32_e32 v21, -1.0, v20
	v_sub_f32_e32 v23, v21, v20
	v_sub_f32_e32 v21, v19, v21
	v_frexp_exp_i32_f64_e32 v16, v[16:17]
	v_add_f32_e32 v17, 1.0, v23
	v_add_f32_e32 v17, v21, v17
	v_frexp_mant_f32_e32 v21, v20
	s_mov_b32 s8, 0x3f2aaaab
	v_cmp_gt_f32_e32 vcc, s8, v21
	s_mov_b32 s8, 0x3f317218
	s_mov_b32 s7, 0x7f800000
	v_subbrev_co_u32_e32 v16, vcc, 0, v16, vcc
	v_sub_u32_e32 v21, 0, v16
	v_ldexp_f32 v20, v20, v21
	v_ldexp_f32 v17, v17, v21
	v_add_f32_e32 v21, -1.0, v20
	v_add_f32_e32 v25, 1.0, v20
	v_add_f32_e32 v23, 1.0, v21
	v_add_f32_e32 v26, -1.0, v25
	v_sub_f32_e32 v23, v20, v23
	v_sub_f32_e32 v20, v20, v26
	v_add_f32_e32 v23, v17, v23
	v_add_f32_e32 v17, v17, v20
	;; [unrolled: 1-line block ×3, first 2 shown]
	v_rcp_f32_e32 v26, v20
	v_add_f32_e32 v24, v21, v23
	v_sub_f32_e32 v21, v21, v24
	v_add_f32_e32 v21, v23, v21
	v_sub_f32_e32 v23, v25, v20
	v_add_f32_e32 v17, v17, v23
	v_mul_f32_e32 v23, v24, v26
	v_mul_f32_e32 v25, v20, v23
	v_fma_f32 v27, v23, v20, -v25
	v_fmac_f32_e32 v27, v23, v17
	v_add_f32_e32 v28, v25, v27
	v_sub_f32_e32 v29, v24, v28
	v_sub_f32_e32 v24, v24, v29
	v_sub_f32_e32 v25, v28, v25
	v_sub_f32_e32 v24, v24, v28
	v_add_f32_e32 v21, v21, v24
	v_sub_f32_e32 v24, v25, v27
	v_add_f32_e32 v21, v24, v21
	v_add_f32_e32 v24, v29, v21
	v_mul_f32_e32 v25, v26, v24
	v_mul_f32_e32 v27, v20, v25
	v_fma_f32 v20, v25, v20, -v27
	v_fmac_f32_e32 v20, v25, v17
	v_sub_f32_e32 v17, v29, v24
	v_add_f32_e32 v17, v21, v17
	v_add_f32_e32 v21, v27, v20
	v_sub_f32_e32 v28, v24, v21
	v_sub_f32_e32 v24, v24, v28
	;; [unrolled: 1-line block ×4, first 2 shown]
	v_add_f32_e32 v17, v17, v21
	v_sub_f32_e32 v20, v27, v20
	v_add_f32_e32 v17, v20, v17
	v_add_f32_e32 v20, v23, v25
	;; [unrolled: 1-line block ×3, first 2 shown]
	v_sub_f32_e32 v21, v20, v23
	v_mul_f32_e32 v17, v26, v17
	v_sub_f32_e32 v21, v25, v21
	v_add_f32_e32 v17, v21, v17
	v_cvt_f32_i32_e32 v16, v16
	v_add_f32_e32 v21, v20, v17
	v_mul_f32_e32 v23, v21, v21
	v_mov_b32_e32 v24, 0x3ecc95a3
	v_fmac_f32_e32 v24, 0x3e9b6dac, v23
	v_mov_b32_e32 v25, 0x3f2aaada
	v_fmac_f32_e32 v25, v23, v24
	v_mul_f32_e32 v24, 0x3f317218, v16
	v_fma_f32 v26, v16, s8, -v24
	v_fmac_f32_e32 v26, 0xb102e308, v16
	v_sub_f32_e32 v16, v21, v20
	v_sub_f32_e32 v16, v17, v16
	v_add_f32_e32 v17, v24, v26
	v_sub_f32_e32 v20, v17, v24
	v_ldexp_f32 v24, v21, 1
	v_mul_f32_e32 v21, v21, v23
	v_mul_f32_e32 v21, v21, v25
	v_add_f32_e32 v23, v24, v21
	v_sub_f32_e32 v24, v23, v24
	v_ldexp_f32 v16, v16, 1
	v_sub_f32_e32 v21, v21, v24
	v_add_f32_e32 v16, v16, v21
	v_add_f32_e32 v21, v23, v16
	v_sub_f32_e32 v23, v21, v23
	v_sub_f32_e32 v16, v16, v23
	v_add_f32_e32 v23, v17, v21
	v_sub_f32_e32 v24, v23, v17
	v_sub_f32_e32 v25, v23, v24
	;; [unrolled: 1-line block ×5, first 2 shown]
	v_add_f32_e32 v17, v21, v17
	v_add_f32_e32 v21, v20, v16
	v_sub_f32_e32 v24, v21, v20
	v_sub_f32_e32 v25, v21, v24
	;; [unrolled: 1-line block ×4, first 2 shown]
	v_add_f32_e32 v17, v21, v17
	v_add_f32_e32 v16, v16, v20
	v_add_f32_e32 v20, v23, v17
	v_sub_f32_e32 v21, v20, v23
	v_sub_f32_e32 v17, v17, v21
	v_add_f32_e32 v16, v16, v17
	v_add_f32_e32 v16, v20, v16
	v_cmp_neq_f32_e32 vcc, s7, v19
	s_mov_b32 s7, 0x33800000
	v_cndmask_b32_e32 v16, v18, v16, vcc
	v_cmp_lt_f32_e64 vcc, |v19|, s7
	v_cndmask_b32_e32 v16, v16, v19, vcc
	v_add_f32_e32 v16, v15, v16
.LBB478_50:
	s_or_b64 exec, exec, s[2:3]
	v_bfe_u32 v15, v16, 16, 1
	s_movk_i32 s7, 0x7fff
	v_add3_u32 v15, v16, v15, s7
	v_and_b32_e32 v15, 0xffff0000, v15
	v_mov_b32_e32 v17, 0x7fc00000
	v_cmp_o_f32_e32 vcc, v16, v16
	v_cndmask_b32_e32 v19, v17, v15, vcc
	v_lshlrev_b32_e32 v15, 16, v2
	v_max_f32_e32 v18, v19, v19
	v_max_f32_e32 v16, v15, v15
	v_min_f32_e32 v20, v18, v16
	v_cmp_u_f32_e32 vcc, v19, v19
	v_max_f32_e32 v18, v18, v16
	v_cndmask_b32_e32 v20, v20, v19, vcc
	v_cmp_u_f32_e64 s[52:53], v15, v15
	v_cndmask_b32_e32 v18, v18, v19, vcc
	v_cndmask_b32_e64 v20, v20, v15, s[52:53]
	v_cndmask_b32_e64 v18, v18, v15, s[52:53]
	v_cmp_neq_f32_e32 vcc, v20, v18
	v_cmp_class_f32_e64 s[2:3], v20, s6
	s_or_b64 s[8:9], vcc, s[2:3]
	s_and_saveexec_b64 s[2:3], s[8:9]
	s_cbranch_execz .LBB478_52
; %bb.51:
	v_sub_f32_e32 v19, v20, v18
	s_mov_b32 s6, 0x3fb8aa3b
	v_mul_f32_e32 v20, 0x3fb8aa3b, v19
	v_fma_f32 v21, v19, s6, -v20
	v_rndne_f32_e32 v23, v20
	v_fmac_f32_e32 v21, 0x32a5705f, v19
	v_sub_f32_e32 v20, v20, v23
	v_add_f32_e32 v20, v20, v21
	v_exp_f32_e32 v20, v20
	v_cvt_i32_f32_e32 v21, v23
	s_mov_b32 s6, 0xc2ce8ed0
	v_cmp_ngt_f32_e32 vcc, s6, v19
	s_mov_b32 s6, 0x42b17218
	v_ldexp_f32 v20, v20, v21
	v_cndmask_b32_e32 v20, 0, v20, vcc
	v_mov_b32_e32 v21, 0x7f800000
	v_cmp_nlt_f32_e32 vcc, s6, v19
	v_cndmask_b32_e32 v23, v21, v20, vcc
	v_add_f32_e32 v24, 1.0, v23
	v_cvt_f64_f32_e32 v[19:20], v24
	v_add_f32_e32 v25, -1.0, v24
	v_sub_f32_e32 v26, v25, v24
	v_sub_f32_e32 v25, v23, v25
	v_frexp_exp_i32_f64_e32 v19, v[19:20]
	v_add_f32_e32 v20, 1.0, v26
	v_add_f32_e32 v20, v25, v20
	v_frexp_mant_f32_e32 v25, v24
	s_mov_b32 s8, 0x3f2aaaab
	v_cmp_gt_f32_e32 vcc, s8, v25
	s_mov_b32 s8, 0x3f317218
	s_mov_b32 s6, 0x7f800000
	v_subbrev_co_u32_e32 v19, vcc, 0, v19, vcc
	v_sub_u32_e32 v25, 0, v19
	v_ldexp_f32 v24, v24, v25
	v_ldexp_f32 v20, v20, v25
	v_add_f32_e32 v25, -1.0, v24
	v_add_f32_e32 v28, 1.0, v24
	v_add_f32_e32 v26, 1.0, v25
	v_add_f32_e32 v29, -1.0, v28
	v_sub_f32_e32 v26, v24, v26
	v_sub_f32_e32 v24, v24, v29
	v_add_f32_e32 v26, v20, v26
	v_add_f32_e32 v20, v20, v24
	;; [unrolled: 1-line block ×3, first 2 shown]
	v_rcp_f32_e32 v29, v24
	v_add_f32_e32 v27, v25, v26
	v_sub_f32_e32 v25, v25, v27
	v_add_f32_e32 v25, v26, v25
	v_sub_f32_e32 v26, v28, v24
	v_add_f32_e32 v20, v20, v26
	v_mul_f32_e32 v26, v27, v29
	v_mul_f32_e32 v28, v24, v26
	v_fma_f32 v30, v26, v24, -v28
	v_fmac_f32_e32 v30, v26, v20
	v_add_f32_e32 v31, v28, v30
	v_sub_f32_e32 v32, v27, v31
	v_sub_f32_e32 v27, v27, v32
	;; [unrolled: 1-line block ×4, first 2 shown]
	v_add_f32_e32 v25, v25, v27
	v_sub_f32_e32 v27, v28, v30
	v_add_f32_e32 v25, v27, v25
	v_add_f32_e32 v27, v32, v25
	v_mul_f32_e32 v28, v29, v27
	v_mul_f32_e32 v30, v24, v28
	v_fma_f32 v24, v28, v24, -v30
	v_fmac_f32_e32 v24, v28, v20
	v_sub_f32_e32 v20, v32, v27
	v_add_f32_e32 v20, v25, v20
	v_add_f32_e32 v25, v30, v24
	v_sub_f32_e32 v31, v27, v25
	v_sub_f32_e32 v27, v27, v31
	;; [unrolled: 1-line block ×4, first 2 shown]
	v_add_f32_e32 v20, v20, v25
	v_sub_f32_e32 v24, v30, v24
	v_add_f32_e32 v20, v24, v20
	v_add_f32_e32 v24, v26, v28
	;; [unrolled: 1-line block ×3, first 2 shown]
	v_sub_f32_e32 v25, v24, v26
	v_mul_f32_e32 v20, v29, v20
	v_sub_f32_e32 v25, v28, v25
	v_add_f32_e32 v20, v25, v20
	v_cvt_f32_i32_e32 v19, v19
	v_add_f32_e32 v25, v24, v20
	v_mul_f32_e32 v26, v25, v25
	v_mov_b32_e32 v27, 0x3ecc95a3
	v_fmac_f32_e32 v27, 0x3e9b6dac, v26
	v_mov_b32_e32 v28, 0x3f2aaada
	v_fmac_f32_e32 v28, v26, v27
	v_mul_f32_e32 v27, 0x3f317218, v19
	v_fma_f32 v29, v19, s8, -v27
	v_fmac_f32_e32 v29, 0xb102e308, v19
	v_sub_f32_e32 v19, v25, v24
	v_sub_f32_e32 v19, v20, v19
	v_add_f32_e32 v20, v27, v29
	v_sub_f32_e32 v24, v20, v27
	v_ldexp_f32 v27, v25, 1
	v_mul_f32_e32 v25, v25, v26
	v_mul_f32_e32 v25, v25, v28
	v_add_f32_e32 v26, v27, v25
	v_sub_f32_e32 v27, v26, v27
	v_ldexp_f32 v19, v19, 1
	v_sub_f32_e32 v25, v25, v27
	v_add_f32_e32 v19, v19, v25
	v_add_f32_e32 v25, v26, v19
	v_sub_f32_e32 v26, v25, v26
	v_sub_f32_e32 v19, v19, v26
	v_add_f32_e32 v26, v20, v25
	v_sub_f32_e32 v27, v26, v20
	v_sub_f32_e32 v28, v26, v27
	;; [unrolled: 1-line block ×5, first 2 shown]
	v_add_f32_e32 v20, v25, v20
	v_add_f32_e32 v25, v24, v19
	v_sub_f32_e32 v27, v25, v24
	v_sub_f32_e32 v28, v25, v27
	v_sub_f32_e32 v24, v24, v28
	v_sub_f32_e32 v19, v19, v27
	v_add_f32_e32 v20, v25, v20
	v_add_f32_e32 v19, v19, v24
	;; [unrolled: 1-line block ×3, first 2 shown]
	v_sub_f32_e32 v25, v24, v26
	v_sub_f32_e32 v20, v20, v25
	v_add_f32_e32 v19, v19, v20
	v_add_f32_e32 v19, v24, v19
	v_cmp_neq_f32_e32 vcc, s6, v23
	s_mov_b32 s6, 0x33800000
	v_cndmask_b32_e32 v19, v21, v19, vcc
	v_cmp_lt_f32_e64 vcc, |v23|, s6
	v_cndmask_b32_e32 v19, v19, v23, vcc
	v_add_f32_e32 v19, v18, v19
.LBB478_52:
	s_or_b64 exec, exec, s[2:3]
	v_bfe_u32 v18, v19, 16, 1
	v_add3_u32 v18, v19, v18, s7
	v_and_b32_e32 v18, 0xffff0000, v18
	v_cmp_o_f32_e32 vcc, v19, v19
	v_cndmask_b32_e32 v19, v17, v18, vcc
	v_and_b32_e32 v2, 0xffff0000, v2
	v_max_f32_e32 v17, v19, v19
	v_max_f32_e32 v18, v2, v2
	v_min_f32_e32 v20, v17, v18
	v_cmp_u_f32_e32 vcc, v19, v19
	v_max_f32_e32 v17, v17, v18
	v_cndmask_b32_e32 v20, v20, v19, vcc
	v_cmp_u_f32_e64 s[54:55], v2, v2
	v_cndmask_b32_e32 v17, v17, v19, vcc
	v_cndmask_b32_e64 v20, v20, v2, s[54:55]
	v_cndmask_b32_e64 v17, v17, v2, s[54:55]
	s_movk_i32 s6, 0x1f8
	v_cmp_neq_f32_e32 vcc, v20, v17
	v_cmp_class_f32_e64 s[2:3], v20, s6
	s_or_b64 s[8:9], vcc, s[2:3]
	s_and_saveexec_b64 s[2:3], s[8:9]
	s_cbranch_execz .LBB478_54
; %bb.53:
	v_sub_f32_e32 v19, v20, v17
	s_mov_b32 s7, 0x3fb8aa3b
	v_mul_f32_e32 v20, 0x3fb8aa3b, v19
	v_fma_f32 v21, v19, s7, -v20
	v_rndne_f32_e32 v23, v20
	v_fmac_f32_e32 v21, 0x32a5705f, v19
	v_sub_f32_e32 v20, v20, v23
	v_add_f32_e32 v20, v20, v21
	v_exp_f32_e32 v20, v20
	v_cvt_i32_f32_e32 v21, v23
	s_mov_b32 s7, 0xc2ce8ed0
	v_cmp_ngt_f32_e32 vcc, s7, v19
	s_mov_b32 s7, 0x42b17218
	v_ldexp_f32 v20, v20, v21
	v_cndmask_b32_e32 v20, 0, v20, vcc
	v_mov_b32_e32 v21, 0x7f800000
	v_cmp_nlt_f32_e32 vcc, s7, v19
	v_cndmask_b32_e32 v23, v21, v20, vcc
	v_add_f32_e32 v24, 1.0, v23
	v_cvt_f64_f32_e32 v[19:20], v24
	v_add_f32_e32 v25, -1.0, v24
	v_sub_f32_e32 v26, v25, v24
	v_sub_f32_e32 v25, v23, v25
	v_frexp_exp_i32_f64_e32 v19, v[19:20]
	v_add_f32_e32 v20, 1.0, v26
	v_add_f32_e32 v20, v25, v20
	v_frexp_mant_f32_e32 v25, v24
	s_mov_b32 s8, 0x3f2aaaab
	v_cmp_gt_f32_e32 vcc, s8, v25
	s_mov_b32 s8, 0x3f317218
	s_mov_b32 s7, 0x7f800000
	v_subbrev_co_u32_e32 v19, vcc, 0, v19, vcc
	v_sub_u32_e32 v25, 0, v19
	v_ldexp_f32 v24, v24, v25
	v_ldexp_f32 v20, v20, v25
	v_add_f32_e32 v25, -1.0, v24
	v_add_f32_e32 v28, 1.0, v24
	v_add_f32_e32 v26, 1.0, v25
	v_add_f32_e32 v29, -1.0, v28
	v_sub_f32_e32 v26, v24, v26
	v_sub_f32_e32 v24, v24, v29
	v_add_f32_e32 v26, v20, v26
	v_add_f32_e32 v20, v20, v24
	;; [unrolled: 1-line block ×3, first 2 shown]
	v_rcp_f32_e32 v29, v24
	v_add_f32_e32 v27, v25, v26
	v_sub_f32_e32 v25, v25, v27
	v_add_f32_e32 v25, v26, v25
	v_sub_f32_e32 v26, v28, v24
	v_add_f32_e32 v20, v20, v26
	v_mul_f32_e32 v26, v27, v29
	v_mul_f32_e32 v28, v24, v26
	v_fma_f32 v30, v26, v24, -v28
	v_fmac_f32_e32 v30, v26, v20
	v_add_f32_e32 v31, v28, v30
	v_sub_f32_e32 v32, v27, v31
	v_sub_f32_e32 v27, v27, v32
	;; [unrolled: 1-line block ×4, first 2 shown]
	v_add_f32_e32 v25, v25, v27
	v_sub_f32_e32 v27, v28, v30
	v_add_f32_e32 v25, v27, v25
	v_add_f32_e32 v27, v32, v25
	v_mul_f32_e32 v28, v29, v27
	v_mul_f32_e32 v30, v24, v28
	v_fma_f32 v24, v28, v24, -v30
	v_fmac_f32_e32 v24, v28, v20
	v_sub_f32_e32 v20, v32, v27
	v_add_f32_e32 v20, v25, v20
	v_add_f32_e32 v25, v30, v24
	v_sub_f32_e32 v31, v27, v25
	v_sub_f32_e32 v27, v27, v31
	v_sub_f32_e32 v30, v25, v30
	v_sub_f32_e32 v25, v27, v25
	v_add_f32_e32 v20, v20, v25
	v_sub_f32_e32 v24, v30, v24
	v_add_f32_e32 v20, v24, v20
	v_add_f32_e32 v24, v26, v28
	;; [unrolled: 1-line block ×3, first 2 shown]
	v_sub_f32_e32 v25, v24, v26
	v_mul_f32_e32 v20, v29, v20
	v_sub_f32_e32 v25, v28, v25
	v_add_f32_e32 v20, v25, v20
	v_cvt_f32_i32_e32 v19, v19
	v_add_f32_e32 v25, v24, v20
	v_mul_f32_e32 v26, v25, v25
	v_mov_b32_e32 v27, 0x3ecc95a3
	v_fmac_f32_e32 v27, 0x3e9b6dac, v26
	v_mov_b32_e32 v28, 0x3f2aaada
	v_fmac_f32_e32 v28, v26, v27
	v_mul_f32_e32 v27, 0x3f317218, v19
	v_fma_f32 v29, v19, s8, -v27
	v_fmac_f32_e32 v29, 0xb102e308, v19
	v_sub_f32_e32 v19, v25, v24
	v_sub_f32_e32 v19, v20, v19
	v_add_f32_e32 v20, v27, v29
	v_sub_f32_e32 v24, v20, v27
	v_ldexp_f32 v27, v25, 1
	v_mul_f32_e32 v25, v25, v26
	v_mul_f32_e32 v25, v25, v28
	v_add_f32_e32 v26, v27, v25
	v_sub_f32_e32 v27, v26, v27
	v_ldexp_f32 v19, v19, 1
	v_sub_f32_e32 v25, v25, v27
	v_add_f32_e32 v19, v19, v25
	v_add_f32_e32 v25, v26, v19
	v_sub_f32_e32 v26, v25, v26
	v_sub_f32_e32 v19, v19, v26
	v_add_f32_e32 v26, v20, v25
	v_sub_f32_e32 v27, v26, v20
	v_sub_f32_e32 v28, v26, v27
	;; [unrolled: 1-line block ×5, first 2 shown]
	v_add_f32_e32 v20, v25, v20
	v_add_f32_e32 v25, v24, v19
	v_sub_f32_e32 v27, v25, v24
	v_sub_f32_e32 v28, v25, v27
	;; [unrolled: 1-line block ×4, first 2 shown]
	v_add_f32_e32 v20, v25, v20
	v_add_f32_e32 v19, v19, v24
	v_add_f32_e32 v24, v26, v20
	v_sub_f32_e32 v25, v24, v26
	v_sub_f32_e32 v20, v20, v25
	v_add_f32_e32 v19, v19, v20
	v_add_f32_e32 v19, v24, v19
	v_cmp_neq_f32_e32 vcc, s7, v23
	s_mov_b32 s7, 0x33800000
	v_cndmask_b32_e32 v19, v21, v19, vcc
	v_cmp_lt_f32_e64 vcc, |v23|, s7
	v_cndmask_b32_e32 v19, v19, v23, vcc
	v_add_f32_e32 v19, v17, v19
.LBB478_54:
	s_or_b64 exec, exec, s[2:3]
	v_bfe_u32 v17, v19, 16, 1
	s_movk_i32 s7, 0x7fff
	v_add3_u32 v17, v19, v17, s7
	v_and_b32_e32 v17, 0xffff0000, v17
	v_mov_b32_e32 v20, 0x7fc00000
	v_cmp_o_f32_e32 vcc, v19, v19
	v_cndmask_b32_e32 v23, v20, v17, vcc
	v_lshlrev_b32_e32 v17, 16, v3
	v_max_f32_e32 v21, v23, v23
	v_max_f32_e32 v19, v17, v17
	v_min_f32_e32 v24, v21, v19
	v_cmp_u_f32_e32 vcc, v23, v23
	v_max_f32_e32 v21, v21, v19
	v_cndmask_b32_e32 v24, v24, v23, vcc
	v_cmp_u_f32_e64 s[56:57], v17, v17
	v_cndmask_b32_e32 v21, v21, v23, vcc
	v_cndmask_b32_e64 v24, v24, v17, s[56:57]
	v_cndmask_b32_e64 v21, v21, v17, s[56:57]
	v_cmp_neq_f32_e32 vcc, v24, v21
	v_cmp_class_f32_e64 s[2:3], v24, s6
	s_or_b64 s[8:9], vcc, s[2:3]
	s_and_saveexec_b64 s[2:3], s[8:9]
	s_cbranch_execz .LBB478_56
; %bb.55:
	v_sub_f32_e32 v23, v24, v21
	s_mov_b32 s6, 0x3fb8aa3b
	v_mul_f32_e32 v24, 0x3fb8aa3b, v23
	v_fma_f32 v25, v23, s6, -v24
	v_rndne_f32_e32 v26, v24
	v_fmac_f32_e32 v25, 0x32a5705f, v23
	v_sub_f32_e32 v24, v24, v26
	v_add_f32_e32 v24, v24, v25
	v_exp_f32_e32 v24, v24
	v_cvt_i32_f32_e32 v25, v26
	s_mov_b32 s6, 0xc2ce8ed0
	v_cmp_ngt_f32_e32 vcc, s6, v23
	s_mov_b32 s6, 0x42b17218
	v_ldexp_f32 v24, v24, v25
	v_cndmask_b32_e32 v24, 0, v24, vcc
	v_mov_b32_e32 v25, 0x7f800000
	v_cmp_nlt_f32_e32 vcc, s6, v23
	v_cndmask_b32_e32 v26, v25, v24, vcc
	v_add_f32_e32 v27, 1.0, v26
	v_cvt_f64_f32_e32 v[23:24], v27
	v_add_f32_e32 v28, -1.0, v27
	v_sub_f32_e32 v29, v28, v27
	v_sub_f32_e32 v28, v26, v28
	v_frexp_exp_i32_f64_e32 v23, v[23:24]
	v_add_f32_e32 v24, 1.0, v29
	v_add_f32_e32 v24, v28, v24
	v_frexp_mant_f32_e32 v28, v27
	s_mov_b32 s8, 0x3f2aaaab
	v_cmp_gt_f32_e32 vcc, s8, v28
	s_mov_b32 s8, 0x3f317218
	s_mov_b32 s6, 0x7f800000
	v_subbrev_co_u32_e32 v23, vcc, 0, v23, vcc
	v_sub_u32_e32 v28, 0, v23
	v_ldexp_f32 v27, v27, v28
	v_ldexp_f32 v24, v24, v28
	v_add_f32_e32 v28, -1.0, v27
	v_add_f32_e32 v31, 1.0, v27
	v_add_f32_e32 v29, 1.0, v28
	v_add_f32_e32 v32, -1.0, v31
	v_sub_f32_e32 v29, v27, v29
	v_sub_f32_e32 v27, v27, v32
	v_add_f32_e32 v29, v24, v29
	v_add_f32_e32 v24, v24, v27
	;; [unrolled: 1-line block ×3, first 2 shown]
	v_rcp_f32_e32 v32, v27
	v_add_f32_e32 v30, v28, v29
	v_sub_f32_e32 v28, v28, v30
	v_add_f32_e32 v28, v29, v28
	v_sub_f32_e32 v29, v31, v27
	v_add_f32_e32 v24, v24, v29
	v_mul_f32_e32 v29, v30, v32
	v_mul_f32_e32 v31, v27, v29
	v_fma_f32 v33, v29, v27, -v31
	v_fmac_f32_e32 v33, v29, v24
	v_add_f32_e32 v34, v31, v33
	v_sub_f32_e32 v35, v30, v34
	v_sub_f32_e32 v30, v30, v35
	;; [unrolled: 1-line block ×4, first 2 shown]
	v_add_f32_e32 v28, v28, v30
	v_sub_f32_e32 v30, v31, v33
	v_add_f32_e32 v28, v30, v28
	v_add_f32_e32 v30, v35, v28
	v_mul_f32_e32 v31, v32, v30
	v_mul_f32_e32 v33, v27, v31
	v_fma_f32 v27, v31, v27, -v33
	v_fmac_f32_e32 v27, v31, v24
	v_sub_f32_e32 v24, v35, v30
	v_add_f32_e32 v24, v28, v24
	v_add_f32_e32 v28, v33, v27
	v_sub_f32_e32 v34, v30, v28
	v_sub_f32_e32 v30, v30, v34
	;; [unrolled: 1-line block ×4, first 2 shown]
	v_add_f32_e32 v24, v24, v28
	v_sub_f32_e32 v27, v33, v27
	v_add_f32_e32 v24, v27, v24
	v_add_f32_e32 v27, v29, v31
	;; [unrolled: 1-line block ×3, first 2 shown]
	v_sub_f32_e32 v28, v27, v29
	v_mul_f32_e32 v24, v32, v24
	v_sub_f32_e32 v28, v31, v28
	v_add_f32_e32 v24, v28, v24
	v_cvt_f32_i32_e32 v23, v23
	v_add_f32_e32 v28, v27, v24
	v_mul_f32_e32 v29, v28, v28
	v_mov_b32_e32 v30, 0x3ecc95a3
	v_fmac_f32_e32 v30, 0x3e9b6dac, v29
	v_mov_b32_e32 v31, 0x3f2aaada
	v_fmac_f32_e32 v31, v29, v30
	v_mul_f32_e32 v30, 0x3f317218, v23
	v_fma_f32 v32, v23, s8, -v30
	v_fmac_f32_e32 v32, 0xb102e308, v23
	v_sub_f32_e32 v23, v28, v27
	v_sub_f32_e32 v23, v24, v23
	v_add_f32_e32 v24, v30, v32
	v_sub_f32_e32 v27, v24, v30
	v_ldexp_f32 v30, v28, 1
	v_mul_f32_e32 v28, v28, v29
	v_mul_f32_e32 v28, v28, v31
	v_add_f32_e32 v29, v30, v28
	v_sub_f32_e32 v30, v29, v30
	v_ldexp_f32 v23, v23, 1
	v_sub_f32_e32 v28, v28, v30
	v_add_f32_e32 v23, v23, v28
	v_add_f32_e32 v28, v29, v23
	v_sub_f32_e32 v29, v28, v29
	v_sub_f32_e32 v23, v23, v29
	v_add_f32_e32 v29, v24, v28
	v_sub_f32_e32 v30, v29, v24
	v_sub_f32_e32 v31, v29, v30
	;; [unrolled: 1-line block ×5, first 2 shown]
	v_add_f32_e32 v24, v28, v24
	v_add_f32_e32 v28, v27, v23
	v_sub_f32_e32 v30, v28, v27
	v_sub_f32_e32 v31, v28, v30
	;; [unrolled: 1-line block ×4, first 2 shown]
	v_add_f32_e32 v24, v28, v24
	v_add_f32_e32 v23, v23, v27
	;; [unrolled: 1-line block ×3, first 2 shown]
	v_sub_f32_e32 v28, v27, v29
	v_sub_f32_e32 v24, v24, v28
	v_add_f32_e32 v23, v23, v24
	v_add_f32_e32 v23, v27, v23
	v_cmp_neq_f32_e32 vcc, s6, v26
	s_mov_b32 s6, 0x33800000
	v_cndmask_b32_e32 v23, v25, v23, vcc
	v_cmp_lt_f32_e64 vcc, |v26|, s6
	v_cndmask_b32_e32 v23, v23, v26, vcc
	v_add_f32_e32 v23, v21, v23
.LBB478_56:
	s_or_b64 exec, exec, s[2:3]
	v_bfe_u32 v21, v23, 16, 1
	v_add3_u32 v21, v23, v21, s7
	v_and_b32_e32 v21, 0xffff0000, v21
	v_cmp_o_f32_e32 vcc, v23, v23
	v_cndmask_b32_e32 v23, v20, v21, vcc
	v_and_b32_e32 v3, 0xffff0000, v3
	v_max_f32_e32 v20, v23, v23
	v_max_f32_e32 v21, v3, v3
	v_min_f32_e32 v24, v20, v21
	v_cmp_u_f32_e32 vcc, v23, v23
	v_max_f32_e32 v20, v20, v21
	v_cndmask_b32_e32 v24, v24, v23, vcc
	v_cmp_u_f32_e64 s[58:59], v3, v3
	v_cndmask_b32_e32 v20, v20, v23, vcc
	v_cndmask_b32_e64 v24, v24, v3, s[58:59]
	v_cndmask_b32_e64 v20, v20, v3, s[58:59]
	s_movk_i32 s6, 0x1f8
	v_cmp_neq_f32_e32 vcc, v24, v20
	v_cmp_class_f32_e64 s[2:3], v24, s6
	s_or_b64 s[8:9], vcc, s[2:3]
	s_and_saveexec_b64 s[2:3], s[8:9]
	s_cbranch_execz .LBB478_58
; %bb.57:
	v_sub_f32_e32 v23, v24, v20
	s_mov_b32 s7, 0x3fb8aa3b
	v_mul_f32_e32 v24, 0x3fb8aa3b, v23
	v_fma_f32 v25, v23, s7, -v24
	v_rndne_f32_e32 v26, v24
	v_fmac_f32_e32 v25, 0x32a5705f, v23
	v_sub_f32_e32 v24, v24, v26
	v_add_f32_e32 v24, v24, v25
	v_exp_f32_e32 v24, v24
	v_cvt_i32_f32_e32 v25, v26
	s_mov_b32 s7, 0xc2ce8ed0
	v_cmp_ngt_f32_e32 vcc, s7, v23
	s_mov_b32 s7, 0x42b17218
	v_ldexp_f32 v24, v24, v25
	v_cndmask_b32_e32 v24, 0, v24, vcc
	v_mov_b32_e32 v25, 0x7f800000
	v_cmp_nlt_f32_e32 vcc, s7, v23
	v_cndmask_b32_e32 v26, v25, v24, vcc
	v_add_f32_e32 v27, 1.0, v26
	v_cvt_f64_f32_e32 v[23:24], v27
	v_add_f32_e32 v28, -1.0, v27
	v_sub_f32_e32 v29, v28, v27
	v_sub_f32_e32 v28, v26, v28
	v_frexp_exp_i32_f64_e32 v23, v[23:24]
	v_add_f32_e32 v24, 1.0, v29
	v_add_f32_e32 v24, v28, v24
	v_frexp_mant_f32_e32 v28, v27
	s_mov_b32 s8, 0x3f2aaaab
	v_cmp_gt_f32_e32 vcc, s8, v28
	s_mov_b32 s8, 0x3f317218
	s_mov_b32 s7, 0x7f800000
	v_subbrev_co_u32_e32 v23, vcc, 0, v23, vcc
	v_sub_u32_e32 v28, 0, v23
	v_ldexp_f32 v27, v27, v28
	v_ldexp_f32 v24, v24, v28
	v_add_f32_e32 v28, -1.0, v27
	v_add_f32_e32 v31, 1.0, v27
	v_add_f32_e32 v29, 1.0, v28
	v_add_f32_e32 v32, -1.0, v31
	v_sub_f32_e32 v29, v27, v29
	v_sub_f32_e32 v27, v27, v32
	v_add_f32_e32 v29, v24, v29
	v_add_f32_e32 v24, v24, v27
	;; [unrolled: 1-line block ×3, first 2 shown]
	v_rcp_f32_e32 v32, v27
	v_add_f32_e32 v30, v28, v29
	v_sub_f32_e32 v28, v28, v30
	v_add_f32_e32 v28, v29, v28
	v_sub_f32_e32 v29, v31, v27
	v_add_f32_e32 v24, v24, v29
	v_mul_f32_e32 v29, v30, v32
	v_mul_f32_e32 v31, v27, v29
	v_fma_f32 v33, v29, v27, -v31
	v_fmac_f32_e32 v33, v29, v24
	v_add_f32_e32 v34, v31, v33
	v_sub_f32_e32 v35, v30, v34
	v_sub_f32_e32 v30, v30, v35
	;; [unrolled: 1-line block ×4, first 2 shown]
	v_add_f32_e32 v28, v28, v30
	v_sub_f32_e32 v30, v31, v33
	v_add_f32_e32 v28, v30, v28
	v_add_f32_e32 v30, v35, v28
	v_mul_f32_e32 v31, v32, v30
	v_mul_f32_e32 v33, v27, v31
	v_fma_f32 v27, v31, v27, -v33
	v_fmac_f32_e32 v27, v31, v24
	v_sub_f32_e32 v24, v35, v30
	v_add_f32_e32 v24, v28, v24
	v_add_f32_e32 v28, v33, v27
	v_sub_f32_e32 v34, v30, v28
	v_sub_f32_e32 v30, v30, v34
	;; [unrolled: 1-line block ×4, first 2 shown]
	v_add_f32_e32 v24, v24, v28
	v_sub_f32_e32 v27, v33, v27
	v_add_f32_e32 v24, v27, v24
	v_add_f32_e32 v27, v29, v31
	;; [unrolled: 1-line block ×3, first 2 shown]
	v_sub_f32_e32 v28, v27, v29
	v_mul_f32_e32 v24, v32, v24
	v_sub_f32_e32 v28, v31, v28
	v_add_f32_e32 v24, v28, v24
	v_cvt_f32_i32_e32 v23, v23
	v_add_f32_e32 v28, v27, v24
	v_mul_f32_e32 v29, v28, v28
	v_mov_b32_e32 v30, 0x3ecc95a3
	v_fmac_f32_e32 v30, 0x3e9b6dac, v29
	v_mov_b32_e32 v31, 0x3f2aaada
	v_fmac_f32_e32 v31, v29, v30
	v_mul_f32_e32 v30, 0x3f317218, v23
	v_fma_f32 v32, v23, s8, -v30
	v_fmac_f32_e32 v32, 0xb102e308, v23
	v_sub_f32_e32 v23, v28, v27
	v_sub_f32_e32 v23, v24, v23
	v_add_f32_e32 v24, v30, v32
	v_sub_f32_e32 v27, v24, v30
	v_ldexp_f32 v30, v28, 1
	v_mul_f32_e32 v28, v28, v29
	v_mul_f32_e32 v28, v28, v31
	v_add_f32_e32 v29, v30, v28
	v_sub_f32_e32 v30, v29, v30
	v_ldexp_f32 v23, v23, 1
	v_sub_f32_e32 v28, v28, v30
	v_add_f32_e32 v23, v23, v28
	v_add_f32_e32 v28, v29, v23
	v_sub_f32_e32 v29, v28, v29
	v_sub_f32_e32 v23, v23, v29
	v_add_f32_e32 v29, v24, v28
	v_sub_f32_e32 v30, v29, v24
	v_sub_f32_e32 v31, v29, v30
	v_sub_f32_e32 v27, v32, v27
	v_sub_f32_e32 v24, v24, v31
	v_sub_f32_e32 v28, v28, v30
	v_add_f32_e32 v24, v28, v24
	v_add_f32_e32 v28, v27, v23
	v_sub_f32_e32 v30, v28, v27
	v_sub_f32_e32 v31, v28, v30
	;; [unrolled: 1-line block ×4, first 2 shown]
	v_add_f32_e32 v24, v28, v24
	v_add_f32_e32 v23, v23, v27
	;; [unrolled: 1-line block ×3, first 2 shown]
	v_sub_f32_e32 v28, v27, v29
	v_sub_f32_e32 v24, v24, v28
	v_add_f32_e32 v23, v23, v24
	v_add_f32_e32 v23, v27, v23
	v_cmp_neq_f32_e32 vcc, s7, v26
	s_mov_b32 s7, 0x33800000
	v_cndmask_b32_e32 v23, v25, v23, vcc
	v_cmp_lt_f32_e64 vcc, |v26|, s7
	v_cndmask_b32_e32 v23, v23, v26, vcc
	v_add_f32_e32 v23, v20, v23
.LBB478_58:
	s_or_b64 exec, exec, s[2:3]
	v_bfe_u32 v20, v23, 16, 1
	s_movk_i32 s7, 0x7fff
	v_add3_u32 v20, v23, v20, s7
	v_and_b32_e32 v20, 0xffff0000, v20
	v_mov_b32_e32 v24, 0x7fc00000
	v_cmp_o_f32_e32 vcc, v23, v23
	v_cndmask_b32_e32 v26, v24, v20, vcc
	v_lshlrev_b32_e32 v20, 16, v4
	v_max_f32_e32 v25, v26, v26
	v_max_f32_e32 v23, v20, v20
	v_min_f32_e32 v27, v25, v23
	v_cmp_u_f32_e32 vcc, v26, v26
	v_max_f32_e32 v25, v25, v23
	v_cndmask_b32_e32 v27, v27, v26, vcc
	v_cmp_u_f32_e64 s[60:61], v20, v20
	v_cndmask_b32_e32 v25, v25, v26, vcc
	v_cndmask_b32_e64 v27, v27, v20, s[60:61]
	v_cndmask_b32_e64 v25, v25, v20, s[60:61]
	v_cmp_neq_f32_e32 vcc, v27, v25
	v_cmp_class_f32_e64 s[2:3], v27, s6
	s_or_b64 s[8:9], vcc, s[2:3]
	s_and_saveexec_b64 s[2:3], s[8:9]
	s_cbranch_execz .LBB478_60
; %bb.59:
	v_sub_f32_e32 v26, v27, v25
	s_mov_b32 s6, 0x3fb8aa3b
	v_mul_f32_e32 v27, 0x3fb8aa3b, v26
	v_fma_f32 v28, v26, s6, -v27
	v_rndne_f32_e32 v29, v27
	v_fmac_f32_e32 v28, 0x32a5705f, v26
	v_sub_f32_e32 v27, v27, v29
	v_add_f32_e32 v27, v27, v28
	v_exp_f32_e32 v27, v27
	v_cvt_i32_f32_e32 v28, v29
	s_mov_b32 s6, 0xc2ce8ed0
	v_cmp_ngt_f32_e32 vcc, s6, v26
	s_mov_b32 s6, 0x42b17218
	v_ldexp_f32 v27, v27, v28
	v_cndmask_b32_e32 v27, 0, v27, vcc
	v_mov_b32_e32 v28, 0x7f800000
	v_cmp_nlt_f32_e32 vcc, s6, v26
	v_cndmask_b32_e32 v29, v28, v27, vcc
	v_add_f32_e32 v30, 1.0, v29
	v_cvt_f64_f32_e32 v[26:27], v30
	v_add_f32_e32 v31, -1.0, v30
	v_sub_f32_e32 v32, v31, v30
	v_sub_f32_e32 v31, v29, v31
	v_frexp_exp_i32_f64_e32 v26, v[26:27]
	v_add_f32_e32 v27, 1.0, v32
	v_add_f32_e32 v27, v31, v27
	v_frexp_mant_f32_e32 v31, v30
	s_mov_b32 s8, 0x3f2aaaab
	v_cmp_gt_f32_e32 vcc, s8, v31
	s_mov_b32 s8, 0x3f317218
	s_mov_b32 s6, 0x7f800000
	v_subbrev_co_u32_e32 v26, vcc, 0, v26, vcc
	v_sub_u32_e32 v31, 0, v26
	v_ldexp_f32 v30, v30, v31
	v_ldexp_f32 v27, v27, v31
	v_add_f32_e32 v31, -1.0, v30
	v_add_f32_e32 v34, 1.0, v30
	v_add_f32_e32 v32, 1.0, v31
	v_add_f32_e32 v35, -1.0, v34
	v_sub_f32_e32 v32, v30, v32
	v_sub_f32_e32 v30, v30, v35
	v_add_f32_e32 v32, v27, v32
	v_add_f32_e32 v27, v27, v30
	;; [unrolled: 1-line block ×3, first 2 shown]
	v_rcp_f32_e32 v35, v30
	v_add_f32_e32 v33, v31, v32
	v_sub_f32_e32 v31, v31, v33
	v_add_f32_e32 v31, v32, v31
	v_sub_f32_e32 v32, v34, v30
	v_add_f32_e32 v27, v27, v32
	v_mul_f32_e32 v32, v33, v35
	v_mul_f32_e32 v34, v30, v32
	v_fma_f32 v36, v32, v30, -v34
	v_fmac_f32_e32 v36, v32, v27
	v_add_f32_e32 v37, v34, v36
	v_sub_f32_e32 v38, v33, v37
	v_sub_f32_e32 v33, v33, v38
	;; [unrolled: 1-line block ×4, first 2 shown]
	v_add_f32_e32 v31, v31, v33
	v_sub_f32_e32 v33, v34, v36
	v_add_f32_e32 v31, v33, v31
	v_add_f32_e32 v33, v38, v31
	v_mul_f32_e32 v34, v35, v33
	v_mul_f32_e32 v36, v30, v34
	v_fma_f32 v30, v34, v30, -v36
	v_fmac_f32_e32 v30, v34, v27
	v_sub_f32_e32 v27, v38, v33
	v_add_f32_e32 v27, v31, v27
	v_add_f32_e32 v31, v36, v30
	v_sub_f32_e32 v37, v33, v31
	v_sub_f32_e32 v33, v33, v37
	;; [unrolled: 1-line block ×4, first 2 shown]
	v_add_f32_e32 v27, v27, v31
	v_sub_f32_e32 v30, v36, v30
	v_add_f32_e32 v27, v30, v27
	v_add_f32_e32 v30, v32, v34
	;; [unrolled: 1-line block ×3, first 2 shown]
	v_sub_f32_e32 v31, v30, v32
	v_mul_f32_e32 v27, v35, v27
	v_sub_f32_e32 v31, v34, v31
	v_add_f32_e32 v27, v31, v27
	v_cvt_f32_i32_e32 v26, v26
	v_add_f32_e32 v31, v30, v27
	v_mul_f32_e32 v32, v31, v31
	v_mov_b32_e32 v33, 0x3ecc95a3
	v_fmac_f32_e32 v33, 0x3e9b6dac, v32
	v_mov_b32_e32 v34, 0x3f2aaada
	v_fmac_f32_e32 v34, v32, v33
	v_mul_f32_e32 v33, 0x3f317218, v26
	v_fma_f32 v35, v26, s8, -v33
	v_fmac_f32_e32 v35, 0xb102e308, v26
	v_sub_f32_e32 v26, v31, v30
	v_sub_f32_e32 v26, v27, v26
	v_add_f32_e32 v27, v33, v35
	v_sub_f32_e32 v30, v27, v33
	v_ldexp_f32 v33, v31, 1
	v_mul_f32_e32 v31, v31, v32
	v_mul_f32_e32 v31, v31, v34
	v_add_f32_e32 v32, v33, v31
	v_sub_f32_e32 v33, v32, v33
	v_ldexp_f32 v26, v26, 1
	v_sub_f32_e32 v31, v31, v33
	v_add_f32_e32 v26, v26, v31
	v_add_f32_e32 v31, v32, v26
	v_sub_f32_e32 v32, v31, v32
	v_sub_f32_e32 v26, v26, v32
	v_add_f32_e32 v32, v27, v31
	v_sub_f32_e32 v33, v32, v27
	v_sub_f32_e32 v34, v32, v33
	;; [unrolled: 1-line block ×5, first 2 shown]
	v_add_f32_e32 v27, v31, v27
	v_add_f32_e32 v31, v30, v26
	v_sub_f32_e32 v33, v31, v30
	v_sub_f32_e32 v34, v31, v33
	;; [unrolled: 1-line block ×4, first 2 shown]
	v_add_f32_e32 v27, v31, v27
	v_add_f32_e32 v26, v26, v30
	;; [unrolled: 1-line block ×3, first 2 shown]
	v_sub_f32_e32 v31, v30, v32
	v_sub_f32_e32 v27, v27, v31
	v_add_f32_e32 v26, v26, v27
	v_add_f32_e32 v26, v30, v26
	v_cmp_neq_f32_e32 vcc, s6, v29
	s_mov_b32 s6, 0x33800000
	v_cndmask_b32_e32 v26, v28, v26, vcc
	v_cmp_lt_f32_e64 vcc, |v29|, s6
	v_cndmask_b32_e32 v26, v26, v29, vcc
	v_add_f32_e32 v26, v25, v26
.LBB478_60:
	s_or_b64 exec, exec, s[2:3]
	v_bfe_u32 v25, v26, 16, 1
	v_add3_u32 v25, v26, v25, s7
	v_and_b32_e32 v25, 0xffff0000, v25
	v_cmp_o_f32_e32 vcc, v26, v26
	v_cndmask_b32_e32 v26, v24, v25, vcc
	v_and_b32_e32 v4, 0xffff0000, v4
	v_max_f32_e32 v24, v26, v26
	v_max_f32_e32 v25, v4, v4
	v_min_f32_e32 v27, v24, v25
	v_cmp_u_f32_e32 vcc, v26, v26
	v_max_f32_e32 v24, v24, v25
	v_cndmask_b32_e32 v27, v27, v26, vcc
	v_cmp_u_f32_e64 s[62:63], v4, v4
	v_cndmask_b32_e32 v24, v24, v26, vcc
	v_cndmask_b32_e64 v27, v27, v4, s[62:63]
	v_cndmask_b32_e64 v24, v24, v4, s[62:63]
	s_movk_i32 s6, 0x1f8
	v_cmp_neq_f32_e32 vcc, v27, v24
	v_cmp_class_f32_e64 s[2:3], v27, s6
	s_or_b64 s[8:9], vcc, s[2:3]
	s_and_saveexec_b64 s[2:3], s[8:9]
	s_cbranch_execz .LBB478_62
; %bb.61:
	v_sub_f32_e32 v26, v27, v24
	s_mov_b32 s7, 0x3fb8aa3b
	v_mul_f32_e32 v27, 0x3fb8aa3b, v26
	v_fma_f32 v28, v26, s7, -v27
	v_rndne_f32_e32 v29, v27
	v_fmac_f32_e32 v28, 0x32a5705f, v26
	v_sub_f32_e32 v27, v27, v29
	v_add_f32_e32 v27, v27, v28
	v_exp_f32_e32 v27, v27
	v_cvt_i32_f32_e32 v28, v29
	s_mov_b32 s7, 0xc2ce8ed0
	v_cmp_ngt_f32_e32 vcc, s7, v26
	s_mov_b32 s7, 0x42b17218
	v_ldexp_f32 v27, v27, v28
	v_cndmask_b32_e32 v27, 0, v27, vcc
	v_mov_b32_e32 v28, 0x7f800000
	v_cmp_nlt_f32_e32 vcc, s7, v26
	v_cndmask_b32_e32 v29, v28, v27, vcc
	v_add_f32_e32 v30, 1.0, v29
	v_cvt_f64_f32_e32 v[26:27], v30
	v_add_f32_e32 v31, -1.0, v30
	v_sub_f32_e32 v32, v31, v30
	v_sub_f32_e32 v31, v29, v31
	v_frexp_exp_i32_f64_e32 v26, v[26:27]
	v_add_f32_e32 v27, 1.0, v32
	v_add_f32_e32 v27, v31, v27
	v_frexp_mant_f32_e32 v31, v30
	s_mov_b32 s8, 0x3f2aaaab
	v_cmp_gt_f32_e32 vcc, s8, v31
	s_mov_b32 s8, 0x3f317218
	s_mov_b32 s7, 0x7f800000
	v_subbrev_co_u32_e32 v26, vcc, 0, v26, vcc
	v_sub_u32_e32 v31, 0, v26
	v_ldexp_f32 v30, v30, v31
	v_ldexp_f32 v27, v27, v31
	v_add_f32_e32 v31, -1.0, v30
	v_add_f32_e32 v34, 1.0, v30
	v_add_f32_e32 v32, 1.0, v31
	v_add_f32_e32 v35, -1.0, v34
	v_sub_f32_e32 v32, v30, v32
	v_sub_f32_e32 v30, v30, v35
	v_add_f32_e32 v32, v27, v32
	v_add_f32_e32 v27, v27, v30
	v_add_f32_e32 v30, v34, v27
	v_rcp_f32_e32 v35, v30
	v_add_f32_e32 v33, v31, v32
	v_sub_f32_e32 v31, v31, v33
	v_add_f32_e32 v31, v32, v31
	v_sub_f32_e32 v32, v34, v30
	v_add_f32_e32 v27, v27, v32
	v_mul_f32_e32 v32, v33, v35
	v_mul_f32_e32 v34, v30, v32
	v_fma_f32 v36, v32, v30, -v34
	v_fmac_f32_e32 v36, v32, v27
	v_add_f32_e32 v37, v34, v36
	v_sub_f32_e32 v38, v33, v37
	v_sub_f32_e32 v33, v33, v38
	;; [unrolled: 1-line block ×4, first 2 shown]
	v_add_f32_e32 v31, v31, v33
	v_sub_f32_e32 v33, v34, v36
	v_add_f32_e32 v31, v33, v31
	v_add_f32_e32 v33, v38, v31
	v_mul_f32_e32 v34, v35, v33
	v_mul_f32_e32 v36, v30, v34
	v_fma_f32 v30, v34, v30, -v36
	v_fmac_f32_e32 v30, v34, v27
	v_sub_f32_e32 v27, v38, v33
	v_add_f32_e32 v27, v31, v27
	v_add_f32_e32 v31, v36, v30
	v_sub_f32_e32 v37, v33, v31
	v_sub_f32_e32 v33, v33, v37
	;; [unrolled: 1-line block ×4, first 2 shown]
	v_add_f32_e32 v27, v27, v31
	v_sub_f32_e32 v30, v36, v30
	v_add_f32_e32 v27, v30, v27
	v_add_f32_e32 v30, v32, v34
	;; [unrolled: 1-line block ×3, first 2 shown]
	v_sub_f32_e32 v31, v30, v32
	v_mul_f32_e32 v27, v35, v27
	v_sub_f32_e32 v31, v34, v31
	v_add_f32_e32 v27, v31, v27
	v_cvt_f32_i32_e32 v26, v26
	v_add_f32_e32 v31, v30, v27
	v_mul_f32_e32 v32, v31, v31
	v_mov_b32_e32 v33, 0x3ecc95a3
	v_fmac_f32_e32 v33, 0x3e9b6dac, v32
	v_mov_b32_e32 v34, 0x3f2aaada
	v_fmac_f32_e32 v34, v32, v33
	v_mul_f32_e32 v33, 0x3f317218, v26
	v_fma_f32 v35, v26, s8, -v33
	v_fmac_f32_e32 v35, 0xb102e308, v26
	v_sub_f32_e32 v26, v31, v30
	v_sub_f32_e32 v26, v27, v26
	v_add_f32_e32 v27, v33, v35
	v_sub_f32_e32 v30, v27, v33
	v_ldexp_f32 v33, v31, 1
	v_mul_f32_e32 v31, v31, v32
	v_mul_f32_e32 v31, v31, v34
	v_add_f32_e32 v32, v33, v31
	v_sub_f32_e32 v33, v32, v33
	v_ldexp_f32 v26, v26, 1
	v_sub_f32_e32 v31, v31, v33
	v_add_f32_e32 v26, v26, v31
	v_add_f32_e32 v31, v32, v26
	v_sub_f32_e32 v32, v31, v32
	v_sub_f32_e32 v26, v26, v32
	v_add_f32_e32 v32, v27, v31
	v_sub_f32_e32 v33, v32, v27
	v_sub_f32_e32 v34, v32, v33
	;; [unrolled: 1-line block ×5, first 2 shown]
	v_add_f32_e32 v27, v31, v27
	v_add_f32_e32 v31, v30, v26
	v_sub_f32_e32 v33, v31, v30
	v_sub_f32_e32 v34, v31, v33
	;; [unrolled: 1-line block ×4, first 2 shown]
	v_add_f32_e32 v27, v31, v27
	v_add_f32_e32 v26, v26, v30
	;; [unrolled: 1-line block ×3, first 2 shown]
	v_sub_f32_e32 v31, v30, v32
	v_sub_f32_e32 v27, v27, v31
	v_add_f32_e32 v26, v26, v27
	v_add_f32_e32 v26, v30, v26
	v_cmp_neq_f32_e32 vcc, s7, v29
	s_mov_b32 s7, 0x33800000
	v_cndmask_b32_e32 v26, v28, v26, vcc
	v_cmp_lt_f32_e64 vcc, |v29|, s7
	v_cndmask_b32_e32 v26, v26, v29, vcc
	v_add_f32_e32 v26, v24, v26
.LBB478_62:
	s_or_b64 exec, exec, s[2:3]
	v_bfe_u32 v24, v26, 16, 1
	s_movk_i32 s7, 0x7fff
	v_add3_u32 v24, v26, v24, s7
	v_and_b32_e32 v24, 0xffff0000, v24
	v_mov_b32_e32 v27, 0x7fc00000
	v_cmp_o_f32_e32 vcc, v26, v26
	v_cndmask_b32_e32 v29, v27, v24, vcc
	v_lshlrev_b32_e32 v24, 16, v9
	v_max_f32_e32 v28, v29, v29
	v_max_f32_e32 v26, v24, v24
	v_min_f32_e32 v30, v28, v26
	v_cmp_u_f32_e32 vcc, v29, v29
	v_max_f32_e32 v28, v28, v26
	v_cndmask_b32_e32 v30, v30, v29, vcc
	v_cmp_u_f32_e64 s[64:65], v24, v24
	v_cndmask_b32_e32 v28, v28, v29, vcc
	v_cndmask_b32_e64 v30, v30, v24, s[64:65]
	v_cndmask_b32_e64 v28, v28, v24, s[64:65]
	v_cmp_neq_f32_e32 vcc, v30, v28
	v_cmp_class_f32_e64 s[2:3], v30, s6
	s_or_b64 s[8:9], vcc, s[2:3]
	s_and_saveexec_b64 s[2:3], s[8:9]
	s_cbranch_execz .LBB478_64
; %bb.63:
	v_sub_f32_e32 v29, v30, v28
	s_mov_b32 s6, 0x3fb8aa3b
	v_mul_f32_e32 v30, 0x3fb8aa3b, v29
	v_fma_f32 v31, v29, s6, -v30
	v_rndne_f32_e32 v32, v30
	v_fmac_f32_e32 v31, 0x32a5705f, v29
	v_sub_f32_e32 v30, v30, v32
	v_add_f32_e32 v30, v30, v31
	v_exp_f32_e32 v30, v30
	v_cvt_i32_f32_e32 v31, v32
	s_mov_b32 s6, 0xc2ce8ed0
	v_cmp_ngt_f32_e32 vcc, s6, v29
	s_mov_b32 s6, 0x42b17218
	v_ldexp_f32 v30, v30, v31
	v_cndmask_b32_e32 v30, 0, v30, vcc
	v_mov_b32_e32 v31, 0x7f800000
	v_cmp_nlt_f32_e32 vcc, s6, v29
	v_cndmask_b32_e32 v32, v31, v30, vcc
	v_add_f32_e32 v33, 1.0, v32
	v_cvt_f64_f32_e32 v[29:30], v33
	v_add_f32_e32 v34, -1.0, v33
	v_sub_f32_e32 v35, v34, v33
	v_sub_f32_e32 v34, v32, v34
	v_frexp_exp_i32_f64_e32 v29, v[29:30]
	v_add_f32_e32 v30, 1.0, v35
	v_add_f32_e32 v30, v34, v30
	v_frexp_mant_f32_e32 v34, v33
	s_mov_b32 s8, 0x3f2aaaab
	v_cmp_gt_f32_e32 vcc, s8, v34
	s_mov_b32 s8, 0x3f317218
	s_mov_b32 s6, 0x7f800000
	v_subbrev_co_u32_e32 v29, vcc, 0, v29, vcc
	v_sub_u32_e32 v34, 0, v29
	v_ldexp_f32 v33, v33, v34
	v_ldexp_f32 v30, v30, v34
	v_add_f32_e32 v34, -1.0, v33
	v_add_f32_e32 v37, 1.0, v33
	v_add_f32_e32 v35, 1.0, v34
	v_add_f32_e32 v38, -1.0, v37
	v_sub_f32_e32 v35, v33, v35
	v_sub_f32_e32 v33, v33, v38
	v_add_f32_e32 v35, v30, v35
	v_add_f32_e32 v30, v30, v33
	;; [unrolled: 1-line block ×3, first 2 shown]
	v_rcp_f32_e32 v38, v33
	v_add_f32_e32 v36, v34, v35
	v_sub_f32_e32 v34, v34, v36
	v_add_f32_e32 v34, v35, v34
	v_sub_f32_e32 v35, v37, v33
	v_add_f32_e32 v30, v30, v35
	v_mul_f32_e32 v35, v36, v38
	v_mul_f32_e32 v37, v33, v35
	v_fma_f32 v39, v35, v33, -v37
	v_fmac_f32_e32 v39, v35, v30
	v_add_f32_e32 v40, v37, v39
	v_sub_f32_e32 v41, v36, v40
	v_sub_f32_e32 v36, v36, v41
	;; [unrolled: 1-line block ×4, first 2 shown]
	v_add_f32_e32 v34, v34, v36
	v_sub_f32_e32 v36, v37, v39
	v_add_f32_e32 v34, v36, v34
	v_add_f32_e32 v36, v41, v34
	v_mul_f32_e32 v37, v38, v36
	v_mul_f32_e32 v39, v33, v37
	v_fma_f32 v33, v37, v33, -v39
	v_fmac_f32_e32 v33, v37, v30
	v_sub_f32_e32 v30, v41, v36
	v_add_f32_e32 v30, v34, v30
	v_add_f32_e32 v34, v39, v33
	v_sub_f32_e32 v40, v36, v34
	v_sub_f32_e32 v36, v36, v40
	;; [unrolled: 1-line block ×4, first 2 shown]
	v_add_f32_e32 v30, v30, v34
	v_sub_f32_e32 v33, v39, v33
	v_add_f32_e32 v30, v33, v30
	v_add_f32_e32 v33, v35, v37
	;; [unrolled: 1-line block ×3, first 2 shown]
	v_sub_f32_e32 v34, v33, v35
	v_mul_f32_e32 v30, v38, v30
	v_sub_f32_e32 v34, v37, v34
	v_add_f32_e32 v30, v34, v30
	v_cvt_f32_i32_e32 v29, v29
	v_add_f32_e32 v34, v33, v30
	v_mul_f32_e32 v35, v34, v34
	v_mov_b32_e32 v36, 0x3ecc95a3
	v_fmac_f32_e32 v36, 0x3e9b6dac, v35
	v_mov_b32_e32 v37, 0x3f2aaada
	v_fmac_f32_e32 v37, v35, v36
	v_mul_f32_e32 v36, 0x3f317218, v29
	v_fma_f32 v38, v29, s8, -v36
	v_fmac_f32_e32 v38, 0xb102e308, v29
	v_sub_f32_e32 v29, v34, v33
	v_sub_f32_e32 v29, v30, v29
	v_add_f32_e32 v30, v36, v38
	v_sub_f32_e32 v33, v30, v36
	v_ldexp_f32 v36, v34, 1
	v_mul_f32_e32 v34, v34, v35
	v_mul_f32_e32 v34, v34, v37
	v_add_f32_e32 v35, v36, v34
	v_sub_f32_e32 v36, v35, v36
	v_ldexp_f32 v29, v29, 1
	v_sub_f32_e32 v34, v34, v36
	v_add_f32_e32 v29, v29, v34
	v_add_f32_e32 v34, v35, v29
	v_sub_f32_e32 v35, v34, v35
	v_sub_f32_e32 v29, v29, v35
	v_add_f32_e32 v35, v30, v34
	v_sub_f32_e32 v36, v35, v30
	v_sub_f32_e32 v37, v35, v36
	;; [unrolled: 1-line block ×5, first 2 shown]
	v_add_f32_e32 v30, v34, v30
	v_add_f32_e32 v34, v33, v29
	v_sub_f32_e32 v36, v34, v33
	v_sub_f32_e32 v37, v34, v36
	;; [unrolled: 1-line block ×4, first 2 shown]
	v_add_f32_e32 v30, v34, v30
	v_add_f32_e32 v29, v29, v33
	;; [unrolled: 1-line block ×3, first 2 shown]
	v_sub_f32_e32 v34, v33, v35
	v_sub_f32_e32 v30, v30, v34
	v_add_f32_e32 v29, v29, v30
	v_add_f32_e32 v29, v33, v29
	v_cmp_neq_f32_e32 vcc, s6, v32
	s_mov_b32 s6, 0x33800000
	v_cndmask_b32_e32 v29, v31, v29, vcc
	v_cmp_lt_f32_e64 vcc, |v32|, s6
	v_cndmask_b32_e32 v29, v29, v32, vcc
	v_add_f32_e32 v29, v28, v29
.LBB478_64:
	s_or_b64 exec, exec, s[2:3]
	v_bfe_u32 v28, v29, 16, 1
	v_add3_u32 v28, v29, v28, s7
	v_and_b32_e32 v28, 0xffff0000, v28
	v_cmp_o_f32_e32 vcc, v29, v29
	v_cndmask_b32_e32 v29, v27, v28, vcc
	v_and_b32_e32 v9, 0xffff0000, v9
	v_max_f32_e32 v27, v29, v29
	v_max_f32_e32 v28, v9, v9
	v_min_f32_e32 v30, v27, v28
	v_cmp_u_f32_e32 vcc, v29, v29
	v_max_f32_e32 v27, v27, v28
	v_cndmask_b32_e32 v30, v30, v29, vcc
	v_cmp_u_f32_e64 s[66:67], v9, v9
	v_cndmask_b32_e32 v27, v27, v29, vcc
	v_cndmask_b32_e64 v30, v30, v9, s[66:67]
	v_cndmask_b32_e64 v27, v27, v9, s[66:67]
	s_movk_i32 s6, 0x1f8
	v_cmp_neq_f32_e32 vcc, v30, v27
	v_cmp_class_f32_e64 s[2:3], v30, s6
	s_or_b64 s[8:9], vcc, s[2:3]
	s_and_saveexec_b64 s[2:3], s[8:9]
	s_cbranch_execz .LBB478_66
; %bb.65:
	v_sub_f32_e32 v29, v30, v27
	s_mov_b32 s7, 0x3fb8aa3b
	v_mul_f32_e32 v30, 0x3fb8aa3b, v29
	v_fma_f32 v31, v29, s7, -v30
	v_rndne_f32_e32 v32, v30
	v_fmac_f32_e32 v31, 0x32a5705f, v29
	v_sub_f32_e32 v30, v30, v32
	v_add_f32_e32 v30, v30, v31
	v_exp_f32_e32 v30, v30
	v_cvt_i32_f32_e32 v31, v32
	s_mov_b32 s7, 0xc2ce8ed0
	v_cmp_ngt_f32_e32 vcc, s7, v29
	s_mov_b32 s7, 0x42b17218
	v_ldexp_f32 v30, v30, v31
	v_cndmask_b32_e32 v30, 0, v30, vcc
	v_mov_b32_e32 v31, 0x7f800000
	v_cmp_nlt_f32_e32 vcc, s7, v29
	v_cndmask_b32_e32 v32, v31, v30, vcc
	v_add_f32_e32 v33, 1.0, v32
	v_cvt_f64_f32_e32 v[29:30], v33
	v_add_f32_e32 v34, -1.0, v33
	v_sub_f32_e32 v35, v34, v33
	v_sub_f32_e32 v34, v32, v34
	v_frexp_exp_i32_f64_e32 v29, v[29:30]
	v_add_f32_e32 v30, 1.0, v35
	v_add_f32_e32 v30, v34, v30
	v_frexp_mant_f32_e32 v34, v33
	s_mov_b32 s8, 0x3f2aaaab
	v_cmp_gt_f32_e32 vcc, s8, v34
	s_mov_b32 s8, 0x3f317218
	s_mov_b32 s7, 0x7f800000
	v_subbrev_co_u32_e32 v29, vcc, 0, v29, vcc
	v_sub_u32_e32 v34, 0, v29
	v_ldexp_f32 v33, v33, v34
	v_ldexp_f32 v30, v30, v34
	v_add_f32_e32 v34, -1.0, v33
	v_add_f32_e32 v37, 1.0, v33
	v_add_f32_e32 v35, 1.0, v34
	v_add_f32_e32 v38, -1.0, v37
	v_sub_f32_e32 v35, v33, v35
	v_sub_f32_e32 v33, v33, v38
	v_add_f32_e32 v35, v30, v35
	v_add_f32_e32 v30, v30, v33
	;; [unrolled: 1-line block ×3, first 2 shown]
	v_rcp_f32_e32 v38, v33
	v_add_f32_e32 v36, v34, v35
	v_sub_f32_e32 v34, v34, v36
	v_add_f32_e32 v34, v35, v34
	v_sub_f32_e32 v35, v37, v33
	v_add_f32_e32 v30, v30, v35
	v_mul_f32_e32 v35, v36, v38
	v_mul_f32_e32 v37, v33, v35
	v_fma_f32 v39, v35, v33, -v37
	v_fmac_f32_e32 v39, v35, v30
	v_add_f32_e32 v40, v37, v39
	v_sub_f32_e32 v41, v36, v40
	v_sub_f32_e32 v36, v36, v41
	;; [unrolled: 1-line block ×4, first 2 shown]
	v_add_f32_e32 v34, v34, v36
	v_sub_f32_e32 v36, v37, v39
	v_add_f32_e32 v34, v36, v34
	v_add_f32_e32 v36, v41, v34
	v_mul_f32_e32 v37, v38, v36
	v_mul_f32_e32 v39, v33, v37
	v_fma_f32 v33, v37, v33, -v39
	v_fmac_f32_e32 v33, v37, v30
	v_sub_f32_e32 v30, v41, v36
	v_add_f32_e32 v30, v34, v30
	v_add_f32_e32 v34, v39, v33
	v_sub_f32_e32 v40, v36, v34
	v_sub_f32_e32 v36, v36, v40
	;; [unrolled: 1-line block ×4, first 2 shown]
	v_add_f32_e32 v30, v30, v34
	v_sub_f32_e32 v33, v39, v33
	v_add_f32_e32 v30, v33, v30
	v_add_f32_e32 v33, v35, v37
	;; [unrolled: 1-line block ×3, first 2 shown]
	v_sub_f32_e32 v34, v33, v35
	v_mul_f32_e32 v30, v38, v30
	v_sub_f32_e32 v34, v37, v34
	v_add_f32_e32 v30, v34, v30
	v_cvt_f32_i32_e32 v29, v29
	v_add_f32_e32 v34, v33, v30
	v_mul_f32_e32 v35, v34, v34
	v_mov_b32_e32 v36, 0x3ecc95a3
	v_fmac_f32_e32 v36, 0x3e9b6dac, v35
	v_mov_b32_e32 v37, 0x3f2aaada
	v_fmac_f32_e32 v37, v35, v36
	v_mul_f32_e32 v36, 0x3f317218, v29
	v_fma_f32 v38, v29, s8, -v36
	v_fmac_f32_e32 v38, 0xb102e308, v29
	v_sub_f32_e32 v29, v34, v33
	v_sub_f32_e32 v29, v30, v29
	v_add_f32_e32 v30, v36, v38
	v_sub_f32_e32 v33, v30, v36
	v_ldexp_f32 v36, v34, 1
	v_mul_f32_e32 v34, v34, v35
	v_mul_f32_e32 v34, v34, v37
	v_add_f32_e32 v35, v36, v34
	v_sub_f32_e32 v36, v35, v36
	v_ldexp_f32 v29, v29, 1
	v_sub_f32_e32 v34, v34, v36
	v_add_f32_e32 v29, v29, v34
	v_add_f32_e32 v34, v35, v29
	v_sub_f32_e32 v35, v34, v35
	v_sub_f32_e32 v29, v29, v35
	v_add_f32_e32 v35, v30, v34
	v_sub_f32_e32 v36, v35, v30
	v_sub_f32_e32 v37, v35, v36
	;; [unrolled: 1-line block ×5, first 2 shown]
	v_add_f32_e32 v30, v34, v30
	v_add_f32_e32 v34, v33, v29
	v_sub_f32_e32 v36, v34, v33
	v_sub_f32_e32 v37, v34, v36
	;; [unrolled: 1-line block ×4, first 2 shown]
	v_add_f32_e32 v30, v34, v30
	v_add_f32_e32 v29, v29, v33
	;; [unrolled: 1-line block ×3, first 2 shown]
	v_sub_f32_e32 v34, v33, v35
	v_sub_f32_e32 v30, v30, v34
	v_add_f32_e32 v29, v29, v30
	v_add_f32_e32 v29, v33, v29
	v_cmp_neq_f32_e32 vcc, s7, v32
	s_mov_b32 s7, 0x33800000
	v_cndmask_b32_e32 v29, v31, v29, vcc
	v_cmp_lt_f32_e64 vcc, |v32|, s7
	v_cndmask_b32_e32 v29, v29, v32, vcc
	v_add_f32_e32 v29, v27, v29
.LBB478_66:
	s_or_b64 exec, exec, s[2:3]
	v_bfe_u32 v27, v29, 16, 1
	s_movk_i32 s7, 0x7fff
	v_add3_u32 v27, v29, v27, s7
	v_and_b32_e32 v27, 0xffff0000, v27
	v_mov_b32_e32 v30, 0x7fc00000
	v_cmp_o_f32_e32 vcc, v29, v29
	v_cndmask_b32_e32 v32, v30, v27, vcc
	v_lshlrev_b32_e32 v27, 16, v10
	v_max_f32_e32 v31, v32, v32
	v_max_f32_e32 v29, v27, v27
	v_min_f32_e32 v33, v31, v29
	v_cmp_u_f32_e32 vcc, v32, v32
	v_max_f32_e32 v31, v31, v29
	v_cndmask_b32_e32 v33, v33, v32, vcc
	v_cmp_u_f32_e64 s[68:69], v27, v27
	v_cndmask_b32_e32 v31, v31, v32, vcc
	v_cndmask_b32_e64 v33, v33, v27, s[68:69]
	v_cndmask_b32_e64 v31, v31, v27, s[68:69]
	v_cmp_neq_f32_e32 vcc, v33, v31
	v_cmp_class_f32_e64 s[2:3], v33, s6
	s_or_b64 s[8:9], vcc, s[2:3]
	s_and_saveexec_b64 s[2:3], s[8:9]
	s_cbranch_execz .LBB478_68
; %bb.67:
	v_sub_f32_e32 v32, v33, v31
	s_mov_b32 s6, 0x3fb8aa3b
	v_mul_f32_e32 v33, 0x3fb8aa3b, v32
	v_fma_f32 v34, v32, s6, -v33
	v_rndne_f32_e32 v35, v33
	v_fmac_f32_e32 v34, 0x32a5705f, v32
	v_sub_f32_e32 v33, v33, v35
	v_add_f32_e32 v33, v33, v34
	v_exp_f32_e32 v33, v33
	v_cvt_i32_f32_e32 v34, v35
	s_mov_b32 s6, 0xc2ce8ed0
	v_cmp_ngt_f32_e32 vcc, s6, v32
	s_mov_b32 s6, 0x42b17218
	v_ldexp_f32 v33, v33, v34
	v_cndmask_b32_e32 v33, 0, v33, vcc
	v_mov_b32_e32 v34, 0x7f800000
	v_cmp_nlt_f32_e32 vcc, s6, v32
	v_cndmask_b32_e32 v35, v34, v33, vcc
	v_add_f32_e32 v36, 1.0, v35
	v_cvt_f64_f32_e32 v[32:33], v36
	v_add_f32_e32 v37, -1.0, v36
	v_sub_f32_e32 v38, v37, v36
	v_sub_f32_e32 v37, v35, v37
	v_frexp_exp_i32_f64_e32 v32, v[32:33]
	v_add_f32_e32 v33, 1.0, v38
	v_add_f32_e32 v33, v37, v33
	v_frexp_mant_f32_e32 v37, v36
	s_mov_b32 s8, 0x3f2aaaab
	v_cmp_gt_f32_e32 vcc, s8, v37
	s_mov_b32 s8, 0x3f317218
	s_mov_b32 s6, 0x7f800000
	v_subbrev_co_u32_e32 v32, vcc, 0, v32, vcc
	v_sub_u32_e32 v37, 0, v32
	v_ldexp_f32 v36, v36, v37
	v_ldexp_f32 v33, v33, v37
	v_add_f32_e32 v37, -1.0, v36
	v_add_f32_e32 v40, 1.0, v36
	v_add_f32_e32 v38, 1.0, v37
	v_add_f32_e32 v41, -1.0, v40
	v_sub_f32_e32 v38, v36, v38
	v_sub_f32_e32 v36, v36, v41
	v_add_f32_e32 v38, v33, v38
	v_add_f32_e32 v33, v33, v36
	;; [unrolled: 1-line block ×3, first 2 shown]
	v_rcp_f32_e32 v41, v36
	v_add_f32_e32 v39, v37, v38
	v_sub_f32_e32 v37, v37, v39
	v_add_f32_e32 v37, v38, v37
	v_sub_f32_e32 v38, v40, v36
	v_add_f32_e32 v33, v33, v38
	v_mul_f32_e32 v38, v39, v41
	v_mul_f32_e32 v40, v36, v38
	v_fma_f32 v42, v38, v36, -v40
	v_fmac_f32_e32 v42, v38, v33
	v_add_f32_e32 v43, v40, v42
	v_sub_f32_e32 v44, v39, v43
	v_sub_f32_e32 v39, v39, v44
	v_sub_f32_e32 v40, v43, v40
	v_sub_f32_e32 v39, v39, v43
	v_add_f32_e32 v37, v37, v39
	v_sub_f32_e32 v39, v40, v42
	v_add_f32_e32 v37, v39, v37
	v_add_f32_e32 v39, v44, v37
	v_mul_f32_e32 v40, v41, v39
	v_mul_f32_e32 v42, v36, v40
	v_fma_f32 v36, v40, v36, -v42
	v_fmac_f32_e32 v36, v40, v33
	v_sub_f32_e32 v33, v44, v39
	v_add_f32_e32 v33, v37, v33
	v_add_f32_e32 v37, v42, v36
	v_sub_f32_e32 v43, v39, v37
	v_sub_f32_e32 v39, v39, v43
	;; [unrolled: 1-line block ×4, first 2 shown]
	v_add_f32_e32 v33, v33, v37
	v_sub_f32_e32 v36, v42, v36
	v_add_f32_e32 v33, v36, v33
	v_add_f32_e32 v36, v38, v40
	;; [unrolled: 1-line block ×3, first 2 shown]
	v_sub_f32_e32 v37, v36, v38
	v_mul_f32_e32 v33, v41, v33
	v_sub_f32_e32 v37, v40, v37
	v_add_f32_e32 v33, v37, v33
	v_cvt_f32_i32_e32 v32, v32
	v_add_f32_e32 v37, v36, v33
	v_mul_f32_e32 v38, v37, v37
	v_mov_b32_e32 v39, 0x3ecc95a3
	v_fmac_f32_e32 v39, 0x3e9b6dac, v38
	v_mov_b32_e32 v40, 0x3f2aaada
	v_fmac_f32_e32 v40, v38, v39
	v_mul_f32_e32 v39, 0x3f317218, v32
	v_fma_f32 v41, v32, s8, -v39
	v_fmac_f32_e32 v41, 0xb102e308, v32
	v_sub_f32_e32 v32, v37, v36
	v_sub_f32_e32 v32, v33, v32
	v_add_f32_e32 v33, v39, v41
	v_sub_f32_e32 v36, v33, v39
	v_ldexp_f32 v39, v37, 1
	v_mul_f32_e32 v37, v37, v38
	v_mul_f32_e32 v37, v37, v40
	v_add_f32_e32 v38, v39, v37
	v_sub_f32_e32 v39, v38, v39
	v_ldexp_f32 v32, v32, 1
	v_sub_f32_e32 v37, v37, v39
	v_add_f32_e32 v32, v32, v37
	v_add_f32_e32 v37, v38, v32
	v_sub_f32_e32 v38, v37, v38
	v_sub_f32_e32 v32, v32, v38
	v_add_f32_e32 v38, v33, v37
	v_sub_f32_e32 v39, v38, v33
	v_sub_f32_e32 v40, v38, v39
	;; [unrolled: 1-line block ×5, first 2 shown]
	v_add_f32_e32 v33, v37, v33
	v_add_f32_e32 v37, v36, v32
	v_sub_f32_e32 v39, v37, v36
	v_sub_f32_e32 v40, v37, v39
	v_sub_f32_e32 v36, v36, v40
	v_sub_f32_e32 v32, v32, v39
	v_add_f32_e32 v33, v37, v33
	v_add_f32_e32 v32, v32, v36
	v_add_f32_e32 v36, v38, v33
	v_sub_f32_e32 v37, v36, v38
	v_sub_f32_e32 v33, v33, v37
	v_add_f32_e32 v32, v32, v33
	v_add_f32_e32 v32, v36, v32
	v_cmp_neq_f32_e32 vcc, s6, v35
	s_mov_b32 s6, 0x33800000
	v_cndmask_b32_e32 v32, v34, v32, vcc
	v_cmp_lt_f32_e64 vcc, |v35|, s6
	v_cndmask_b32_e32 v32, v32, v35, vcc
	v_add_f32_e32 v32, v31, v32
.LBB478_68:
	s_or_b64 exec, exec, s[2:3]
	v_bfe_u32 v31, v32, 16, 1
	v_add3_u32 v31, v32, v31, s7
	v_and_b32_e32 v31, 0xffff0000, v31
	v_cmp_o_f32_e32 vcc, v32, v32
	v_cndmask_b32_e32 v32, v30, v31, vcc
	v_and_b32_e32 v10, 0xffff0000, v10
	v_max_f32_e32 v30, v32, v32
	v_max_f32_e32 v31, v10, v10
	v_min_f32_e32 v33, v30, v31
	v_cmp_u_f32_e32 vcc, v32, v32
	v_max_f32_e32 v30, v30, v31
	v_cndmask_b32_e32 v33, v33, v32, vcc
	v_cmp_u_f32_e64 s[70:71], v10, v10
	v_cndmask_b32_e32 v30, v30, v32, vcc
	v_cndmask_b32_e64 v33, v33, v10, s[70:71]
	v_cndmask_b32_e64 v30, v30, v10, s[70:71]
	s_movk_i32 s6, 0x1f8
	v_cmp_neq_f32_e32 vcc, v33, v30
	v_cmp_class_f32_e64 s[2:3], v33, s6
	s_or_b64 s[8:9], vcc, s[2:3]
	s_and_saveexec_b64 s[2:3], s[8:9]
	s_cbranch_execz .LBB478_70
; %bb.69:
	v_sub_f32_e32 v32, v33, v30
	s_mov_b32 s7, 0x3fb8aa3b
	v_mul_f32_e32 v33, 0x3fb8aa3b, v32
	v_fma_f32 v34, v32, s7, -v33
	v_rndne_f32_e32 v35, v33
	v_fmac_f32_e32 v34, 0x32a5705f, v32
	v_sub_f32_e32 v33, v33, v35
	v_add_f32_e32 v33, v33, v34
	v_exp_f32_e32 v33, v33
	v_cvt_i32_f32_e32 v34, v35
	s_mov_b32 s7, 0xc2ce8ed0
	v_cmp_ngt_f32_e32 vcc, s7, v32
	s_mov_b32 s7, 0x42b17218
	v_ldexp_f32 v33, v33, v34
	v_cndmask_b32_e32 v33, 0, v33, vcc
	v_mov_b32_e32 v34, 0x7f800000
	v_cmp_nlt_f32_e32 vcc, s7, v32
	v_cndmask_b32_e32 v35, v34, v33, vcc
	v_add_f32_e32 v36, 1.0, v35
	v_cvt_f64_f32_e32 v[32:33], v36
	v_add_f32_e32 v37, -1.0, v36
	v_sub_f32_e32 v38, v37, v36
	v_sub_f32_e32 v37, v35, v37
	v_frexp_exp_i32_f64_e32 v32, v[32:33]
	v_add_f32_e32 v33, 1.0, v38
	v_add_f32_e32 v33, v37, v33
	v_frexp_mant_f32_e32 v37, v36
	s_mov_b32 s8, 0x3f2aaaab
	v_cmp_gt_f32_e32 vcc, s8, v37
	s_mov_b32 s8, 0x3f317218
	s_mov_b32 s7, 0x7f800000
	v_subbrev_co_u32_e32 v32, vcc, 0, v32, vcc
	v_sub_u32_e32 v37, 0, v32
	v_ldexp_f32 v36, v36, v37
	v_ldexp_f32 v33, v33, v37
	v_add_f32_e32 v37, -1.0, v36
	v_add_f32_e32 v40, 1.0, v36
	v_add_f32_e32 v38, 1.0, v37
	v_add_f32_e32 v41, -1.0, v40
	v_sub_f32_e32 v38, v36, v38
	v_sub_f32_e32 v36, v36, v41
	v_add_f32_e32 v38, v33, v38
	v_add_f32_e32 v33, v33, v36
	;; [unrolled: 1-line block ×3, first 2 shown]
	v_rcp_f32_e32 v41, v36
	v_add_f32_e32 v39, v37, v38
	v_sub_f32_e32 v37, v37, v39
	v_add_f32_e32 v37, v38, v37
	v_sub_f32_e32 v38, v40, v36
	v_add_f32_e32 v33, v33, v38
	v_mul_f32_e32 v38, v39, v41
	v_mul_f32_e32 v40, v36, v38
	v_fma_f32 v42, v38, v36, -v40
	v_fmac_f32_e32 v42, v38, v33
	v_add_f32_e32 v43, v40, v42
	v_sub_f32_e32 v44, v39, v43
	v_sub_f32_e32 v39, v39, v44
	;; [unrolled: 1-line block ×4, first 2 shown]
	v_add_f32_e32 v37, v37, v39
	v_sub_f32_e32 v39, v40, v42
	v_add_f32_e32 v37, v39, v37
	v_add_f32_e32 v39, v44, v37
	v_mul_f32_e32 v40, v41, v39
	v_mul_f32_e32 v42, v36, v40
	v_fma_f32 v36, v40, v36, -v42
	v_fmac_f32_e32 v36, v40, v33
	v_sub_f32_e32 v33, v44, v39
	v_add_f32_e32 v33, v37, v33
	v_add_f32_e32 v37, v42, v36
	v_sub_f32_e32 v43, v39, v37
	v_sub_f32_e32 v39, v39, v43
	;; [unrolled: 1-line block ×4, first 2 shown]
	v_add_f32_e32 v33, v33, v37
	v_sub_f32_e32 v36, v42, v36
	v_add_f32_e32 v33, v36, v33
	v_add_f32_e32 v36, v38, v40
	;; [unrolled: 1-line block ×3, first 2 shown]
	v_sub_f32_e32 v37, v36, v38
	v_mul_f32_e32 v33, v41, v33
	v_sub_f32_e32 v37, v40, v37
	v_add_f32_e32 v33, v37, v33
	v_cvt_f32_i32_e32 v32, v32
	v_add_f32_e32 v37, v36, v33
	v_mul_f32_e32 v38, v37, v37
	v_mov_b32_e32 v39, 0x3ecc95a3
	v_fmac_f32_e32 v39, 0x3e9b6dac, v38
	v_mov_b32_e32 v40, 0x3f2aaada
	v_fmac_f32_e32 v40, v38, v39
	v_mul_f32_e32 v39, 0x3f317218, v32
	v_fma_f32 v41, v32, s8, -v39
	v_fmac_f32_e32 v41, 0xb102e308, v32
	v_sub_f32_e32 v32, v37, v36
	v_sub_f32_e32 v32, v33, v32
	v_add_f32_e32 v33, v39, v41
	v_sub_f32_e32 v36, v33, v39
	v_ldexp_f32 v39, v37, 1
	v_mul_f32_e32 v37, v37, v38
	v_mul_f32_e32 v37, v37, v40
	v_add_f32_e32 v38, v39, v37
	v_sub_f32_e32 v39, v38, v39
	v_ldexp_f32 v32, v32, 1
	v_sub_f32_e32 v37, v37, v39
	v_add_f32_e32 v32, v32, v37
	v_add_f32_e32 v37, v38, v32
	v_sub_f32_e32 v38, v37, v38
	v_sub_f32_e32 v32, v32, v38
	v_add_f32_e32 v38, v33, v37
	v_sub_f32_e32 v39, v38, v33
	v_sub_f32_e32 v40, v38, v39
	;; [unrolled: 1-line block ×5, first 2 shown]
	v_add_f32_e32 v33, v37, v33
	v_add_f32_e32 v37, v36, v32
	v_sub_f32_e32 v39, v37, v36
	v_sub_f32_e32 v40, v37, v39
	;; [unrolled: 1-line block ×4, first 2 shown]
	v_add_f32_e32 v33, v37, v33
	v_add_f32_e32 v32, v32, v36
	;; [unrolled: 1-line block ×3, first 2 shown]
	v_sub_f32_e32 v37, v36, v38
	v_sub_f32_e32 v33, v33, v37
	v_add_f32_e32 v32, v32, v33
	v_add_f32_e32 v32, v36, v32
	v_cmp_neq_f32_e32 vcc, s7, v35
	s_mov_b32 s7, 0x33800000
	v_cndmask_b32_e32 v32, v34, v32, vcc
	v_cmp_lt_f32_e64 vcc, |v35|, s7
	v_cndmask_b32_e32 v32, v32, v35, vcc
	v_add_f32_e32 v32, v30, v32
.LBB478_70:
	s_or_b64 exec, exec, s[2:3]
	v_bfe_u32 v30, v32, 16, 1
	s_movk_i32 s7, 0x7fff
	v_add3_u32 v30, v32, v30, s7
	v_and_b32_e32 v30, 0xffff0000, v30
	v_mov_b32_e32 v33, 0x7fc00000
	v_cmp_o_f32_e32 vcc, v32, v32
	v_cndmask_b32_e32 v35, v33, v30, vcc
	v_lshlrev_b32_e32 v30, 16, v11
	v_max_f32_e32 v34, v35, v35
	v_max_f32_e32 v32, v30, v30
	v_min_f32_e32 v36, v34, v32
	v_cmp_u_f32_e32 vcc, v35, v35
	v_max_f32_e32 v34, v34, v32
	v_cndmask_b32_e32 v36, v36, v35, vcc
	v_cmp_u_f32_e64 s[72:73], v30, v30
	v_cndmask_b32_e32 v34, v34, v35, vcc
	v_cndmask_b32_e64 v36, v36, v30, s[72:73]
	v_cndmask_b32_e64 v34, v34, v30, s[72:73]
	v_cmp_neq_f32_e32 vcc, v36, v34
	v_cmp_class_f32_e64 s[2:3], v36, s6
	s_or_b64 s[8:9], vcc, s[2:3]
	s_and_saveexec_b64 s[2:3], s[8:9]
	s_cbranch_execz .LBB478_72
; %bb.71:
	v_sub_f32_e32 v35, v36, v34
	s_mov_b32 s6, 0x3fb8aa3b
	v_mul_f32_e32 v36, 0x3fb8aa3b, v35
	v_fma_f32 v37, v35, s6, -v36
	v_rndne_f32_e32 v38, v36
	v_fmac_f32_e32 v37, 0x32a5705f, v35
	v_sub_f32_e32 v36, v36, v38
	v_add_f32_e32 v36, v36, v37
	v_exp_f32_e32 v36, v36
	v_cvt_i32_f32_e32 v37, v38
	s_mov_b32 s6, 0xc2ce8ed0
	v_cmp_ngt_f32_e32 vcc, s6, v35
	s_mov_b32 s6, 0x42b17218
	v_ldexp_f32 v36, v36, v37
	v_cndmask_b32_e32 v36, 0, v36, vcc
	v_mov_b32_e32 v37, 0x7f800000
	v_cmp_nlt_f32_e32 vcc, s6, v35
	v_cndmask_b32_e32 v38, v37, v36, vcc
	v_add_f32_e32 v39, 1.0, v38
	v_cvt_f64_f32_e32 v[35:36], v39
	v_add_f32_e32 v40, -1.0, v39
	v_sub_f32_e32 v41, v40, v39
	v_sub_f32_e32 v40, v38, v40
	v_frexp_exp_i32_f64_e32 v35, v[35:36]
	v_add_f32_e32 v36, 1.0, v41
	v_add_f32_e32 v36, v40, v36
	v_frexp_mant_f32_e32 v40, v39
	s_mov_b32 s8, 0x3f2aaaab
	v_cmp_gt_f32_e32 vcc, s8, v40
	s_mov_b32 s8, 0x3f317218
	s_mov_b32 s6, 0x7f800000
	v_subbrev_co_u32_e32 v35, vcc, 0, v35, vcc
	v_sub_u32_e32 v40, 0, v35
	v_ldexp_f32 v39, v39, v40
	v_ldexp_f32 v36, v36, v40
	v_add_f32_e32 v40, -1.0, v39
	v_add_f32_e32 v43, 1.0, v39
	v_add_f32_e32 v41, 1.0, v40
	v_add_f32_e32 v44, -1.0, v43
	v_sub_f32_e32 v41, v39, v41
	v_sub_f32_e32 v39, v39, v44
	v_add_f32_e32 v41, v36, v41
	v_add_f32_e32 v36, v36, v39
	v_add_f32_e32 v39, v43, v36
	v_rcp_f32_e32 v44, v39
	v_add_f32_e32 v42, v40, v41
	v_sub_f32_e32 v40, v40, v42
	v_add_f32_e32 v40, v41, v40
	v_sub_f32_e32 v41, v43, v39
	v_add_f32_e32 v36, v36, v41
	v_mul_f32_e32 v41, v42, v44
	v_mul_f32_e32 v43, v39, v41
	v_fma_f32 v45, v41, v39, -v43
	v_fmac_f32_e32 v45, v41, v36
	v_add_f32_e32 v46, v43, v45
	v_sub_f32_e32 v47, v42, v46
	v_sub_f32_e32 v42, v42, v47
	;; [unrolled: 1-line block ×4, first 2 shown]
	v_add_f32_e32 v40, v40, v42
	v_sub_f32_e32 v42, v43, v45
	v_add_f32_e32 v40, v42, v40
	v_add_f32_e32 v42, v47, v40
	v_mul_f32_e32 v43, v44, v42
	v_mul_f32_e32 v45, v39, v43
	v_fma_f32 v39, v43, v39, -v45
	v_fmac_f32_e32 v39, v43, v36
	v_sub_f32_e32 v36, v47, v42
	v_add_f32_e32 v36, v40, v36
	v_add_f32_e32 v40, v45, v39
	v_sub_f32_e32 v46, v42, v40
	v_sub_f32_e32 v42, v42, v46
	;; [unrolled: 1-line block ×4, first 2 shown]
	v_add_f32_e32 v36, v36, v40
	v_sub_f32_e32 v39, v45, v39
	v_add_f32_e32 v36, v39, v36
	v_add_f32_e32 v39, v41, v43
	;; [unrolled: 1-line block ×3, first 2 shown]
	v_sub_f32_e32 v40, v39, v41
	v_mul_f32_e32 v36, v44, v36
	v_sub_f32_e32 v40, v43, v40
	v_add_f32_e32 v36, v40, v36
	v_cvt_f32_i32_e32 v35, v35
	v_add_f32_e32 v40, v39, v36
	v_mul_f32_e32 v41, v40, v40
	v_mov_b32_e32 v42, 0x3ecc95a3
	v_fmac_f32_e32 v42, 0x3e9b6dac, v41
	v_mov_b32_e32 v43, 0x3f2aaada
	v_fmac_f32_e32 v43, v41, v42
	v_mul_f32_e32 v42, 0x3f317218, v35
	v_fma_f32 v44, v35, s8, -v42
	v_fmac_f32_e32 v44, 0xb102e308, v35
	v_sub_f32_e32 v35, v40, v39
	v_sub_f32_e32 v35, v36, v35
	v_add_f32_e32 v36, v42, v44
	v_sub_f32_e32 v39, v36, v42
	v_ldexp_f32 v42, v40, 1
	v_mul_f32_e32 v40, v40, v41
	v_mul_f32_e32 v40, v40, v43
	v_add_f32_e32 v41, v42, v40
	v_sub_f32_e32 v42, v41, v42
	v_ldexp_f32 v35, v35, 1
	v_sub_f32_e32 v40, v40, v42
	v_add_f32_e32 v35, v35, v40
	v_add_f32_e32 v40, v41, v35
	v_sub_f32_e32 v41, v40, v41
	v_sub_f32_e32 v35, v35, v41
	v_add_f32_e32 v41, v36, v40
	v_sub_f32_e32 v42, v41, v36
	v_sub_f32_e32 v43, v41, v42
	;; [unrolled: 1-line block ×5, first 2 shown]
	v_add_f32_e32 v36, v40, v36
	v_add_f32_e32 v40, v39, v35
	v_sub_f32_e32 v42, v40, v39
	v_sub_f32_e32 v43, v40, v42
	;; [unrolled: 1-line block ×4, first 2 shown]
	v_add_f32_e32 v36, v40, v36
	v_add_f32_e32 v35, v35, v39
	;; [unrolled: 1-line block ×3, first 2 shown]
	v_sub_f32_e32 v40, v39, v41
	v_sub_f32_e32 v36, v36, v40
	v_add_f32_e32 v35, v35, v36
	v_add_f32_e32 v35, v39, v35
	v_cmp_neq_f32_e32 vcc, s6, v38
	s_mov_b32 s6, 0x33800000
	v_cndmask_b32_e32 v35, v37, v35, vcc
	v_cmp_lt_f32_e64 vcc, |v38|, s6
	v_cndmask_b32_e32 v35, v35, v38, vcc
	v_add_f32_e32 v35, v34, v35
.LBB478_72:
	s_or_b64 exec, exec, s[2:3]
	v_bfe_u32 v34, v35, 16, 1
	v_add3_u32 v34, v35, v34, s7
	v_and_b32_e32 v34, 0xffff0000, v34
	v_cmp_o_f32_e32 vcc, v35, v35
	v_cndmask_b32_e32 v35, v33, v34, vcc
	v_and_b32_e32 v11, 0xffff0000, v11
	v_max_f32_e32 v33, v35, v35
	v_max_f32_e32 v34, v11, v11
	v_min_f32_e32 v36, v33, v34
	v_cmp_u_f32_e32 vcc, v35, v35
	v_max_f32_e32 v33, v33, v34
	v_cndmask_b32_e32 v36, v36, v35, vcc
	v_cmp_u_f32_e64 s[74:75], v11, v11
	v_cndmask_b32_e32 v33, v33, v35, vcc
	v_cndmask_b32_e64 v36, v36, v11, s[74:75]
	v_cndmask_b32_e64 v33, v33, v11, s[74:75]
	s_movk_i32 s6, 0x1f8
	v_cmp_neq_f32_e32 vcc, v36, v33
	v_cmp_class_f32_e64 s[2:3], v36, s6
	s_or_b64 s[8:9], vcc, s[2:3]
	s_and_saveexec_b64 s[2:3], s[8:9]
	s_cbranch_execz .LBB478_74
; %bb.73:
	v_sub_f32_e32 v35, v36, v33
	s_mov_b32 s7, 0x3fb8aa3b
	v_mul_f32_e32 v36, 0x3fb8aa3b, v35
	v_fma_f32 v37, v35, s7, -v36
	v_rndne_f32_e32 v38, v36
	v_fmac_f32_e32 v37, 0x32a5705f, v35
	v_sub_f32_e32 v36, v36, v38
	v_add_f32_e32 v36, v36, v37
	v_exp_f32_e32 v36, v36
	v_cvt_i32_f32_e32 v37, v38
	s_mov_b32 s7, 0xc2ce8ed0
	v_cmp_ngt_f32_e32 vcc, s7, v35
	s_mov_b32 s7, 0x42b17218
	v_ldexp_f32 v36, v36, v37
	v_cndmask_b32_e32 v36, 0, v36, vcc
	v_mov_b32_e32 v37, 0x7f800000
	v_cmp_nlt_f32_e32 vcc, s7, v35
	v_cndmask_b32_e32 v38, v37, v36, vcc
	v_add_f32_e32 v39, 1.0, v38
	v_cvt_f64_f32_e32 v[35:36], v39
	v_add_f32_e32 v40, -1.0, v39
	v_sub_f32_e32 v41, v40, v39
	v_sub_f32_e32 v40, v38, v40
	v_frexp_exp_i32_f64_e32 v35, v[35:36]
	v_add_f32_e32 v36, 1.0, v41
	v_add_f32_e32 v36, v40, v36
	v_frexp_mant_f32_e32 v40, v39
	s_mov_b32 s8, 0x3f2aaaab
	v_cmp_gt_f32_e32 vcc, s8, v40
	s_mov_b32 s8, 0x3f317218
	s_mov_b32 s7, 0x7f800000
	v_subbrev_co_u32_e32 v35, vcc, 0, v35, vcc
	v_sub_u32_e32 v40, 0, v35
	v_ldexp_f32 v39, v39, v40
	v_ldexp_f32 v36, v36, v40
	v_add_f32_e32 v40, -1.0, v39
	v_add_f32_e32 v43, 1.0, v39
	v_add_f32_e32 v41, 1.0, v40
	v_add_f32_e32 v44, -1.0, v43
	v_sub_f32_e32 v41, v39, v41
	v_sub_f32_e32 v39, v39, v44
	v_add_f32_e32 v41, v36, v41
	v_add_f32_e32 v36, v36, v39
	;; [unrolled: 1-line block ×3, first 2 shown]
	v_rcp_f32_e32 v44, v39
	v_add_f32_e32 v42, v40, v41
	v_sub_f32_e32 v40, v40, v42
	v_add_f32_e32 v40, v41, v40
	v_sub_f32_e32 v41, v43, v39
	v_add_f32_e32 v36, v36, v41
	v_mul_f32_e32 v41, v42, v44
	v_mul_f32_e32 v43, v39, v41
	v_fma_f32 v45, v41, v39, -v43
	v_fmac_f32_e32 v45, v41, v36
	v_add_f32_e32 v46, v43, v45
	v_sub_f32_e32 v47, v42, v46
	v_sub_f32_e32 v42, v42, v47
	;; [unrolled: 1-line block ×4, first 2 shown]
	v_add_f32_e32 v40, v40, v42
	v_sub_f32_e32 v42, v43, v45
	v_add_f32_e32 v40, v42, v40
	v_add_f32_e32 v42, v47, v40
	v_mul_f32_e32 v43, v44, v42
	v_mul_f32_e32 v45, v39, v43
	v_fma_f32 v39, v43, v39, -v45
	v_fmac_f32_e32 v39, v43, v36
	v_sub_f32_e32 v36, v47, v42
	v_add_f32_e32 v36, v40, v36
	v_add_f32_e32 v40, v45, v39
	v_sub_f32_e32 v46, v42, v40
	v_sub_f32_e32 v42, v42, v46
	;; [unrolled: 1-line block ×4, first 2 shown]
	v_add_f32_e32 v36, v36, v40
	v_sub_f32_e32 v39, v45, v39
	v_add_f32_e32 v36, v39, v36
	v_add_f32_e32 v39, v41, v43
	;; [unrolled: 1-line block ×3, first 2 shown]
	v_sub_f32_e32 v40, v39, v41
	v_mul_f32_e32 v36, v44, v36
	v_sub_f32_e32 v40, v43, v40
	v_add_f32_e32 v36, v40, v36
	v_cvt_f32_i32_e32 v35, v35
	v_add_f32_e32 v40, v39, v36
	v_mul_f32_e32 v41, v40, v40
	v_mov_b32_e32 v42, 0x3ecc95a3
	v_fmac_f32_e32 v42, 0x3e9b6dac, v41
	v_mov_b32_e32 v43, 0x3f2aaada
	v_fmac_f32_e32 v43, v41, v42
	v_mul_f32_e32 v42, 0x3f317218, v35
	v_fma_f32 v44, v35, s8, -v42
	v_fmac_f32_e32 v44, 0xb102e308, v35
	v_sub_f32_e32 v35, v40, v39
	v_sub_f32_e32 v35, v36, v35
	v_add_f32_e32 v36, v42, v44
	v_sub_f32_e32 v39, v36, v42
	v_ldexp_f32 v42, v40, 1
	v_mul_f32_e32 v40, v40, v41
	v_mul_f32_e32 v40, v40, v43
	v_add_f32_e32 v41, v42, v40
	v_sub_f32_e32 v42, v41, v42
	v_ldexp_f32 v35, v35, 1
	v_sub_f32_e32 v40, v40, v42
	v_add_f32_e32 v35, v35, v40
	v_add_f32_e32 v40, v41, v35
	v_sub_f32_e32 v41, v40, v41
	v_sub_f32_e32 v35, v35, v41
	v_add_f32_e32 v41, v36, v40
	v_sub_f32_e32 v42, v41, v36
	v_sub_f32_e32 v43, v41, v42
	v_sub_f32_e32 v39, v44, v39
	v_sub_f32_e32 v36, v36, v43
	v_sub_f32_e32 v40, v40, v42
	v_add_f32_e32 v36, v40, v36
	v_add_f32_e32 v40, v39, v35
	v_sub_f32_e32 v42, v40, v39
	v_sub_f32_e32 v43, v40, v42
	;; [unrolled: 1-line block ×4, first 2 shown]
	v_add_f32_e32 v36, v40, v36
	v_add_f32_e32 v35, v35, v39
	;; [unrolled: 1-line block ×3, first 2 shown]
	v_sub_f32_e32 v40, v39, v41
	v_sub_f32_e32 v36, v36, v40
	v_add_f32_e32 v35, v35, v36
	v_add_f32_e32 v35, v39, v35
	v_cmp_neq_f32_e32 vcc, s7, v38
	s_mov_b32 s7, 0x33800000
	v_cndmask_b32_e32 v35, v37, v35, vcc
	v_cmp_lt_f32_e64 vcc, |v38|, s7
	v_cndmask_b32_e32 v35, v35, v38, vcc
	v_add_f32_e32 v35, v33, v35
.LBB478_74:
	s_or_b64 exec, exec, s[2:3]
	v_bfe_u32 v33, v35, 16, 1
	s_movk_i32 s7, 0x7fff
	v_add3_u32 v33, v35, v33, s7
	v_and_b32_e32 v33, 0xffff0000, v33
	v_mov_b32_e32 v36, 0x7fc00000
	v_cmp_o_f32_e32 vcc, v35, v35
	v_cndmask_b32_e32 v38, v36, v33, vcc
	v_lshlrev_b32_e32 v33, 16, v12
	v_max_f32_e32 v37, v38, v38
	v_max_f32_e32 v35, v33, v33
	v_min_f32_e32 v39, v37, v35
	v_cmp_u_f32_e32 vcc, v38, v38
	v_max_f32_e32 v37, v37, v35
	v_cndmask_b32_e32 v39, v39, v38, vcc
	v_cmp_u_f32_e64 s[76:77], v33, v33
	v_cndmask_b32_e32 v37, v37, v38, vcc
	v_cndmask_b32_e64 v39, v39, v33, s[76:77]
	v_cndmask_b32_e64 v37, v37, v33, s[76:77]
	v_cmp_neq_f32_e32 vcc, v39, v37
	v_cmp_class_f32_e64 s[2:3], v39, s6
	s_or_b64 s[8:9], vcc, s[2:3]
	s_and_saveexec_b64 s[2:3], s[8:9]
	s_cbranch_execz .LBB478_76
; %bb.75:
	v_sub_f32_e32 v38, v39, v37
	s_mov_b32 s6, 0x3fb8aa3b
	v_mul_f32_e32 v39, 0x3fb8aa3b, v38
	v_fma_f32 v40, v38, s6, -v39
	v_rndne_f32_e32 v41, v39
	v_fmac_f32_e32 v40, 0x32a5705f, v38
	v_sub_f32_e32 v39, v39, v41
	v_add_f32_e32 v39, v39, v40
	v_exp_f32_e32 v39, v39
	v_cvt_i32_f32_e32 v40, v41
	s_mov_b32 s6, 0xc2ce8ed0
	v_cmp_ngt_f32_e32 vcc, s6, v38
	s_mov_b32 s6, 0x42b17218
	v_ldexp_f32 v39, v39, v40
	v_cndmask_b32_e32 v39, 0, v39, vcc
	v_mov_b32_e32 v40, 0x7f800000
	v_cmp_nlt_f32_e32 vcc, s6, v38
	v_cndmask_b32_e32 v41, v40, v39, vcc
	v_add_f32_e32 v42, 1.0, v41
	v_cvt_f64_f32_e32 v[38:39], v42
	v_add_f32_e32 v43, -1.0, v42
	v_sub_f32_e32 v44, v43, v42
	v_sub_f32_e32 v43, v41, v43
	v_frexp_exp_i32_f64_e32 v38, v[38:39]
	v_add_f32_e32 v39, 1.0, v44
	v_add_f32_e32 v39, v43, v39
	v_frexp_mant_f32_e32 v43, v42
	s_mov_b32 s8, 0x3f2aaaab
	v_cmp_gt_f32_e32 vcc, s8, v43
	s_mov_b32 s8, 0x3f317218
	s_mov_b32 s6, 0x7f800000
	v_subbrev_co_u32_e32 v38, vcc, 0, v38, vcc
	v_sub_u32_e32 v43, 0, v38
	v_ldexp_f32 v42, v42, v43
	v_ldexp_f32 v39, v39, v43
	v_add_f32_e32 v43, -1.0, v42
	v_add_f32_e32 v46, 1.0, v42
	v_add_f32_e32 v44, 1.0, v43
	v_add_f32_e32 v47, -1.0, v46
	v_sub_f32_e32 v44, v42, v44
	v_sub_f32_e32 v42, v42, v47
	v_add_f32_e32 v44, v39, v44
	v_add_f32_e32 v39, v39, v42
	;; [unrolled: 1-line block ×3, first 2 shown]
	v_rcp_f32_e32 v47, v42
	v_add_f32_e32 v45, v43, v44
	v_sub_f32_e32 v43, v43, v45
	v_add_f32_e32 v43, v44, v43
	v_sub_f32_e32 v44, v46, v42
	v_add_f32_e32 v39, v39, v44
	v_mul_f32_e32 v44, v45, v47
	v_mul_f32_e32 v46, v42, v44
	v_fma_f32 v48, v44, v42, -v46
	v_fmac_f32_e32 v48, v44, v39
	v_add_f32_e32 v53, v46, v48
	v_sub_f32_e32 v54, v45, v53
	v_sub_f32_e32 v45, v45, v54
	;; [unrolled: 1-line block ×4, first 2 shown]
	v_add_f32_e32 v43, v43, v45
	v_sub_f32_e32 v45, v46, v48
	v_add_f32_e32 v43, v45, v43
	v_add_f32_e32 v45, v54, v43
	v_mul_f32_e32 v46, v47, v45
	v_mul_f32_e32 v48, v42, v46
	v_fma_f32 v42, v46, v42, -v48
	v_fmac_f32_e32 v42, v46, v39
	v_sub_f32_e32 v39, v54, v45
	v_add_f32_e32 v39, v43, v39
	v_add_f32_e32 v43, v48, v42
	v_sub_f32_e32 v53, v45, v43
	v_sub_f32_e32 v45, v45, v53
	;; [unrolled: 1-line block ×4, first 2 shown]
	v_add_f32_e32 v39, v39, v43
	v_sub_f32_e32 v42, v48, v42
	v_add_f32_e32 v39, v42, v39
	v_add_f32_e32 v42, v44, v46
	;; [unrolled: 1-line block ×3, first 2 shown]
	v_sub_f32_e32 v43, v42, v44
	v_mul_f32_e32 v39, v47, v39
	v_sub_f32_e32 v43, v46, v43
	v_add_f32_e32 v39, v43, v39
	v_cvt_f32_i32_e32 v38, v38
	v_add_f32_e32 v43, v42, v39
	v_mul_f32_e32 v44, v43, v43
	v_mov_b32_e32 v45, 0x3ecc95a3
	v_fmac_f32_e32 v45, 0x3e9b6dac, v44
	v_mov_b32_e32 v46, 0x3f2aaada
	v_fmac_f32_e32 v46, v44, v45
	v_mul_f32_e32 v45, 0x3f317218, v38
	v_fma_f32 v47, v38, s8, -v45
	v_fmac_f32_e32 v47, 0xb102e308, v38
	v_sub_f32_e32 v38, v43, v42
	v_sub_f32_e32 v38, v39, v38
	v_add_f32_e32 v39, v45, v47
	v_sub_f32_e32 v42, v39, v45
	v_ldexp_f32 v45, v43, 1
	v_mul_f32_e32 v43, v43, v44
	v_mul_f32_e32 v43, v43, v46
	v_add_f32_e32 v44, v45, v43
	v_sub_f32_e32 v45, v44, v45
	v_ldexp_f32 v38, v38, 1
	v_sub_f32_e32 v43, v43, v45
	v_add_f32_e32 v38, v38, v43
	v_add_f32_e32 v43, v44, v38
	v_sub_f32_e32 v44, v43, v44
	v_sub_f32_e32 v38, v38, v44
	v_add_f32_e32 v44, v39, v43
	v_sub_f32_e32 v45, v44, v39
	v_sub_f32_e32 v46, v44, v45
	;; [unrolled: 1-line block ×5, first 2 shown]
	v_add_f32_e32 v39, v43, v39
	v_add_f32_e32 v43, v42, v38
	v_sub_f32_e32 v45, v43, v42
	v_sub_f32_e32 v46, v43, v45
	;; [unrolled: 1-line block ×4, first 2 shown]
	v_add_f32_e32 v39, v43, v39
	v_add_f32_e32 v38, v38, v42
	v_add_f32_e32 v42, v44, v39
	v_sub_f32_e32 v43, v42, v44
	v_sub_f32_e32 v39, v39, v43
	v_add_f32_e32 v38, v38, v39
	v_add_f32_e32 v38, v42, v38
	v_cmp_neq_f32_e32 vcc, s6, v41
	s_mov_b32 s6, 0x33800000
	v_cndmask_b32_e32 v38, v40, v38, vcc
	v_cmp_lt_f32_e64 vcc, |v41|, s6
	v_cndmask_b32_e32 v38, v38, v41, vcc
	v_add_f32_e32 v38, v37, v38
.LBB478_76:
	s_or_b64 exec, exec, s[2:3]
	v_bfe_u32 v37, v38, 16, 1
	v_add3_u32 v37, v38, v37, s7
	v_and_b32_e32 v37, 0xffff0000, v37
	v_cmp_o_f32_e32 vcc, v38, v38
	v_cndmask_b32_e32 v38, v36, v37, vcc
	v_and_b32_e32 v12, 0xffff0000, v12
	v_max_f32_e32 v36, v38, v38
	v_max_f32_e32 v37, v12, v12
	v_min_f32_e32 v39, v36, v37
	v_cmp_u_f32_e32 vcc, v38, v38
	v_max_f32_e32 v36, v36, v37
	v_cndmask_b32_e32 v39, v39, v38, vcc
	v_cmp_u_f32_e64 s[78:79], v12, v12
	v_cndmask_b32_e32 v36, v36, v38, vcc
	v_cndmask_b32_e64 v39, v39, v12, s[78:79]
	v_cndmask_b32_e64 v36, v36, v12, s[78:79]
	s_movk_i32 s6, 0x1f8
	v_cmp_neq_f32_e32 vcc, v39, v36
	v_cmp_class_f32_e64 s[2:3], v39, s6
	s_or_b64 s[8:9], vcc, s[2:3]
	s_and_saveexec_b64 s[2:3], s[8:9]
	s_cbranch_execz .LBB478_78
; %bb.77:
	v_sub_f32_e32 v38, v39, v36
	s_mov_b32 s7, 0x3fb8aa3b
	v_mul_f32_e32 v39, 0x3fb8aa3b, v38
	v_fma_f32 v40, v38, s7, -v39
	v_rndne_f32_e32 v41, v39
	v_fmac_f32_e32 v40, 0x32a5705f, v38
	v_sub_f32_e32 v39, v39, v41
	v_add_f32_e32 v39, v39, v40
	v_exp_f32_e32 v39, v39
	v_cvt_i32_f32_e32 v40, v41
	s_mov_b32 s7, 0xc2ce8ed0
	v_cmp_ngt_f32_e32 vcc, s7, v38
	s_mov_b32 s7, 0x42b17218
	v_ldexp_f32 v39, v39, v40
	v_cndmask_b32_e32 v39, 0, v39, vcc
	v_mov_b32_e32 v40, 0x7f800000
	v_cmp_nlt_f32_e32 vcc, s7, v38
	v_cndmask_b32_e32 v41, v40, v39, vcc
	v_add_f32_e32 v42, 1.0, v41
	v_cvt_f64_f32_e32 v[38:39], v42
	v_add_f32_e32 v43, -1.0, v42
	v_sub_f32_e32 v44, v43, v42
	v_sub_f32_e32 v43, v41, v43
	v_frexp_exp_i32_f64_e32 v38, v[38:39]
	v_add_f32_e32 v39, 1.0, v44
	v_add_f32_e32 v39, v43, v39
	v_frexp_mant_f32_e32 v43, v42
	s_mov_b32 s8, 0x3f2aaaab
	v_cmp_gt_f32_e32 vcc, s8, v43
	s_mov_b32 s8, 0x3f317218
	s_mov_b32 s7, 0x7f800000
	v_subbrev_co_u32_e32 v38, vcc, 0, v38, vcc
	v_sub_u32_e32 v43, 0, v38
	v_ldexp_f32 v42, v42, v43
	v_ldexp_f32 v39, v39, v43
	v_add_f32_e32 v43, -1.0, v42
	v_add_f32_e32 v46, 1.0, v42
	v_add_f32_e32 v44, 1.0, v43
	v_add_f32_e32 v47, -1.0, v46
	v_sub_f32_e32 v44, v42, v44
	v_sub_f32_e32 v42, v42, v47
	v_add_f32_e32 v44, v39, v44
	v_add_f32_e32 v39, v39, v42
	;; [unrolled: 1-line block ×3, first 2 shown]
	v_rcp_f32_e32 v47, v42
	v_add_f32_e32 v45, v43, v44
	v_sub_f32_e32 v43, v43, v45
	v_add_f32_e32 v43, v44, v43
	v_sub_f32_e32 v44, v46, v42
	v_add_f32_e32 v39, v39, v44
	v_mul_f32_e32 v44, v45, v47
	v_mul_f32_e32 v46, v42, v44
	v_fma_f32 v48, v44, v42, -v46
	v_fmac_f32_e32 v48, v44, v39
	v_add_f32_e32 v53, v46, v48
	v_sub_f32_e32 v54, v45, v53
	v_sub_f32_e32 v45, v45, v54
	;; [unrolled: 1-line block ×4, first 2 shown]
	v_add_f32_e32 v43, v43, v45
	v_sub_f32_e32 v45, v46, v48
	v_add_f32_e32 v43, v45, v43
	v_add_f32_e32 v45, v54, v43
	v_mul_f32_e32 v46, v47, v45
	v_mul_f32_e32 v48, v42, v46
	v_fma_f32 v42, v46, v42, -v48
	v_fmac_f32_e32 v42, v46, v39
	v_sub_f32_e32 v39, v54, v45
	v_add_f32_e32 v39, v43, v39
	v_add_f32_e32 v43, v48, v42
	v_sub_f32_e32 v53, v45, v43
	v_sub_f32_e32 v45, v45, v53
	;; [unrolled: 1-line block ×4, first 2 shown]
	v_add_f32_e32 v39, v39, v43
	v_sub_f32_e32 v42, v48, v42
	v_add_f32_e32 v39, v42, v39
	v_add_f32_e32 v42, v44, v46
	;; [unrolled: 1-line block ×3, first 2 shown]
	v_sub_f32_e32 v43, v42, v44
	v_mul_f32_e32 v39, v47, v39
	v_sub_f32_e32 v43, v46, v43
	v_add_f32_e32 v39, v43, v39
	v_cvt_f32_i32_e32 v38, v38
	v_add_f32_e32 v43, v42, v39
	v_mul_f32_e32 v44, v43, v43
	v_mov_b32_e32 v45, 0x3ecc95a3
	v_fmac_f32_e32 v45, 0x3e9b6dac, v44
	v_mov_b32_e32 v46, 0x3f2aaada
	v_fmac_f32_e32 v46, v44, v45
	v_mul_f32_e32 v45, 0x3f317218, v38
	v_fma_f32 v47, v38, s8, -v45
	v_fmac_f32_e32 v47, 0xb102e308, v38
	v_sub_f32_e32 v38, v43, v42
	v_sub_f32_e32 v38, v39, v38
	v_add_f32_e32 v39, v45, v47
	v_sub_f32_e32 v42, v39, v45
	v_ldexp_f32 v45, v43, 1
	v_mul_f32_e32 v43, v43, v44
	v_mul_f32_e32 v43, v43, v46
	v_add_f32_e32 v44, v45, v43
	v_sub_f32_e32 v45, v44, v45
	v_ldexp_f32 v38, v38, 1
	v_sub_f32_e32 v43, v43, v45
	v_add_f32_e32 v38, v38, v43
	v_add_f32_e32 v43, v44, v38
	v_sub_f32_e32 v44, v43, v44
	v_sub_f32_e32 v38, v38, v44
	v_add_f32_e32 v44, v39, v43
	v_sub_f32_e32 v45, v44, v39
	v_sub_f32_e32 v46, v44, v45
	;; [unrolled: 1-line block ×5, first 2 shown]
	v_add_f32_e32 v39, v43, v39
	v_add_f32_e32 v43, v42, v38
	v_sub_f32_e32 v45, v43, v42
	v_sub_f32_e32 v46, v43, v45
	;; [unrolled: 1-line block ×4, first 2 shown]
	v_add_f32_e32 v39, v43, v39
	v_add_f32_e32 v38, v38, v42
	;; [unrolled: 1-line block ×3, first 2 shown]
	v_sub_f32_e32 v43, v42, v44
	v_sub_f32_e32 v39, v39, v43
	v_add_f32_e32 v38, v38, v39
	v_add_f32_e32 v38, v42, v38
	v_cmp_neq_f32_e32 vcc, s7, v41
	s_mov_b32 s7, 0x33800000
	v_cndmask_b32_e32 v38, v40, v38, vcc
	v_cmp_lt_f32_e64 vcc, |v41|, s7
	v_cndmask_b32_e32 v38, v38, v41, vcc
	v_add_f32_e32 v38, v36, v38
.LBB478_78:
	s_or_b64 exec, exec, s[2:3]
	v_bfe_u32 v36, v38, 16, 1
	s_movk_i32 s7, 0x7fff
	v_add3_u32 v36, v38, v36, s7
	v_and_b32_e32 v36, 0xffff0000, v36
	v_mov_b32_e32 v39, 0x7fc00000
	v_cmp_o_f32_e32 vcc, v38, v38
	v_cndmask_b32_e32 v41, v39, v36, vcc
	v_lshlrev_b32_e32 v36, 16, v5
	v_max_f32_e32 v40, v41, v41
	v_max_f32_e32 v38, v36, v36
	v_min_f32_e32 v42, v40, v38
	v_cmp_u_f32_e32 vcc, v41, v41
	v_max_f32_e32 v40, v40, v38
	v_cndmask_b32_e32 v42, v42, v41, vcc
	v_cmp_u_f32_e64 s[80:81], v36, v36
	v_cndmask_b32_e32 v40, v40, v41, vcc
	v_cndmask_b32_e64 v42, v42, v36, s[80:81]
	v_cndmask_b32_e64 v40, v40, v36, s[80:81]
	v_cmp_neq_f32_e32 vcc, v42, v40
	v_cmp_class_f32_e64 s[2:3], v42, s6
	s_or_b64 s[8:9], vcc, s[2:3]
	s_and_saveexec_b64 s[2:3], s[8:9]
	s_cbranch_execz .LBB478_80
; %bb.79:
	v_sub_f32_e32 v41, v42, v40
	s_mov_b32 s6, 0x3fb8aa3b
	v_mul_f32_e32 v42, 0x3fb8aa3b, v41
	v_fma_f32 v43, v41, s6, -v42
	v_rndne_f32_e32 v44, v42
	v_fmac_f32_e32 v43, 0x32a5705f, v41
	v_sub_f32_e32 v42, v42, v44
	v_add_f32_e32 v42, v42, v43
	v_exp_f32_e32 v42, v42
	v_cvt_i32_f32_e32 v43, v44
	s_mov_b32 s6, 0xc2ce8ed0
	v_cmp_ngt_f32_e32 vcc, s6, v41
	s_mov_b32 s6, 0x42b17218
	v_ldexp_f32 v42, v42, v43
	v_cndmask_b32_e32 v42, 0, v42, vcc
	v_mov_b32_e32 v43, 0x7f800000
	v_cmp_nlt_f32_e32 vcc, s6, v41
	v_cndmask_b32_e32 v44, v43, v42, vcc
	v_add_f32_e32 v45, 1.0, v44
	v_cvt_f64_f32_e32 v[41:42], v45
	v_add_f32_e32 v46, -1.0, v45
	v_sub_f32_e32 v47, v46, v45
	v_sub_f32_e32 v46, v44, v46
	v_frexp_exp_i32_f64_e32 v41, v[41:42]
	v_add_f32_e32 v42, 1.0, v47
	v_add_f32_e32 v42, v46, v42
	v_frexp_mant_f32_e32 v46, v45
	s_mov_b32 s8, 0x3f2aaaab
	v_cmp_gt_f32_e32 vcc, s8, v46
	s_mov_b32 s8, 0x3f317218
	s_mov_b32 s6, 0x7f800000
	v_subbrev_co_u32_e32 v41, vcc, 0, v41, vcc
	v_sub_u32_e32 v46, 0, v41
	v_ldexp_f32 v45, v45, v46
	v_ldexp_f32 v42, v42, v46
	v_add_f32_e32 v46, -1.0, v45
	v_add_f32_e32 v53, 1.0, v45
	v_add_f32_e32 v47, 1.0, v46
	v_add_f32_e32 v54, -1.0, v53
	v_sub_f32_e32 v47, v45, v47
	v_sub_f32_e32 v45, v45, v54
	v_add_f32_e32 v47, v42, v47
	v_add_f32_e32 v42, v42, v45
	;; [unrolled: 1-line block ×3, first 2 shown]
	v_rcp_f32_e32 v54, v45
	v_add_f32_e32 v48, v46, v47
	v_sub_f32_e32 v46, v46, v48
	v_add_f32_e32 v46, v47, v46
	v_sub_f32_e32 v47, v53, v45
	v_add_f32_e32 v42, v42, v47
	v_mul_f32_e32 v47, v48, v54
	v_mul_f32_e32 v53, v45, v47
	v_fma_f32 v55, v47, v45, -v53
	v_fmac_f32_e32 v55, v47, v42
	v_add_f32_e32 v56, v53, v55
	v_sub_f32_e32 v57, v48, v56
	v_sub_f32_e32 v48, v48, v57
	;; [unrolled: 1-line block ×4, first 2 shown]
	v_add_f32_e32 v46, v46, v48
	v_sub_f32_e32 v48, v53, v55
	v_add_f32_e32 v46, v48, v46
	v_add_f32_e32 v48, v57, v46
	v_mul_f32_e32 v53, v54, v48
	v_mul_f32_e32 v55, v45, v53
	v_fma_f32 v45, v53, v45, -v55
	v_fmac_f32_e32 v45, v53, v42
	v_sub_f32_e32 v42, v57, v48
	v_add_f32_e32 v42, v46, v42
	v_add_f32_e32 v46, v55, v45
	v_sub_f32_e32 v56, v48, v46
	v_sub_f32_e32 v48, v48, v56
	;; [unrolled: 1-line block ×4, first 2 shown]
	v_add_f32_e32 v42, v42, v46
	v_sub_f32_e32 v45, v55, v45
	v_add_f32_e32 v42, v45, v42
	v_add_f32_e32 v45, v47, v53
	;; [unrolled: 1-line block ×3, first 2 shown]
	v_sub_f32_e32 v46, v45, v47
	v_mul_f32_e32 v42, v54, v42
	v_sub_f32_e32 v46, v53, v46
	v_add_f32_e32 v42, v46, v42
	v_cvt_f32_i32_e32 v41, v41
	v_add_f32_e32 v46, v45, v42
	v_mul_f32_e32 v47, v46, v46
	v_mov_b32_e32 v48, 0x3ecc95a3
	v_fmac_f32_e32 v48, 0x3e9b6dac, v47
	v_mov_b32_e32 v53, 0x3f2aaada
	v_fmac_f32_e32 v53, v47, v48
	v_mul_f32_e32 v48, 0x3f317218, v41
	v_fma_f32 v54, v41, s8, -v48
	v_fmac_f32_e32 v54, 0xb102e308, v41
	v_sub_f32_e32 v41, v46, v45
	v_sub_f32_e32 v41, v42, v41
	v_add_f32_e32 v42, v48, v54
	v_sub_f32_e32 v45, v42, v48
	v_ldexp_f32 v48, v46, 1
	v_mul_f32_e32 v46, v46, v47
	v_mul_f32_e32 v46, v46, v53
	v_add_f32_e32 v47, v48, v46
	v_sub_f32_e32 v48, v47, v48
	v_ldexp_f32 v41, v41, 1
	v_sub_f32_e32 v46, v46, v48
	v_add_f32_e32 v41, v41, v46
	v_add_f32_e32 v46, v47, v41
	v_sub_f32_e32 v47, v46, v47
	v_sub_f32_e32 v41, v41, v47
	v_add_f32_e32 v47, v42, v46
	v_sub_f32_e32 v48, v47, v42
	v_sub_f32_e32 v53, v47, v48
	v_sub_f32_e32 v45, v54, v45
	v_sub_f32_e32 v42, v42, v53
	v_sub_f32_e32 v46, v46, v48
	v_add_f32_e32 v42, v46, v42
	v_add_f32_e32 v46, v45, v41
	v_sub_f32_e32 v48, v46, v45
	v_sub_f32_e32 v53, v46, v48
	;; [unrolled: 1-line block ×4, first 2 shown]
	v_add_f32_e32 v42, v46, v42
	v_add_f32_e32 v41, v41, v45
	;; [unrolled: 1-line block ×3, first 2 shown]
	v_sub_f32_e32 v46, v45, v47
	v_sub_f32_e32 v42, v42, v46
	v_add_f32_e32 v41, v41, v42
	v_add_f32_e32 v41, v45, v41
	v_cmp_neq_f32_e32 vcc, s6, v44
	s_mov_b32 s6, 0x33800000
	v_cndmask_b32_e32 v41, v43, v41, vcc
	v_cmp_lt_f32_e64 vcc, |v44|, s6
	v_cndmask_b32_e32 v41, v41, v44, vcc
	v_add_f32_e32 v41, v40, v41
.LBB478_80:
	s_or_b64 exec, exec, s[2:3]
	v_bfe_u32 v40, v41, 16, 1
	v_add3_u32 v40, v41, v40, s7
	v_and_b32_e32 v40, 0xffff0000, v40
	v_cmp_o_f32_e32 vcc, v41, v41
	v_cndmask_b32_e32 v41, v39, v40, vcc
	v_and_b32_e32 v5, 0xffff0000, v5
	v_max_f32_e32 v39, v41, v41
	v_max_f32_e32 v40, v5, v5
	v_min_f32_e32 v42, v39, v40
	v_cmp_u_f32_e32 vcc, v41, v41
	v_max_f32_e32 v39, v39, v40
	v_cndmask_b32_e32 v42, v42, v41, vcc
	v_cmp_u_f32_e64 s[82:83], v5, v5
	v_cndmask_b32_e32 v39, v39, v41, vcc
	v_cndmask_b32_e64 v42, v42, v5, s[82:83]
	v_cndmask_b32_e64 v39, v39, v5, s[82:83]
	s_movk_i32 s6, 0x1f8
	v_cmp_neq_f32_e32 vcc, v42, v39
	v_cmp_class_f32_e64 s[2:3], v42, s6
	s_or_b64 s[8:9], vcc, s[2:3]
	s_and_saveexec_b64 s[2:3], s[8:9]
	s_cbranch_execz .LBB478_82
; %bb.81:
	v_sub_f32_e32 v41, v42, v39
	s_mov_b32 s7, 0x3fb8aa3b
	v_mul_f32_e32 v42, 0x3fb8aa3b, v41
	v_fma_f32 v43, v41, s7, -v42
	v_rndne_f32_e32 v44, v42
	v_fmac_f32_e32 v43, 0x32a5705f, v41
	v_sub_f32_e32 v42, v42, v44
	v_add_f32_e32 v42, v42, v43
	v_exp_f32_e32 v42, v42
	v_cvt_i32_f32_e32 v43, v44
	s_mov_b32 s7, 0xc2ce8ed0
	v_cmp_ngt_f32_e32 vcc, s7, v41
	s_mov_b32 s7, 0x42b17218
	v_ldexp_f32 v42, v42, v43
	v_cndmask_b32_e32 v42, 0, v42, vcc
	v_mov_b32_e32 v43, 0x7f800000
	v_cmp_nlt_f32_e32 vcc, s7, v41
	v_cndmask_b32_e32 v44, v43, v42, vcc
	v_add_f32_e32 v45, 1.0, v44
	v_cvt_f64_f32_e32 v[41:42], v45
	v_add_f32_e32 v46, -1.0, v45
	v_sub_f32_e32 v47, v46, v45
	v_sub_f32_e32 v46, v44, v46
	v_frexp_exp_i32_f64_e32 v41, v[41:42]
	v_add_f32_e32 v42, 1.0, v47
	v_add_f32_e32 v42, v46, v42
	v_frexp_mant_f32_e32 v46, v45
	s_mov_b32 s8, 0x3f2aaaab
	v_cmp_gt_f32_e32 vcc, s8, v46
	s_mov_b32 s8, 0x3f317218
	s_mov_b32 s7, 0x7f800000
	v_subbrev_co_u32_e32 v41, vcc, 0, v41, vcc
	v_sub_u32_e32 v46, 0, v41
	v_ldexp_f32 v45, v45, v46
	v_ldexp_f32 v42, v42, v46
	v_add_f32_e32 v46, -1.0, v45
	v_add_f32_e32 v53, 1.0, v45
	v_add_f32_e32 v47, 1.0, v46
	v_add_f32_e32 v54, -1.0, v53
	v_sub_f32_e32 v47, v45, v47
	v_sub_f32_e32 v45, v45, v54
	v_add_f32_e32 v47, v42, v47
	v_add_f32_e32 v42, v42, v45
	;; [unrolled: 1-line block ×3, first 2 shown]
	v_rcp_f32_e32 v54, v45
	v_add_f32_e32 v48, v46, v47
	v_sub_f32_e32 v46, v46, v48
	v_add_f32_e32 v46, v47, v46
	v_sub_f32_e32 v47, v53, v45
	v_add_f32_e32 v42, v42, v47
	v_mul_f32_e32 v47, v48, v54
	v_mul_f32_e32 v53, v45, v47
	v_fma_f32 v55, v47, v45, -v53
	v_fmac_f32_e32 v55, v47, v42
	v_add_f32_e32 v56, v53, v55
	v_sub_f32_e32 v57, v48, v56
	v_sub_f32_e32 v48, v48, v57
	;; [unrolled: 1-line block ×4, first 2 shown]
	v_add_f32_e32 v46, v46, v48
	v_sub_f32_e32 v48, v53, v55
	v_add_f32_e32 v46, v48, v46
	v_add_f32_e32 v48, v57, v46
	v_mul_f32_e32 v53, v54, v48
	v_mul_f32_e32 v55, v45, v53
	v_fma_f32 v45, v53, v45, -v55
	v_fmac_f32_e32 v45, v53, v42
	v_sub_f32_e32 v42, v57, v48
	v_add_f32_e32 v42, v46, v42
	v_add_f32_e32 v46, v55, v45
	v_sub_f32_e32 v56, v48, v46
	v_sub_f32_e32 v48, v48, v56
	;; [unrolled: 1-line block ×4, first 2 shown]
	v_add_f32_e32 v42, v42, v46
	v_sub_f32_e32 v45, v55, v45
	v_add_f32_e32 v42, v45, v42
	v_add_f32_e32 v45, v47, v53
	;; [unrolled: 1-line block ×3, first 2 shown]
	v_sub_f32_e32 v46, v45, v47
	v_mul_f32_e32 v42, v54, v42
	v_sub_f32_e32 v46, v53, v46
	v_add_f32_e32 v42, v46, v42
	v_cvt_f32_i32_e32 v41, v41
	v_add_f32_e32 v46, v45, v42
	v_mul_f32_e32 v47, v46, v46
	v_mov_b32_e32 v48, 0x3ecc95a3
	v_fmac_f32_e32 v48, 0x3e9b6dac, v47
	v_mov_b32_e32 v53, 0x3f2aaada
	v_fmac_f32_e32 v53, v47, v48
	v_mul_f32_e32 v48, 0x3f317218, v41
	v_fma_f32 v54, v41, s8, -v48
	v_fmac_f32_e32 v54, 0xb102e308, v41
	v_sub_f32_e32 v41, v46, v45
	v_sub_f32_e32 v41, v42, v41
	v_add_f32_e32 v42, v48, v54
	v_sub_f32_e32 v45, v42, v48
	v_ldexp_f32 v48, v46, 1
	v_mul_f32_e32 v46, v46, v47
	v_mul_f32_e32 v46, v46, v53
	v_add_f32_e32 v47, v48, v46
	v_sub_f32_e32 v48, v47, v48
	v_ldexp_f32 v41, v41, 1
	v_sub_f32_e32 v46, v46, v48
	v_add_f32_e32 v41, v41, v46
	v_add_f32_e32 v46, v47, v41
	v_sub_f32_e32 v47, v46, v47
	v_sub_f32_e32 v41, v41, v47
	v_add_f32_e32 v47, v42, v46
	v_sub_f32_e32 v48, v47, v42
	v_sub_f32_e32 v53, v47, v48
	;; [unrolled: 1-line block ×5, first 2 shown]
	v_add_f32_e32 v42, v46, v42
	v_add_f32_e32 v46, v45, v41
	v_sub_f32_e32 v48, v46, v45
	v_sub_f32_e32 v53, v46, v48
	;; [unrolled: 1-line block ×4, first 2 shown]
	v_add_f32_e32 v42, v46, v42
	v_add_f32_e32 v41, v41, v45
	;; [unrolled: 1-line block ×3, first 2 shown]
	v_sub_f32_e32 v46, v45, v47
	v_sub_f32_e32 v42, v42, v46
	v_add_f32_e32 v41, v41, v42
	v_add_f32_e32 v41, v45, v41
	v_cmp_neq_f32_e32 vcc, s7, v44
	s_mov_b32 s7, 0x33800000
	v_cndmask_b32_e32 v41, v43, v41, vcc
	v_cmp_lt_f32_e64 vcc, |v44|, s7
	v_cndmask_b32_e32 v41, v41, v44, vcc
	v_add_f32_e32 v41, v39, v41
.LBB478_82:
	s_or_b64 exec, exec, s[2:3]
	v_bfe_u32 v39, v41, 16, 1
	s_movk_i32 s7, 0x7fff
	v_add3_u32 v39, v41, v39, s7
	v_and_b32_e32 v39, 0xffff0000, v39
	v_mov_b32_e32 v42, 0x7fc00000
	v_cmp_o_f32_e32 vcc, v41, v41
	v_cndmask_b32_e32 v44, v42, v39, vcc
	v_lshlrev_b32_e32 v39, 16, v6
	v_max_f32_e32 v43, v44, v44
	v_max_f32_e32 v41, v39, v39
	v_min_f32_e32 v45, v43, v41
	v_cmp_u_f32_e32 vcc, v44, v44
	v_max_f32_e32 v43, v43, v41
	v_cndmask_b32_e32 v45, v45, v44, vcc
	v_cmp_u_f32_e64 s[84:85], v39, v39
	v_cndmask_b32_e32 v43, v43, v44, vcc
	v_cndmask_b32_e64 v45, v45, v39, s[84:85]
	v_cndmask_b32_e64 v43, v43, v39, s[84:85]
	v_cmp_neq_f32_e32 vcc, v45, v43
	v_cmp_class_f32_e64 s[2:3], v45, s6
	s_or_b64 s[8:9], vcc, s[2:3]
	s_and_saveexec_b64 s[2:3], s[8:9]
	s_cbranch_execz .LBB478_84
; %bb.83:
	v_sub_f32_e32 v44, v45, v43
	s_mov_b32 s6, 0x3fb8aa3b
	v_mul_f32_e32 v45, 0x3fb8aa3b, v44
	v_fma_f32 v46, v44, s6, -v45
	v_rndne_f32_e32 v47, v45
	v_fmac_f32_e32 v46, 0x32a5705f, v44
	v_sub_f32_e32 v45, v45, v47
	v_add_f32_e32 v45, v45, v46
	v_exp_f32_e32 v45, v45
	v_cvt_i32_f32_e32 v46, v47
	s_mov_b32 s6, 0xc2ce8ed0
	v_cmp_ngt_f32_e32 vcc, s6, v44
	s_mov_b32 s6, 0x42b17218
	v_ldexp_f32 v45, v45, v46
	v_cndmask_b32_e32 v45, 0, v45, vcc
	v_mov_b32_e32 v46, 0x7f800000
	v_cmp_nlt_f32_e32 vcc, s6, v44
	v_cndmask_b32_e32 v47, v46, v45, vcc
	v_add_f32_e32 v48, 1.0, v47
	v_cvt_f64_f32_e32 v[44:45], v48
	v_add_f32_e32 v53, -1.0, v48
	v_sub_f32_e32 v54, v53, v48
	v_sub_f32_e32 v53, v47, v53
	v_frexp_exp_i32_f64_e32 v44, v[44:45]
	v_add_f32_e32 v45, 1.0, v54
	v_add_f32_e32 v45, v53, v45
	v_frexp_mant_f32_e32 v53, v48
	s_mov_b32 s8, 0x3f2aaaab
	v_cmp_gt_f32_e32 vcc, s8, v53
	s_mov_b32 s8, 0x3f317218
	s_mov_b32 s6, 0x7f800000
	v_subbrev_co_u32_e32 v44, vcc, 0, v44, vcc
	v_sub_u32_e32 v53, 0, v44
	v_ldexp_f32 v48, v48, v53
	v_ldexp_f32 v45, v45, v53
	v_add_f32_e32 v53, -1.0, v48
	v_add_f32_e32 v56, 1.0, v48
	v_add_f32_e32 v54, 1.0, v53
	v_add_f32_e32 v57, -1.0, v56
	v_sub_f32_e32 v54, v48, v54
	v_sub_f32_e32 v48, v48, v57
	v_add_f32_e32 v54, v45, v54
	v_add_f32_e32 v45, v45, v48
	;; [unrolled: 1-line block ×3, first 2 shown]
	v_rcp_f32_e32 v57, v48
	v_add_f32_e32 v55, v53, v54
	v_sub_f32_e32 v53, v53, v55
	v_add_f32_e32 v53, v54, v53
	v_sub_f32_e32 v54, v56, v48
	v_add_f32_e32 v45, v45, v54
	v_mul_f32_e32 v54, v55, v57
	v_mul_f32_e32 v56, v48, v54
	v_fma_f32 v58, v54, v48, -v56
	v_fmac_f32_e32 v58, v54, v45
	v_add_f32_e32 v59, v56, v58
	v_sub_f32_e32 v60, v55, v59
	v_sub_f32_e32 v55, v55, v60
	;; [unrolled: 1-line block ×4, first 2 shown]
	v_add_f32_e32 v53, v53, v55
	v_sub_f32_e32 v55, v56, v58
	v_add_f32_e32 v53, v55, v53
	v_add_f32_e32 v55, v60, v53
	v_mul_f32_e32 v56, v57, v55
	v_mul_f32_e32 v58, v48, v56
	v_fma_f32 v48, v56, v48, -v58
	v_fmac_f32_e32 v48, v56, v45
	v_sub_f32_e32 v45, v60, v55
	v_add_f32_e32 v45, v53, v45
	v_add_f32_e32 v53, v58, v48
	v_sub_f32_e32 v59, v55, v53
	v_sub_f32_e32 v55, v55, v59
	;; [unrolled: 1-line block ×4, first 2 shown]
	v_add_f32_e32 v45, v45, v53
	v_sub_f32_e32 v48, v58, v48
	v_add_f32_e32 v45, v48, v45
	v_add_f32_e32 v48, v54, v56
	v_add_f32_e32 v45, v59, v45
	v_sub_f32_e32 v53, v48, v54
	v_mul_f32_e32 v45, v57, v45
	v_sub_f32_e32 v53, v56, v53
	v_add_f32_e32 v45, v53, v45
	v_cvt_f32_i32_e32 v44, v44
	v_add_f32_e32 v53, v48, v45
	v_mul_f32_e32 v54, v53, v53
	v_mov_b32_e32 v55, 0x3ecc95a3
	v_fmac_f32_e32 v55, 0x3e9b6dac, v54
	v_mov_b32_e32 v56, 0x3f2aaada
	v_fmac_f32_e32 v56, v54, v55
	v_mul_f32_e32 v55, 0x3f317218, v44
	v_fma_f32 v57, v44, s8, -v55
	v_fmac_f32_e32 v57, 0xb102e308, v44
	v_sub_f32_e32 v44, v53, v48
	v_sub_f32_e32 v44, v45, v44
	v_add_f32_e32 v45, v55, v57
	v_sub_f32_e32 v48, v45, v55
	v_ldexp_f32 v55, v53, 1
	v_mul_f32_e32 v53, v53, v54
	v_mul_f32_e32 v53, v53, v56
	v_add_f32_e32 v54, v55, v53
	v_sub_f32_e32 v55, v54, v55
	v_ldexp_f32 v44, v44, 1
	v_sub_f32_e32 v53, v53, v55
	v_add_f32_e32 v44, v44, v53
	v_add_f32_e32 v53, v54, v44
	v_sub_f32_e32 v54, v53, v54
	v_sub_f32_e32 v44, v44, v54
	v_add_f32_e32 v54, v45, v53
	v_sub_f32_e32 v55, v54, v45
	v_sub_f32_e32 v56, v54, v55
	;; [unrolled: 1-line block ×5, first 2 shown]
	v_add_f32_e32 v45, v53, v45
	v_add_f32_e32 v53, v48, v44
	v_sub_f32_e32 v55, v53, v48
	v_sub_f32_e32 v56, v53, v55
	;; [unrolled: 1-line block ×4, first 2 shown]
	v_add_f32_e32 v45, v53, v45
	v_add_f32_e32 v44, v44, v48
	;; [unrolled: 1-line block ×3, first 2 shown]
	v_sub_f32_e32 v53, v48, v54
	v_sub_f32_e32 v45, v45, v53
	v_add_f32_e32 v44, v44, v45
	v_add_f32_e32 v44, v48, v44
	v_cmp_neq_f32_e32 vcc, s6, v47
	s_mov_b32 s6, 0x33800000
	v_cndmask_b32_e32 v44, v46, v44, vcc
	v_cmp_lt_f32_e64 vcc, |v47|, s6
	v_cndmask_b32_e32 v44, v44, v47, vcc
	v_add_f32_e32 v44, v43, v44
.LBB478_84:
	s_or_b64 exec, exec, s[2:3]
	v_bfe_u32 v43, v44, 16, 1
	v_add3_u32 v43, v44, v43, s7
	v_and_b32_e32 v43, 0xffff0000, v43
	v_cmp_o_f32_e32 vcc, v44, v44
	v_cndmask_b32_e32 v44, v42, v43, vcc
	v_and_b32_e32 v6, 0xffff0000, v6
	v_max_f32_e32 v42, v44, v44
	v_max_f32_e32 v43, v6, v6
	v_min_f32_e32 v45, v42, v43
	v_cmp_u_f32_e32 vcc, v44, v44
	v_max_f32_e32 v42, v42, v43
	v_cndmask_b32_e32 v45, v45, v44, vcc
	v_cmp_u_f32_e64 s[86:87], v6, v6
	v_cndmask_b32_e32 v42, v42, v44, vcc
	v_cndmask_b32_e64 v45, v45, v6, s[86:87]
	v_cndmask_b32_e64 v42, v42, v6, s[86:87]
	s_movk_i32 s6, 0x1f8
	v_cmp_neq_f32_e32 vcc, v45, v42
	v_cmp_class_f32_e64 s[2:3], v45, s6
	s_or_b64 s[8:9], vcc, s[2:3]
	s_and_saveexec_b64 s[2:3], s[8:9]
	s_cbranch_execz .LBB478_86
; %bb.85:
	v_sub_f32_e32 v44, v45, v42
	s_mov_b32 s7, 0x3fb8aa3b
	v_mul_f32_e32 v45, 0x3fb8aa3b, v44
	v_fma_f32 v46, v44, s7, -v45
	v_rndne_f32_e32 v47, v45
	v_fmac_f32_e32 v46, 0x32a5705f, v44
	v_sub_f32_e32 v45, v45, v47
	v_add_f32_e32 v45, v45, v46
	v_exp_f32_e32 v45, v45
	v_cvt_i32_f32_e32 v46, v47
	s_mov_b32 s7, 0xc2ce8ed0
	v_cmp_ngt_f32_e32 vcc, s7, v44
	s_mov_b32 s7, 0x42b17218
	v_ldexp_f32 v45, v45, v46
	v_cndmask_b32_e32 v45, 0, v45, vcc
	v_mov_b32_e32 v46, 0x7f800000
	v_cmp_nlt_f32_e32 vcc, s7, v44
	v_cndmask_b32_e32 v47, v46, v45, vcc
	v_add_f32_e32 v48, 1.0, v47
	v_cvt_f64_f32_e32 v[44:45], v48
	v_add_f32_e32 v53, -1.0, v48
	v_sub_f32_e32 v54, v53, v48
	v_sub_f32_e32 v53, v47, v53
	v_frexp_exp_i32_f64_e32 v44, v[44:45]
	v_add_f32_e32 v45, 1.0, v54
	v_add_f32_e32 v45, v53, v45
	v_frexp_mant_f32_e32 v53, v48
	s_mov_b32 s8, 0x3f2aaaab
	v_cmp_gt_f32_e32 vcc, s8, v53
	s_mov_b32 s8, 0x3f317218
	s_mov_b32 s7, 0x7f800000
	v_subbrev_co_u32_e32 v44, vcc, 0, v44, vcc
	v_sub_u32_e32 v53, 0, v44
	v_ldexp_f32 v48, v48, v53
	v_ldexp_f32 v45, v45, v53
	v_add_f32_e32 v53, -1.0, v48
	v_add_f32_e32 v56, 1.0, v48
	v_add_f32_e32 v54, 1.0, v53
	v_add_f32_e32 v57, -1.0, v56
	v_sub_f32_e32 v54, v48, v54
	v_sub_f32_e32 v48, v48, v57
	v_add_f32_e32 v54, v45, v54
	v_add_f32_e32 v45, v45, v48
	;; [unrolled: 1-line block ×3, first 2 shown]
	v_rcp_f32_e32 v57, v48
	v_add_f32_e32 v55, v53, v54
	v_sub_f32_e32 v53, v53, v55
	v_add_f32_e32 v53, v54, v53
	v_sub_f32_e32 v54, v56, v48
	v_add_f32_e32 v45, v45, v54
	v_mul_f32_e32 v54, v55, v57
	v_mul_f32_e32 v56, v48, v54
	v_fma_f32 v58, v54, v48, -v56
	v_fmac_f32_e32 v58, v54, v45
	v_add_f32_e32 v59, v56, v58
	v_sub_f32_e32 v60, v55, v59
	v_sub_f32_e32 v55, v55, v60
	;; [unrolled: 1-line block ×4, first 2 shown]
	v_add_f32_e32 v53, v53, v55
	v_sub_f32_e32 v55, v56, v58
	v_add_f32_e32 v53, v55, v53
	v_add_f32_e32 v55, v60, v53
	v_mul_f32_e32 v56, v57, v55
	v_mul_f32_e32 v58, v48, v56
	v_fma_f32 v48, v56, v48, -v58
	v_fmac_f32_e32 v48, v56, v45
	v_sub_f32_e32 v45, v60, v55
	v_add_f32_e32 v45, v53, v45
	v_add_f32_e32 v53, v58, v48
	v_sub_f32_e32 v59, v55, v53
	v_sub_f32_e32 v55, v55, v59
	v_sub_f32_e32 v58, v53, v58
	v_sub_f32_e32 v53, v55, v53
	v_add_f32_e32 v45, v45, v53
	v_sub_f32_e32 v48, v58, v48
	v_add_f32_e32 v45, v48, v45
	v_add_f32_e32 v48, v54, v56
	;; [unrolled: 1-line block ×3, first 2 shown]
	v_sub_f32_e32 v53, v48, v54
	v_mul_f32_e32 v45, v57, v45
	v_sub_f32_e32 v53, v56, v53
	v_add_f32_e32 v45, v53, v45
	v_cvt_f32_i32_e32 v44, v44
	v_add_f32_e32 v53, v48, v45
	v_mul_f32_e32 v54, v53, v53
	v_mov_b32_e32 v55, 0x3ecc95a3
	v_fmac_f32_e32 v55, 0x3e9b6dac, v54
	v_mov_b32_e32 v56, 0x3f2aaada
	v_fmac_f32_e32 v56, v54, v55
	v_mul_f32_e32 v55, 0x3f317218, v44
	v_fma_f32 v57, v44, s8, -v55
	v_fmac_f32_e32 v57, 0xb102e308, v44
	v_sub_f32_e32 v44, v53, v48
	v_sub_f32_e32 v44, v45, v44
	v_add_f32_e32 v45, v55, v57
	v_sub_f32_e32 v48, v45, v55
	v_ldexp_f32 v55, v53, 1
	v_mul_f32_e32 v53, v53, v54
	v_mul_f32_e32 v53, v53, v56
	v_add_f32_e32 v54, v55, v53
	v_sub_f32_e32 v55, v54, v55
	v_ldexp_f32 v44, v44, 1
	v_sub_f32_e32 v53, v53, v55
	v_add_f32_e32 v44, v44, v53
	v_add_f32_e32 v53, v54, v44
	v_sub_f32_e32 v54, v53, v54
	v_sub_f32_e32 v44, v44, v54
	v_add_f32_e32 v54, v45, v53
	v_sub_f32_e32 v55, v54, v45
	v_sub_f32_e32 v56, v54, v55
	;; [unrolled: 1-line block ×5, first 2 shown]
	v_add_f32_e32 v45, v53, v45
	v_add_f32_e32 v53, v48, v44
	v_sub_f32_e32 v55, v53, v48
	v_sub_f32_e32 v56, v53, v55
	;; [unrolled: 1-line block ×4, first 2 shown]
	v_add_f32_e32 v45, v53, v45
	v_add_f32_e32 v44, v44, v48
	v_add_f32_e32 v48, v54, v45
	v_sub_f32_e32 v53, v48, v54
	v_sub_f32_e32 v45, v45, v53
	v_add_f32_e32 v44, v44, v45
	v_add_f32_e32 v44, v48, v44
	v_cmp_neq_f32_e32 vcc, s7, v47
	s_mov_b32 s7, 0x33800000
	v_cndmask_b32_e32 v44, v46, v44, vcc
	v_cmp_lt_f32_e64 vcc, |v47|, s7
	v_cndmask_b32_e32 v44, v44, v47, vcc
	v_add_f32_e32 v44, v42, v44
.LBB478_86:
	s_or_b64 exec, exec, s[2:3]
	v_bfe_u32 v42, v44, 16, 1
	s_movk_i32 s7, 0x7fff
	v_add3_u32 v42, v44, v42, s7
	v_and_b32_e32 v42, 0xffff0000, v42
	v_mov_b32_e32 v45, 0x7fc00000
	v_cmp_o_f32_e32 vcc, v44, v44
	v_cndmask_b32_e32 v47, v45, v42, vcc
	v_lshlrev_b32_e32 v42, 16, v7
	v_max_f32_e32 v46, v47, v47
	v_max_f32_e32 v44, v42, v42
	v_min_f32_e32 v48, v46, v44
	v_cmp_u_f32_e32 vcc, v47, v47
	v_max_f32_e32 v46, v46, v44
	v_cndmask_b32_e32 v48, v48, v47, vcc
	v_cmp_u_f32_e64 s[88:89], v42, v42
	v_cndmask_b32_e32 v46, v46, v47, vcc
	v_cndmask_b32_e64 v48, v48, v42, s[88:89]
	v_cndmask_b32_e64 v46, v46, v42, s[88:89]
	v_cmp_neq_f32_e32 vcc, v48, v46
	v_cmp_class_f32_e64 s[2:3], v48, s6
	s_or_b64 s[8:9], vcc, s[2:3]
	s_and_saveexec_b64 s[2:3], s[8:9]
	s_cbranch_execz .LBB478_88
; %bb.87:
	v_sub_f32_e32 v47, v48, v46
	s_mov_b32 s6, 0x3fb8aa3b
	v_mul_f32_e32 v48, 0x3fb8aa3b, v47
	v_fma_f32 v53, v47, s6, -v48
	v_rndne_f32_e32 v54, v48
	v_fmac_f32_e32 v53, 0x32a5705f, v47
	v_sub_f32_e32 v48, v48, v54
	v_add_f32_e32 v48, v48, v53
	v_exp_f32_e32 v48, v48
	v_cvt_i32_f32_e32 v53, v54
	s_mov_b32 s6, 0xc2ce8ed0
	v_cmp_ngt_f32_e32 vcc, s6, v47
	s_mov_b32 s6, 0x42b17218
	v_ldexp_f32 v48, v48, v53
	v_cndmask_b32_e32 v48, 0, v48, vcc
	v_mov_b32_e32 v53, 0x7f800000
	v_cmp_nlt_f32_e32 vcc, s6, v47
	v_cndmask_b32_e32 v54, v53, v48, vcc
	v_add_f32_e32 v55, 1.0, v54
	v_cvt_f64_f32_e32 v[47:48], v55
	v_add_f32_e32 v56, -1.0, v55
	v_sub_f32_e32 v57, v56, v55
	v_sub_f32_e32 v56, v54, v56
	v_frexp_exp_i32_f64_e32 v47, v[47:48]
	v_add_f32_e32 v48, 1.0, v57
	v_add_f32_e32 v48, v56, v48
	v_frexp_mant_f32_e32 v56, v55
	s_mov_b32 s8, 0x3f2aaaab
	v_cmp_gt_f32_e32 vcc, s8, v56
	s_mov_b32 s8, 0x3f317218
	s_mov_b32 s6, 0x7f800000
	v_subbrev_co_u32_e32 v47, vcc, 0, v47, vcc
	v_sub_u32_e32 v56, 0, v47
	v_ldexp_f32 v55, v55, v56
	v_ldexp_f32 v48, v48, v56
	v_add_f32_e32 v56, -1.0, v55
	v_add_f32_e32 v59, 1.0, v55
	v_add_f32_e32 v57, 1.0, v56
	v_add_f32_e32 v60, -1.0, v59
	v_sub_f32_e32 v57, v55, v57
	v_sub_f32_e32 v55, v55, v60
	v_add_f32_e32 v57, v48, v57
	v_add_f32_e32 v48, v48, v55
	;; [unrolled: 1-line block ×3, first 2 shown]
	v_rcp_f32_e32 v60, v55
	v_add_f32_e32 v58, v56, v57
	v_sub_f32_e32 v56, v56, v58
	v_add_f32_e32 v56, v57, v56
	v_sub_f32_e32 v57, v59, v55
	v_add_f32_e32 v48, v48, v57
	v_mul_f32_e32 v57, v58, v60
	v_mul_f32_e32 v59, v55, v57
	v_fma_f32 v61, v57, v55, -v59
	v_fmac_f32_e32 v61, v57, v48
	v_add_f32_e32 v62, v59, v61
	v_sub_f32_e32 v63, v58, v62
	v_sub_f32_e32 v58, v58, v63
	v_sub_f32_e32 v59, v62, v59
	v_sub_f32_e32 v58, v58, v62
	v_add_f32_e32 v56, v56, v58
	v_sub_f32_e32 v58, v59, v61
	v_add_f32_e32 v56, v58, v56
	v_add_f32_e32 v58, v63, v56
	v_mul_f32_e32 v59, v60, v58
	v_mul_f32_e32 v61, v55, v59
	v_fma_f32 v55, v59, v55, -v61
	v_fmac_f32_e32 v55, v59, v48
	v_sub_f32_e32 v48, v63, v58
	v_add_f32_e32 v48, v56, v48
	v_add_f32_e32 v56, v61, v55
	v_sub_f32_e32 v62, v58, v56
	v_sub_f32_e32 v58, v58, v62
	v_sub_f32_e32 v61, v56, v61
	v_sub_f32_e32 v56, v58, v56
	v_add_f32_e32 v48, v48, v56
	v_sub_f32_e32 v55, v61, v55
	v_add_f32_e32 v48, v55, v48
	v_add_f32_e32 v55, v57, v59
	;; [unrolled: 1-line block ×3, first 2 shown]
	v_sub_f32_e32 v56, v55, v57
	v_mul_f32_e32 v48, v60, v48
	v_sub_f32_e32 v56, v59, v56
	v_add_f32_e32 v48, v56, v48
	v_cvt_f32_i32_e32 v47, v47
	v_add_f32_e32 v56, v55, v48
	v_mul_f32_e32 v57, v56, v56
	v_mov_b32_e32 v58, 0x3ecc95a3
	v_fmac_f32_e32 v58, 0x3e9b6dac, v57
	v_mov_b32_e32 v59, 0x3f2aaada
	v_fmac_f32_e32 v59, v57, v58
	v_mul_f32_e32 v58, 0x3f317218, v47
	v_fma_f32 v60, v47, s8, -v58
	v_fmac_f32_e32 v60, 0xb102e308, v47
	v_sub_f32_e32 v47, v56, v55
	v_sub_f32_e32 v47, v48, v47
	v_add_f32_e32 v48, v58, v60
	v_sub_f32_e32 v55, v48, v58
	v_ldexp_f32 v58, v56, 1
	v_mul_f32_e32 v56, v56, v57
	v_mul_f32_e32 v56, v56, v59
	v_add_f32_e32 v57, v58, v56
	v_sub_f32_e32 v58, v57, v58
	v_ldexp_f32 v47, v47, 1
	v_sub_f32_e32 v56, v56, v58
	v_add_f32_e32 v47, v47, v56
	v_add_f32_e32 v56, v57, v47
	v_sub_f32_e32 v57, v56, v57
	v_sub_f32_e32 v47, v47, v57
	v_add_f32_e32 v57, v48, v56
	v_sub_f32_e32 v58, v57, v48
	v_sub_f32_e32 v59, v57, v58
	;; [unrolled: 1-line block ×5, first 2 shown]
	v_add_f32_e32 v48, v56, v48
	v_add_f32_e32 v56, v55, v47
	v_sub_f32_e32 v58, v56, v55
	v_sub_f32_e32 v59, v56, v58
	;; [unrolled: 1-line block ×4, first 2 shown]
	v_add_f32_e32 v48, v56, v48
	v_add_f32_e32 v47, v47, v55
	;; [unrolled: 1-line block ×3, first 2 shown]
	v_sub_f32_e32 v56, v55, v57
	v_sub_f32_e32 v48, v48, v56
	v_add_f32_e32 v47, v47, v48
	v_add_f32_e32 v47, v55, v47
	v_cmp_neq_f32_e32 vcc, s6, v54
	s_mov_b32 s6, 0x33800000
	v_cndmask_b32_e32 v47, v53, v47, vcc
	v_cmp_lt_f32_e64 vcc, |v54|, s6
	v_cndmask_b32_e32 v47, v47, v54, vcc
	v_add_f32_e32 v47, v46, v47
.LBB478_88:
	s_or_b64 exec, exec, s[2:3]
	v_bfe_u32 v46, v47, 16, 1
	v_add3_u32 v46, v47, v46, s7
	v_and_b32_e32 v46, 0xffff0000, v46
	v_cmp_o_f32_e32 vcc, v47, v47
	v_cndmask_b32_e32 v47, v45, v46, vcc
	v_and_b32_e32 v7, 0xffff0000, v7
	v_max_f32_e32 v45, v47, v47
	v_max_f32_e32 v46, v7, v7
	v_min_f32_e32 v48, v45, v46
	v_cmp_u_f32_e32 vcc, v47, v47
	v_max_f32_e32 v45, v45, v46
	v_cndmask_b32_e32 v48, v48, v47, vcc
	v_cmp_u_f32_e64 s[90:91], v7, v7
	v_cndmask_b32_e32 v45, v45, v47, vcc
	v_cndmask_b32_e64 v48, v48, v7, s[90:91]
	v_cndmask_b32_e64 v45, v45, v7, s[90:91]
	s_movk_i32 s6, 0x1f8
	v_cmp_neq_f32_e32 vcc, v48, v45
	v_cmp_class_f32_e64 s[2:3], v48, s6
	s_or_b64 s[8:9], vcc, s[2:3]
	s_and_saveexec_b64 s[2:3], s[8:9]
	s_cbranch_execz .LBB478_90
; %bb.89:
	v_sub_f32_e32 v47, v48, v45
	s_mov_b32 s7, 0x3fb8aa3b
	v_mul_f32_e32 v48, 0x3fb8aa3b, v47
	v_fma_f32 v53, v47, s7, -v48
	v_rndne_f32_e32 v54, v48
	v_fmac_f32_e32 v53, 0x32a5705f, v47
	v_sub_f32_e32 v48, v48, v54
	v_add_f32_e32 v48, v48, v53
	v_exp_f32_e32 v48, v48
	v_cvt_i32_f32_e32 v53, v54
	s_mov_b32 s7, 0xc2ce8ed0
	v_cmp_ngt_f32_e32 vcc, s7, v47
	s_mov_b32 s7, 0x42b17218
	v_ldexp_f32 v48, v48, v53
	v_cndmask_b32_e32 v48, 0, v48, vcc
	v_mov_b32_e32 v53, 0x7f800000
	v_cmp_nlt_f32_e32 vcc, s7, v47
	v_cndmask_b32_e32 v54, v53, v48, vcc
	v_add_f32_e32 v55, 1.0, v54
	v_cvt_f64_f32_e32 v[47:48], v55
	v_add_f32_e32 v56, -1.0, v55
	v_sub_f32_e32 v57, v56, v55
	v_sub_f32_e32 v56, v54, v56
	v_frexp_exp_i32_f64_e32 v47, v[47:48]
	v_add_f32_e32 v48, 1.0, v57
	v_add_f32_e32 v48, v56, v48
	v_frexp_mant_f32_e32 v56, v55
	s_mov_b32 s8, 0x3f2aaaab
	v_cmp_gt_f32_e32 vcc, s8, v56
	s_mov_b32 s8, 0x3f317218
	s_mov_b32 s7, 0x7f800000
	v_subbrev_co_u32_e32 v47, vcc, 0, v47, vcc
	v_sub_u32_e32 v56, 0, v47
	v_ldexp_f32 v55, v55, v56
	v_ldexp_f32 v48, v48, v56
	v_add_f32_e32 v56, -1.0, v55
	v_add_f32_e32 v59, 1.0, v55
	v_add_f32_e32 v57, 1.0, v56
	v_add_f32_e32 v60, -1.0, v59
	v_sub_f32_e32 v57, v55, v57
	v_sub_f32_e32 v55, v55, v60
	v_add_f32_e32 v57, v48, v57
	v_add_f32_e32 v48, v48, v55
	;; [unrolled: 1-line block ×3, first 2 shown]
	v_rcp_f32_e32 v60, v55
	v_add_f32_e32 v58, v56, v57
	v_sub_f32_e32 v56, v56, v58
	v_add_f32_e32 v56, v57, v56
	v_sub_f32_e32 v57, v59, v55
	v_add_f32_e32 v48, v48, v57
	v_mul_f32_e32 v57, v58, v60
	v_mul_f32_e32 v59, v55, v57
	v_fma_f32 v61, v57, v55, -v59
	v_fmac_f32_e32 v61, v57, v48
	v_add_f32_e32 v62, v59, v61
	v_sub_f32_e32 v63, v58, v62
	v_sub_f32_e32 v58, v58, v63
	;; [unrolled: 1-line block ×4, first 2 shown]
	v_add_f32_e32 v56, v56, v58
	v_sub_f32_e32 v58, v59, v61
	v_add_f32_e32 v56, v58, v56
	v_add_f32_e32 v58, v63, v56
	v_mul_f32_e32 v59, v60, v58
	v_mul_f32_e32 v61, v55, v59
	v_fma_f32 v55, v59, v55, -v61
	v_fmac_f32_e32 v55, v59, v48
	v_sub_f32_e32 v48, v63, v58
	v_add_f32_e32 v48, v56, v48
	v_add_f32_e32 v56, v61, v55
	v_sub_f32_e32 v62, v58, v56
	v_sub_f32_e32 v58, v58, v62
	;; [unrolled: 1-line block ×4, first 2 shown]
	v_add_f32_e32 v48, v48, v56
	v_sub_f32_e32 v55, v61, v55
	v_add_f32_e32 v48, v55, v48
	v_add_f32_e32 v55, v57, v59
	v_add_f32_e32 v48, v62, v48
	v_sub_f32_e32 v56, v55, v57
	v_mul_f32_e32 v48, v60, v48
	v_sub_f32_e32 v56, v59, v56
	v_add_f32_e32 v48, v56, v48
	v_cvt_f32_i32_e32 v47, v47
	v_add_f32_e32 v56, v55, v48
	v_mul_f32_e32 v57, v56, v56
	v_mov_b32_e32 v58, 0x3ecc95a3
	v_fmac_f32_e32 v58, 0x3e9b6dac, v57
	v_mov_b32_e32 v59, 0x3f2aaada
	v_fmac_f32_e32 v59, v57, v58
	v_mul_f32_e32 v58, 0x3f317218, v47
	v_fma_f32 v60, v47, s8, -v58
	v_fmac_f32_e32 v60, 0xb102e308, v47
	v_sub_f32_e32 v47, v56, v55
	v_sub_f32_e32 v47, v48, v47
	v_add_f32_e32 v48, v58, v60
	v_sub_f32_e32 v55, v48, v58
	v_ldexp_f32 v58, v56, 1
	v_mul_f32_e32 v56, v56, v57
	v_mul_f32_e32 v56, v56, v59
	v_add_f32_e32 v57, v58, v56
	v_sub_f32_e32 v58, v57, v58
	v_ldexp_f32 v47, v47, 1
	v_sub_f32_e32 v56, v56, v58
	v_add_f32_e32 v47, v47, v56
	v_add_f32_e32 v56, v57, v47
	v_sub_f32_e32 v57, v56, v57
	v_sub_f32_e32 v47, v47, v57
	v_add_f32_e32 v57, v48, v56
	v_sub_f32_e32 v58, v57, v48
	v_sub_f32_e32 v59, v57, v58
	v_sub_f32_e32 v55, v60, v55
	v_sub_f32_e32 v48, v48, v59
	v_sub_f32_e32 v56, v56, v58
	v_add_f32_e32 v48, v56, v48
	v_add_f32_e32 v56, v55, v47
	v_sub_f32_e32 v58, v56, v55
	v_sub_f32_e32 v59, v56, v58
	;; [unrolled: 1-line block ×4, first 2 shown]
	v_add_f32_e32 v48, v56, v48
	v_add_f32_e32 v47, v47, v55
	;; [unrolled: 1-line block ×3, first 2 shown]
	v_sub_f32_e32 v56, v55, v57
	v_sub_f32_e32 v48, v48, v56
	v_add_f32_e32 v47, v47, v48
	v_add_f32_e32 v47, v55, v47
	v_cmp_neq_f32_e32 vcc, s7, v54
	s_mov_b32 s7, 0x33800000
	v_cndmask_b32_e32 v47, v53, v47, vcc
	v_cmp_lt_f32_e64 vcc, |v54|, s7
	v_cndmask_b32_e32 v47, v47, v54, vcc
	v_add_f32_e32 v47, v45, v47
.LBB478_90:
	s_or_b64 exec, exec, s[2:3]
	v_bfe_u32 v45, v47, 16, 1
	s_movk_i32 s7, 0x7fff
	v_add3_u32 v45, v47, v45, s7
	v_and_b32_e32 v45, 0xffff0000, v45
	v_mov_b32_e32 v48, 0x7fc00000
	v_cmp_o_f32_e32 vcc, v47, v47
	v_cndmask_b32_e32 v54, v48, v45, vcc
	v_lshlrev_b32_e32 v45, 16, v8
	v_max_f32_e32 v53, v54, v54
	v_max_f32_e32 v47, v45, v45
	v_min_f32_e32 v55, v53, v47
	v_cmp_u_f32_e32 vcc, v54, v54
	v_max_f32_e32 v53, v53, v47
	v_cndmask_b32_e32 v55, v55, v54, vcc
	v_cmp_u_f32_e64 s[92:93], v45, v45
	v_cndmask_b32_e32 v53, v53, v54, vcc
	v_cndmask_b32_e64 v55, v55, v45, s[92:93]
	v_cndmask_b32_e64 v53, v53, v45, s[92:93]
	v_cmp_neq_f32_e32 vcc, v55, v53
	v_cmp_class_f32_e64 s[2:3], v55, s6
	s_or_b64 s[8:9], vcc, s[2:3]
	s_and_saveexec_b64 s[2:3], s[8:9]
	s_cbranch_execz .LBB478_92
; %bb.91:
	v_sub_f32_e32 v54, v55, v53
	s_mov_b32 s6, 0x3fb8aa3b
	v_mul_f32_e32 v55, 0x3fb8aa3b, v54
	v_fma_f32 v56, v54, s6, -v55
	v_rndne_f32_e32 v57, v55
	v_fmac_f32_e32 v56, 0x32a5705f, v54
	v_sub_f32_e32 v55, v55, v57
	v_add_f32_e32 v55, v55, v56
	v_exp_f32_e32 v55, v55
	v_cvt_i32_f32_e32 v56, v57
	s_mov_b32 s6, 0xc2ce8ed0
	v_cmp_ngt_f32_e32 vcc, s6, v54
	s_mov_b32 s6, 0x42b17218
	v_ldexp_f32 v55, v55, v56
	v_cndmask_b32_e32 v55, 0, v55, vcc
	v_mov_b32_e32 v56, 0x7f800000
	v_cmp_nlt_f32_e32 vcc, s6, v54
	v_cndmask_b32_e32 v57, v56, v55, vcc
	v_add_f32_e32 v58, 1.0, v57
	v_cvt_f64_f32_e32 v[54:55], v58
	v_add_f32_e32 v59, -1.0, v58
	v_sub_f32_e32 v60, v59, v58
	v_sub_f32_e32 v59, v57, v59
	v_frexp_exp_i32_f64_e32 v54, v[54:55]
	v_add_f32_e32 v55, 1.0, v60
	v_add_f32_e32 v55, v59, v55
	v_frexp_mant_f32_e32 v59, v58
	s_mov_b32 s8, 0x3f2aaaab
	v_cmp_gt_f32_e32 vcc, s8, v59
	s_mov_b32 s8, 0x3f317218
	s_mov_b32 s6, 0x7f800000
	v_subbrev_co_u32_e32 v54, vcc, 0, v54, vcc
	v_sub_u32_e32 v59, 0, v54
	v_ldexp_f32 v58, v58, v59
	v_ldexp_f32 v55, v55, v59
	v_add_f32_e32 v59, -1.0, v58
	v_add_f32_e32 v62, 1.0, v58
	v_add_f32_e32 v60, 1.0, v59
	v_add_f32_e32 v63, -1.0, v62
	v_sub_f32_e32 v60, v58, v60
	v_sub_f32_e32 v58, v58, v63
	v_add_f32_e32 v60, v55, v60
	v_add_f32_e32 v55, v55, v58
	;; [unrolled: 1-line block ×3, first 2 shown]
	v_rcp_f32_e32 v63, v58
	v_add_f32_e32 v61, v59, v60
	v_sub_f32_e32 v59, v59, v61
	v_add_f32_e32 v59, v60, v59
	v_sub_f32_e32 v60, v62, v58
	v_add_f32_e32 v55, v55, v60
	v_mul_f32_e32 v60, v61, v63
	v_mul_f32_e32 v62, v58, v60
	v_fma_f32 v64, v60, v58, -v62
	v_fmac_f32_e32 v64, v60, v55
	v_add_f32_e32 v65, v62, v64
	v_sub_f32_e32 v66, v61, v65
	v_sub_f32_e32 v61, v61, v66
	v_sub_f32_e32 v62, v65, v62
	v_sub_f32_e32 v61, v61, v65
	v_add_f32_e32 v59, v59, v61
	v_sub_f32_e32 v61, v62, v64
	v_add_f32_e32 v59, v61, v59
	v_add_f32_e32 v61, v66, v59
	v_mul_f32_e32 v62, v63, v61
	v_mul_f32_e32 v64, v58, v62
	v_fma_f32 v58, v62, v58, -v64
	v_fmac_f32_e32 v58, v62, v55
	v_sub_f32_e32 v55, v66, v61
	v_add_f32_e32 v55, v59, v55
	v_add_f32_e32 v59, v64, v58
	v_sub_f32_e32 v65, v61, v59
	v_sub_f32_e32 v61, v61, v65
	;; [unrolled: 1-line block ×4, first 2 shown]
	v_add_f32_e32 v55, v55, v59
	v_sub_f32_e32 v58, v64, v58
	v_add_f32_e32 v55, v58, v55
	v_add_f32_e32 v58, v60, v62
	;; [unrolled: 1-line block ×3, first 2 shown]
	v_sub_f32_e32 v59, v58, v60
	v_mul_f32_e32 v55, v63, v55
	v_sub_f32_e32 v59, v62, v59
	v_add_f32_e32 v55, v59, v55
	v_cvt_f32_i32_e32 v54, v54
	v_add_f32_e32 v59, v58, v55
	v_mul_f32_e32 v60, v59, v59
	v_mov_b32_e32 v61, 0x3ecc95a3
	v_fmac_f32_e32 v61, 0x3e9b6dac, v60
	v_mov_b32_e32 v62, 0x3f2aaada
	v_fmac_f32_e32 v62, v60, v61
	v_mul_f32_e32 v61, 0x3f317218, v54
	v_fma_f32 v63, v54, s8, -v61
	v_fmac_f32_e32 v63, 0xb102e308, v54
	v_sub_f32_e32 v54, v59, v58
	v_sub_f32_e32 v54, v55, v54
	v_add_f32_e32 v55, v61, v63
	v_sub_f32_e32 v58, v55, v61
	v_ldexp_f32 v61, v59, 1
	v_mul_f32_e32 v59, v59, v60
	v_mul_f32_e32 v59, v59, v62
	v_add_f32_e32 v60, v61, v59
	v_sub_f32_e32 v61, v60, v61
	v_ldexp_f32 v54, v54, 1
	v_sub_f32_e32 v59, v59, v61
	v_add_f32_e32 v54, v54, v59
	v_add_f32_e32 v59, v60, v54
	v_sub_f32_e32 v60, v59, v60
	v_sub_f32_e32 v54, v54, v60
	v_add_f32_e32 v60, v55, v59
	v_sub_f32_e32 v61, v60, v55
	v_sub_f32_e32 v62, v60, v61
	;; [unrolled: 1-line block ×5, first 2 shown]
	v_add_f32_e32 v55, v59, v55
	v_add_f32_e32 v59, v58, v54
	v_sub_f32_e32 v61, v59, v58
	v_sub_f32_e32 v62, v59, v61
	;; [unrolled: 1-line block ×4, first 2 shown]
	v_add_f32_e32 v55, v59, v55
	v_add_f32_e32 v54, v54, v58
	v_add_f32_e32 v58, v60, v55
	v_sub_f32_e32 v59, v58, v60
	v_sub_f32_e32 v55, v55, v59
	v_add_f32_e32 v54, v54, v55
	v_add_f32_e32 v54, v58, v54
	v_cmp_neq_f32_e32 vcc, s6, v57
	s_mov_b32 s6, 0x33800000
	v_cndmask_b32_e32 v54, v56, v54, vcc
	v_cmp_lt_f32_e64 vcc, |v57|, s6
	v_cndmask_b32_e32 v54, v54, v57, vcc
	v_add_f32_e32 v54, v53, v54
.LBB478_92:
	s_or_b64 exec, exec, s[2:3]
	v_bfe_u32 v53, v54, 16, 1
	v_add3_u32 v53, v54, v53, s7
	v_and_b32_e32 v53, 0xffff0000, v53
	v_cmp_o_f32_e32 vcc, v54, v54
	v_cndmask_b32_e32 v54, v48, v53, vcc
	v_and_b32_e32 v8, 0xffff0000, v8
	v_max_f32_e32 v53, v54, v54
	v_max_f32_e32 v48, v8, v8
	v_min_f32_e32 v55, v53, v48
	v_cmp_u_f32_e32 vcc, v54, v54
	v_max_f32_e32 v53, v53, v48
	v_cndmask_b32_e32 v55, v55, v54, vcc
	v_cmp_u_f32_e64 s[94:95], v8, v8
	v_cndmask_b32_e32 v53, v53, v54, vcc
	v_cndmask_b32_e64 v55, v55, v8, s[94:95]
	v_cndmask_b32_e64 v53, v53, v8, s[94:95]
	s_movk_i32 s2, 0x1f8
	v_cmp_neq_f32_e32 vcc, v55, v53
	v_cmp_class_f32_e64 s[2:3], v55, s2
	s_or_b64 s[6:7], vcc, s[2:3]
	s_and_saveexec_b64 s[2:3], s[6:7]
	s_cbranch_execz .LBB478_94
; %bb.93:
	v_sub_f32_e32 v54, v55, v53
	s_mov_b32 s6, 0x3fb8aa3b
	v_mul_f32_e32 v55, 0x3fb8aa3b, v54
	v_fma_f32 v56, v54, s6, -v55
	v_rndne_f32_e32 v57, v55
	v_fmac_f32_e32 v56, 0x32a5705f, v54
	v_sub_f32_e32 v55, v55, v57
	v_add_f32_e32 v55, v55, v56
	v_exp_f32_e32 v55, v55
	v_cvt_i32_f32_e32 v56, v57
	s_mov_b32 s6, 0xc2ce8ed0
	v_cmp_ngt_f32_e32 vcc, s6, v54
	s_mov_b32 s6, 0x42b17218
	v_ldexp_f32 v55, v55, v56
	v_cndmask_b32_e32 v55, 0, v55, vcc
	v_mov_b32_e32 v56, 0x7f800000
	v_cmp_nlt_f32_e32 vcc, s6, v54
	v_cndmask_b32_e32 v57, v56, v55, vcc
	v_add_f32_e32 v58, 1.0, v57
	v_cvt_f64_f32_e32 v[54:55], v58
	v_add_f32_e32 v59, -1.0, v58
	v_sub_f32_e32 v60, v59, v58
	v_sub_f32_e32 v59, v57, v59
	v_frexp_exp_i32_f64_e32 v54, v[54:55]
	v_add_f32_e32 v55, 1.0, v60
	v_add_f32_e32 v55, v59, v55
	v_frexp_mant_f32_e32 v59, v58
	s_mov_b32 s7, 0x3f2aaaab
	v_cmp_gt_f32_e32 vcc, s7, v59
	s_mov_b32 s7, 0x3f317218
	s_mov_b32 s6, 0x7f800000
	v_subbrev_co_u32_e32 v54, vcc, 0, v54, vcc
	v_sub_u32_e32 v59, 0, v54
	v_ldexp_f32 v58, v58, v59
	v_ldexp_f32 v55, v55, v59
	v_add_f32_e32 v59, -1.0, v58
	v_add_f32_e32 v62, 1.0, v58
	v_add_f32_e32 v60, 1.0, v59
	v_add_f32_e32 v63, -1.0, v62
	v_sub_f32_e32 v60, v58, v60
	v_sub_f32_e32 v58, v58, v63
	v_add_f32_e32 v60, v55, v60
	v_add_f32_e32 v55, v55, v58
	;; [unrolled: 1-line block ×3, first 2 shown]
	v_rcp_f32_e32 v63, v58
	v_add_f32_e32 v61, v59, v60
	v_sub_f32_e32 v59, v59, v61
	v_add_f32_e32 v59, v60, v59
	v_sub_f32_e32 v60, v62, v58
	v_add_f32_e32 v55, v55, v60
	v_mul_f32_e32 v60, v61, v63
	v_mul_f32_e32 v62, v58, v60
	v_fma_f32 v64, v60, v58, -v62
	v_fmac_f32_e32 v64, v60, v55
	v_add_f32_e32 v65, v62, v64
	v_sub_f32_e32 v66, v61, v65
	v_sub_f32_e32 v61, v61, v66
	;; [unrolled: 1-line block ×4, first 2 shown]
	v_add_f32_e32 v59, v59, v61
	v_sub_f32_e32 v61, v62, v64
	v_add_f32_e32 v59, v61, v59
	v_add_f32_e32 v61, v66, v59
	v_mul_f32_e32 v62, v63, v61
	v_mul_f32_e32 v64, v58, v62
	v_fma_f32 v58, v62, v58, -v64
	v_fmac_f32_e32 v58, v62, v55
	v_sub_f32_e32 v55, v66, v61
	v_add_f32_e32 v55, v59, v55
	v_add_f32_e32 v59, v64, v58
	v_sub_f32_e32 v65, v61, v59
	v_sub_f32_e32 v61, v61, v65
	;; [unrolled: 1-line block ×4, first 2 shown]
	v_add_f32_e32 v55, v55, v59
	v_sub_f32_e32 v58, v64, v58
	v_add_f32_e32 v55, v58, v55
	v_add_f32_e32 v58, v60, v62
	;; [unrolled: 1-line block ×3, first 2 shown]
	v_sub_f32_e32 v59, v58, v60
	v_mul_f32_e32 v55, v63, v55
	v_sub_f32_e32 v59, v62, v59
	v_add_f32_e32 v55, v59, v55
	v_cvt_f32_i32_e32 v54, v54
	v_add_f32_e32 v59, v58, v55
	v_mul_f32_e32 v60, v59, v59
	v_mov_b32_e32 v61, 0x3ecc95a3
	v_fmac_f32_e32 v61, 0x3e9b6dac, v60
	v_mov_b32_e32 v62, 0x3f2aaada
	v_fmac_f32_e32 v62, v60, v61
	v_mul_f32_e32 v61, 0x3f317218, v54
	v_fma_f32 v63, v54, s7, -v61
	v_fmac_f32_e32 v63, 0xb102e308, v54
	v_sub_f32_e32 v54, v59, v58
	v_sub_f32_e32 v54, v55, v54
	v_add_f32_e32 v55, v61, v63
	v_sub_f32_e32 v58, v55, v61
	v_ldexp_f32 v61, v59, 1
	v_mul_f32_e32 v59, v59, v60
	v_mul_f32_e32 v59, v59, v62
	v_add_f32_e32 v60, v61, v59
	v_sub_f32_e32 v61, v60, v61
	v_ldexp_f32 v54, v54, 1
	v_sub_f32_e32 v59, v59, v61
	v_add_f32_e32 v54, v54, v59
	v_add_f32_e32 v59, v60, v54
	v_sub_f32_e32 v60, v59, v60
	v_sub_f32_e32 v54, v54, v60
	v_add_f32_e32 v60, v55, v59
	v_sub_f32_e32 v61, v60, v55
	v_sub_f32_e32 v62, v60, v61
	;; [unrolled: 1-line block ×5, first 2 shown]
	v_add_f32_e32 v55, v59, v55
	v_add_f32_e32 v59, v58, v54
	v_sub_f32_e32 v61, v59, v58
	v_sub_f32_e32 v62, v59, v61
	;; [unrolled: 1-line block ×4, first 2 shown]
	v_add_f32_e32 v55, v59, v55
	v_add_f32_e32 v54, v54, v58
	;; [unrolled: 1-line block ×3, first 2 shown]
	v_sub_f32_e32 v59, v58, v60
	v_sub_f32_e32 v55, v55, v59
	v_add_f32_e32 v54, v54, v55
	v_add_f32_e32 v54, v58, v54
	v_cmp_neq_f32_e32 vcc, s6, v57
	s_mov_b32 s6, 0x33800000
	v_cndmask_b32_e32 v54, v56, v54, vcc
	v_cmp_lt_f32_e64 vcc, |v57|, s6
	v_cndmask_b32_e32 v54, v54, v57, vcc
	v_add_f32_e32 v54, v53, v54
.LBB478_94:
	s_or_b64 exec, exec, s[2:3]
	s_load_dwordx2 s[6:7], s[4:5], 0x18
	v_bfe_u32 v53, v54, 16, 1
	s_movk_i32 s2, 0x7fff
	v_add3_u32 v53, v54, v53, s2
	v_cmp_o_f32_e32 vcc, v54, v54
	v_mov_b32_e32 v54, 0x7fc0
	v_cndmask_b32_sdwa v54, v54, v53, vcc dst_sel:DWORD dst_unused:UNUSED_PAD src0_sel:DWORD src1_sel:WORD_1
	v_lshrrev_b32_e32 v53, 4, v0
	v_and_b32_e32 v53, 14, v53
	v_lshl_add_u32 v53, v0, 1, v53
	v_cmp_gt_u32_e32 vcc, 64, v0
	ds_write_b16 v53, v54
	s_waitcnt lgkmcnt(0)
	s_barrier
	s_and_saveexec_b64 s[8:9], vcc
	s_cbranch_execz .LBB478_134
; %bb.95:
	v_lshrrev_b32_e32 v53, 2, v0
	v_and_b32_e32 v53, 62, v53
	v_lshlrev_b32_e32 v55, 3, v0
	v_add_u32_e32 v53, v53, v55
	ds_read_u16 v55, v53
	ds_read_u16 v56, v53 offset:2
	s_movk_i32 s11, 0x1f8
	s_waitcnt lgkmcnt(1)
	v_lshlrev_b32_e32 v55, 16, v55
	s_waitcnt lgkmcnt(0)
	v_lshlrev_b32_e32 v57, 16, v56
	v_max_f32_e32 v58, v57, v57
	v_max_f32_e32 v56, v55, v55
	v_min_f32_e32 v59, v56, v58
	v_cmp_u_f32_e64 s[4:5], v55, v55
	v_max_f32_e32 v58, v56, v58
	v_cndmask_b32_e64 v59, v59, v55, s[4:5]
	v_cmp_u_f32_e32 vcc, v57, v57
	v_cndmask_b32_e64 v58, v58, v55, s[4:5]
	v_cndmask_b32_e32 v59, v59, v57, vcc
	v_cndmask_b32_e32 v57, v58, v57, vcc
	v_cmp_neq_f32_e32 vcc, v59, v57
	v_cmp_class_f32_e64 s[2:3], v59, s11
	s_or_b64 vcc, vcc, s[2:3]
	v_mov_b32_e32 v58, v55
	s_and_saveexec_b64 s[2:3], vcc
	s_cbranch_execz .LBB478_97
; %bb.96:
	v_sub_f32_e32 v58, v59, v57
	s_mov_b32 s10, 0x3fb8aa3b
	v_mul_f32_e32 v59, 0x3fb8aa3b, v58
	v_fma_f32 v60, v58, s10, -v59
	v_rndne_f32_e32 v61, v59
	v_fmac_f32_e32 v60, 0x32a5705f, v58
	v_sub_f32_e32 v59, v59, v61
	v_add_f32_e32 v59, v59, v60
	v_exp_f32_e32 v59, v59
	v_cvt_i32_f32_e32 v60, v61
	s_mov_b32 s10, 0xc2ce8ed0
	v_cmp_ngt_f32_e32 vcc, s10, v58
	s_mov_b32 s10, 0x42b17218
	v_ldexp_f32 v59, v59, v60
	v_cndmask_b32_e32 v59, 0, v59, vcc
	v_mov_b32_e32 v60, 0x7f800000
	v_cmp_nlt_f32_e32 vcc, s10, v58
	v_cndmask_b32_e32 v61, v60, v59, vcc
	v_add_f32_e32 v62, 1.0, v61
	v_cvt_f64_f32_e32 v[58:59], v62
	v_add_f32_e32 v63, -1.0, v62
	v_sub_f32_e32 v64, v63, v62
	v_sub_f32_e32 v63, v61, v63
	v_frexp_exp_i32_f64_e32 v58, v[58:59]
	v_add_f32_e32 v59, 1.0, v64
	v_add_f32_e32 v59, v63, v59
	v_frexp_mant_f32_e32 v63, v62
	s_mov_b32 s12, 0x3f2aaaab
	v_cmp_gt_f32_e32 vcc, s12, v63
	s_mov_b32 s12, 0x3f317218
	s_mov_b32 s10, 0x7f800000
	v_subbrev_co_u32_e32 v58, vcc, 0, v58, vcc
	v_sub_u32_e32 v63, 0, v58
	v_ldexp_f32 v62, v62, v63
	v_ldexp_f32 v59, v59, v63
	v_add_f32_e32 v63, -1.0, v62
	v_add_f32_e32 v66, 1.0, v62
	v_add_f32_e32 v64, 1.0, v63
	v_add_f32_e32 v67, -1.0, v66
	v_sub_f32_e32 v64, v62, v64
	v_sub_f32_e32 v62, v62, v67
	v_add_f32_e32 v64, v59, v64
	v_add_f32_e32 v59, v59, v62
	;; [unrolled: 1-line block ×3, first 2 shown]
	v_rcp_f32_e32 v67, v62
	v_add_f32_e32 v65, v63, v64
	v_sub_f32_e32 v63, v63, v65
	v_add_f32_e32 v63, v64, v63
	v_sub_f32_e32 v64, v66, v62
	v_add_f32_e32 v59, v59, v64
	v_mul_f32_e32 v64, v65, v67
	v_mul_f32_e32 v66, v62, v64
	v_fma_f32 v68, v64, v62, -v66
	v_fmac_f32_e32 v68, v64, v59
	v_add_f32_e32 v69, v66, v68
	v_sub_f32_e32 v70, v65, v69
	v_sub_f32_e32 v65, v65, v70
	v_sub_f32_e32 v66, v69, v66
	v_sub_f32_e32 v65, v65, v69
	v_add_f32_e32 v63, v63, v65
	v_sub_f32_e32 v65, v66, v68
	v_add_f32_e32 v63, v65, v63
	v_add_f32_e32 v65, v70, v63
	v_mul_f32_e32 v66, v67, v65
	v_mul_f32_e32 v68, v62, v66
	v_fma_f32 v62, v66, v62, -v68
	v_fmac_f32_e32 v62, v66, v59
	v_sub_f32_e32 v59, v70, v65
	v_add_f32_e32 v59, v63, v59
	v_add_f32_e32 v63, v68, v62
	v_sub_f32_e32 v69, v65, v63
	v_sub_f32_e32 v65, v65, v69
	;; [unrolled: 1-line block ×4, first 2 shown]
	v_add_f32_e32 v59, v59, v63
	v_sub_f32_e32 v62, v68, v62
	v_add_f32_e32 v59, v62, v59
	v_add_f32_e32 v62, v64, v66
	;; [unrolled: 1-line block ×3, first 2 shown]
	v_sub_f32_e32 v63, v62, v64
	v_mul_f32_e32 v59, v67, v59
	v_sub_f32_e32 v63, v66, v63
	v_add_f32_e32 v59, v63, v59
	v_cvt_f32_i32_e32 v58, v58
	v_add_f32_e32 v63, v62, v59
	v_mul_f32_e32 v64, v63, v63
	v_mov_b32_e32 v65, 0x3ecc95a3
	v_fmac_f32_e32 v65, 0x3e9b6dac, v64
	v_mov_b32_e32 v66, 0x3f2aaada
	v_fmac_f32_e32 v66, v64, v65
	v_mul_f32_e32 v65, 0x3f317218, v58
	v_fma_f32 v67, v58, s12, -v65
	v_fmac_f32_e32 v67, 0xb102e308, v58
	v_sub_f32_e32 v58, v63, v62
	v_sub_f32_e32 v58, v59, v58
	v_add_f32_e32 v59, v65, v67
	v_sub_f32_e32 v62, v59, v65
	v_ldexp_f32 v65, v63, 1
	v_mul_f32_e32 v63, v63, v64
	v_mul_f32_e32 v63, v63, v66
	v_add_f32_e32 v64, v65, v63
	v_sub_f32_e32 v65, v64, v65
	v_ldexp_f32 v58, v58, 1
	v_sub_f32_e32 v63, v63, v65
	v_add_f32_e32 v58, v58, v63
	v_add_f32_e32 v63, v64, v58
	v_sub_f32_e32 v64, v63, v64
	v_sub_f32_e32 v58, v58, v64
	v_add_f32_e32 v64, v59, v63
	v_sub_f32_e32 v65, v64, v59
	v_sub_f32_e32 v66, v64, v65
	;; [unrolled: 1-line block ×5, first 2 shown]
	v_add_f32_e32 v59, v63, v59
	v_add_f32_e32 v63, v62, v58
	v_sub_f32_e32 v65, v63, v62
	v_sub_f32_e32 v66, v63, v65
	v_sub_f32_e32 v62, v62, v66
	v_sub_f32_e32 v58, v58, v65
	v_add_f32_e32 v59, v63, v59
	v_add_f32_e32 v58, v58, v62
	;; [unrolled: 1-line block ×3, first 2 shown]
	v_sub_f32_e32 v63, v62, v64
	v_sub_f32_e32 v59, v59, v63
	v_add_f32_e32 v58, v58, v59
	v_add_f32_e32 v58, v62, v58
	v_cmp_neq_f32_e32 vcc, s10, v61
	s_mov_b32 s10, 0x33800000
	v_cndmask_b32_e32 v58, v60, v58, vcc
	v_cmp_lt_f32_e64 vcc, |v61|, s10
	v_cndmask_b32_e32 v58, v58, v61, vcc
	v_add_f32_e32 v58, v57, v58
.LBB478_97:
	s_or_b64 exec, exec, s[2:3]
	ds_read_u16 v60, v53 offset:4
	v_bfe_u32 v57, v58, 16, 1
	s_movk_i32 s10, 0x7fff
	v_add3_u32 v57, v58, v57, s10
	v_and_b32_e32 v59, 0xffff0000, v57
	v_mov_b32_e32 v57, 0x7fc00000
	v_cmp_o_f32_e32 vcc, v58, v58
	v_cndmask_b32_e32 v59, v57, v59, vcc
	s_waitcnt lgkmcnt(0)
	v_lshlrev_b32_e32 v58, 16, v60
	v_max_f32_e32 v61, v59, v59
	v_max_f32_e32 v62, v58, v58
	v_min_f32_e32 v60, v61, v62
	v_cmp_u_f32_e32 vcc, v59, v59
	v_max_f32_e32 v61, v61, v62
	v_cndmask_b32_e32 v60, v60, v59, vcc
	v_cmp_u_f32_e64 s[2:3], v58, v58
	v_cndmask_b32_e32 v61, v61, v59, vcc
	v_cndmask_b32_e64 v60, v60, v58, s[2:3]
	v_cndmask_b32_e64 v58, v61, v58, s[2:3]
	v_cmp_neq_f32_e32 vcc, v60, v58
	v_cmp_class_f32_e64 s[2:3], v60, s11
	s_or_b64 vcc, vcc, s[2:3]
	s_and_saveexec_b64 s[2:3], vcc
	s_cbranch_execz .LBB478_99
; %bb.98:
	v_sub_f32_e32 v59, v60, v58
	s_mov_b32 s11, 0x3fb8aa3b
	v_mul_f32_e32 v60, 0x3fb8aa3b, v59
	v_fma_f32 v61, v59, s11, -v60
	v_rndne_f32_e32 v62, v60
	v_fmac_f32_e32 v61, 0x32a5705f, v59
	v_sub_f32_e32 v60, v60, v62
	v_add_f32_e32 v60, v60, v61
	v_exp_f32_e32 v60, v60
	v_cvt_i32_f32_e32 v61, v62
	s_mov_b32 s11, 0xc2ce8ed0
	v_cmp_ngt_f32_e32 vcc, s11, v59
	s_mov_b32 s11, 0x42b17218
	v_ldexp_f32 v60, v60, v61
	v_cndmask_b32_e32 v60, 0, v60, vcc
	v_mov_b32_e32 v61, 0x7f800000
	v_cmp_nlt_f32_e32 vcc, s11, v59
	v_cndmask_b32_e32 v62, v61, v60, vcc
	v_add_f32_e32 v63, 1.0, v62
	v_cvt_f64_f32_e32 v[59:60], v63
	v_add_f32_e32 v64, -1.0, v63
	v_sub_f32_e32 v65, v64, v63
	v_sub_f32_e32 v64, v62, v64
	v_frexp_exp_i32_f64_e32 v59, v[59:60]
	v_add_f32_e32 v60, 1.0, v65
	v_add_f32_e32 v60, v64, v60
	v_frexp_mant_f32_e32 v64, v63
	s_mov_b32 s12, 0x3f2aaaab
	v_cmp_gt_f32_e32 vcc, s12, v64
	s_mov_b32 s12, 0x3f317218
	s_mov_b32 s11, 0x7f800000
	v_subbrev_co_u32_e32 v59, vcc, 0, v59, vcc
	v_sub_u32_e32 v64, 0, v59
	v_ldexp_f32 v63, v63, v64
	v_ldexp_f32 v60, v60, v64
	v_add_f32_e32 v64, -1.0, v63
	v_add_f32_e32 v67, 1.0, v63
	v_add_f32_e32 v65, 1.0, v64
	v_add_f32_e32 v68, -1.0, v67
	v_sub_f32_e32 v65, v63, v65
	v_sub_f32_e32 v63, v63, v68
	v_add_f32_e32 v65, v60, v65
	v_add_f32_e32 v60, v60, v63
	;; [unrolled: 1-line block ×3, first 2 shown]
	v_rcp_f32_e32 v68, v63
	v_add_f32_e32 v66, v64, v65
	v_sub_f32_e32 v64, v64, v66
	v_add_f32_e32 v64, v65, v64
	v_sub_f32_e32 v65, v67, v63
	v_add_f32_e32 v60, v60, v65
	v_mul_f32_e32 v65, v66, v68
	v_mul_f32_e32 v67, v63, v65
	v_fma_f32 v69, v65, v63, -v67
	v_fmac_f32_e32 v69, v65, v60
	v_add_f32_e32 v70, v67, v69
	v_sub_f32_e32 v71, v66, v70
	v_sub_f32_e32 v66, v66, v71
	;; [unrolled: 1-line block ×4, first 2 shown]
	v_add_f32_e32 v64, v64, v66
	v_sub_f32_e32 v66, v67, v69
	v_add_f32_e32 v64, v66, v64
	v_add_f32_e32 v66, v71, v64
	v_mul_f32_e32 v67, v68, v66
	v_mul_f32_e32 v69, v63, v67
	v_fma_f32 v63, v67, v63, -v69
	v_fmac_f32_e32 v63, v67, v60
	v_sub_f32_e32 v60, v71, v66
	v_add_f32_e32 v60, v64, v60
	v_add_f32_e32 v64, v69, v63
	v_sub_f32_e32 v70, v66, v64
	v_sub_f32_e32 v66, v66, v70
	;; [unrolled: 1-line block ×4, first 2 shown]
	v_add_f32_e32 v60, v60, v64
	v_sub_f32_e32 v63, v69, v63
	v_add_f32_e32 v60, v63, v60
	v_add_f32_e32 v63, v65, v67
	;; [unrolled: 1-line block ×3, first 2 shown]
	v_sub_f32_e32 v64, v63, v65
	v_mul_f32_e32 v60, v68, v60
	v_sub_f32_e32 v64, v67, v64
	v_add_f32_e32 v60, v64, v60
	v_cvt_f32_i32_e32 v59, v59
	v_add_f32_e32 v64, v63, v60
	v_mul_f32_e32 v65, v64, v64
	v_mov_b32_e32 v66, 0x3ecc95a3
	v_fmac_f32_e32 v66, 0x3e9b6dac, v65
	v_mov_b32_e32 v67, 0x3f2aaada
	v_fmac_f32_e32 v67, v65, v66
	v_mul_f32_e32 v66, 0x3f317218, v59
	v_fma_f32 v68, v59, s12, -v66
	v_fmac_f32_e32 v68, 0xb102e308, v59
	v_sub_f32_e32 v59, v64, v63
	v_sub_f32_e32 v59, v60, v59
	v_add_f32_e32 v60, v66, v68
	v_sub_f32_e32 v63, v60, v66
	v_ldexp_f32 v66, v64, 1
	v_mul_f32_e32 v64, v64, v65
	v_mul_f32_e32 v64, v64, v67
	v_add_f32_e32 v65, v66, v64
	v_sub_f32_e32 v66, v65, v66
	v_ldexp_f32 v59, v59, 1
	v_sub_f32_e32 v64, v64, v66
	v_add_f32_e32 v59, v59, v64
	v_add_f32_e32 v64, v65, v59
	v_sub_f32_e32 v65, v64, v65
	v_sub_f32_e32 v59, v59, v65
	v_add_f32_e32 v65, v60, v64
	v_sub_f32_e32 v66, v65, v60
	v_sub_f32_e32 v67, v65, v66
	;; [unrolled: 1-line block ×5, first 2 shown]
	v_add_f32_e32 v60, v64, v60
	v_add_f32_e32 v64, v63, v59
	v_sub_f32_e32 v66, v64, v63
	v_sub_f32_e32 v67, v64, v66
	v_sub_f32_e32 v63, v63, v67
	v_sub_f32_e32 v59, v59, v66
	v_add_f32_e32 v60, v64, v60
	v_add_f32_e32 v59, v59, v63
	;; [unrolled: 1-line block ×3, first 2 shown]
	v_sub_f32_e32 v64, v63, v65
	v_sub_f32_e32 v60, v60, v64
	v_add_f32_e32 v59, v59, v60
	v_add_f32_e32 v59, v63, v59
	v_cmp_neq_f32_e32 vcc, s11, v62
	s_mov_b32 s11, 0x33800000
	v_cndmask_b32_e32 v59, v61, v59, vcc
	v_cmp_lt_f32_e64 vcc, |v62|, s11
	v_cndmask_b32_e32 v59, v59, v62, vcc
	v_add_f32_e32 v59, v58, v59
.LBB478_99:
	s_or_b64 exec, exec, s[2:3]
	ds_read_u16 v60, v53 offset:6
	v_bfe_u32 v58, v59, 16, 1
	v_add3_u32 v58, v59, v58, s10
	v_and_b32_e32 v58, 0xffff0000, v58
	v_cmp_o_f32_e32 vcc, v59, v59
	v_cndmask_b32_e32 v58, v57, v58, vcc
	s_waitcnt lgkmcnt(0)
	v_lshlrev_b32_e32 v57, 16, v60
	v_max_f32_e32 v60, v58, v58
	v_max_f32_e32 v61, v57, v57
	v_min_f32_e32 v59, v60, v61
	v_cmp_u_f32_e32 vcc, v58, v58
	v_max_f32_e32 v60, v60, v61
	v_cndmask_b32_e32 v59, v59, v58, vcc
	v_cmp_u_f32_e64 s[2:3], v57, v57
	v_cndmask_b32_e32 v60, v60, v58, vcc
	v_cndmask_b32_e64 v59, v59, v57, s[2:3]
	v_cndmask_b32_e64 v57, v60, v57, s[2:3]
	s_movk_i32 s2, 0x1f8
	v_cmp_neq_f32_e32 vcc, v59, v57
	v_cmp_class_f32_e64 s[2:3], v59, s2
	s_or_b64 s[10:11], vcc, s[2:3]
	s_and_saveexec_b64 s[2:3], s[10:11]
	s_cbranch_execz .LBB478_101
; %bb.100:
	v_sub_f32_e32 v58, v59, v57
	s_mov_b32 s10, 0x3fb8aa3b
	v_mul_f32_e32 v59, 0x3fb8aa3b, v58
	v_fma_f32 v60, v58, s10, -v59
	v_rndne_f32_e32 v61, v59
	v_fmac_f32_e32 v60, 0x32a5705f, v58
	v_sub_f32_e32 v59, v59, v61
	v_add_f32_e32 v59, v59, v60
	v_exp_f32_e32 v59, v59
	v_cvt_i32_f32_e32 v60, v61
	s_mov_b32 s10, 0xc2ce8ed0
	v_cmp_ngt_f32_e32 vcc, s10, v58
	s_mov_b32 s10, 0x42b17218
	v_ldexp_f32 v59, v59, v60
	v_cndmask_b32_e32 v59, 0, v59, vcc
	v_mov_b32_e32 v60, 0x7f800000
	v_cmp_nlt_f32_e32 vcc, s10, v58
	v_cndmask_b32_e32 v61, v60, v59, vcc
	v_add_f32_e32 v62, 1.0, v61
	v_cvt_f64_f32_e32 v[58:59], v62
	v_add_f32_e32 v63, -1.0, v62
	v_sub_f32_e32 v64, v63, v62
	v_sub_f32_e32 v63, v61, v63
	v_frexp_exp_i32_f64_e32 v58, v[58:59]
	v_add_f32_e32 v59, 1.0, v64
	v_add_f32_e32 v59, v63, v59
	v_frexp_mant_f32_e32 v63, v62
	s_mov_b32 s11, 0x3f2aaaab
	v_cmp_gt_f32_e32 vcc, s11, v63
	s_mov_b32 s11, 0x3f317218
	s_mov_b32 s10, 0x7f800000
	v_subbrev_co_u32_e32 v58, vcc, 0, v58, vcc
	v_sub_u32_e32 v63, 0, v58
	v_ldexp_f32 v62, v62, v63
	v_ldexp_f32 v59, v59, v63
	v_add_f32_e32 v63, -1.0, v62
	v_add_f32_e32 v66, 1.0, v62
	v_add_f32_e32 v64, 1.0, v63
	v_add_f32_e32 v67, -1.0, v66
	v_sub_f32_e32 v64, v62, v64
	v_sub_f32_e32 v62, v62, v67
	v_add_f32_e32 v64, v59, v64
	v_add_f32_e32 v59, v59, v62
	;; [unrolled: 1-line block ×3, first 2 shown]
	v_rcp_f32_e32 v67, v62
	v_add_f32_e32 v65, v63, v64
	v_sub_f32_e32 v63, v63, v65
	v_add_f32_e32 v63, v64, v63
	v_sub_f32_e32 v64, v66, v62
	v_add_f32_e32 v59, v59, v64
	v_mul_f32_e32 v64, v65, v67
	v_mul_f32_e32 v66, v62, v64
	v_fma_f32 v68, v64, v62, -v66
	v_fmac_f32_e32 v68, v64, v59
	v_add_f32_e32 v69, v66, v68
	v_sub_f32_e32 v70, v65, v69
	v_sub_f32_e32 v65, v65, v70
	;; [unrolled: 1-line block ×4, first 2 shown]
	v_add_f32_e32 v63, v63, v65
	v_sub_f32_e32 v65, v66, v68
	v_add_f32_e32 v63, v65, v63
	v_add_f32_e32 v65, v70, v63
	v_mul_f32_e32 v66, v67, v65
	v_mul_f32_e32 v68, v62, v66
	v_fma_f32 v62, v66, v62, -v68
	v_fmac_f32_e32 v62, v66, v59
	v_sub_f32_e32 v59, v70, v65
	v_add_f32_e32 v59, v63, v59
	v_add_f32_e32 v63, v68, v62
	v_sub_f32_e32 v69, v65, v63
	v_sub_f32_e32 v65, v65, v69
	v_sub_f32_e32 v68, v63, v68
	v_sub_f32_e32 v63, v65, v63
	v_add_f32_e32 v59, v59, v63
	v_sub_f32_e32 v62, v68, v62
	v_add_f32_e32 v59, v62, v59
	v_add_f32_e32 v62, v64, v66
	;; [unrolled: 1-line block ×3, first 2 shown]
	v_sub_f32_e32 v63, v62, v64
	v_mul_f32_e32 v59, v67, v59
	v_sub_f32_e32 v63, v66, v63
	v_add_f32_e32 v59, v63, v59
	v_cvt_f32_i32_e32 v58, v58
	v_add_f32_e32 v63, v62, v59
	v_mul_f32_e32 v64, v63, v63
	v_mov_b32_e32 v65, 0x3ecc95a3
	v_fmac_f32_e32 v65, 0x3e9b6dac, v64
	v_mov_b32_e32 v66, 0x3f2aaada
	v_fmac_f32_e32 v66, v64, v65
	v_mul_f32_e32 v65, 0x3f317218, v58
	v_fma_f32 v67, v58, s11, -v65
	v_fmac_f32_e32 v67, 0xb102e308, v58
	v_sub_f32_e32 v58, v63, v62
	v_sub_f32_e32 v58, v59, v58
	v_add_f32_e32 v59, v65, v67
	v_sub_f32_e32 v62, v59, v65
	v_ldexp_f32 v65, v63, 1
	v_mul_f32_e32 v63, v63, v64
	v_mul_f32_e32 v63, v63, v66
	v_add_f32_e32 v64, v65, v63
	v_sub_f32_e32 v65, v64, v65
	v_ldexp_f32 v58, v58, 1
	v_sub_f32_e32 v63, v63, v65
	v_add_f32_e32 v58, v58, v63
	v_add_f32_e32 v63, v64, v58
	v_sub_f32_e32 v64, v63, v64
	v_sub_f32_e32 v58, v58, v64
	v_add_f32_e32 v64, v59, v63
	v_sub_f32_e32 v65, v64, v59
	v_sub_f32_e32 v66, v64, v65
	;; [unrolled: 1-line block ×5, first 2 shown]
	v_add_f32_e32 v59, v63, v59
	v_add_f32_e32 v63, v62, v58
	v_sub_f32_e32 v65, v63, v62
	v_sub_f32_e32 v66, v63, v65
	;; [unrolled: 1-line block ×4, first 2 shown]
	v_add_f32_e32 v59, v63, v59
	v_add_f32_e32 v58, v58, v62
	;; [unrolled: 1-line block ×3, first 2 shown]
	v_sub_f32_e32 v63, v62, v64
	v_sub_f32_e32 v59, v59, v63
	v_add_f32_e32 v58, v58, v59
	v_add_f32_e32 v58, v62, v58
	v_cmp_neq_f32_e32 vcc, s10, v61
	s_mov_b32 s10, 0x33800000
	v_cndmask_b32_e32 v58, v60, v58, vcc
	v_cmp_lt_f32_e64 vcc, |v61|, s10
	v_cndmask_b32_e32 v58, v58, v61, vcc
	v_add_f32_e32 v58, v57, v58
.LBB478_101:
	s_or_b64 exec, exec, s[2:3]
	v_bfe_u32 v57, v58, 16, 1
	s_movk_i32 s2, 0x7fff
	v_add3_u32 v57, v58, v57, s2
	v_cmp_o_f32_e32 vcc, v58, v58
	v_mov_b32_e32 v58, 0x7fc0
	v_cndmask_b32_sdwa v59, v58, v57, vcc dst_sel:DWORD dst_unused:UNUSED_PAD src0_sel:DWORD src1_sel:WORD_1
	v_mbcnt_lo_u32_b32 v57, -1, 0
	v_mbcnt_hi_u32_b32 v57, -1, v57
	v_and_b32_e32 v58, 15, v57
	v_and_b32_e32 v60, 0xffff, v59
	v_cmp_ne_u32_e32 vcc, 0, v58
	s_nop 0
	v_mov_b32_dpp v61, v60 row_shr:1 row_mask:0xf bank_mask:0xf
	s_and_saveexec_b64 s[2:3], vcc
	s_xor_b64 s[10:11], exec, s[2:3]
	s_cbranch_execz .LBB478_105
; %bb.102:
	v_lshlrev_b32_e32 v61, 16, v61
	v_lshlrev_b32_e32 v59, 16, v60
	v_max_f32_e32 v62, v59, v59
	v_max_f32_e32 v63, v61, v61
	v_min_f32_e32 v60, v63, v62
	v_cmp_u_f32_e64 s[2:3], v61, v61
	v_max_f32_e32 v62, v63, v62
	v_cndmask_b32_e64 v60, v60, v61, s[2:3]
	v_cmp_u_f32_e32 vcc, v59, v59
	v_cndmask_b32_e64 v62, v62, v61, s[2:3]
	v_cndmask_b32_e32 v60, v60, v59, vcc
	v_cndmask_b32_e32 v59, v62, v59, vcc
	s_movk_i32 s2, 0x1f8
	v_cmp_neq_f32_e32 vcc, v60, v59
	v_cmp_class_f32_e64 s[2:3], v60, s2
	s_or_b64 vcc, vcc, s[2:3]
	s_and_saveexec_b64 s[2:3], vcc
	s_cbranch_execz .LBB478_104
; %bb.103:
	v_sub_f32_e32 v60, v60, v59
	s_mov_b32 s33, 0x3fb8aa3b
	v_mul_f32_e32 v61, 0x3fb8aa3b, v60
	v_fma_f32 v62, v60, s33, -v61
	v_rndne_f32_e32 v63, v61
	v_fmac_f32_e32 v62, 0x32a5705f, v60
	v_sub_f32_e32 v61, v61, v63
	v_add_f32_e32 v61, v61, v62
	v_exp_f32_e32 v61, v61
	v_cvt_i32_f32_e32 v62, v63
	s_mov_b32 s33, 0xc2ce8ed0
	v_cmp_ngt_f32_e32 vcc, s33, v60
	s_mov_b32 s33, 0x42b17218
	v_ldexp_f32 v61, v61, v62
	v_cndmask_b32_e32 v61, 0, v61, vcc
	v_mov_b32_e32 v62, 0x7f800000
	v_cmp_nlt_f32_e32 vcc, s33, v60
	v_cndmask_b32_e32 v63, v62, v61, vcc
	v_add_f32_e32 v64, 1.0, v63
	v_cvt_f64_f32_e32 v[60:61], v64
	v_add_f32_e32 v65, -1.0, v64
	v_sub_f32_e32 v66, v65, v64
	v_sub_f32_e32 v65, v63, v65
	v_frexp_exp_i32_f64_e32 v60, v[60:61]
	v_add_f32_e32 v61, 1.0, v66
	v_add_f32_e32 v61, v65, v61
	v_frexp_mant_f32_e32 v65, v64
	s_mov_b32 s12, 0x3f2aaaab
	v_cmp_gt_f32_e32 vcc, s12, v65
	s_mov_b32 s12, 0x3f317218
	s_mov_b32 s33, 0x7f800000
	v_subbrev_co_u32_e32 v60, vcc, 0, v60, vcc
	v_sub_u32_e32 v65, 0, v60
	v_ldexp_f32 v64, v64, v65
	v_ldexp_f32 v61, v61, v65
	v_add_f32_e32 v65, -1.0, v64
	v_add_f32_e32 v68, 1.0, v64
	v_add_f32_e32 v66, 1.0, v65
	v_add_f32_e32 v69, -1.0, v68
	v_sub_f32_e32 v66, v64, v66
	v_sub_f32_e32 v64, v64, v69
	v_add_f32_e32 v66, v61, v66
	v_add_f32_e32 v61, v61, v64
	;; [unrolled: 1-line block ×3, first 2 shown]
	v_rcp_f32_e32 v69, v64
	v_add_f32_e32 v67, v65, v66
	v_sub_f32_e32 v65, v65, v67
	v_add_f32_e32 v65, v66, v65
	v_sub_f32_e32 v66, v68, v64
	v_add_f32_e32 v61, v61, v66
	v_mul_f32_e32 v66, v67, v69
	v_mul_f32_e32 v68, v64, v66
	v_fma_f32 v70, v66, v64, -v68
	v_fmac_f32_e32 v70, v66, v61
	v_add_f32_e32 v71, v68, v70
	v_sub_f32_e32 v72, v67, v71
	v_sub_f32_e32 v67, v67, v72
	;; [unrolled: 1-line block ×4, first 2 shown]
	v_add_f32_e32 v65, v65, v67
	v_sub_f32_e32 v67, v68, v70
	v_add_f32_e32 v65, v67, v65
	v_add_f32_e32 v67, v72, v65
	v_mul_f32_e32 v68, v69, v67
	v_mul_f32_e32 v70, v64, v68
	v_fma_f32 v64, v68, v64, -v70
	v_fmac_f32_e32 v64, v68, v61
	v_sub_f32_e32 v61, v72, v67
	v_add_f32_e32 v61, v65, v61
	v_add_f32_e32 v65, v70, v64
	v_sub_f32_e32 v71, v67, v65
	v_sub_f32_e32 v67, v67, v71
	;; [unrolled: 1-line block ×4, first 2 shown]
	v_add_f32_e32 v61, v61, v65
	v_sub_f32_e32 v64, v70, v64
	v_add_f32_e32 v61, v64, v61
	v_add_f32_e32 v64, v66, v68
	v_add_f32_e32 v61, v71, v61
	v_sub_f32_e32 v65, v64, v66
	v_mul_f32_e32 v61, v69, v61
	v_sub_f32_e32 v65, v68, v65
	v_add_f32_e32 v61, v65, v61
	v_cvt_f32_i32_e32 v60, v60
	v_add_f32_e32 v65, v64, v61
	v_mul_f32_e32 v66, v65, v65
	v_mov_b32_e32 v67, 0x3ecc95a3
	v_fmac_f32_e32 v67, 0x3e9b6dac, v66
	v_mov_b32_e32 v68, 0x3f2aaada
	v_fmac_f32_e32 v68, v66, v67
	v_mul_f32_e32 v67, 0x3f317218, v60
	v_fma_f32 v69, v60, s12, -v67
	v_fmac_f32_e32 v69, 0xb102e308, v60
	v_sub_f32_e32 v60, v65, v64
	v_sub_f32_e32 v60, v61, v60
	v_add_f32_e32 v61, v67, v69
	v_sub_f32_e32 v64, v61, v67
	v_ldexp_f32 v67, v65, 1
	v_mul_f32_e32 v65, v65, v66
	v_mul_f32_e32 v65, v65, v68
	v_add_f32_e32 v66, v67, v65
	v_sub_f32_e32 v67, v66, v67
	v_ldexp_f32 v60, v60, 1
	v_sub_f32_e32 v65, v65, v67
	v_add_f32_e32 v60, v60, v65
	v_add_f32_e32 v65, v66, v60
	v_sub_f32_e32 v66, v65, v66
	v_sub_f32_e32 v60, v60, v66
	v_add_f32_e32 v66, v61, v65
	v_sub_f32_e32 v67, v66, v61
	v_sub_f32_e32 v68, v66, v67
	;; [unrolled: 1-line block ×5, first 2 shown]
	v_add_f32_e32 v61, v65, v61
	v_add_f32_e32 v65, v64, v60
	v_sub_f32_e32 v67, v65, v64
	v_sub_f32_e32 v68, v65, v67
	;; [unrolled: 1-line block ×4, first 2 shown]
	v_add_f32_e32 v61, v65, v61
	v_add_f32_e32 v60, v60, v64
	;; [unrolled: 1-line block ×3, first 2 shown]
	v_sub_f32_e32 v65, v64, v66
	v_sub_f32_e32 v61, v61, v65
	v_add_f32_e32 v60, v60, v61
	v_add_f32_e32 v60, v64, v60
	v_cmp_neq_f32_e32 vcc, s33, v63
	s_mov_b32 s12, 0x33800000
	v_cndmask_b32_e32 v60, v62, v60, vcc
	v_cmp_lt_f32_e64 vcc, |v63|, s12
	v_cndmask_b32_e32 v60, v60, v63, vcc
	v_add_f32_e32 v61, v59, v60
.LBB478_104:
	s_or_b64 exec, exec, s[2:3]
	v_bfe_u32 v59, v61, 16, 1
	s_movk_i32 s2, 0x7fff
	v_add3_u32 v59, v61, v59, s2
	v_cmp_o_f32_e32 vcc, v61, v61
	v_mov_b32_e32 v60, 0x7fc0
	v_cndmask_b32_sdwa v59, v60, v59, vcc dst_sel:DWORD dst_unused:UNUSED_PAD src0_sel:DWORD src1_sel:WORD_1
	v_and_b32_e32 v60, 0xffff, v59
.LBB478_105:
	s_or_b64 exec, exec, s[10:11]
	s_nop 0
	v_mov_b32_dpp v61, v60 row_shr:2 row_mask:0xf bank_mask:0xf
	v_cmp_lt_u32_e32 vcc, 1, v58
	s_and_saveexec_b64 s[10:11], vcc
	s_cbranch_execz .LBB478_109
; %bb.106:
	v_lshlrev_b32_e32 v61, 16, v61
	v_lshlrev_b32_e32 v59, 16, v60
	v_max_f32_e32 v62, v59, v59
	v_max_f32_e32 v63, v61, v61
	v_min_f32_e32 v60, v63, v62
	v_cmp_u_f32_e32 vcc, v61, v61
	v_max_f32_e32 v62, v63, v62
	v_cndmask_b32_e32 v60, v60, v61, vcc
	v_cmp_u_f32_e64 s[2:3], v59, v59
	v_cndmask_b32_e32 v62, v62, v61, vcc
	v_cndmask_b32_e64 v60, v60, v59, s[2:3]
	v_cndmask_b32_e64 v59, v62, v59, s[2:3]
	s_movk_i32 s2, 0x1f8
	v_cmp_neq_f32_e32 vcc, v60, v59
	v_cmp_class_f32_e64 s[2:3], v60, s2
	s_or_b64 vcc, vcc, s[2:3]
	s_and_saveexec_b64 s[2:3], vcc
	s_cbranch_execz .LBB478_108
; %bb.107:
	v_sub_f32_e32 v60, v60, v59
	s_mov_b32 s12, 0x3fb8aa3b
	v_mul_f32_e32 v61, 0x3fb8aa3b, v60
	v_fma_f32 v62, v60, s12, -v61
	v_rndne_f32_e32 v63, v61
	v_fmac_f32_e32 v62, 0x32a5705f, v60
	v_sub_f32_e32 v61, v61, v63
	v_add_f32_e32 v61, v61, v62
	v_exp_f32_e32 v61, v61
	v_cvt_i32_f32_e32 v62, v63
	s_mov_b32 s12, 0xc2ce8ed0
	v_cmp_ngt_f32_e32 vcc, s12, v60
	s_mov_b32 s12, 0x42b17218
	v_ldexp_f32 v61, v61, v62
	v_cndmask_b32_e32 v61, 0, v61, vcc
	v_mov_b32_e32 v62, 0x7f800000
	v_cmp_nlt_f32_e32 vcc, s12, v60
	v_cndmask_b32_e32 v63, v62, v61, vcc
	v_add_f32_e32 v64, 1.0, v63
	v_cvt_f64_f32_e32 v[60:61], v64
	v_add_f32_e32 v65, -1.0, v64
	v_sub_f32_e32 v66, v65, v64
	v_sub_f32_e32 v65, v63, v65
	v_frexp_exp_i32_f64_e32 v60, v[60:61]
	v_add_f32_e32 v61, 1.0, v66
	v_add_f32_e32 v61, v65, v61
	v_frexp_mant_f32_e32 v65, v64
	s_mov_b32 s13, 0x3f2aaaab
	v_cmp_gt_f32_e32 vcc, s13, v65
	s_mov_b32 s13, 0x3f317218
	s_mov_b32 s12, 0x7f800000
	v_subbrev_co_u32_e32 v60, vcc, 0, v60, vcc
	v_sub_u32_e32 v65, 0, v60
	v_ldexp_f32 v64, v64, v65
	v_ldexp_f32 v61, v61, v65
	v_add_f32_e32 v65, -1.0, v64
	v_add_f32_e32 v68, 1.0, v64
	v_add_f32_e32 v66, 1.0, v65
	v_add_f32_e32 v69, -1.0, v68
	v_sub_f32_e32 v66, v64, v66
	v_sub_f32_e32 v64, v64, v69
	v_add_f32_e32 v66, v61, v66
	v_add_f32_e32 v61, v61, v64
	;; [unrolled: 1-line block ×3, first 2 shown]
	v_rcp_f32_e32 v69, v64
	v_add_f32_e32 v67, v65, v66
	v_sub_f32_e32 v65, v65, v67
	v_add_f32_e32 v65, v66, v65
	v_sub_f32_e32 v66, v68, v64
	v_add_f32_e32 v61, v61, v66
	v_mul_f32_e32 v66, v67, v69
	v_mul_f32_e32 v68, v64, v66
	v_fma_f32 v70, v66, v64, -v68
	v_fmac_f32_e32 v70, v66, v61
	v_add_f32_e32 v71, v68, v70
	v_sub_f32_e32 v72, v67, v71
	v_sub_f32_e32 v67, v67, v72
	;; [unrolled: 1-line block ×4, first 2 shown]
	v_add_f32_e32 v65, v65, v67
	v_sub_f32_e32 v67, v68, v70
	v_add_f32_e32 v65, v67, v65
	v_add_f32_e32 v67, v72, v65
	v_mul_f32_e32 v68, v69, v67
	v_mul_f32_e32 v70, v64, v68
	v_fma_f32 v64, v68, v64, -v70
	v_fmac_f32_e32 v64, v68, v61
	v_sub_f32_e32 v61, v72, v67
	v_add_f32_e32 v61, v65, v61
	v_add_f32_e32 v65, v70, v64
	v_sub_f32_e32 v71, v67, v65
	v_sub_f32_e32 v67, v67, v71
	;; [unrolled: 1-line block ×4, first 2 shown]
	v_add_f32_e32 v61, v61, v65
	v_sub_f32_e32 v64, v70, v64
	v_add_f32_e32 v61, v64, v61
	v_add_f32_e32 v64, v66, v68
	;; [unrolled: 1-line block ×3, first 2 shown]
	v_sub_f32_e32 v65, v64, v66
	v_mul_f32_e32 v61, v69, v61
	v_sub_f32_e32 v65, v68, v65
	v_add_f32_e32 v61, v65, v61
	v_cvt_f32_i32_e32 v60, v60
	v_add_f32_e32 v65, v64, v61
	v_mul_f32_e32 v66, v65, v65
	v_mov_b32_e32 v67, 0x3ecc95a3
	v_fmac_f32_e32 v67, 0x3e9b6dac, v66
	v_mov_b32_e32 v68, 0x3f2aaada
	v_fmac_f32_e32 v68, v66, v67
	v_mul_f32_e32 v67, 0x3f317218, v60
	v_fma_f32 v69, v60, s13, -v67
	v_fmac_f32_e32 v69, 0xb102e308, v60
	v_sub_f32_e32 v60, v65, v64
	v_sub_f32_e32 v60, v61, v60
	v_add_f32_e32 v61, v67, v69
	v_sub_f32_e32 v64, v61, v67
	v_ldexp_f32 v67, v65, 1
	v_mul_f32_e32 v65, v65, v66
	v_mul_f32_e32 v65, v65, v68
	v_add_f32_e32 v66, v67, v65
	v_sub_f32_e32 v67, v66, v67
	v_ldexp_f32 v60, v60, 1
	v_sub_f32_e32 v65, v65, v67
	v_add_f32_e32 v60, v60, v65
	v_add_f32_e32 v65, v66, v60
	v_sub_f32_e32 v66, v65, v66
	v_sub_f32_e32 v60, v60, v66
	v_add_f32_e32 v66, v61, v65
	v_sub_f32_e32 v67, v66, v61
	v_sub_f32_e32 v68, v66, v67
	v_sub_f32_e32 v64, v69, v64
	v_sub_f32_e32 v61, v61, v68
	v_sub_f32_e32 v65, v65, v67
	v_add_f32_e32 v61, v65, v61
	v_add_f32_e32 v65, v64, v60
	v_sub_f32_e32 v67, v65, v64
	v_sub_f32_e32 v68, v65, v67
	;; [unrolled: 1-line block ×4, first 2 shown]
	v_add_f32_e32 v61, v65, v61
	v_add_f32_e32 v60, v60, v64
	;; [unrolled: 1-line block ×3, first 2 shown]
	v_sub_f32_e32 v65, v64, v66
	v_sub_f32_e32 v61, v61, v65
	v_add_f32_e32 v60, v60, v61
	v_add_f32_e32 v60, v64, v60
	v_cmp_neq_f32_e32 vcc, s12, v63
	s_mov_b32 s12, 0x33800000
	v_cndmask_b32_e32 v60, v62, v60, vcc
	v_cmp_lt_f32_e64 vcc, |v63|, s12
	v_cndmask_b32_e32 v60, v60, v63, vcc
	v_add_f32_e32 v61, v59, v60
.LBB478_108:
	s_or_b64 exec, exec, s[2:3]
	v_bfe_u32 v59, v61, 16, 1
	s_movk_i32 s2, 0x7fff
	v_add3_u32 v59, v61, v59, s2
	v_cmp_o_f32_e32 vcc, v61, v61
	v_mov_b32_e32 v60, 0x7fc0
	v_cndmask_b32_sdwa v59, v60, v59, vcc dst_sel:DWORD dst_unused:UNUSED_PAD src0_sel:DWORD src1_sel:WORD_1
	v_and_b32_e32 v60, 0xffff, v59
.LBB478_109:
	s_or_b64 exec, exec, s[10:11]
	s_nop 0
	v_mov_b32_dpp v61, v60 row_shr:4 row_mask:0xf bank_mask:0xf
	v_cmp_lt_u32_e32 vcc, 3, v58
	s_and_saveexec_b64 s[10:11], vcc
	s_cbranch_execz .LBB478_113
; %bb.110:
	v_lshlrev_b32_e32 v61, 16, v61
	v_lshlrev_b32_e32 v59, 16, v60
	v_max_f32_e32 v62, v59, v59
	v_max_f32_e32 v63, v61, v61
	v_min_f32_e32 v60, v63, v62
	v_cmp_u_f32_e32 vcc, v61, v61
	v_max_f32_e32 v62, v63, v62
	v_cndmask_b32_e32 v60, v60, v61, vcc
	v_cmp_u_f32_e64 s[2:3], v59, v59
	v_cndmask_b32_e32 v62, v62, v61, vcc
	v_cndmask_b32_e64 v60, v60, v59, s[2:3]
	v_cndmask_b32_e64 v59, v62, v59, s[2:3]
	s_movk_i32 s2, 0x1f8
	v_cmp_neq_f32_e32 vcc, v60, v59
	v_cmp_class_f32_e64 s[2:3], v60, s2
	s_or_b64 vcc, vcc, s[2:3]
	s_and_saveexec_b64 s[2:3], vcc
	s_cbranch_execz .LBB478_112
; %bb.111:
	v_sub_f32_e32 v60, v60, v59
	s_mov_b32 s12, 0x3fb8aa3b
	v_mul_f32_e32 v61, 0x3fb8aa3b, v60
	v_fma_f32 v62, v60, s12, -v61
	v_rndne_f32_e32 v63, v61
	v_fmac_f32_e32 v62, 0x32a5705f, v60
	v_sub_f32_e32 v61, v61, v63
	v_add_f32_e32 v61, v61, v62
	v_exp_f32_e32 v61, v61
	v_cvt_i32_f32_e32 v62, v63
	s_mov_b32 s12, 0xc2ce8ed0
	v_cmp_ngt_f32_e32 vcc, s12, v60
	s_mov_b32 s12, 0x42b17218
	v_ldexp_f32 v61, v61, v62
	v_cndmask_b32_e32 v61, 0, v61, vcc
	v_mov_b32_e32 v62, 0x7f800000
	v_cmp_nlt_f32_e32 vcc, s12, v60
	v_cndmask_b32_e32 v63, v62, v61, vcc
	v_add_f32_e32 v64, 1.0, v63
	v_cvt_f64_f32_e32 v[60:61], v64
	v_add_f32_e32 v65, -1.0, v64
	v_sub_f32_e32 v66, v65, v64
	v_sub_f32_e32 v65, v63, v65
	v_frexp_exp_i32_f64_e32 v60, v[60:61]
	v_add_f32_e32 v61, 1.0, v66
	v_add_f32_e32 v61, v65, v61
	v_frexp_mant_f32_e32 v65, v64
	s_mov_b32 s13, 0x3f2aaaab
	v_cmp_gt_f32_e32 vcc, s13, v65
	s_mov_b32 s13, 0x3f317218
	s_mov_b32 s12, 0x7f800000
	v_subbrev_co_u32_e32 v60, vcc, 0, v60, vcc
	v_sub_u32_e32 v65, 0, v60
	v_ldexp_f32 v64, v64, v65
	v_ldexp_f32 v61, v61, v65
	v_add_f32_e32 v65, -1.0, v64
	v_add_f32_e32 v68, 1.0, v64
	v_add_f32_e32 v66, 1.0, v65
	v_add_f32_e32 v69, -1.0, v68
	v_sub_f32_e32 v66, v64, v66
	v_sub_f32_e32 v64, v64, v69
	v_add_f32_e32 v66, v61, v66
	v_add_f32_e32 v61, v61, v64
	;; [unrolled: 1-line block ×3, first 2 shown]
	v_rcp_f32_e32 v69, v64
	v_add_f32_e32 v67, v65, v66
	v_sub_f32_e32 v65, v65, v67
	v_add_f32_e32 v65, v66, v65
	v_sub_f32_e32 v66, v68, v64
	v_add_f32_e32 v61, v61, v66
	v_mul_f32_e32 v66, v67, v69
	v_mul_f32_e32 v68, v64, v66
	v_fma_f32 v70, v66, v64, -v68
	v_fmac_f32_e32 v70, v66, v61
	v_add_f32_e32 v71, v68, v70
	v_sub_f32_e32 v72, v67, v71
	v_sub_f32_e32 v67, v67, v72
	;; [unrolled: 1-line block ×4, first 2 shown]
	v_add_f32_e32 v65, v65, v67
	v_sub_f32_e32 v67, v68, v70
	v_add_f32_e32 v65, v67, v65
	v_add_f32_e32 v67, v72, v65
	v_mul_f32_e32 v68, v69, v67
	v_mul_f32_e32 v70, v64, v68
	v_fma_f32 v64, v68, v64, -v70
	v_fmac_f32_e32 v64, v68, v61
	v_sub_f32_e32 v61, v72, v67
	v_add_f32_e32 v61, v65, v61
	v_add_f32_e32 v65, v70, v64
	v_sub_f32_e32 v71, v67, v65
	v_sub_f32_e32 v67, v67, v71
	;; [unrolled: 1-line block ×4, first 2 shown]
	v_add_f32_e32 v61, v61, v65
	v_sub_f32_e32 v64, v70, v64
	v_add_f32_e32 v61, v64, v61
	v_add_f32_e32 v64, v66, v68
	;; [unrolled: 1-line block ×3, first 2 shown]
	v_sub_f32_e32 v65, v64, v66
	v_mul_f32_e32 v61, v69, v61
	v_sub_f32_e32 v65, v68, v65
	v_add_f32_e32 v61, v65, v61
	v_cvt_f32_i32_e32 v60, v60
	v_add_f32_e32 v65, v64, v61
	v_mul_f32_e32 v66, v65, v65
	v_mov_b32_e32 v67, 0x3ecc95a3
	v_fmac_f32_e32 v67, 0x3e9b6dac, v66
	v_mov_b32_e32 v68, 0x3f2aaada
	v_fmac_f32_e32 v68, v66, v67
	v_mul_f32_e32 v67, 0x3f317218, v60
	v_fma_f32 v69, v60, s13, -v67
	v_fmac_f32_e32 v69, 0xb102e308, v60
	v_sub_f32_e32 v60, v65, v64
	v_sub_f32_e32 v60, v61, v60
	v_add_f32_e32 v61, v67, v69
	v_sub_f32_e32 v64, v61, v67
	v_ldexp_f32 v67, v65, 1
	v_mul_f32_e32 v65, v65, v66
	v_mul_f32_e32 v65, v65, v68
	v_add_f32_e32 v66, v67, v65
	v_sub_f32_e32 v67, v66, v67
	v_ldexp_f32 v60, v60, 1
	v_sub_f32_e32 v65, v65, v67
	v_add_f32_e32 v60, v60, v65
	v_add_f32_e32 v65, v66, v60
	v_sub_f32_e32 v66, v65, v66
	v_sub_f32_e32 v60, v60, v66
	v_add_f32_e32 v66, v61, v65
	v_sub_f32_e32 v67, v66, v61
	v_sub_f32_e32 v68, v66, v67
	;; [unrolled: 1-line block ×5, first 2 shown]
	v_add_f32_e32 v61, v65, v61
	v_add_f32_e32 v65, v64, v60
	v_sub_f32_e32 v67, v65, v64
	v_sub_f32_e32 v68, v65, v67
	;; [unrolled: 1-line block ×4, first 2 shown]
	v_add_f32_e32 v61, v65, v61
	v_add_f32_e32 v60, v60, v64
	;; [unrolled: 1-line block ×3, first 2 shown]
	v_sub_f32_e32 v65, v64, v66
	v_sub_f32_e32 v61, v61, v65
	v_add_f32_e32 v60, v60, v61
	v_add_f32_e32 v60, v64, v60
	v_cmp_neq_f32_e32 vcc, s12, v63
	s_mov_b32 s12, 0x33800000
	v_cndmask_b32_e32 v60, v62, v60, vcc
	v_cmp_lt_f32_e64 vcc, |v63|, s12
	v_cndmask_b32_e32 v60, v60, v63, vcc
	v_add_f32_e32 v61, v59, v60
.LBB478_112:
	s_or_b64 exec, exec, s[2:3]
	v_bfe_u32 v59, v61, 16, 1
	s_movk_i32 s2, 0x7fff
	v_add3_u32 v59, v61, v59, s2
	v_cmp_o_f32_e32 vcc, v61, v61
	v_mov_b32_e32 v60, 0x7fc0
	v_cndmask_b32_sdwa v59, v60, v59, vcc dst_sel:DWORD dst_unused:UNUSED_PAD src0_sel:DWORD src1_sel:WORD_1
	v_and_b32_e32 v60, 0xffff, v59
.LBB478_113:
	s_or_b64 exec, exec, s[10:11]
	s_nop 0
	v_mov_b32_dpp v61, v60 row_shr:8 row_mask:0xf bank_mask:0xf
	v_cmp_lt_u32_e32 vcc, 7, v58
	s_and_saveexec_b64 s[10:11], vcc
	s_cbranch_execz .LBB478_117
; %bb.114:
	v_lshlrev_b32_e32 v59, 16, v61
	v_lshlrev_b32_e32 v58, 16, v60
	v_max_f32_e32 v61, v58, v58
	v_max_f32_e32 v62, v59, v59
	v_min_f32_e32 v60, v62, v61
	v_cmp_u_f32_e32 vcc, v59, v59
	v_max_f32_e32 v61, v62, v61
	v_cndmask_b32_e32 v60, v60, v59, vcc
	v_cmp_u_f32_e64 s[2:3], v58, v58
	v_cndmask_b32_e32 v61, v61, v59, vcc
	v_cndmask_b32_e64 v60, v60, v58, s[2:3]
	v_cndmask_b32_e64 v58, v61, v58, s[2:3]
	s_movk_i32 s2, 0x1f8
	v_cmp_neq_f32_e32 vcc, v60, v58
	v_cmp_class_f32_e64 s[2:3], v60, s2
	s_or_b64 vcc, vcc, s[2:3]
	s_and_saveexec_b64 s[2:3], vcc
	s_cbranch_execz .LBB478_116
; %bb.115:
	v_sub_f32_e32 v59, v60, v58
	s_mov_b32 s12, 0x3fb8aa3b
	v_mul_f32_e32 v60, 0x3fb8aa3b, v59
	v_fma_f32 v61, v59, s12, -v60
	v_rndne_f32_e32 v62, v60
	v_fmac_f32_e32 v61, 0x32a5705f, v59
	v_sub_f32_e32 v60, v60, v62
	v_add_f32_e32 v60, v60, v61
	v_exp_f32_e32 v60, v60
	v_cvt_i32_f32_e32 v61, v62
	s_mov_b32 s12, 0xc2ce8ed0
	v_cmp_ngt_f32_e32 vcc, s12, v59
	s_mov_b32 s12, 0x42b17218
	v_ldexp_f32 v60, v60, v61
	v_cndmask_b32_e32 v60, 0, v60, vcc
	v_mov_b32_e32 v61, 0x7f800000
	v_cmp_nlt_f32_e32 vcc, s12, v59
	v_cndmask_b32_e32 v62, v61, v60, vcc
	v_add_f32_e32 v63, 1.0, v62
	v_cvt_f64_f32_e32 v[59:60], v63
	v_add_f32_e32 v64, -1.0, v63
	v_sub_f32_e32 v65, v64, v63
	v_sub_f32_e32 v64, v62, v64
	v_frexp_exp_i32_f64_e32 v59, v[59:60]
	v_add_f32_e32 v60, 1.0, v65
	v_add_f32_e32 v60, v64, v60
	v_frexp_mant_f32_e32 v64, v63
	s_mov_b32 s13, 0x3f2aaaab
	v_cmp_gt_f32_e32 vcc, s13, v64
	s_mov_b32 s13, 0x3f317218
	s_mov_b32 s12, 0x7f800000
	v_subbrev_co_u32_e32 v59, vcc, 0, v59, vcc
	v_sub_u32_e32 v64, 0, v59
	v_ldexp_f32 v63, v63, v64
	v_ldexp_f32 v60, v60, v64
	v_add_f32_e32 v64, -1.0, v63
	v_add_f32_e32 v67, 1.0, v63
	v_add_f32_e32 v65, 1.0, v64
	v_add_f32_e32 v68, -1.0, v67
	v_sub_f32_e32 v65, v63, v65
	v_sub_f32_e32 v63, v63, v68
	v_add_f32_e32 v65, v60, v65
	v_add_f32_e32 v60, v60, v63
	;; [unrolled: 1-line block ×3, first 2 shown]
	v_rcp_f32_e32 v68, v63
	v_add_f32_e32 v66, v64, v65
	v_sub_f32_e32 v64, v64, v66
	v_add_f32_e32 v64, v65, v64
	v_sub_f32_e32 v65, v67, v63
	v_add_f32_e32 v60, v60, v65
	v_mul_f32_e32 v65, v66, v68
	v_mul_f32_e32 v67, v63, v65
	v_fma_f32 v69, v65, v63, -v67
	v_fmac_f32_e32 v69, v65, v60
	v_add_f32_e32 v70, v67, v69
	v_sub_f32_e32 v71, v66, v70
	v_sub_f32_e32 v66, v66, v71
	;; [unrolled: 1-line block ×4, first 2 shown]
	v_add_f32_e32 v64, v64, v66
	v_sub_f32_e32 v66, v67, v69
	v_add_f32_e32 v64, v66, v64
	v_add_f32_e32 v66, v71, v64
	v_mul_f32_e32 v67, v68, v66
	v_mul_f32_e32 v69, v63, v67
	v_fma_f32 v63, v67, v63, -v69
	v_fmac_f32_e32 v63, v67, v60
	v_sub_f32_e32 v60, v71, v66
	v_add_f32_e32 v60, v64, v60
	v_add_f32_e32 v64, v69, v63
	v_sub_f32_e32 v70, v66, v64
	v_sub_f32_e32 v66, v66, v70
	;; [unrolled: 1-line block ×4, first 2 shown]
	v_add_f32_e32 v60, v60, v64
	v_sub_f32_e32 v63, v69, v63
	v_add_f32_e32 v60, v63, v60
	v_add_f32_e32 v63, v65, v67
	;; [unrolled: 1-line block ×3, first 2 shown]
	v_sub_f32_e32 v64, v63, v65
	v_mul_f32_e32 v60, v68, v60
	v_sub_f32_e32 v64, v67, v64
	v_add_f32_e32 v60, v64, v60
	v_cvt_f32_i32_e32 v59, v59
	v_add_f32_e32 v64, v63, v60
	v_mul_f32_e32 v65, v64, v64
	v_mov_b32_e32 v66, 0x3ecc95a3
	v_fmac_f32_e32 v66, 0x3e9b6dac, v65
	v_mov_b32_e32 v67, 0x3f2aaada
	v_fmac_f32_e32 v67, v65, v66
	v_mul_f32_e32 v66, 0x3f317218, v59
	v_fma_f32 v68, v59, s13, -v66
	v_fmac_f32_e32 v68, 0xb102e308, v59
	v_sub_f32_e32 v59, v64, v63
	v_sub_f32_e32 v59, v60, v59
	v_add_f32_e32 v60, v66, v68
	v_sub_f32_e32 v63, v60, v66
	v_ldexp_f32 v66, v64, 1
	v_mul_f32_e32 v64, v64, v65
	v_mul_f32_e32 v64, v64, v67
	v_add_f32_e32 v65, v66, v64
	v_sub_f32_e32 v66, v65, v66
	v_ldexp_f32 v59, v59, 1
	v_sub_f32_e32 v64, v64, v66
	v_add_f32_e32 v59, v59, v64
	v_add_f32_e32 v64, v65, v59
	v_sub_f32_e32 v65, v64, v65
	v_sub_f32_e32 v59, v59, v65
	v_add_f32_e32 v65, v60, v64
	v_sub_f32_e32 v66, v65, v60
	v_sub_f32_e32 v67, v65, v66
	v_sub_f32_e32 v63, v68, v63
	v_sub_f32_e32 v60, v60, v67
	v_sub_f32_e32 v64, v64, v66
	v_add_f32_e32 v60, v64, v60
	v_add_f32_e32 v64, v63, v59
	v_sub_f32_e32 v66, v64, v63
	v_sub_f32_e32 v67, v64, v66
	;; [unrolled: 1-line block ×4, first 2 shown]
	v_add_f32_e32 v60, v64, v60
	v_add_f32_e32 v59, v59, v63
	;; [unrolled: 1-line block ×3, first 2 shown]
	v_sub_f32_e32 v64, v63, v65
	v_sub_f32_e32 v60, v60, v64
	v_add_f32_e32 v59, v59, v60
	v_add_f32_e32 v59, v63, v59
	v_cmp_neq_f32_e32 vcc, s12, v62
	s_mov_b32 s12, 0x33800000
	v_cndmask_b32_e32 v59, v61, v59, vcc
	v_cmp_lt_f32_e64 vcc, |v62|, s12
	v_cndmask_b32_e32 v59, v59, v62, vcc
	v_add_f32_e32 v59, v58, v59
.LBB478_116:
	s_or_b64 exec, exec, s[2:3]
	v_bfe_u32 v58, v59, 16, 1
	s_movk_i32 s2, 0x7fff
	v_add3_u32 v58, v59, v58, s2
	v_cmp_o_f32_e32 vcc, v59, v59
	v_mov_b32_e32 v59, 0x7fc0
	v_cndmask_b32_sdwa v59, v59, v58, vcc dst_sel:DWORD dst_unused:UNUSED_PAD src0_sel:DWORD src1_sel:WORD_1
	v_and_b32_e32 v60, 0xffff, v59
.LBB478_117:
	s_or_b64 exec, exec, s[10:11]
	v_and_b32_e32 v61, 16, v57
	v_mov_b32_dpp v58, v60 row_bcast:15 row_mask:0xf bank_mask:0xf
	v_cmp_ne_u32_e32 vcc, 0, v61
	s_and_saveexec_b64 s[10:11], vcc
	s_cbranch_execz .LBB478_121
; %bb.118:
	v_lshlrev_b32_e32 v59, 16, v58
	v_lshlrev_b32_e32 v58, 16, v60
	v_max_f32_e32 v61, v58, v58
	v_max_f32_e32 v62, v59, v59
	v_min_f32_e32 v60, v62, v61
	v_cmp_u_f32_e32 vcc, v59, v59
	v_max_f32_e32 v61, v62, v61
	v_cndmask_b32_e32 v60, v60, v59, vcc
	v_cmp_u_f32_e64 s[2:3], v58, v58
	v_cndmask_b32_e32 v61, v61, v59, vcc
	v_cndmask_b32_e64 v60, v60, v58, s[2:3]
	v_cndmask_b32_e64 v58, v61, v58, s[2:3]
	s_movk_i32 s2, 0x1f8
	v_cmp_neq_f32_e32 vcc, v60, v58
	v_cmp_class_f32_e64 s[2:3], v60, s2
	s_or_b64 vcc, vcc, s[2:3]
	s_and_saveexec_b64 s[2:3], vcc
	s_cbranch_execz .LBB478_120
; %bb.119:
	v_sub_f32_e32 v59, v60, v58
	s_mov_b32 s12, 0x3fb8aa3b
	v_mul_f32_e32 v60, 0x3fb8aa3b, v59
	v_fma_f32 v61, v59, s12, -v60
	v_rndne_f32_e32 v62, v60
	v_fmac_f32_e32 v61, 0x32a5705f, v59
	v_sub_f32_e32 v60, v60, v62
	v_add_f32_e32 v60, v60, v61
	v_exp_f32_e32 v60, v60
	v_cvt_i32_f32_e32 v61, v62
	s_mov_b32 s12, 0xc2ce8ed0
	v_cmp_ngt_f32_e32 vcc, s12, v59
	s_mov_b32 s12, 0x42b17218
	v_ldexp_f32 v60, v60, v61
	v_cndmask_b32_e32 v60, 0, v60, vcc
	v_mov_b32_e32 v61, 0x7f800000
	v_cmp_nlt_f32_e32 vcc, s12, v59
	v_cndmask_b32_e32 v62, v61, v60, vcc
	v_add_f32_e32 v63, 1.0, v62
	v_cvt_f64_f32_e32 v[59:60], v63
	v_add_f32_e32 v64, -1.0, v63
	v_sub_f32_e32 v65, v64, v63
	v_sub_f32_e32 v64, v62, v64
	v_frexp_exp_i32_f64_e32 v59, v[59:60]
	v_add_f32_e32 v60, 1.0, v65
	v_add_f32_e32 v60, v64, v60
	v_frexp_mant_f32_e32 v64, v63
	s_mov_b32 s13, 0x3f2aaaab
	v_cmp_gt_f32_e32 vcc, s13, v64
	s_mov_b32 s13, 0x3f317218
	s_mov_b32 s12, 0x7f800000
	v_subbrev_co_u32_e32 v59, vcc, 0, v59, vcc
	v_sub_u32_e32 v64, 0, v59
	v_ldexp_f32 v63, v63, v64
	v_ldexp_f32 v60, v60, v64
	v_add_f32_e32 v64, -1.0, v63
	v_add_f32_e32 v67, 1.0, v63
	v_add_f32_e32 v65, 1.0, v64
	v_add_f32_e32 v68, -1.0, v67
	v_sub_f32_e32 v65, v63, v65
	v_sub_f32_e32 v63, v63, v68
	v_add_f32_e32 v65, v60, v65
	v_add_f32_e32 v60, v60, v63
	;; [unrolled: 1-line block ×3, first 2 shown]
	v_rcp_f32_e32 v68, v63
	v_add_f32_e32 v66, v64, v65
	v_sub_f32_e32 v64, v64, v66
	v_add_f32_e32 v64, v65, v64
	v_sub_f32_e32 v65, v67, v63
	v_add_f32_e32 v60, v60, v65
	v_mul_f32_e32 v65, v66, v68
	v_mul_f32_e32 v67, v63, v65
	v_fma_f32 v69, v65, v63, -v67
	v_fmac_f32_e32 v69, v65, v60
	v_add_f32_e32 v70, v67, v69
	v_sub_f32_e32 v71, v66, v70
	v_sub_f32_e32 v66, v66, v71
	;; [unrolled: 1-line block ×4, first 2 shown]
	v_add_f32_e32 v64, v64, v66
	v_sub_f32_e32 v66, v67, v69
	v_add_f32_e32 v64, v66, v64
	v_add_f32_e32 v66, v71, v64
	v_mul_f32_e32 v67, v68, v66
	v_mul_f32_e32 v69, v63, v67
	v_fma_f32 v63, v67, v63, -v69
	v_fmac_f32_e32 v63, v67, v60
	v_sub_f32_e32 v60, v71, v66
	v_add_f32_e32 v60, v64, v60
	v_add_f32_e32 v64, v69, v63
	v_sub_f32_e32 v70, v66, v64
	v_sub_f32_e32 v66, v66, v70
	;; [unrolled: 1-line block ×4, first 2 shown]
	v_add_f32_e32 v60, v60, v64
	v_sub_f32_e32 v63, v69, v63
	v_add_f32_e32 v60, v63, v60
	v_add_f32_e32 v63, v65, v67
	;; [unrolled: 1-line block ×3, first 2 shown]
	v_sub_f32_e32 v64, v63, v65
	v_mul_f32_e32 v60, v68, v60
	v_sub_f32_e32 v64, v67, v64
	v_add_f32_e32 v60, v64, v60
	v_cvt_f32_i32_e32 v59, v59
	v_add_f32_e32 v64, v63, v60
	v_mul_f32_e32 v65, v64, v64
	v_mov_b32_e32 v66, 0x3ecc95a3
	v_fmac_f32_e32 v66, 0x3e9b6dac, v65
	v_mov_b32_e32 v67, 0x3f2aaada
	v_fmac_f32_e32 v67, v65, v66
	v_mul_f32_e32 v66, 0x3f317218, v59
	v_fma_f32 v68, v59, s13, -v66
	v_fmac_f32_e32 v68, 0xb102e308, v59
	v_sub_f32_e32 v59, v64, v63
	v_sub_f32_e32 v59, v60, v59
	v_add_f32_e32 v60, v66, v68
	v_sub_f32_e32 v63, v60, v66
	v_ldexp_f32 v66, v64, 1
	v_mul_f32_e32 v64, v64, v65
	v_mul_f32_e32 v64, v64, v67
	v_add_f32_e32 v65, v66, v64
	v_sub_f32_e32 v66, v65, v66
	v_ldexp_f32 v59, v59, 1
	v_sub_f32_e32 v64, v64, v66
	v_add_f32_e32 v59, v59, v64
	v_add_f32_e32 v64, v65, v59
	v_sub_f32_e32 v65, v64, v65
	v_sub_f32_e32 v59, v59, v65
	v_add_f32_e32 v65, v60, v64
	v_sub_f32_e32 v66, v65, v60
	v_sub_f32_e32 v67, v65, v66
	;; [unrolled: 1-line block ×5, first 2 shown]
	v_add_f32_e32 v60, v64, v60
	v_add_f32_e32 v64, v63, v59
	v_sub_f32_e32 v66, v64, v63
	v_sub_f32_e32 v67, v64, v66
	;; [unrolled: 1-line block ×4, first 2 shown]
	v_add_f32_e32 v60, v64, v60
	v_add_f32_e32 v59, v59, v63
	;; [unrolled: 1-line block ×3, first 2 shown]
	v_sub_f32_e32 v64, v63, v65
	v_sub_f32_e32 v60, v60, v64
	v_add_f32_e32 v59, v59, v60
	v_add_f32_e32 v59, v63, v59
	v_cmp_neq_f32_e32 vcc, s12, v62
	s_mov_b32 s12, 0x33800000
	v_cndmask_b32_e32 v59, v61, v59, vcc
	v_cmp_lt_f32_e64 vcc, |v62|, s12
	v_cndmask_b32_e32 v59, v59, v62, vcc
	v_add_f32_e32 v59, v58, v59
.LBB478_120:
	s_or_b64 exec, exec, s[2:3]
	v_bfe_u32 v58, v59, 16, 1
	s_movk_i32 s2, 0x7fff
	v_add3_u32 v58, v59, v58, s2
	v_cmp_o_f32_e32 vcc, v59, v59
	v_mov_b32_e32 v59, 0x7fc0
	v_cndmask_b32_sdwa v59, v59, v58, vcc dst_sel:DWORD dst_unused:UNUSED_PAD src0_sel:DWORD src1_sel:WORD_1
	v_and_b32_e32 v60, 0xffff, v59
.LBB478_121:
	s_or_b64 exec, exec, s[10:11]
	s_nop 0
	v_mov_b32_dpp v58, v60 row_bcast:31 row_mask:0xf bank_mask:0xf
	v_cmp_lt_u32_e32 vcc, 31, v57
	s_and_saveexec_b64 s[10:11], vcc
	s_cbranch_execz .LBB478_125
; %bb.122:
	v_lshlrev_b32_e32 v59, 16, v58
	v_lshlrev_b32_e32 v58, 16, v60
	v_max_f32_e32 v61, v58, v58
	v_max_f32_e32 v62, v59, v59
	v_min_f32_e32 v60, v62, v61
	v_cmp_u_f32_e32 vcc, v59, v59
	v_max_f32_e32 v61, v62, v61
	v_cndmask_b32_e32 v60, v60, v59, vcc
	v_cmp_u_f32_e64 s[2:3], v58, v58
	v_cndmask_b32_e32 v61, v61, v59, vcc
	v_cndmask_b32_e64 v60, v60, v58, s[2:3]
	v_cndmask_b32_e64 v58, v61, v58, s[2:3]
	s_movk_i32 s2, 0x1f8
	v_cmp_neq_f32_e32 vcc, v60, v58
	v_cmp_class_f32_e64 s[2:3], v60, s2
	s_or_b64 vcc, vcc, s[2:3]
	s_and_saveexec_b64 s[2:3], vcc
	s_cbranch_execz .LBB478_124
; %bb.123:
	v_sub_f32_e32 v59, v60, v58
	s_mov_b32 s12, 0x3fb8aa3b
	v_mul_f32_e32 v60, 0x3fb8aa3b, v59
	v_fma_f32 v61, v59, s12, -v60
	v_rndne_f32_e32 v62, v60
	v_fmac_f32_e32 v61, 0x32a5705f, v59
	v_sub_f32_e32 v60, v60, v62
	v_add_f32_e32 v60, v60, v61
	v_exp_f32_e32 v60, v60
	v_cvt_i32_f32_e32 v61, v62
	s_mov_b32 s12, 0xc2ce8ed0
	v_cmp_ngt_f32_e32 vcc, s12, v59
	s_mov_b32 s12, 0x42b17218
	v_ldexp_f32 v60, v60, v61
	v_cndmask_b32_e32 v60, 0, v60, vcc
	v_mov_b32_e32 v61, 0x7f800000
	v_cmp_nlt_f32_e32 vcc, s12, v59
	v_cndmask_b32_e32 v62, v61, v60, vcc
	v_add_f32_e32 v63, 1.0, v62
	v_cvt_f64_f32_e32 v[59:60], v63
	v_add_f32_e32 v64, -1.0, v63
	v_sub_f32_e32 v65, v64, v63
	v_sub_f32_e32 v64, v62, v64
	v_frexp_exp_i32_f64_e32 v59, v[59:60]
	v_add_f32_e32 v60, 1.0, v65
	v_add_f32_e32 v60, v64, v60
	v_frexp_mant_f32_e32 v64, v63
	s_mov_b32 s13, 0x3f2aaaab
	v_cmp_gt_f32_e32 vcc, s13, v64
	s_mov_b32 s13, 0x3f317218
	s_mov_b32 s12, 0x7f800000
	v_subbrev_co_u32_e32 v59, vcc, 0, v59, vcc
	v_sub_u32_e32 v64, 0, v59
	v_ldexp_f32 v63, v63, v64
	v_ldexp_f32 v60, v60, v64
	v_add_f32_e32 v64, -1.0, v63
	v_add_f32_e32 v67, 1.0, v63
	v_add_f32_e32 v65, 1.0, v64
	v_add_f32_e32 v68, -1.0, v67
	v_sub_f32_e32 v65, v63, v65
	v_sub_f32_e32 v63, v63, v68
	v_add_f32_e32 v65, v60, v65
	v_add_f32_e32 v60, v60, v63
	;; [unrolled: 1-line block ×3, first 2 shown]
	v_rcp_f32_e32 v68, v63
	v_add_f32_e32 v66, v64, v65
	v_sub_f32_e32 v64, v64, v66
	v_add_f32_e32 v64, v65, v64
	v_sub_f32_e32 v65, v67, v63
	v_add_f32_e32 v60, v60, v65
	v_mul_f32_e32 v65, v66, v68
	v_mul_f32_e32 v67, v63, v65
	v_fma_f32 v69, v65, v63, -v67
	v_fmac_f32_e32 v69, v65, v60
	v_add_f32_e32 v70, v67, v69
	v_sub_f32_e32 v71, v66, v70
	v_sub_f32_e32 v66, v66, v71
	;; [unrolled: 1-line block ×4, first 2 shown]
	v_add_f32_e32 v64, v64, v66
	v_sub_f32_e32 v66, v67, v69
	v_add_f32_e32 v64, v66, v64
	v_add_f32_e32 v66, v71, v64
	v_mul_f32_e32 v67, v68, v66
	v_mul_f32_e32 v69, v63, v67
	v_fma_f32 v63, v67, v63, -v69
	v_fmac_f32_e32 v63, v67, v60
	v_sub_f32_e32 v60, v71, v66
	v_add_f32_e32 v60, v64, v60
	v_add_f32_e32 v64, v69, v63
	v_sub_f32_e32 v70, v66, v64
	v_sub_f32_e32 v66, v66, v70
	;; [unrolled: 1-line block ×4, first 2 shown]
	v_add_f32_e32 v60, v60, v64
	v_sub_f32_e32 v63, v69, v63
	v_add_f32_e32 v60, v63, v60
	v_add_f32_e32 v63, v65, v67
	v_add_f32_e32 v60, v70, v60
	v_sub_f32_e32 v64, v63, v65
	v_mul_f32_e32 v60, v68, v60
	v_sub_f32_e32 v64, v67, v64
	v_add_f32_e32 v60, v64, v60
	v_cvt_f32_i32_e32 v59, v59
	v_add_f32_e32 v64, v63, v60
	v_mul_f32_e32 v65, v64, v64
	v_mov_b32_e32 v66, 0x3ecc95a3
	v_fmac_f32_e32 v66, 0x3e9b6dac, v65
	v_mov_b32_e32 v67, 0x3f2aaada
	v_fmac_f32_e32 v67, v65, v66
	v_mul_f32_e32 v66, 0x3f317218, v59
	v_fma_f32 v68, v59, s13, -v66
	v_fmac_f32_e32 v68, 0xb102e308, v59
	v_sub_f32_e32 v59, v64, v63
	v_sub_f32_e32 v59, v60, v59
	v_add_f32_e32 v60, v66, v68
	v_sub_f32_e32 v63, v60, v66
	v_ldexp_f32 v66, v64, 1
	v_mul_f32_e32 v64, v64, v65
	v_mul_f32_e32 v64, v64, v67
	v_add_f32_e32 v65, v66, v64
	v_sub_f32_e32 v66, v65, v66
	v_ldexp_f32 v59, v59, 1
	v_sub_f32_e32 v64, v64, v66
	v_add_f32_e32 v59, v59, v64
	v_add_f32_e32 v64, v65, v59
	v_sub_f32_e32 v65, v64, v65
	v_sub_f32_e32 v59, v59, v65
	v_add_f32_e32 v65, v60, v64
	v_sub_f32_e32 v66, v65, v60
	v_sub_f32_e32 v67, v65, v66
	;; [unrolled: 1-line block ×5, first 2 shown]
	v_add_f32_e32 v60, v64, v60
	v_add_f32_e32 v64, v63, v59
	v_sub_f32_e32 v66, v64, v63
	v_sub_f32_e32 v67, v64, v66
	;; [unrolled: 1-line block ×4, first 2 shown]
	v_add_f32_e32 v60, v64, v60
	v_add_f32_e32 v59, v59, v63
	v_add_f32_e32 v63, v65, v60
	v_sub_f32_e32 v64, v63, v65
	v_sub_f32_e32 v60, v60, v64
	v_add_f32_e32 v59, v59, v60
	v_add_f32_e32 v59, v63, v59
	v_cmp_neq_f32_e32 vcc, s12, v62
	s_mov_b32 s12, 0x33800000
	v_cndmask_b32_e32 v59, v61, v59, vcc
	v_cmp_lt_f32_e64 vcc, |v62|, s12
	v_cndmask_b32_e32 v59, v59, v62, vcc
	v_add_f32_e32 v59, v58, v59
.LBB478_124:
	s_or_b64 exec, exec, s[2:3]
	v_bfe_u32 v58, v59, 16, 1
	s_movk_i32 s2, 0x7fff
	v_add3_u32 v58, v59, v58, s2
	v_cmp_o_f32_e32 vcc, v59, v59
	v_mov_b32_e32 v59, 0x7fc0
	v_cndmask_b32_sdwa v59, v59, v58, vcc dst_sel:DWORD dst_unused:UNUSED_PAD src0_sel:DWORD src1_sel:WORD_1
.LBB478_125:
	s_or_b64 exec, exec, s[10:11]
	v_add_u32_e32 v58, -1, v57
	v_and_b32_e32 v60, 64, v57
	v_cmp_lt_i32_e32 vcc, v58, v60
	v_cndmask_b32_e32 v57, v58, v57, vcc
	v_lshlrev_b32_e32 v57, 2, v57
	v_and_b32_e32 v58, 0xffff, v59
	ds_bpermute_b32 v57, v57, v58
	s_waitcnt lgkmcnt(0)
	v_lshlrev_b32_e32 v57, 16, v57
	v_max_f32_e32 v58, v57, v57
	v_min_f32_e32 v59, v58, v56
	v_max_f32_e32 v58, v58, v56
	v_cmp_u_f32_e32 vcc, v57, v57
	v_cndmask_b32_e32 v56, v59, v57, vcc
	v_cndmask_b32_e32 v58, v58, v57, vcc
	v_cndmask_b32_e64 v56, v56, v55, s[4:5]
	v_cndmask_b32_e64 v55, v58, v55, s[4:5]
	s_movk_i32 s4, 0x1f8
	v_cmp_neq_f32_e32 vcc, v56, v55
	v_cmp_class_f32_e64 s[2:3], v56, s4
	s_or_b64 s[10:11], vcc, s[2:3]
	s_and_saveexec_b64 s[2:3], s[10:11]
	s_cbranch_execz .LBB478_127
; %bb.126:
	v_sub_f32_e32 v56, v56, v55
	s_mov_b32 s5, 0x3fb8aa3b
	v_mul_f32_e32 v57, 0x3fb8aa3b, v56
	v_fma_f32 v58, v56, s5, -v57
	v_rndne_f32_e32 v59, v57
	v_fmac_f32_e32 v58, 0x32a5705f, v56
	v_sub_f32_e32 v57, v57, v59
	v_add_f32_e32 v57, v57, v58
	v_exp_f32_e32 v57, v57
	v_cvt_i32_f32_e32 v58, v59
	s_mov_b32 s5, 0xc2ce8ed0
	v_cmp_ngt_f32_e32 vcc, s5, v56
	s_mov_b32 s5, 0x42b17218
	v_ldexp_f32 v57, v57, v58
	v_cndmask_b32_e32 v57, 0, v57, vcc
	v_mov_b32_e32 v58, 0x7f800000
	v_cmp_nlt_f32_e32 vcc, s5, v56
	v_cndmask_b32_e32 v59, v58, v57, vcc
	v_add_f32_e32 v60, 1.0, v59
	v_cvt_f64_f32_e32 v[56:57], v60
	v_add_f32_e32 v61, -1.0, v60
	v_sub_f32_e32 v62, v61, v60
	v_sub_f32_e32 v61, v59, v61
	v_frexp_exp_i32_f64_e32 v56, v[56:57]
	v_add_f32_e32 v57, 1.0, v62
	v_add_f32_e32 v57, v61, v57
	v_frexp_mant_f32_e32 v61, v60
	s_mov_b32 s10, 0x3f2aaaab
	v_cmp_gt_f32_e32 vcc, s10, v61
	s_mov_b32 s10, 0x3f317218
	s_mov_b32 s5, 0x7f800000
	v_subbrev_co_u32_e32 v56, vcc, 0, v56, vcc
	v_sub_u32_e32 v61, 0, v56
	v_ldexp_f32 v60, v60, v61
	v_ldexp_f32 v57, v57, v61
	v_add_f32_e32 v61, -1.0, v60
	v_add_f32_e32 v64, 1.0, v60
	v_add_f32_e32 v62, 1.0, v61
	v_add_f32_e32 v65, -1.0, v64
	v_sub_f32_e32 v62, v60, v62
	v_sub_f32_e32 v60, v60, v65
	v_add_f32_e32 v62, v57, v62
	v_add_f32_e32 v57, v57, v60
	;; [unrolled: 1-line block ×3, first 2 shown]
	v_rcp_f32_e32 v65, v60
	v_add_f32_e32 v63, v61, v62
	v_sub_f32_e32 v61, v61, v63
	v_add_f32_e32 v61, v62, v61
	v_sub_f32_e32 v62, v64, v60
	v_add_f32_e32 v57, v57, v62
	v_mul_f32_e32 v62, v63, v65
	v_mul_f32_e32 v64, v60, v62
	v_fma_f32 v66, v62, v60, -v64
	v_fmac_f32_e32 v66, v62, v57
	v_add_f32_e32 v67, v64, v66
	v_sub_f32_e32 v68, v63, v67
	v_sub_f32_e32 v63, v63, v68
	;; [unrolled: 1-line block ×4, first 2 shown]
	v_add_f32_e32 v61, v61, v63
	v_sub_f32_e32 v63, v64, v66
	v_add_f32_e32 v61, v63, v61
	v_add_f32_e32 v63, v68, v61
	v_mul_f32_e32 v64, v65, v63
	v_mul_f32_e32 v66, v60, v64
	v_fma_f32 v60, v64, v60, -v66
	v_fmac_f32_e32 v60, v64, v57
	v_sub_f32_e32 v57, v68, v63
	v_add_f32_e32 v57, v61, v57
	v_add_f32_e32 v61, v66, v60
	v_sub_f32_e32 v67, v63, v61
	v_sub_f32_e32 v63, v63, v67
	;; [unrolled: 1-line block ×4, first 2 shown]
	v_add_f32_e32 v57, v57, v61
	v_sub_f32_e32 v60, v66, v60
	v_add_f32_e32 v57, v60, v57
	v_add_f32_e32 v60, v62, v64
	;; [unrolled: 1-line block ×3, first 2 shown]
	v_sub_f32_e32 v61, v60, v62
	v_mul_f32_e32 v57, v65, v57
	v_sub_f32_e32 v61, v64, v61
	v_add_f32_e32 v57, v61, v57
	v_cvt_f32_i32_e32 v56, v56
	v_add_f32_e32 v61, v60, v57
	v_mul_f32_e32 v62, v61, v61
	v_mov_b32_e32 v63, 0x3ecc95a3
	v_fmac_f32_e32 v63, 0x3e9b6dac, v62
	v_mov_b32_e32 v64, 0x3f2aaada
	v_fmac_f32_e32 v64, v62, v63
	v_mul_f32_e32 v63, 0x3f317218, v56
	v_fma_f32 v65, v56, s10, -v63
	v_fmac_f32_e32 v65, 0xb102e308, v56
	v_sub_f32_e32 v56, v61, v60
	v_sub_f32_e32 v56, v57, v56
	v_add_f32_e32 v57, v63, v65
	v_sub_f32_e32 v60, v57, v63
	v_ldexp_f32 v63, v61, 1
	v_mul_f32_e32 v61, v61, v62
	v_mul_f32_e32 v61, v61, v64
	v_add_f32_e32 v62, v63, v61
	v_sub_f32_e32 v63, v62, v63
	v_ldexp_f32 v56, v56, 1
	v_sub_f32_e32 v61, v61, v63
	v_add_f32_e32 v56, v56, v61
	v_add_f32_e32 v61, v62, v56
	v_sub_f32_e32 v62, v61, v62
	v_sub_f32_e32 v56, v56, v62
	v_add_f32_e32 v62, v57, v61
	v_sub_f32_e32 v63, v62, v57
	v_sub_f32_e32 v64, v62, v63
	;; [unrolled: 1-line block ×5, first 2 shown]
	v_add_f32_e32 v57, v61, v57
	v_add_f32_e32 v61, v60, v56
	v_sub_f32_e32 v63, v61, v60
	v_sub_f32_e32 v64, v61, v63
	;; [unrolled: 1-line block ×4, first 2 shown]
	v_add_f32_e32 v57, v61, v57
	v_add_f32_e32 v56, v56, v60
	v_add_f32_e32 v60, v62, v57
	v_sub_f32_e32 v61, v60, v62
	v_sub_f32_e32 v57, v57, v61
	v_add_f32_e32 v56, v56, v57
	v_add_f32_e32 v56, v60, v56
	v_cmp_neq_f32_e32 vcc, s5, v59
	s_mov_b32 s5, 0x33800000
	v_cndmask_b32_e32 v56, v58, v56, vcc
	v_cmp_lt_f32_e64 vcc, |v59|, s5
	v_cndmask_b32_e32 v56, v56, v59, vcc
	v_add_f32_e32 v57, v55, v56
.LBB478_127:
	s_or_b64 exec, exec, s[2:3]
	v_bfe_u32 v55, v57, 16, 1
	s_movk_i32 s5, 0x7fff
	v_add3_u32 v56, v57, v55, s5
	v_cmp_o_f32_e32 vcc, v57, v57
	v_mov_b32_e32 v55, 0x7fc0
	v_cndmask_b32_sdwa v56, v55, v56, vcc dst_sel:DWORD dst_unused:UNUSED_PAD src0_sel:DWORD src1_sel:WORD_1
	v_cmp_eq_u32_e32 vcc, 0, v0
	v_cndmask_b32_e32 v54, v56, v54, vcc
	; wave barrier
	ds_write_b16 v53, v54
	; wave barrier
	ds_read_u16 v57, v53 offset:2
	v_lshlrev_b32_e32 v56, 16, v54
	v_max_f32_e32 v58, v56, v56
	v_cmp_u_f32_e32 vcc, v56, v56
	s_waitcnt lgkmcnt(0)
	v_lshlrev_b32_e32 v54, 16, v57
	v_max_f32_e32 v59, v54, v54
	v_min_f32_e32 v57, v58, v59
	v_max_f32_e32 v58, v58, v59
	v_cndmask_b32_e32 v57, v57, v56, vcc
	v_cmp_u_f32_e64 s[2:3], v54, v54
	v_cndmask_b32_e32 v58, v58, v56, vcc
	v_cndmask_b32_e64 v57, v57, v54, s[2:3]
	v_cndmask_b32_e64 v54, v58, v54, s[2:3]
	v_cmp_neq_f32_e32 vcc, v57, v54
	v_cmp_class_f32_e64 s[2:3], v57, s4
	s_or_b64 s[10:11], vcc, s[2:3]
	s_and_saveexec_b64 s[2:3], s[10:11]
	s_cbranch_execz .LBB478_129
; %bb.128:
	v_sub_f32_e32 v56, v57, v54
	s_mov_b32 s4, 0x3fb8aa3b
	v_mul_f32_e32 v57, 0x3fb8aa3b, v56
	v_fma_f32 v58, v56, s4, -v57
	v_rndne_f32_e32 v59, v57
	v_fmac_f32_e32 v58, 0x32a5705f, v56
	v_sub_f32_e32 v57, v57, v59
	v_add_f32_e32 v57, v57, v58
	v_exp_f32_e32 v57, v57
	v_cvt_i32_f32_e32 v58, v59
	s_mov_b32 s4, 0xc2ce8ed0
	v_cmp_ngt_f32_e32 vcc, s4, v56
	s_mov_b32 s4, 0x42b17218
	v_ldexp_f32 v57, v57, v58
	v_cndmask_b32_e32 v57, 0, v57, vcc
	v_mov_b32_e32 v58, 0x7f800000
	v_cmp_nlt_f32_e32 vcc, s4, v56
	v_cndmask_b32_e32 v59, v58, v57, vcc
	v_add_f32_e32 v60, 1.0, v59
	v_cvt_f64_f32_e32 v[56:57], v60
	v_add_f32_e32 v61, -1.0, v60
	v_sub_f32_e32 v62, v61, v60
	v_sub_f32_e32 v61, v59, v61
	v_frexp_exp_i32_f64_e32 v56, v[56:57]
	v_add_f32_e32 v57, 1.0, v62
	v_add_f32_e32 v57, v61, v57
	v_frexp_mant_f32_e32 v61, v60
	s_mov_b32 s10, 0x3f2aaaab
	v_cmp_gt_f32_e32 vcc, s10, v61
	s_mov_b32 s10, 0x3f317218
	s_mov_b32 s4, 0x7f800000
	v_subbrev_co_u32_e32 v56, vcc, 0, v56, vcc
	v_sub_u32_e32 v61, 0, v56
	v_ldexp_f32 v60, v60, v61
	v_ldexp_f32 v57, v57, v61
	v_add_f32_e32 v61, -1.0, v60
	v_add_f32_e32 v64, 1.0, v60
	v_add_f32_e32 v62, 1.0, v61
	v_add_f32_e32 v65, -1.0, v64
	v_sub_f32_e32 v62, v60, v62
	v_sub_f32_e32 v60, v60, v65
	v_add_f32_e32 v62, v57, v62
	v_add_f32_e32 v57, v57, v60
	;; [unrolled: 1-line block ×3, first 2 shown]
	v_rcp_f32_e32 v65, v60
	v_add_f32_e32 v63, v61, v62
	v_sub_f32_e32 v61, v61, v63
	v_add_f32_e32 v61, v62, v61
	v_sub_f32_e32 v62, v64, v60
	v_add_f32_e32 v57, v57, v62
	v_mul_f32_e32 v62, v63, v65
	v_mul_f32_e32 v64, v60, v62
	v_fma_f32 v66, v62, v60, -v64
	v_fmac_f32_e32 v66, v62, v57
	v_add_f32_e32 v67, v64, v66
	v_sub_f32_e32 v68, v63, v67
	v_sub_f32_e32 v63, v63, v68
	;; [unrolled: 1-line block ×4, first 2 shown]
	v_add_f32_e32 v61, v61, v63
	v_sub_f32_e32 v63, v64, v66
	v_add_f32_e32 v61, v63, v61
	v_add_f32_e32 v63, v68, v61
	v_mul_f32_e32 v64, v65, v63
	v_mul_f32_e32 v66, v60, v64
	v_fma_f32 v60, v64, v60, -v66
	v_fmac_f32_e32 v60, v64, v57
	v_sub_f32_e32 v57, v68, v63
	v_add_f32_e32 v57, v61, v57
	v_add_f32_e32 v61, v66, v60
	v_sub_f32_e32 v67, v63, v61
	v_sub_f32_e32 v63, v63, v67
	;; [unrolled: 1-line block ×4, first 2 shown]
	v_add_f32_e32 v57, v57, v61
	v_sub_f32_e32 v60, v66, v60
	v_add_f32_e32 v57, v60, v57
	v_add_f32_e32 v60, v62, v64
	;; [unrolled: 1-line block ×3, first 2 shown]
	v_sub_f32_e32 v61, v60, v62
	v_mul_f32_e32 v57, v65, v57
	v_sub_f32_e32 v61, v64, v61
	v_add_f32_e32 v57, v61, v57
	v_cvt_f32_i32_e32 v56, v56
	v_add_f32_e32 v61, v60, v57
	v_mul_f32_e32 v62, v61, v61
	v_mov_b32_e32 v63, 0x3ecc95a3
	v_fmac_f32_e32 v63, 0x3e9b6dac, v62
	v_mov_b32_e32 v64, 0x3f2aaada
	v_fmac_f32_e32 v64, v62, v63
	v_mul_f32_e32 v63, 0x3f317218, v56
	v_fma_f32 v65, v56, s10, -v63
	v_fmac_f32_e32 v65, 0xb102e308, v56
	v_sub_f32_e32 v56, v61, v60
	v_sub_f32_e32 v56, v57, v56
	v_add_f32_e32 v57, v63, v65
	v_sub_f32_e32 v60, v57, v63
	v_ldexp_f32 v63, v61, 1
	v_mul_f32_e32 v61, v61, v62
	v_mul_f32_e32 v61, v61, v64
	v_add_f32_e32 v62, v63, v61
	v_sub_f32_e32 v63, v62, v63
	v_ldexp_f32 v56, v56, 1
	v_sub_f32_e32 v61, v61, v63
	v_add_f32_e32 v56, v56, v61
	v_add_f32_e32 v61, v62, v56
	v_sub_f32_e32 v62, v61, v62
	v_sub_f32_e32 v56, v56, v62
	v_add_f32_e32 v62, v57, v61
	v_sub_f32_e32 v63, v62, v57
	v_sub_f32_e32 v64, v62, v63
	;; [unrolled: 1-line block ×5, first 2 shown]
	v_add_f32_e32 v57, v61, v57
	v_add_f32_e32 v61, v60, v56
	v_sub_f32_e32 v63, v61, v60
	v_sub_f32_e32 v64, v61, v63
	;; [unrolled: 1-line block ×4, first 2 shown]
	v_add_f32_e32 v57, v61, v57
	v_add_f32_e32 v56, v56, v60
	;; [unrolled: 1-line block ×3, first 2 shown]
	v_sub_f32_e32 v61, v60, v62
	v_sub_f32_e32 v57, v57, v61
	v_add_f32_e32 v56, v56, v57
	v_add_f32_e32 v56, v60, v56
	v_cmp_neq_f32_e32 vcc, s4, v59
	s_mov_b32 s4, 0x33800000
	v_cndmask_b32_e32 v56, v58, v56, vcc
	v_cmp_lt_f32_e64 vcc, |v59|, s4
	v_cndmask_b32_e32 v56, v56, v59, vcc
	v_add_f32_e32 v56, v54, v56
.LBB478_129:
	s_or_b64 exec, exec, s[2:3]
	v_bfe_u32 v54, v56, 16, 1
	v_add3_u32 v54, v56, v54, s5
	v_cmp_o_f32_e32 vcc, v56, v56
	ds_read_u16 v56, v53 offset:4
	v_cndmask_b32_sdwa v54, v55, v54, vcc dst_sel:DWORD dst_unused:UNUSED_PAD src0_sel:DWORD src1_sel:WORD_1
	ds_write_b16 v53, v54 offset:2
	v_lshlrev_b32_e32 v55, 16, v54
	v_max_f32_e32 v57, v55, v55
	s_waitcnt lgkmcnt(1)
	v_lshlrev_b32_e32 v54, 16, v56
	v_max_f32_e32 v58, v54, v54
	v_min_f32_e32 v56, v57, v58
	v_cmp_u_f32_e32 vcc, v55, v55
	v_max_f32_e32 v57, v57, v58
	v_cndmask_b32_e32 v56, v56, v55, vcc
	v_cmp_u_f32_e64 s[2:3], v54, v54
	v_cndmask_b32_e32 v57, v57, v55, vcc
	v_cndmask_b32_e64 v56, v56, v54, s[2:3]
	v_cndmask_b32_e64 v54, v57, v54, s[2:3]
	s_movk_i32 s4, 0x1f8
	v_cmp_neq_f32_e32 vcc, v56, v54
	v_cmp_class_f32_e64 s[2:3], v56, s4
	s_or_b64 s[10:11], vcc, s[2:3]
	s_and_saveexec_b64 s[2:3], s[10:11]
	s_cbranch_execz .LBB478_131
; %bb.130:
	v_sub_f32_e32 v55, v56, v54
	s_mov_b32 s5, 0x3fb8aa3b
	v_mul_f32_e32 v56, 0x3fb8aa3b, v55
	v_fma_f32 v57, v55, s5, -v56
	v_rndne_f32_e32 v58, v56
	v_fmac_f32_e32 v57, 0x32a5705f, v55
	v_sub_f32_e32 v56, v56, v58
	v_add_f32_e32 v56, v56, v57
	v_exp_f32_e32 v56, v56
	v_cvt_i32_f32_e32 v57, v58
	s_mov_b32 s5, 0xc2ce8ed0
	v_cmp_ngt_f32_e32 vcc, s5, v55
	s_mov_b32 s5, 0x42b17218
	v_ldexp_f32 v56, v56, v57
	v_cndmask_b32_e32 v56, 0, v56, vcc
	v_mov_b32_e32 v57, 0x7f800000
	v_cmp_nlt_f32_e32 vcc, s5, v55
	v_cndmask_b32_e32 v58, v57, v56, vcc
	v_add_f32_e32 v59, 1.0, v58
	v_cvt_f64_f32_e32 v[55:56], v59
	v_add_f32_e32 v60, -1.0, v59
	v_sub_f32_e32 v61, v60, v59
	v_sub_f32_e32 v60, v58, v60
	v_frexp_exp_i32_f64_e32 v55, v[55:56]
	v_add_f32_e32 v56, 1.0, v61
	v_add_f32_e32 v56, v60, v56
	v_frexp_mant_f32_e32 v60, v59
	s_mov_b32 s10, 0x3f2aaaab
	v_cmp_gt_f32_e32 vcc, s10, v60
	s_mov_b32 s10, 0x3f317218
	s_mov_b32 s5, 0x7f800000
	v_subbrev_co_u32_e32 v55, vcc, 0, v55, vcc
	v_sub_u32_e32 v60, 0, v55
	v_ldexp_f32 v59, v59, v60
	v_ldexp_f32 v56, v56, v60
	v_add_f32_e32 v60, -1.0, v59
	v_add_f32_e32 v63, 1.0, v59
	v_add_f32_e32 v61, 1.0, v60
	v_add_f32_e32 v64, -1.0, v63
	v_sub_f32_e32 v61, v59, v61
	v_sub_f32_e32 v59, v59, v64
	v_add_f32_e32 v61, v56, v61
	v_add_f32_e32 v56, v56, v59
	v_add_f32_e32 v59, v63, v56
	v_rcp_f32_e32 v64, v59
	v_add_f32_e32 v62, v60, v61
	v_sub_f32_e32 v60, v60, v62
	v_add_f32_e32 v60, v61, v60
	v_sub_f32_e32 v61, v63, v59
	v_add_f32_e32 v56, v56, v61
	v_mul_f32_e32 v61, v62, v64
	v_mul_f32_e32 v63, v59, v61
	v_fma_f32 v65, v61, v59, -v63
	v_fmac_f32_e32 v65, v61, v56
	v_add_f32_e32 v66, v63, v65
	v_sub_f32_e32 v67, v62, v66
	v_sub_f32_e32 v62, v62, v67
	;; [unrolled: 1-line block ×4, first 2 shown]
	v_add_f32_e32 v60, v60, v62
	v_sub_f32_e32 v62, v63, v65
	v_add_f32_e32 v60, v62, v60
	v_add_f32_e32 v62, v67, v60
	v_mul_f32_e32 v63, v64, v62
	v_mul_f32_e32 v65, v59, v63
	v_fma_f32 v59, v63, v59, -v65
	v_fmac_f32_e32 v59, v63, v56
	v_sub_f32_e32 v56, v67, v62
	v_add_f32_e32 v56, v60, v56
	v_add_f32_e32 v60, v65, v59
	v_sub_f32_e32 v66, v62, v60
	v_sub_f32_e32 v62, v62, v66
	;; [unrolled: 1-line block ×4, first 2 shown]
	v_add_f32_e32 v56, v56, v60
	v_sub_f32_e32 v59, v65, v59
	v_add_f32_e32 v56, v59, v56
	v_add_f32_e32 v59, v61, v63
	;; [unrolled: 1-line block ×3, first 2 shown]
	v_sub_f32_e32 v60, v59, v61
	v_mul_f32_e32 v56, v64, v56
	v_sub_f32_e32 v60, v63, v60
	v_add_f32_e32 v56, v60, v56
	v_cvt_f32_i32_e32 v55, v55
	v_add_f32_e32 v60, v59, v56
	v_mul_f32_e32 v61, v60, v60
	v_mov_b32_e32 v62, 0x3ecc95a3
	v_fmac_f32_e32 v62, 0x3e9b6dac, v61
	v_mov_b32_e32 v63, 0x3f2aaada
	v_fmac_f32_e32 v63, v61, v62
	v_mul_f32_e32 v62, 0x3f317218, v55
	v_fma_f32 v64, v55, s10, -v62
	v_fmac_f32_e32 v64, 0xb102e308, v55
	v_sub_f32_e32 v55, v60, v59
	v_sub_f32_e32 v55, v56, v55
	v_add_f32_e32 v56, v62, v64
	v_sub_f32_e32 v59, v56, v62
	v_ldexp_f32 v62, v60, 1
	v_mul_f32_e32 v60, v60, v61
	v_mul_f32_e32 v60, v60, v63
	v_add_f32_e32 v61, v62, v60
	v_sub_f32_e32 v62, v61, v62
	v_ldexp_f32 v55, v55, 1
	v_sub_f32_e32 v60, v60, v62
	v_add_f32_e32 v55, v55, v60
	v_add_f32_e32 v60, v61, v55
	v_sub_f32_e32 v61, v60, v61
	v_sub_f32_e32 v55, v55, v61
	v_add_f32_e32 v61, v56, v60
	v_sub_f32_e32 v62, v61, v56
	v_sub_f32_e32 v63, v61, v62
	;; [unrolled: 1-line block ×5, first 2 shown]
	v_add_f32_e32 v56, v60, v56
	v_add_f32_e32 v60, v59, v55
	v_sub_f32_e32 v62, v60, v59
	v_sub_f32_e32 v63, v60, v62
	v_sub_f32_e32 v59, v59, v63
	v_sub_f32_e32 v55, v55, v62
	v_add_f32_e32 v56, v60, v56
	v_add_f32_e32 v55, v55, v59
	v_add_f32_e32 v59, v61, v56
	v_sub_f32_e32 v60, v59, v61
	v_sub_f32_e32 v56, v56, v60
	v_add_f32_e32 v55, v55, v56
	v_add_f32_e32 v55, v59, v55
	v_cmp_neq_f32_e32 vcc, s5, v58
	s_mov_b32 s5, 0x33800000
	v_cndmask_b32_e32 v55, v57, v55, vcc
	v_cmp_lt_f32_e64 vcc, |v58|, s5
	v_cndmask_b32_e32 v55, v55, v58, vcc
	v_add_f32_e32 v55, v54, v55
.LBB478_131:
	s_or_b64 exec, exec, s[2:3]
	v_bfe_u32 v54, v55, 16, 1
	s_movk_i32 s5, 0x7fff
	v_add3_u32 v56, v55, v54, s5
	v_cmp_o_f32_e32 vcc, v55, v55
	ds_read_u16 v55, v53 offset:6
	v_mov_b32_e32 v54, 0x7fc0
	v_cndmask_b32_sdwa v56, v54, v56, vcc dst_sel:DWORD dst_unused:UNUSED_PAD src0_sel:DWORD src1_sel:WORD_1
	ds_write_b16 v53, v56 offset:4
	v_lshlrev_b32_e32 v56, 16, v56
	s_waitcnt lgkmcnt(1)
	v_lshlrev_b32_e32 v55, 16, v55
	v_max_f32_e32 v58, v56, v56
	v_max_f32_e32 v59, v55, v55
	v_min_f32_e32 v57, v58, v59
	v_cmp_u_f32_e32 vcc, v56, v56
	v_max_f32_e32 v58, v58, v59
	v_cndmask_b32_e32 v57, v57, v56, vcc
	v_cmp_u_f32_e64 s[2:3], v55, v55
	v_cndmask_b32_e32 v58, v58, v56, vcc
	v_cndmask_b32_e64 v57, v57, v55, s[2:3]
	v_cndmask_b32_e64 v55, v58, v55, s[2:3]
	v_cmp_neq_f32_e32 vcc, v57, v55
	v_cmp_class_f32_e64 s[2:3], v57, s4
	s_or_b64 s[10:11], vcc, s[2:3]
	s_and_saveexec_b64 s[2:3], s[10:11]
	s_cbranch_execz .LBB478_133
; %bb.132:
	v_sub_f32_e32 v56, v57, v55
	s_mov_b32 s4, 0x3fb8aa3b
	v_mul_f32_e32 v57, 0x3fb8aa3b, v56
	v_fma_f32 v58, v56, s4, -v57
	v_rndne_f32_e32 v59, v57
	v_fmac_f32_e32 v58, 0x32a5705f, v56
	v_sub_f32_e32 v57, v57, v59
	v_add_f32_e32 v57, v57, v58
	v_exp_f32_e32 v57, v57
	v_cvt_i32_f32_e32 v58, v59
	s_mov_b32 s4, 0xc2ce8ed0
	v_cmp_ngt_f32_e32 vcc, s4, v56
	s_mov_b32 s4, 0x42b17218
	v_ldexp_f32 v57, v57, v58
	v_cndmask_b32_e32 v57, 0, v57, vcc
	v_mov_b32_e32 v58, 0x7f800000
	v_cmp_nlt_f32_e32 vcc, s4, v56
	v_cndmask_b32_e32 v59, v58, v57, vcc
	v_add_f32_e32 v60, 1.0, v59
	v_cvt_f64_f32_e32 v[56:57], v60
	v_add_f32_e32 v61, -1.0, v60
	v_sub_f32_e32 v62, v61, v60
	v_sub_f32_e32 v61, v59, v61
	v_frexp_exp_i32_f64_e32 v56, v[56:57]
	v_add_f32_e32 v57, 1.0, v62
	v_add_f32_e32 v57, v61, v57
	v_frexp_mant_f32_e32 v61, v60
	s_mov_b32 s10, 0x3f2aaaab
	v_cmp_gt_f32_e32 vcc, s10, v61
	s_mov_b32 s10, 0x3f317218
	s_mov_b32 s4, 0x7f800000
	v_subbrev_co_u32_e32 v56, vcc, 0, v56, vcc
	v_sub_u32_e32 v61, 0, v56
	v_ldexp_f32 v60, v60, v61
	v_ldexp_f32 v57, v57, v61
	v_add_f32_e32 v61, -1.0, v60
	v_add_f32_e32 v64, 1.0, v60
	v_add_f32_e32 v62, 1.0, v61
	v_add_f32_e32 v65, -1.0, v64
	v_sub_f32_e32 v62, v60, v62
	v_sub_f32_e32 v60, v60, v65
	v_add_f32_e32 v62, v57, v62
	v_add_f32_e32 v57, v57, v60
	;; [unrolled: 1-line block ×3, first 2 shown]
	v_rcp_f32_e32 v65, v60
	v_add_f32_e32 v63, v61, v62
	v_sub_f32_e32 v61, v61, v63
	v_add_f32_e32 v61, v62, v61
	v_sub_f32_e32 v62, v64, v60
	v_add_f32_e32 v57, v57, v62
	v_mul_f32_e32 v62, v63, v65
	v_mul_f32_e32 v64, v60, v62
	v_fma_f32 v66, v62, v60, -v64
	v_fmac_f32_e32 v66, v62, v57
	v_add_f32_e32 v67, v64, v66
	v_sub_f32_e32 v68, v63, v67
	v_sub_f32_e32 v63, v63, v68
	;; [unrolled: 1-line block ×4, first 2 shown]
	v_add_f32_e32 v61, v61, v63
	v_sub_f32_e32 v63, v64, v66
	v_add_f32_e32 v61, v63, v61
	v_add_f32_e32 v63, v68, v61
	v_mul_f32_e32 v64, v65, v63
	v_mul_f32_e32 v66, v60, v64
	v_fma_f32 v60, v64, v60, -v66
	v_fmac_f32_e32 v60, v64, v57
	v_sub_f32_e32 v57, v68, v63
	v_add_f32_e32 v57, v61, v57
	v_add_f32_e32 v61, v66, v60
	v_sub_f32_e32 v67, v63, v61
	v_sub_f32_e32 v63, v63, v67
	;; [unrolled: 1-line block ×4, first 2 shown]
	v_add_f32_e32 v57, v57, v61
	v_sub_f32_e32 v60, v66, v60
	v_add_f32_e32 v57, v60, v57
	v_add_f32_e32 v60, v62, v64
	;; [unrolled: 1-line block ×3, first 2 shown]
	v_sub_f32_e32 v61, v60, v62
	v_mul_f32_e32 v57, v65, v57
	v_sub_f32_e32 v61, v64, v61
	v_add_f32_e32 v57, v61, v57
	v_cvt_f32_i32_e32 v56, v56
	v_add_f32_e32 v61, v60, v57
	v_mul_f32_e32 v62, v61, v61
	v_mov_b32_e32 v63, 0x3ecc95a3
	v_fmac_f32_e32 v63, 0x3e9b6dac, v62
	v_mov_b32_e32 v64, 0x3f2aaada
	v_fmac_f32_e32 v64, v62, v63
	v_mul_f32_e32 v63, 0x3f317218, v56
	v_fma_f32 v65, v56, s10, -v63
	v_fmac_f32_e32 v65, 0xb102e308, v56
	v_sub_f32_e32 v56, v61, v60
	v_sub_f32_e32 v56, v57, v56
	v_add_f32_e32 v57, v63, v65
	v_sub_f32_e32 v60, v57, v63
	v_ldexp_f32 v63, v61, 1
	v_mul_f32_e32 v61, v61, v62
	v_mul_f32_e32 v61, v61, v64
	v_add_f32_e32 v62, v63, v61
	v_sub_f32_e32 v63, v62, v63
	v_ldexp_f32 v56, v56, 1
	v_sub_f32_e32 v61, v61, v63
	v_add_f32_e32 v56, v56, v61
	v_add_f32_e32 v61, v62, v56
	v_sub_f32_e32 v62, v61, v62
	v_sub_f32_e32 v56, v56, v62
	v_add_f32_e32 v62, v57, v61
	v_sub_f32_e32 v63, v62, v57
	v_sub_f32_e32 v64, v62, v63
	v_sub_f32_e32 v60, v65, v60
	v_sub_f32_e32 v57, v57, v64
	v_sub_f32_e32 v61, v61, v63
	v_add_f32_e32 v57, v61, v57
	v_add_f32_e32 v61, v60, v56
	v_sub_f32_e32 v63, v61, v60
	v_sub_f32_e32 v64, v61, v63
	;; [unrolled: 1-line block ×4, first 2 shown]
	v_add_f32_e32 v57, v61, v57
	v_add_f32_e32 v56, v56, v60
	;; [unrolled: 1-line block ×3, first 2 shown]
	v_sub_f32_e32 v61, v60, v62
	v_sub_f32_e32 v57, v57, v61
	v_add_f32_e32 v56, v56, v57
	v_add_f32_e32 v56, v60, v56
	v_cmp_neq_f32_e32 vcc, s4, v59
	s_mov_b32 s4, 0x33800000
	v_cndmask_b32_e32 v56, v58, v56, vcc
	v_cmp_lt_f32_e64 vcc, |v59|, s4
	v_cndmask_b32_e32 v56, v56, v59, vcc
	v_add_f32_e32 v56, v55, v56
.LBB478_133:
	s_or_b64 exec, exec, s[2:3]
	v_bfe_u32 v55, v56, 16, 1
	v_add3_u32 v55, v56, v55, s5
	v_cmp_o_f32_e32 vcc, v56, v56
	v_cndmask_b32_sdwa v54, v54, v55, vcc dst_sel:DWORD dst_unused:UNUSED_PAD src0_sel:DWORD src1_sel:WORD_1
	ds_write_b16 v53, v54 offset:6
.LBB478_134:
	s_or_b64 exec, exec, s[8:9]
	v_mul_u32_u24_e32 v53, 46, v0
	v_cmp_ne_u32_e32 vcc, 0, v0
	s_waitcnt lgkmcnt(0)
	s_barrier
	s_and_saveexec_b64 s[2:3], vcc
	s_cbranch_execz .LBB478_138
; %bb.135:
	v_add_u32_e32 v0, -1, v0
	v_lshrrev_b32_e32 v1, 4, v0
	v_and_b32_e32 v1, 0xffffffe, v1
	v_lshl_add_u32 v0, v0, 1, v1
	ds_read_u16 v0, v0
	s_waitcnt lgkmcnt(0)
	v_lshlrev_b32_e32 v1, 16, v0
	v_max_f32_e32 v0, v1, v1
	v_min_f32_e32 v51, v0, v50
	v_max_f32_e32 v0, v0, v50
	v_cmp_u_f32_e32 vcc, v1, v1
	v_cndmask_b32_e32 v50, v51, v1, vcc
	v_cndmask_b32_e32 v0, v0, v1, vcc
	v_cndmask_b32_e64 v50, v50, v49, s[0:1]
	v_cndmask_b32_e64 v0, v0, v49, s[0:1]
	s_movk_i32 s0, 0x1f8
	v_cmp_neq_f32_e32 vcc, v50, v0
	v_cmp_class_f32_e64 s[0:1], v50, s0
	s_or_b64 s[4:5], vcc, s[0:1]
	s_and_saveexec_b64 s[0:1], s[4:5]
	s_cbranch_execz .LBB478_137
; %bb.136:
	v_sub_f32_e32 v1, v50, v0
	s_mov_b32 s4, 0x3fb8aa3b
	v_mul_f32_e32 v49, 0x3fb8aa3b, v1
	v_fma_f32 v50, v1, s4, -v49
	v_rndne_f32_e32 v51, v49
	v_fmac_f32_e32 v50, 0x32a5705f, v1
	v_sub_f32_e32 v49, v49, v51
	v_add_f32_e32 v49, v49, v50
	v_exp_f32_e32 v49, v49
	v_cvt_i32_f32_e32 v50, v51
	s_mov_b32 s4, 0xc2ce8ed0
	v_cmp_ngt_f32_e32 vcc, s4, v1
	s_mov_b32 s4, 0x42b17218
	v_ldexp_f32 v49, v49, v50
	v_cndmask_b32_e32 v49, 0, v49, vcc
	v_mov_b32_e32 v51, 0x7f800000
	v_cmp_nlt_f32_e32 vcc, s4, v1
	v_cndmask_b32_e32 v1, v51, v49, vcc
	v_add_f32_e32 v52, 1.0, v1
	v_cvt_f64_f32_e32 v[49:50], v52
	v_add_f32_e32 v54, -1.0, v52
	v_sub_f32_e32 v55, v54, v52
	v_sub_f32_e32 v54, v1, v54
	v_frexp_exp_i32_f64_e32 v49, v[49:50]
	v_add_f32_e32 v50, 1.0, v55
	v_add_f32_e32 v50, v54, v50
	v_frexp_mant_f32_e32 v54, v52
	s_mov_b32 s5, 0x3f2aaaab
	v_cmp_gt_f32_e32 vcc, s5, v54
	s_mov_b32 s5, 0x3f317218
	s_mov_b32 s4, 0x7f800000
	v_subbrev_co_u32_e32 v49, vcc, 0, v49, vcc
	v_sub_u32_e32 v54, 0, v49
	v_ldexp_f32 v52, v52, v54
	v_ldexp_f32 v50, v50, v54
	v_add_f32_e32 v54, -1.0, v52
	v_add_f32_e32 v57, 1.0, v52
	v_add_f32_e32 v55, 1.0, v54
	v_add_f32_e32 v58, -1.0, v57
	v_sub_f32_e32 v55, v52, v55
	v_sub_f32_e32 v52, v52, v58
	v_add_f32_e32 v55, v50, v55
	v_add_f32_e32 v50, v50, v52
	;; [unrolled: 1-line block ×3, first 2 shown]
	v_rcp_f32_e32 v58, v52
	v_add_f32_e32 v56, v54, v55
	v_sub_f32_e32 v54, v54, v56
	v_add_f32_e32 v54, v55, v54
	v_sub_f32_e32 v55, v57, v52
	v_add_f32_e32 v50, v50, v55
	v_mul_f32_e32 v55, v56, v58
	v_mul_f32_e32 v57, v52, v55
	v_fma_f32 v59, v55, v52, -v57
	v_fmac_f32_e32 v59, v55, v50
	v_add_f32_e32 v60, v57, v59
	v_sub_f32_e32 v61, v56, v60
	v_sub_f32_e32 v56, v56, v61
	;; [unrolled: 1-line block ×4, first 2 shown]
	v_add_f32_e32 v54, v54, v56
	v_sub_f32_e32 v56, v57, v59
	v_add_f32_e32 v54, v56, v54
	v_add_f32_e32 v56, v61, v54
	v_mul_f32_e32 v57, v58, v56
	v_mul_f32_e32 v59, v52, v57
	v_fma_f32 v52, v57, v52, -v59
	v_fmac_f32_e32 v52, v57, v50
	v_sub_f32_e32 v50, v61, v56
	v_add_f32_e32 v50, v54, v50
	v_add_f32_e32 v54, v59, v52
	v_sub_f32_e32 v60, v56, v54
	v_sub_f32_e32 v56, v56, v60
	;; [unrolled: 1-line block ×4, first 2 shown]
	v_add_f32_e32 v50, v50, v54
	v_sub_f32_e32 v52, v59, v52
	v_add_f32_e32 v50, v52, v50
	v_add_f32_e32 v52, v55, v57
	;; [unrolled: 1-line block ×3, first 2 shown]
	v_sub_f32_e32 v54, v52, v55
	v_mul_f32_e32 v50, v58, v50
	v_sub_f32_e32 v54, v57, v54
	v_add_f32_e32 v50, v54, v50
	v_cvt_f32_i32_e32 v49, v49
	v_add_f32_e32 v54, v52, v50
	v_mul_f32_e32 v55, v54, v54
	v_mov_b32_e32 v56, 0x3ecc95a3
	v_fmac_f32_e32 v56, 0x3e9b6dac, v55
	v_mov_b32_e32 v57, 0x3f2aaada
	v_fmac_f32_e32 v57, v55, v56
	v_mul_f32_e32 v56, 0x3f317218, v49
	v_fma_f32 v58, v49, s5, -v56
	v_fmac_f32_e32 v58, 0xb102e308, v49
	v_sub_f32_e32 v49, v54, v52
	v_sub_f32_e32 v49, v50, v49
	v_add_f32_e32 v50, v56, v58
	v_sub_f32_e32 v52, v50, v56
	v_ldexp_f32 v56, v54, 1
	v_mul_f32_e32 v54, v54, v55
	v_mul_f32_e32 v54, v54, v57
	v_add_f32_e32 v55, v56, v54
	v_sub_f32_e32 v56, v55, v56
	v_ldexp_f32 v49, v49, 1
	v_sub_f32_e32 v54, v54, v56
	v_add_f32_e32 v49, v49, v54
	v_add_f32_e32 v54, v55, v49
	v_sub_f32_e32 v55, v54, v55
	v_sub_f32_e32 v49, v49, v55
	v_add_f32_e32 v55, v50, v54
	v_sub_f32_e32 v56, v55, v50
	v_sub_f32_e32 v57, v55, v56
	v_sub_f32_e32 v52, v58, v52
	v_sub_f32_e32 v50, v50, v57
	v_sub_f32_e32 v54, v54, v56
	v_add_f32_e32 v50, v54, v50
	v_add_f32_e32 v54, v52, v49
	v_sub_f32_e32 v56, v54, v52
	v_sub_f32_e32 v57, v54, v56
	;; [unrolled: 1-line block ×4, first 2 shown]
	v_add_f32_e32 v50, v54, v50
	v_add_f32_e32 v49, v49, v52
	;; [unrolled: 1-line block ×3, first 2 shown]
	v_sub_f32_e32 v54, v52, v55
	v_sub_f32_e32 v50, v50, v54
	v_add_f32_e32 v49, v49, v50
	v_add_f32_e32 v49, v52, v49
	v_cmp_neq_f32_e32 vcc, s4, v1
	s_mov_b32 s4, 0x33800000
	v_cndmask_b32_e32 v49, v51, v49, vcc
	v_cmp_lt_f32_e64 vcc, |v1|, s4
	v_cndmask_b32_e32 v1, v49, v1, vcc
	v_add_f32_e32 v1, v0, v1
.LBB478_137:
	s_or_b64 exec, exec, s[0:1]
	v_bfe_u32 v0, v1, 16, 1
	s_movk_i32 s0, 0x7fff
	v_add3_u32 v0, v1, v0, s0
	v_cmp_o_f32_e32 vcc, v1, v1
	v_mov_b32_e32 v1, 0x7fc0
	v_cndmask_b32_sdwa v1, v1, v0, vcc dst_sel:DWORD dst_unused:UNUSED_PAD src0_sel:DWORD src1_sel:WORD_1
	v_lshlrev_b32_e32 v49, 16, v1
	v_max_f32_e32 v0, v49, v49
	v_min_f32_e32 v51, v0, v22
	v_max_f32_e32 v52, v0, v22
	;;#ASMSTART
	;;#ASMEND
.LBB478_138:
	s_or_b64 exec, exec, s[2:3]
	v_cmp_u_f32_e32 vcc, v49, v49
	v_cndmask_b32_e32 v0, v51, v49, vcc
	v_cndmask_b32_e64 v22, v0, v14, s[50:51]
	v_cndmask_b32_e32 v0, v52, v49, vcc
	v_cndmask_b32_e64 v0, v0, v14, s[50:51]
	s_movk_i32 s2, 0x1f8
	v_cmp_neq_f32_e32 vcc, v22, v0
	v_cmp_class_f32_e64 s[0:1], v22, s2
	s_or_b64 s[4:5], vcc, s[0:1]
	s_and_saveexec_b64 s[0:1], s[4:5]
	s_cbranch_execz .LBB478_140
; %bb.139:
	v_sub_f32_e32 v14, v22, v0
	s_mov_b32 s3, 0x3fb8aa3b
	v_mul_f32_e32 v22, 0x3fb8aa3b, v14
	v_fma_f32 v49, v14, s3, -v22
	v_rndne_f32_e32 v50, v22
	v_fmac_f32_e32 v49, 0x32a5705f, v14
	v_sub_f32_e32 v22, v22, v50
	v_add_f32_e32 v22, v22, v49
	v_exp_f32_e32 v22, v22
	v_cvt_i32_f32_e32 v49, v50
	s_mov_b32 s3, 0xc2ce8ed0
	v_cmp_ngt_f32_e32 vcc, s3, v14
	s_mov_b32 s3, 0x42b17218
	v_ldexp_f32 v22, v22, v49
	v_cndmask_b32_e32 v22, 0, v22, vcc
	v_mov_b32_e32 v51, 0x7f800000
	v_cmp_nlt_f32_e32 vcc, s3, v14
	v_cndmask_b32_e32 v14, v51, v22, vcc
	v_add_f32_e32 v22, 1.0, v14
	v_cvt_f64_f32_e32 v[49:50], v22
	v_add_f32_e32 v52, -1.0, v22
	v_sub_f32_e32 v54, v52, v22
	v_sub_f32_e32 v52, v14, v52
	v_frexp_exp_i32_f64_e32 v49, v[49:50]
	v_add_f32_e32 v50, 1.0, v54
	v_add_f32_e32 v50, v52, v50
	v_frexp_mant_f32_e32 v52, v22
	s_mov_b32 s4, 0x3f2aaaab
	v_cmp_gt_f32_e32 vcc, s4, v52
	s_mov_b32 s4, 0x3f317218
	s_mov_b32 s3, 0x7f800000
	v_subbrev_co_u32_e32 v49, vcc, 0, v49, vcc
	v_sub_u32_e32 v52, 0, v49
	v_ldexp_f32 v22, v22, v52
	v_ldexp_f32 v50, v50, v52
	v_add_f32_e32 v52, -1.0, v22
	v_add_f32_e32 v56, 1.0, v22
	v_add_f32_e32 v54, 1.0, v52
	v_add_f32_e32 v57, -1.0, v56
	v_sub_f32_e32 v54, v22, v54
	v_sub_f32_e32 v22, v22, v57
	v_add_f32_e32 v22, v50, v22
	v_add_f32_e32 v54, v50, v54
	;; [unrolled: 1-line block ×3, first 2 shown]
	v_rcp_f32_e32 v57, v50
	v_add_f32_e32 v55, v52, v54
	v_sub_f32_e32 v52, v52, v55
	v_add_f32_e32 v52, v54, v52
	v_sub_f32_e32 v54, v56, v50
	v_add_f32_e32 v22, v22, v54
	v_mul_f32_e32 v54, v55, v57
	v_mul_f32_e32 v56, v50, v54
	v_fma_f32 v58, v54, v50, -v56
	v_fmac_f32_e32 v58, v54, v22
	v_add_f32_e32 v59, v56, v58
	v_sub_f32_e32 v60, v55, v59
	v_sub_f32_e32 v55, v55, v60
	;; [unrolled: 1-line block ×4, first 2 shown]
	v_add_f32_e32 v52, v52, v55
	v_sub_f32_e32 v55, v56, v58
	v_add_f32_e32 v52, v55, v52
	v_add_f32_e32 v55, v60, v52
	v_mul_f32_e32 v56, v57, v55
	v_mul_f32_e32 v58, v50, v56
	v_fma_f32 v50, v56, v50, -v58
	v_fmac_f32_e32 v50, v56, v22
	v_sub_f32_e32 v22, v60, v55
	v_add_f32_e32 v22, v52, v22
	v_add_f32_e32 v52, v58, v50
	v_sub_f32_e32 v59, v55, v52
	v_sub_f32_e32 v55, v55, v59
	;; [unrolled: 1-line block ×4, first 2 shown]
	v_add_f32_e32 v22, v22, v52
	v_sub_f32_e32 v50, v58, v50
	v_add_f32_e32 v22, v50, v22
	v_add_f32_e32 v50, v54, v56
	;; [unrolled: 1-line block ×3, first 2 shown]
	v_sub_f32_e32 v52, v50, v54
	v_mul_f32_e32 v22, v57, v22
	v_sub_f32_e32 v52, v56, v52
	v_add_f32_e32 v22, v52, v22
	v_cvt_f32_i32_e32 v49, v49
	v_add_f32_e32 v52, v50, v22
	v_mul_f32_e32 v54, v52, v52
	v_mov_b32_e32 v55, 0x3ecc95a3
	v_fmac_f32_e32 v55, 0x3e9b6dac, v54
	v_mov_b32_e32 v56, 0x3f2aaada
	v_fmac_f32_e32 v56, v54, v55
	v_mul_f32_e32 v55, 0x3f317218, v49
	v_fma_f32 v57, v49, s4, -v55
	v_fmac_f32_e32 v57, 0xb102e308, v49
	v_sub_f32_e32 v49, v52, v50
	v_sub_f32_e32 v22, v22, v49
	v_add_f32_e32 v49, v55, v57
	v_sub_f32_e32 v50, v49, v55
	v_ldexp_f32 v55, v52, 1
	v_mul_f32_e32 v52, v52, v54
	v_mul_f32_e32 v52, v52, v56
	v_add_f32_e32 v54, v55, v52
	v_sub_f32_e32 v55, v54, v55
	v_ldexp_f32 v22, v22, 1
	v_sub_f32_e32 v52, v52, v55
	v_add_f32_e32 v22, v22, v52
	v_add_f32_e32 v52, v54, v22
	v_sub_f32_e32 v54, v52, v54
	v_sub_f32_e32 v22, v22, v54
	v_add_f32_e32 v54, v49, v52
	v_sub_f32_e32 v55, v54, v49
	v_sub_f32_e32 v56, v54, v55
	;; [unrolled: 1-line block ×5, first 2 shown]
	v_add_f32_e32 v49, v52, v49
	v_add_f32_e32 v52, v50, v22
	v_sub_f32_e32 v55, v52, v50
	v_sub_f32_e32 v56, v52, v55
	;; [unrolled: 1-line block ×4, first 2 shown]
	v_add_f32_e32 v49, v52, v49
	v_add_f32_e32 v22, v22, v50
	;; [unrolled: 1-line block ×3, first 2 shown]
	v_sub_f32_e32 v52, v50, v54
	v_sub_f32_e32 v49, v49, v52
	v_add_f32_e32 v22, v22, v49
	v_add_f32_e32 v22, v50, v22
	v_cmp_neq_f32_e32 vcc, s3, v14
	s_mov_b32 s3, 0x33800000
	v_cndmask_b32_e32 v22, v51, v22, vcc
	v_cmp_lt_f32_e64 vcc, |v14|, s3
	v_cndmask_b32_e32 v14, v22, v14, vcc
	v_add_f32_e32 v49, v0, v14
.LBB478_140:
	s_or_b64 exec, exec, s[0:1]
	v_bfe_u32 v0, v49, 16, 1
	s_movk_i32 s3, 0x7fff
	v_add3_u32 v0, v49, v0, s3
	v_cmp_o_f32_e32 vcc, v49, v49
	v_mov_b32_e32 v14, 0x7fc0
	v_cndmask_b32_sdwa v0, v14, v0, vcc dst_sel:DWORD dst_unused:UNUSED_PAD src0_sel:DWORD src1_sel:WORD_1
	v_lshlrev_b32_e32 v22, 16, v0
	v_max_f32_e32 v50, v22, v22
	v_min_f32_e32 v49, v50, v16
	v_cmp_u_f32_e32 vcc, v22, v22
	v_max_f32_e32 v16, v50, v16
	v_cndmask_b32_e32 v49, v49, v22, vcc
	v_cndmask_b32_e32 v16, v16, v22, vcc
	v_cndmask_b32_e64 v49, v49, v15, s[52:53]
	v_cndmask_b32_e64 v15, v16, v15, s[52:53]
	v_cmp_neq_f32_e32 vcc, v49, v15
	v_cmp_class_f32_e64 s[0:1], v49, s2
	s_or_b64 s[4:5], vcc, s[0:1]
	s_and_saveexec_b64 s[0:1], s[4:5]
	s_cbranch_execz .LBB478_142
; %bb.141:
	v_sub_f32_e32 v16, v49, v15
	s_mov_b32 s2, 0x3fb8aa3b
	v_mul_f32_e32 v22, 0x3fb8aa3b, v16
	v_fma_f32 v49, v16, s2, -v22
	v_rndne_f32_e32 v50, v22
	v_fmac_f32_e32 v49, 0x32a5705f, v16
	v_sub_f32_e32 v22, v22, v50
	v_add_f32_e32 v22, v22, v49
	v_exp_f32_e32 v22, v22
	v_cvt_i32_f32_e32 v49, v50
	s_mov_b32 s2, 0xc2ce8ed0
	v_cmp_ngt_f32_e32 vcc, s2, v16
	s_mov_b32 s2, 0x42b17218
	v_ldexp_f32 v22, v22, v49
	v_cndmask_b32_e32 v22, 0, v22, vcc
	v_mov_b32_e32 v51, 0x7f800000
	v_cmp_nlt_f32_e32 vcc, s2, v16
	v_cndmask_b32_e32 v16, v51, v22, vcc
	v_add_f32_e32 v22, 1.0, v16
	v_cvt_f64_f32_e32 v[49:50], v22
	v_add_f32_e32 v52, -1.0, v22
	v_sub_f32_e32 v54, v52, v22
	v_sub_f32_e32 v52, v16, v52
	v_frexp_exp_i32_f64_e32 v49, v[49:50]
	v_add_f32_e32 v50, 1.0, v54
	v_add_f32_e32 v50, v52, v50
	v_frexp_mant_f32_e32 v52, v22
	s_mov_b32 s4, 0x3f2aaaab
	v_cmp_gt_f32_e32 vcc, s4, v52
	s_mov_b32 s4, 0x3f317218
	s_mov_b32 s2, 0x7f800000
	v_subbrev_co_u32_e32 v49, vcc, 0, v49, vcc
	v_sub_u32_e32 v52, 0, v49
	v_ldexp_f32 v22, v22, v52
	v_ldexp_f32 v50, v50, v52
	v_add_f32_e32 v52, -1.0, v22
	v_add_f32_e32 v56, 1.0, v22
	v_add_f32_e32 v54, 1.0, v52
	v_add_f32_e32 v57, -1.0, v56
	v_sub_f32_e32 v54, v22, v54
	v_sub_f32_e32 v22, v22, v57
	v_add_f32_e32 v22, v50, v22
	v_add_f32_e32 v54, v50, v54
	;; [unrolled: 1-line block ×3, first 2 shown]
	v_rcp_f32_e32 v57, v50
	v_add_f32_e32 v55, v52, v54
	v_sub_f32_e32 v52, v52, v55
	v_add_f32_e32 v52, v54, v52
	v_sub_f32_e32 v54, v56, v50
	v_add_f32_e32 v22, v22, v54
	v_mul_f32_e32 v54, v55, v57
	v_mul_f32_e32 v56, v50, v54
	v_fma_f32 v58, v54, v50, -v56
	v_fmac_f32_e32 v58, v54, v22
	v_add_f32_e32 v59, v56, v58
	v_sub_f32_e32 v60, v55, v59
	v_sub_f32_e32 v55, v55, v60
	;; [unrolled: 1-line block ×4, first 2 shown]
	v_add_f32_e32 v52, v52, v55
	v_sub_f32_e32 v55, v56, v58
	v_add_f32_e32 v52, v55, v52
	v_add_f32_e32 v55, v60, v52
	v_mul_f32_e32 v56, v57, v55
	v_mul_f32_e32 v58, v50, v56
	v_fma_f32 v50, v56, v50, -v58
	v_fmac_f32_e32 v50, v56, v22
	v_sub_f32_e32 v22, v60, v55
	v_add_f32_e32 v22, v52, v22
	v_add_f32_e32 v52, v58, v50
	v_sub_f32_e32 v59, v55, v52
	v_sub_f32_e32 v55, v55, v59
	;; [unrolled: 1-line block ×4, first 2 shown]
	v_add_f32_e32 v22, v22, v52
	v_sub_f32_e32 v50, v58, v50
	v_add_f32_e32 v22, v50, v22
	v_add_f32_e32 v50, v54, v56
	;; [unrolled: 1-line block ×3, first 2 shown]
	v_sub_f32_e32 v52, v50, v54
	v_mul_f32_e32 v22, v57, v22
	v_sub_f32_e32 v52, v56, v52
	v_add_f32_e32 v22, v52, v22
	v_cvt_f32_i32_e32 v49, v49
	v_add_f32_e32 v52, v50, v22
	v_mul_f32_e32 v54, v52, v52
	v_mov_b32_e32 v55, 0x3ecc95a3
	v_fmac_f32_e32 v55, 0x3e9b6dac, v54
	v_mov_b32_e32 v56, 0x3f2aaada
	v_fmac_f32_e32 v56, v54, v55
	v_mul_f32_e32 v55, 0x3f317218, v49
	v_fma_f32 v57, v49, s4, -v55
	v_fmac_f32_e32 v57, 0xb102e308, v49
	v_sub_f32_e32 v49, v52, v50
	v_sub_f32_e32 v22, v22, v49
	v_add_f32_e32 v49, v55, v57
	v_sub_f32_e32 v50, v49, v55
	v_ldexp_f32 v55, v52, 1
	v_mul_f32_e32 v52, v52, v54
	v_mul_f32_e32 v52, v52, v56
	v_add_f32_e32 v54, v55, v52
	v_sub_f32_e32 v55, v54, v55
	v_ldexp_f32 v22, v22, 1
	v_sub_f32_e32 v52, v52, v55
	v_add_f32_e32 v22, v22, v52
	v_add_f32_e32 v52, v54, v22
	v_sub_f32_e32 v54, v52, v54
	v_sub_f32_e32 v22, v22, v54
	v_add_f32_e32 v54, v49, v52
	v_sub_f32_e32 v55, v54, v49
	v_sub_f32_e32 v56, v54, v55
	v_sub_f32_e32 v50, v57, v50
	v_sub_f32_e32 v49, v49, v56
	v_sub_f32_e32 v52, v52, v55
	v_add_f32_e32 v49, v52, v49
	v_add_f32_e32 v52, v50, v22
	v_sub_f32_e32 v55, v52, v50
	v_sub_f32_e32 v56, v52, v55
	v_sub_f32_e32 v50, v50, v56
	v_sub_f32_e32 v22, v22, v55
	v_add_f32_e32 v49, v52, v49
	v_add_f32_e32 v22, v22, v50
	;; [unrolled: 1-line block ×3, first 2 shown]
	v_sub_f32_e32 v52, v50, v54
	v_sub_f32_e32 v49, v49, v52
	v_add_f32_e32 v22, v22, v49
	v_add_f32_e32 v22, v50, v22
	v_cmp_neq_f32_e32 vcc, s2, v16
	s_mov_b32 s2, 0x33800000
	v_cndmask_b32_e32 v22, v51, v22, vcc
	v_cmp_lt_f32_e64 vcc, |v16|, s2
	v_cndmask_b32_e32 v16, v22, v16, vcc
	v_add_f32_e32 v22, v15, v16
.LBB478_142:
	s_or_b64 exec, exec, s[0:1]
	v_bfe_u32 v15, v22, 16, 1
	v_add3_u32 v15, v22, v15, s3
	v_cmp_o_f32_e32 vcc, v22, v22
	v_cndmask_b32_sdwa v14, v14, v15, vcc dst_sel:DWORD dst_unused:UNUSED_PAD src0_sel:DWORD src1_sel:WORD_1
	v_lshlrev_b32_e32 v15, 16, v14
	v_max_f32_e32 v22, v15, v15
	v_min_f32_e32 v16, v22, v18
	v_cmp_u_f32_e32 vcc, v15, v15
	v_max_f32_e32 v18, v22, v18
	v_cndmask_b32_e32 v16, v16, v15, vcc
	v_cndmask_b32_e32 v18, v18, v15, vcc
	v_cndmask_b32_e64 v16, v16, v2, s[54:55]
	v_cndmask_b32_e64 v2, v18, v2, s[54:55]
	s_movk_i32 s2, 0x1f8
	v_cmp_neq_f32_e32 vcc, v16, v2
	v_cmp_class_f32_e64 s[0:1], v16, s2
	s_or_b64 s[4:5], vcc, s[0:1]
	s_and_saveexec_b64 s[0:1], s[4:5]
	s_cbranch_execz .LBB478_144
; %bb.143:
	v_sub_f32_e32 v15, v16, v2
	s_mov_b32 s3, 0x3fb8aa3b
	v_mul_f32_e32 v16, 0x3fb8aa3b, v15
	v_fma_f32 v18, v15, s3, -v16
	v_rndne_f32_e32 v22, v16
	v_fmac_f32_e32 v18, 0x32a5705f, v15
	v_sub_f32_e32 v16, v16, v22
	v_add_f32_e32 v16, v16, v18
	v_exp_f32_e32 v16, v16
	v_cvt_i32_f32_e32 v18, v22
	s_mov_b32 s3, 0xc2ce8ed0
	v_cmp_ngt_f32_e32 vcc, s3, v15
	s_mov_b32 s3, 0x42b17218
	v_ldexp_f32 v16, v16, v18
	v_cndmask_b32_e32 v16, 0, v16, vcc
	v_mov_b32_e32 v18, 0x7f800000
	v_cmp_nlt_f32_e32 vcc, s3, v15
	v_cndmask_b32_e32 v22, v18, v16, vcc
	v_add_f32_e32 v49, 1.0, v22
	v_cvt_f64_f32_e32 v[15:16], v49
	v_add_f32_e32 v50, -1.0, v49
	v_sub_f32_e32 v51, v50, v49
	v_sub_f32_e32 v50, v22, v50
	v_frexp_exp_i32_f64_e32 v15, v[15:16]
	v_add_f32_e32 v16, 1.0, v51
	v_add_f32_e32 v16, v50, v16
	v_frexp_mant_f32_e32 v50, v49
	s_mov_b32 s4, 0x3f2aaaab
	v_cmp_gt_f32_e32 vcc, s4, v50
	s_mov_b32 s4, 0x3f317218
	s_mov_b32 s3, 0x7f800000
	v_subbrev_co_u32_e32 v15, vcc, 0, v15, vcc
	v_sub_u32_e32 v50, 0, v15
	v_ldexp_f32 v49, v49, v50
	v_ldexp_f32 v16, v16, v50
	v_add_f32_e32 v50, -1.0, v49
	v_add_f32_e32 v54, 1.0, v49
	v_add_f32_e32 v51, 1.0, v50
	v_add_f32_e32 v55, -1.0, v54
	v_sub_f32_e32 v51, v49, v51
	v_sub_f32_e32 v49, v49, v55
	v_add_f32_e32 v51, v16, v51
	v_add_f32_e32 v16, v16, v49
	;; [unrolled: 1-line block ×3, first 2 shown]
	v_rcp_f32_e32 v55, v49
	v_add_f32_e32 v52, v50, v51
	v_sub_f32_e32 v50, v50, v52
	v_add_f32_e32 v50, v51, v50
	v_sub_f32_e32 v51, v54, v49
	v_add_f32_e32 v16, v16, v51
	v_mul_f32_e32 v51, v52, v55
	v_mul_f32_e32 v54, v49, v51
	v_fma_f32 v56, v51, v49, -v54
	v_fmac_f32_e32 v56, v51, v16
	v_add_f32_e32 v57, v54, v56
	v_sub_f32_e32 v58, v52, v57
	v_sub_f32_e32 v52, v52, v58
	;; [unrolled: 1-line block ×4, first 2 shown]
	v_add_f32_e32 v50, v50, v52
	v_sub_f32_e32 v52, v54, v56
	v_add_f32_e32 v50, v52, v50
	v_add_f32_e32 v52, v58, v50
	v_mul_f32_e32 v54, v55, v52
	v_mul_f32_e32 v56, v49, v54
	v_fma_f32 v49, v54, v49, -v56
	v_fmac_f32_e32 v49, v54, v16
	v_sub_f32_e32 v16, v58, v52
	v_add_f32_e32 v16, v50, v16
	v_add_f32_e32 v50, v56, v49
	v_sub_f32_e32 v57, v52, v50
	v_sub_f32_e32 v52, v52, v57
	v_sub_f32_e32 v56, v50, v56
	v_sub_f32_e32 v50, v52, v50
	v_add_f32_e32 v16, v16, v50
	v_sub_f32_e32 v49, v56, v49
	v_add_f32_e32 v16, v49, v16
	v_add_f32_e32 v49, v51, v54
	;; [unrolled: 1-line block ×3, first 2 shown]
	v_sub_f32_e32 v50, v49, v51
	v_mul_f32_e32 v16, v55, v16
	v_sub_f32_e32 v50, v54, v50
	v_add_f32_e32 v16, v50, v16
	v_cvt_f32_i32_e32 v15, v15
	v_add_f32_e32 v50, v49, v16
	v_mul_f32_e32 v51, v50, v50
	v_mov_b32_e32 v52, 0x3ecc95a3
	v_fmac_f32_e32 v52, 0x3e9b6dac, v51
	v_mov_b32_e32 v54, 0x3f2aaada
	v_fmac_f32_e32 v54, v51, v52
	v_mul_f32_e32 v52, 0x3f317218, v15
	v_fma_f32 v55, v15, s4, -v52
	v_fmac_f32_e32 v55, 0xb102e308, v15
	v_sub_f32_e32 v15, v50, v49
	v_sub_f32_e32 v15, v16, v15
	v_add_f32_e32 v16, v52, v55
	v_sub_f32_e32 v49, v16, v52
	v_ldexp_f32 v52, v50, 1
	v_mul_f32_e32 v50, v50, v51
	v_mul_f32_e32 v50, v50, v54
	v_add_f32_e32 v51, v52, v50
	v_sub_f32_e32 v52, v51, v52
	v_ldexp_f32 v15, v15, 1
	v_sub_f32_e32 v50, v50, v52
	v_add_f32_e32 v15, v15, v50
	v_add_f32_e32 v50, v51, v15
	v_sub_f32_e32 v51, v50, v51
	v_sub_f32_e32 v15, v15, v51
	v_add_f32_e32 v51, v16, v50
	v_sub_f32_e32 v52, v51, v16
	v_sub_f32_e32 v54, v51, v52
	;; [unrolled: 1-line block ×5, first 2 shown]
	v_add_f32_e32 v16, v50, v16
	v_add_f32_e32 v50, v49, v15
	v_sub_f32_e32 v52, v50, v49
	v_sub_f32_e32 v54, v50, v52
	;; [unrolled: 1-line block ×4, first 2 shown]
	v_add_f32_e32 v16, v50, v16
	v_add_f32_e32 v15, v15, v49
	v_add_f32_e32 v49, v51, v16
	v_sub_f32_e32 v50, v49, v51
	v_sub_f32_e32 v16, v16, v50
	v_add_f32_e32 v15, v15, v16
	v_add_f32_e32 v15, v49, v15
	v_cmp_neq_f32_e32 vcc, s3, v22
	s_mov_b32 s3, 0x33800000
	v_cndmask_b32_e32 v15, v18, v15, vcc
	v_cmp_lt_f32_e64 vcc, |v22|, s3
	v_cndmask_b32_e32 v15, v15, v22, vcc
	v_add_f32_e32 v15, v2, v15
.LBB478_144:
	s_or_b64 exec, exec, s[0:1]
	v_bfe_u32 v2, v15, 16, 1
	s_movk_i32 s3, 0x7fff
	v_add3_u32 v2, v15, v2, s3
	v_cmp_o_f32_e32 vcc, v15, v15
	v_mov_b32_e32 v15, 0x7fc0
	v_cndmask_b32_sdwa v2, v15, v2, vcc dst_sel:DWORD dst_unused:UNUSED_PAD src0_sel:DWORD src1_sel:WORD_1
	v_lshlrev_b32_e32 v18, 16, v2
	v_max_f32_e32 v16, v18, v18
	v_min_f32_e32 v22, v16, v19
	v_cmp_u_f32_e32 vcc, v18, v18
	v_max_f32_e32 v16, v16, v19
	v_cndmask_b32_e32 v22, v22, v18, vcc
	v_cndmask_b32_e32 v16, v16, v18, vcc
	v_cndmask_b32_e64 v22, v22, v17, s[56:57]
	v_cndmask_b32_e64 v16, v16, v17, s[56:57]
	v_cmp_neq_f32_e32 vcc, v22, v16
	v_cmp_class_f32_e64 s[0:1], v22, s2
	s_or_b64 s[4:5], vcc, s[0:1]
	s_and_saveexec_b64 s[0:1], s[4:5]
	s_cbranch_execz .LBB478_146
; %bb.145:
	v_sub_f32_e32 v17, v22, v16
	s_mov_b32 s2, 0x3fb8aa3b
	v_mul_f32_e32 v18, 0x3fb8aa3b, v17
	v_fma_f32 v19, v17, s2, -v18
	v_rndne_f32_e32 v22, v18
	v_fmac_f32_e32 v19, 0x32a5705f, v17
	v_sub_f32_e32 v18, v18, v22
	v_add_f32_e32 v18, v18, v19
	v_exp_f32_e32 v18, v18
	v_cvt_i32_f32_e32 v19, v22
	s_mov_b32 s2, 0xc2ce8ed0
	v_cmp_ngt_f32_e32 vcc, s2, v17
	s_mov_b32 s2, 0x42b17218
	v_ldexp_f32 v18, v18, v19
	v_cndmask_b32_e32 v18, 0, v18, vcc
	v_mov_b32_e32 v19, 0x7f800000
	v_cmp_nlt_f32_e32 vcc, s2, v17
	v_cndmask_b32_e32 v22, v19, v18, vcc
	v_add_f32_e32 v49, 1.0, v22
	v_cvt_f64_f32_e32 v[17:18], v49
	v_add_f32_e32 v50, -1.0, v49
	v_sub_f32_e32 v51, v50, v49
	v_sub_f32_e32 v50, v22, v50
	v_frexp_exp_i32_f64_e32 v17, v[17:18]
	v_add_f32_e32 v18, 1.0, v51
	v_add_f32_e32 v18, v50, v18
	v_frexp_mant_f32_e32 v50, v49
	s_mov_b32 s4, 0x3f2aaaab
	v_cmp_gt_f32_e32 vcc, s4, v50
	s_mov_b32 s4, 0x3f317218
	s_mov_b32 s2, 0x7f800000
	v_subbrev_co_u32_e32 v17, vcc, 0, v17, vcc
	v_sub_u32_e32 v50, 0, v17
	v_ldexp_f32 v49, v49, v50
	v_ldexp_f32 v18, v18, v50
	v_add_f32_e32 v50, -1.0, v49
	v_add_f32_e32 v54, 1.0, v49
	v_add_f32_e32 v51, 1.0, v50
	v_add_f32_e32 v55, -1.0, v54
	v_sub_f32_e32 v51, v49, v51
	v_sub_f32_e32 v49, v49, v55
	v_add_f32_e32 v51, v18, v51
	v_add_f32_e32 v18, v18, v49
	;; [unrolled: 1-line block ×3, first 2 shown]
	v_rcp_f32_e32 v55, v49
	v_add_f32_e32 v52, v50, v51
	v_sub_f32_e32 v50, v50, v52
	v_add_f32_e32 v50, v51, v50
	v_sub_f32_e32 v51, v54, v49
	v_add_f32_e32 v18, v18, v51
	v_mul_f32_e32 v51, v52, v55
	v_mul_f32_e32 v54, v49, v51
	v_fma_f32 v56, v51, v49, -v54
	v_fmac_f32_e32 v56, v51, v18
	v_add_f32_e32 v57, v54, v56
	v_sub_f32_e32 v58, v52, v57
	v_sub_f32_e32 v52, v52, v58
	;; [unrolled: 1-line block ×4, first 2 shown]
	v_add_f32_e32 v50, v50, v52
	v_sub_f32_e32 v52, v54, v56
	v_add_f32_e32 v50, v52, v50
	v_add_f32_e32 v52, v58, v50
	v_mul_f32_e32 v54, v55, v52
	v_mul_f32_e32 v56, v49, v54
	v_fma_f32 v49, v54, v49, -v56
	v_fmac_f32_e32 v49, v54, v18
	v_sub_f32_e32 v18, v58, v52
	v_add_f32_e32 v18, v50, v18
	v_add_f32_e32 v50, v56, v49
	v_sub_f32_e32 v57, v52, v50
	v_sub_f32_e32 v52, v52, v57
	;; [unrolled: 1-line block ×4, first 2 shown]
	v_add_f32_e32 v18, v18, v50
	v_sub_f32_e32 v49, v56, v49
	v_add_f32_e32 v18, v49, v18
	v_add_f32_e32 v49, v51, v54
	;; [unrolled: 1-line block ×3, first 2 shown]
	v_sub_f32_e32 v50, v49, v51
	v_mul_f32_e32 v18, v55, v18
	v_sub_f32_e32 v50, v54, v50
	v_add_f32_e32 v18, v50, v18
	v_cvt_f32_i32_e32 v17, v17
	v_add_f32_e32 v50, v49, v18
	v_mul_f32_e32 v51, v50, v50
	v_mov_b32_e32 v52, 0x3ecc95a3
	v_fmac_f32_e32 v52, 0x3e9b6dac, v51
	v_mov_b32_e32 v54, 0x3f2aaada
	v_fmac_f32_e32 v54, v51, v52
	v_mul_f32_e32 v52, 0x3f317218, v17
	v_fma_f32 v55, v17, s4, -v52
	v_fmac_f32_e32 v55, 0xb102e308, v17
	v_sub_f32_e32 v17, v50, v49
	v_sub_f32_e32 v17, v18, v17
	v_add_f32_e32 v18, v52, v55
	v_sub_f32_e32 v49, v18, v52
	v_ldexp_f32 v52, v50, 1
	v_mul_f32_e32 v50, v50, v51
	v_mul_f32_e32 v50, v50, v54
	v_add_f32_e32 v51, v52, v50
	v_sub_f32_e32 v52, v51, v52
	v_ldexp_f32 v17, v17, 1
	v_sub_f32_e32 v50, v50, v52
	v_add_f32_e32 v17, v17, v50
	v_add_f32_e32 v50, v51, v17
	v_sub_f32_e32 v51, v50, v51
	v_sub_f32_e32 v17, v17, v51
	v_add_f32_e32 v51, v18, v50
	v_sub_f32_e32 v52, v51, v18
	v_sub_f32_e32 v54, v51, v52
	;; [unrolled: 1-line block ×5, first 2 shown]
	v_add_f32_e32 v18, v50, v18
	v_add_f32_e32 v50, v49, v17
	v_sub_f32_e32 v52, v50, v49
	v_sub_f32_e32 v54, v50, v52
	v_sub_f32_e32 v49, v49, v54
	v_sub_f32_e32 v17, v17, v52
	v_add_f32_e32 v18, v50, v18
	v_add_f32_e32 v17, v17, v49
	;; [unrolled: 1-line block ×3, first 2 shown]
	v_sub_f32_e32 v50, v49, v51
	v_sub_f32_e32 v18, v18, v50
	v_add_f32_e32 v17, v17, v18
	v_add_f32_e32 v17, v49, v17
	v_cmp_neq_f32_e32 vcc, s2, v22
	s_mov_b32 s2, 0x33800000
	v_cndmask_b32_e32 v17, v19, v17, vcc
	v_cmp_lt_f32_e64 vcc, |v22|, s2
	v_cndmask_b32_e32 v17, v17, v22, vcc
	v_add_f32_e32 v18, v16, v17
.LBB478_146:
	s_or_b64 exec, exec, s[0:1]
	v_bfe_u32 v16, v18, 16, 1
	v_add3_u32 v16, v18, v16, s3
	v_cmp_o_f32_e32 vcc, v18, v18
	v_cndmask_b32_sdwa v15, v15, v16, vcc dst_sel:DWORD dst_unused:UNUSED_PAD src0_sel:DWORD src1_sel:WORD_1
	v_lshlrev_b32_e32 v16, 16, v15
	v_max_f32_e32 v18, v16, v16
	v_min_f32_e32 v17, v18, v21
	v_cmp_u_f32_e32 vcc, v16, v16
	v_max_f32_e32 v18, v18, v21
	v_cndmask_b32_e32 v17, v17, v16, vcc
	v_cndmask_b32_e32 v18, v18, v16, vcc
	v_cndmask_b32_e64 v17, v17, v3, s[58:59]
	v_cndmask_b32_e64 v3, v18, v3, s[58:59]
	s_movk_i32 s2, 0x1f8
	v_cmp_neq_f32_e32 vcc, v17, v3
	v_cmp_class_f32_e64 s[0:1], v17, s2
	s_or_b64 s[4:5], vcc, s[0:1]
	s_and_saveexec_b64 s[0:1], s[4:5]
	s_cbranch_execz .LBB478_148
; %bb.147:
	v_sub_f32_e32 v16, v17, v3
	s_mov_b32 s3, 0x3fb8aa3b
	v_mul_f32_e32 v17, 0x3fb8aa3b, v16
	v_fma_f32 v18, v16, s3, -v17
	v_rndne_f32_e32 v19, v17
	v_fmac_f32_e32 v18, 0x32a5705f, v16
	v_sub_f32_e32 v17, v17, v19
	v_add_f32_e32 v17, v17, v18
	v_exp_f32_e32 v17, v17
	v_cvt_i32_f32_e32 v18, v19
	s_mov_b32 s3, 0xc2ce8ed0
	v_cmp_ngt_f32_e32 vcc, s3, v16
	s_mov_b32 s3, 0x42b17218
	v_ldexp_f32 v17, v17, v18
	v_cndmask_b32_e32 v17, 0, v17, vcc
	v_mov_b32_e32 v18, 0x7f800000
	v_cmp_nlt_f32_e32 vcc, s3, v16
	v_cndmask_b32_e32 v19, v18, v17, vcc
	v_add_f32_e32 v21, 1.0, v19
	v_cvt_f64_f32_e32 v[16:17], v21
	v_add_f32_e32 v22, -1.0, v21
	v_sub_f32_e32 v49, v22, v21
	v_sub_f32_e32 v22, v19, v22
	v_frexp_exp_i32_f64_e32 v16, v[16:17]
	v_add_f32_e32 v17, 1.0, v49
	v_add_f32_e32 v17, v22, v17
	v_frexp_mant_f32_e32 v22, v21
	s_mov_b32 s4, 0x3f2aaaab
	v_cmp_gt_f32_e32 vcc, s4, v22
	s_mov_b32 s4, 0x3f317218
	s_mov_b32 s3, 0x7f800000
	v_subbrev_co_u32_e32 v16, vcc, 0, v16, vcc
	v_sub_u32_e32 v22, 0, v16
	v_ldexp_f32 v21, v21, v22
	v_ldexp_f32 v17, v17, v22
	v_add_f32_e32 v22, -1.0, v21
	v_add_f32_e32 v51, 1.0, v21
	v_add_f32_e32 v49, 1.0, v22
	v_add_f32_e32 v52, -1.0, v51
	v_sub_f32_e32 v49, v21, v49
	v_sub_f32_e32 v21, v21, v52
	v_add_f32_e32 v49, v17, v49
	v_add_f32_e32 v17, v17, v21
	;; [unrolled: 1-line block ×3, first 2 shown]
	v_rcp_f32_e32 v52, v21
	v_add_f32_e32 v50, v22, v49
	v_sub_f32_e32 v22, v22, v50
	v_add_f32_e32 v22, v49, v22
	v_sub_f32_e32 v49, v51, v21
	v_add_f32_e32 v17, v17, v49
	v_mul_f32_e32 v49, v50, v52
	v_mul_f32_e32 v51, v21, v49
	v_fma_f32 v54, v49, v21, -v51
	v_fmac_f32_e32 v54, v49, v17
	v_add_f32_e32 v55, v51, v54
	v_sub_f32_e32 v56, v50, v55
	v_sub_f32_e32 v50, v50, v56
	;; [unrolled: 1-line block ×4, first 2 shown]
	v_add_f32_e32 v22, v22, v50
	v_sub_f32_e32 v50, v51, v54
	v_add_f32_e32 v22, v50, v22
	v_add_f32_e32 v50, v56, v22
	v_mul_f32_e32 v51, v52, v50
	v_mul_f32_e32 v54, v21, v51
	v_fma_f32 v21, v51, v21, -v54
	v_fmac_f32_e32 v21, v51, v17
	v_sub_f32_e32 v17, v56, v50
	v_add_f32_e32 v17, v22, v17
	v_add_f32_e32 v22, v54, v21
	v_sub_f32_e32 v55, v50, v22
	v_sub_f32_e32 v50, v50, v55
	;; [unrolled: 1-line block ×4, first 2 shown]
	v_add_f32_e32 v17, v17, v22
	v_sub_f32_e32 v21, v54, v21
	v_add_f32_e32 v17, v21, v17
	v_add_f32_e32 v21, v49, v51
	;; [unrolled: 1-line block ×3, first 2 shown]
	v_sub_f32_e32 v22, v21, v49
	v_mul_f32_e32 v17, v52, v17
	v_sub_f32_e32 v22, v51, v22
	v_add_f32_e32 v17, v22, v17
	v_cvt_f32_i32_e32 v16, v16
	v_add_f32_e32 v22, v21, v17
	v_mul_f32_e32 v49, v22, v22
	v_mov_b32_e32 v50, 0x3ecc95a3
	v_fmac_f32_e32 v50, 0x3e9b6dac, v49
	v_mov_b32_e32 v51, 0x3f2aaada
	v_fmac_f32_e32 v51, v49, v50
	v_mul_f32_e32 v50, 0x3f317218, v16
	v_fma_f32 v52, v16, s4, -v50
	v_fmac_f32_e32 v52, 0xb102e308, v16
	v_sub_f32_e32 v16, v22, v21
	v_sub_f32_e32 v16, v17, v16
	v_add_f32_e32 v17, v50, v52
	v_sub_f32_e32 v21, v17, v50
	v_ldexp_f32 v50, v22, 1
	v_mul_f32_e32 v22, v22, v49
	v_mul_f32_e32 v22, v22, v51
	v_add_f32_e32 v49, v50, v22
	v_sub_f32_e32 v50, v49, v50
	v_ldexp_f32 v16, v16, 1
	v_sub_f32_e32 v22, v22, v50
	v_add_f32_e32 v16, v16, v22
	v_add_f32_e32 v22, v49, v16
	v_sub_f32_e32 v49, v22, v49
	v_sub_f32_e32 v16, v16, v49
	v_add_f32_e32 v49, v17, v22
	v_sub_f32_e32 v50, v49, v17
	v_sub_f32_e32 v51, v49, v50
	;; [unrolled: 1-line block ×5, first 2 shown]
	v_add_f32_e32 v17, v22, v17
	v_add_f32_e32 v22, v21, v16
	v_sub_f32_e32 v50, v22, v21
	v_sub_f32_e32 v51, v22, v50
	;; [unrolled: 1-line block ×4, first 2 shown]
	v_add_f32_e32 v17, v22, v17
	v_add_f32_e32 v16, v16, v21
	;; [unrolled: 1-line block ×3, first 2 shown]
	v_sub_f32_e32 v22, v21, v49
	v_sub_f32_e32 v17, v17, v22
	v_add_f32_e32 v16, v16, v17
	v_add_f32_e32 v16, v21, v16
	v_cmp_neq_f32_e32 vcc, s3, v19
	s_mov_b32 s3, 0x33800000
	v_cndmask_b32_e32 v16, v18, v16, vcc
	v_cmp_lt_f32_e64 vcc, |v19|, s3
	v_cndmask_b32_e32 v16, v16, v19, vcc
	v_add_f32_e32 v16, v3, v16
.LBB478_148:
	s_or_b64 exec, exec, s[0:1]
	v_bfe_u32 v3, v16, 16, 1
	s_movk_i32 s3, 0x7fff
	v_add3_u32 v3, v16, v3, s3
	v_cmp_o_f32_e32 vcc, v16, v16
	v_mov_b32_e32 v16, 0x7fc0
	v_cndmask_b32_sdwa v3, v16, v3, vcc dst_sel:DWORD dst_unused:UNUSED_PAD src0_sel:DWORD src1_sel:WORD_1
	v_lshlrev_b32_e32 v18, 16, v3
	v_max_f32_e32 v17, v18, v18
	v_min_f32_e32 v19, v17, v23
	v_cmp_u_f32_e32 vcc, v18, v18
	v_max_f32_e32 v17, v17, v23
	v_cndmask_b32_e32 v19, v19, v18, vcc
	v_cndmask_b32_e32 v17, v17, v18, vcc
	v_cndmask_b32_e64 v19, v19, v20, s[60:61]
	v_cndmask_b32_e64 v17, v17, v20, s[60:61]
	v_cmp_neq_f32_e32 vcc, v19, v17
	v_cmp_class_f32_e64 s[0:1], v19, s2
	s_or_b64 s[4:5], vcc, s[0:1]
	s_and_saveexec_b64 s[0:1], s[4:5]
	s_cbranch_execz .LBB478_150
; %bb.149:
	v_sub_f32_e32 v18, v19, v17
	s_mov_b32 s2, 0x3fb8aa3b
	v_mul_f32_e32 v19, 0x3fb8aa3b, v18
	v_fma_f32 v20, v18, s2, -v19
	v_rndne_f32_e32 v21, v19
	v_fmac_f32_e32 v20, 0x32a5705f, v18
	v_sub_f32_e32 v19, v19, v21
	v_add_f32_e32 v19, v19, v20
	v_exp_f32_e32 v19, v19
	v_cvt_i32_f32_e32 v20, v21
	s_mov_b32 s2, 0xc2ce8ed0
	v_cmp_ngt_f32_e32 vcc, s2, v18
	s_mov_b32 s2, 0x42b17218
	v_ldexp_f32 v19, v19, v20
	v_cndmask_b32_e32 v19, 0, v19, vcc
	v_mov_b32_e32 v20, 0x7f800000
	v_cmp_nlt_f32_e32 vcc, s2, v18
	v_cndmask_b32_e32 v21, v20, v19, vcc
	v_add_f32_e32 v22, 1.0, v21
	v_cvt_f64_f32_e32 v[18:19], v22
	v_add_f32_e32 v23, -1.0, v22
	v_sub_f32_e32 v49, v23, v22
	v_sub_f32_e32 v23, v21, v23
	v_frexp_exp_i32_f64_e32 v18, v[18:19]
	v_add_f32_e32 v19, 1.0, v49
	v_add_f32_e32 v19, v23, v19
	v_frexp_mant_f32_e32 v23, v22
	s_mov_b32 s4, 0x3f2aaaab
	v_cmp_gt_f32_e32 vcc, s4, v23
	s_mov_b32 s4, 0x3f317218
	s_mov_b32 s2, 0x7f800000
	v_subbrev_co_u32_e32 v18, vcc, 0, v18, vcc
	v_sub_u32_e32 v23, 0, v18
	v_ldexp_f32 v22, v22, v23
	v_ldexp_f32 v19, v19, v23
	v_add_f32_e32 v23, -1.0, v22
	v_add_f32_e32 v51, 1.0, v22
	v_add_f32_e32 v49, 1.0, v23
	v_add_f32_e32 v52, -1.0, v51
	v_sub_f32_e32 v49, v22, v49
	v_sub_f32_e32 v22, v22, v52
	v_add_f32_e32 v49, v19, v49
	v_add_f32_e32 v19, v19, v22
	;; [unrolled: 1-line block ×3, first 2 shown]
	v_rcp_f32_e32 v52, v22
	v_add_f32_e32 v50, v23, v49
	v_sub_f32_e32 v23, v23, v50
	v_add_f32_e32 v23, v49, v23
	v_sub_f32_e32 v49, v51, v22
	v_add_f32_e32 v19, v19, v49
	v_mul_f32_e32 v49, v50, v52
	v_mul_f32_e32 v51, v22, v49
	v_fma_f32 v54, v49, v22, -v51
	v_fmac_f32_e32 v54, v49, v19
	v_add_f32_e32 v55, v51, v54
	v_sub_f32_e32 v56, v50, v55
	v_sub_f32_e32 v50, v50, v56
	;; [unrolled: 1-line block ×4, first 2 shown]
	v_add_f32_e32 v23, v23, v50
	v_sub_f32_e32 v50, v51, v54
	v_add_f32_e32 v23, v50, v23
	v_add_f32_e32 v50, v56, v23
	v_mul_f32_e32 v51, v52, v50
	v_mul_f32_e32 v54, v22, v51
	v_fma_f32 v22, v51, v22, -v54
	v_fmac_f32_e32 v22, v51, v19
	v_sub_f32_e32 v19, v56, v50
	v_add_f32_e32 v19, v23, v19
	v_add_f32_e32 v23, v54, v22
	v_sub_f32_e32 v55, v50, v23
	v_sub_f32_e32 v50, v50, v55
	;; [unrolled: 1-line block ×4, first 2 shown]
	v_add_f32_e32 v19, v19, v23
	v_sub_f32_e32 v22, v54, v22
	v_add_f32_e32 v19, v22, v19
	v_add_f32_e32 v22, v49, v51
	;; [unrolled: 1-line block ×3, first 2 shown]
	v_sub_f32_e32 v23, v22, v49
	v_mul_f32_e32 v19, v52, v19
	v_sub_f32_e32 v23, v51, v23
	v_add_f32_e32 v19, v23, v19
	v_cvt_f32_i32_e32 v18, v18
	v_add_f32_e32 v23, v22, v19
	v_mul_f32_e32 v49, v23, v23
	v_mov_b32_e32 v50, 0x3ecc95a3
	v_fmac_f32_e32 v50, 0x3e9b6dac, v49
	v_mov_b32_e32 v51, 0x3f2aaada
	v_fmac_f32_e32 v51, v49, v50
	v_mul_f32_e32 v50, 0x3f317218, v18
	v_fma_f32 v52, v18, s4, -v50
	v_fmac_f32_e32 v52, 0xb102e308, v18
	v_sub_f32_e32 v18, v23, v22
	v_sub_f32_e32 v18, v19, v18
	v_add_f32_e32 v19, v50, v52
	v_sub_f32_e32 v22, v19, v50
	v_ldexp_f32 v50, v23, 1
	v_mul_f32_e32 v23, v23, v49
	v_mul_f32_e32 v23, v23, v51
	v_add_f32_e32 v49, v50, v23
	v_sub_f32_e32 v50, v49, v50
	v_ldexp_f32 v18, v18, 1
	v_sub_f32_e32 v23, v23, v50
	v_add_f32_e32 v18, v18, v23
	v_add_f32_e32 v23, v49, v18
	v_sub_f32_e32 v49, v23, v49
	v_sub_f32_e32 v18, v18, v49
	v_add_f32_e32 v49, v19, v23
	v_sub_f32_e32 v50, v49, v19
	v_sub_f32_e32 v51, v49, v50
	;; [unrolled: 1-line block ×5, first 2 shown]
	v_add_f32_e32 v19, v23, v19
	v_add_f32_e32 v23, v22, v18
	v_sub_f32_e32 v50, v23, v22
	v_sub_f32_e32 v51, v23, v50
	;; [unrolled: 1-line block ×4, first 2 shown]
	v_add_f32_e32 v19, v23, v19
	v_add_f32_e32 v18, v18, v22
	;; [unrolled: 1-line block ×3, first 2 shown]
	v_sub_f32_e32 v23, v22, v49
	v_sub_f32_e32 v19, v19, v23
	v_add_f32_e32 v18, v18, v19
	v_add_f32_e32 v18, v22, v18
	v_cmp_neq_f32_e32 vcc, s2, v21
	s_mov_b32 s2, 0x33800000
	v_cndmask_b32_e32 v18, v20, v18, vcc
	v_cmp_lt_f32_e64 vcc, |v21|, s2
	v_cndmask_b32_e32 v18, v18, v21, vcc
	v_add_f32_e32 v18, v17, v18
.LBB478_150:
	s_or_b64 exec, exec, s[0:1]
	v_bfe_u32 v17, v18, 16, 1
	v_add3_u32 v17, v18, v17, s3
	v_cmp_o_f32_e32 vcc, v18, v18
	v_cndmask_b32_sdwa v16, v16, v17, vcc dst_sel:DWORD dst_unused:UNUSED_PAD src0_sel:DWORD src1_sel:WORD_1
	v_lshlrev_b32_e32 v17, 16, v16
	v_max_f32_e32 v19, v17, v17
	v_min_f32_e32 v18, v19, v25
	v_cmp_u_f32_e32 vcc, v17, v17
	v_max_f32_e32 v19, v19, v25
	v_cndmask_b32_e32 v18, v18, v17, vcc
	v_cndmask_b32_e32 v19, v19, v17, vcc
	v_cndmask_b32_e64 v18, v18, v4, s[62:63]
	v_cndmask_b32_e64 v4, v19, v4, s[62:63]
	s_movk_i32 s2, 0x1f8
	v_cmp_neq_f32_e32 vcc, v18, v4
	v_cmp_class_f32_e64 s[0:1], v18, s2
	s_or_b64 s[4:5], vcc, s[0:1]
	s_and_saveexec_b64 s[0:1], s[4:5]
	s_cbranch_execz .LBB478_152
; %bb.151:
	v_sub_f32_e32 v17, v18, v4
	s_mov_b32 s3, 0x3fb8aa3b
	v_mul_f32_e32 v18, 0x3fb8aa3b, v17
	v_fma_f32 v19, v17, s3, -v18
	v_rndne_f32_e32 v20, v18
	v_fmac_f32_e32 v19, 0x32a5705f, v17
	v_sub_f32_e32 v18, v18, v20
	v_add_f32_e32 v18, v18, v19
	v_exp_f32_e32 v18, v18
	v_cvt_i32_f32_e32 v19, v20
	s_mov_b32 s3, 0xc2ce8ed0
	v_cmp_ngt_f32_e32 vcc, s3, v17
	s_mov_b32 s3, 0x42b17218
	v_ldexp_f32 v18, v18, v19
	v_cndmask_b32_e32 v18, 0, v18, vcc
	v_mov_b32_e32 v19, 0x7f800000
	v_cmp_nlt_f32_e32 vcc, s3, v17
	v_cndmask_b32_e32 v20, v19, v18, vcc
	v_add_f32_e32 v21, 1.0, v20
	v_cvt_f64_f32_e32 v[17:18], v21
	v_add_f32_e32 v22, -1.0, v21
	v_sub_f32_e32 v23, v22, v21
	v_sub_f32_e32 v22, v20, v22
	v_frexp_exp_i32_f64_e32 v17, v[17:18]
	v_add_f32_e32 v18, 1.0, v23
	v_add_f32_e32 v18, v22, v18
	v_frexp_mant_f32_e32 v22, v21
	s_mov_b32 s4, 0x3f2aaaab
	v_cmp_gt_f32_e32 vcc, s4, v22
	s_mov_b32 s4, 0x3f317218
	s_mov_b32 s3, 0x7f800000
	v_subbrev_co_u32_e32 v17, vcc, 0, v17, vcc
	v_sub_u32_e32 v22, 0, v17
	v_ldexp_f32 v21, v21, v22
	v_ldexp_f32 v18, v18, v22
	v_add_f32_e32 v22, -1.0, v21
	v_add_f32_e32 v49, 1.0, v21
	v_add_f32_e32 v23, 1.0, v22
	v_add_f32_e32 v50, -1.0, v49
	v_sub_f32_e32 v23, v21, v23
	v_sub_f32_e32 v21, v21, v50
	v_add_f32_e32 v23, v18, v23
	v_add_f32_e32 v18, v18, v21
	;; [unrolled: 1-line block ×3, first 2 shown]
	v_rcp_f32_e32 v50, v21
	v_add_f32_e32 v25, v22, v23
	v_sub_f32_e32 v22, v22, v25
	v_add_f32_e32 v22, v23, v22
	v_sub_f32_e32 v23, v49, v21
	v_add_f32_e32 v18, v18, v23
	v_mul_f32_e32 v23, v25, v50
	v_mul_f32_e32 v49, v21, v23
	v_fma_f32 v51, v23, v21, -v49
	v_fmac_f32_e32 v51, v23, v18
	v_add_f32_e32 v52, v49, v51
	v_sub_f32_e32 v54, v25, v52
	v_sub_f32_e32 v25, v25, v54
	;; [unrolled: 1-line block ×4, first 2 shown]
	v_add_f32_e32 v22, v22, v25
	v_sub_f32_e32 v25, v49, v51
	v_add_f32_e32 v22, v25, v22
	v_add_f32_e32 v25, v54, v22
	v_mul_f32_e32 v49, v50, v25
	v_mul_f32_e32 v51, v21, v49
	v_fma_f32 v21, v49, v21, -v51
	v_fmac_f32_e32 v21, v49, v18
	v_sub_f32_e32 v18, v54, v25
	v_add_f32_e32 v18, v22, v18
	v_add_f32_e32 v22, v51, v21
	v_sub_f32_e32 v52, v25, v22
	v_sub_f32_e32 v25, v25, v52
	;; [unrolled: 1-line block ×4, first 2 shown]
	v_add_f32_e32 v18, v18, v22
	v_sub_f32_e32 v21, v51, v21
	v_add_f32_e32 v18, v21, v18
	v_add_f32_e32 v21, v23, v49
	;; [unrolled: 1-line block ×3, first 2 shown]
	v_sub_f32_e32 v22, v21, v23
	v_mul_f32_e32 v18, v50, v18
	v_sub_f32_e32 v22, v49, v22
	v_add_f32_e32 v18, v22, v18
	v_cvt_f32_i32_e32 v17, v17
	v_add_f32_e32 v22, v21, v18
	v_mul_f32_e32 v23, v22, v22
	v_mov_b32_e32 v25, 0x3ecc95a3
	v_fmac_f32_e32 v25, 0x3e9b6dac, v23
	v_mov_b32_e32 v49, 0x3f2aaada
	v_fmac_f32_e32 v49, v23, v25
	v_mul_f32_e32 v25, 0x3f317218, v17
	v_fma_f32 v50, v17, s4, -v25
	v_fmac_f32_e32 v50, 0xb102e308, v17
	v_sub_f32_e32 v17, v22, v21
	v_sub_f32_e32 v17, v18, v17
	v_add_f32_e32 v18, v25, v50
	v_sub_f32_e32 v21, v18, v25
	v_ldexp_f32 v25, v22, 1
	v_mul_f32_e32 v22, v22, v23
	v_mul_f32_e32 v22, v22, v49
	v_add_f32_e32 v23, v25, v22
	v_sub_f32_e32 v25, v23, v25
	v_ldexp_f32 v17, v17, 1
	v_sub_f32_e32 v22, v22, v25
	v_add_f32_e32 v17, v17, v22
	v_add_f32_e32 v22, v23, v17
	v_sub_f32_e32 v23, v22, v23
	v_sub_f32_e32 v17, v17, v23
	v_add_f32_e32 v23, v18, v22
	v_sub_f32_e32 v25, v23, v18
	v_sub_f32_e32 v49, v23, v25
	;; [unrolled: 1-line block ×5, first 2 shown]
	v_add_f32_e32 v18, v22, v18
	v_add_f32_e32 v22, v21, v17
	v_sub_f32_e32 v25, v22, v21
	v_sub_f32_e32 v49, v22, v25
	;; [unrolled: 1-line block ×4, first 2 shown]
	v_add_f32_e32 v18, v22, v18
	v_add_f32_e32 v17, v17, v21
	;; [unrolled: 1-line block ×3, first 2 shown]
	v_sub_f32_e32 v22, v21, v23
	v_sub_f32_e32 v18, v18, v22
	v_add_f32_e32 v17, v17, v18
	v_add_f32_e32 v17, v21, v17
	v_cmp_neq_f32_e32 vcc, s3, v20
	s_mov_b32 s3, 0x33800000
	v_cndmask_b32_e32 v17, v19, v17, vcc
	v_cmp_lt_f32_e64 vcc, |v20|, s3
	v_cndmask_b32_e32 v17, v17, v20, vcc
	v_add_f32_e32 v17, v4, v17
.LBB478_152:
	s_or_b64 exec, exec, s[0:1]
	v_bfe_u32 v4, v17, 16, 1
	s_movk_i32 s3, 0x7fff
	v_add3_u32 v4, v17, v4, s3
	v_cmp_o_f32_e32 vcc, v17, v17
	v_mov_b32_e32 v17, 0x7fc0
	v_cndmask_b32_sdwa v4, v17, v4, vcc dst_sel:DWORD dst_unused:UNUSED_PAD src0_sel:DWORD src1_sel:WORD_1
	v_lshlrev_b32_e32 v19, 16, v4
	v_max_f32_e32 v18, v19, v19
	v_min_f32_e32 v20, v18, v26
	v_cmp_u_f32_e32 vcc, v19, v19
	v_max_f32_e32 v18, v18, v26
	v_cndmask_b32_e32 v20, v20, v19, vcc
	v_cndmask_b32_e32 v18, v18, v19, vcc
	v_cndmask_b32_e64 v20, v20, v24, s[64:65]
	v_cndmask_b32_e64 v18, v18, v24, s[64:65]
	v_cmp_neq_f32_e32 vcc, v20, v18
	v_cmp_class_f32_e64 s[0:1], v20, s2
	s_or_b64 s[4:5], vcc, s[0:1]
	s_and_saveexec_b64 s[0:1], s[4:5]
	s_cbranch_execz .LBB478_154
; %bb.153:
	v_sub_f32_e32 v19, v20, v18
	s_mov_b32 s2, 0x3fb8aa3b
	v_mul_f32_e32 v20, 0x3fb8aa3b, v19
	v_fma_f32 v21, v19, s2, -v20
	v_rndne_f32_e32 v22, v20
	v_fmac_f32_e32 v21, 0x32a5705f, v19
	v_sub_f32_e32 v20, v20, v22
	v_add_f32_e32 v20, v20, v21
	v_exp_f32_e32 v20, v20
	v_cvt_i32_f32_e32 v21, v22
	s_mov_b32 s2, 0xc2ce8ed0
	v_cmp_ngt_f32_e32 vcc, s2, v19
	s_mov_b32 s2, 0x42b17218
	v_ldexp_f32 v20, v20, v21
	v_cndmask_b32_e32 v20, 0, v20, vcc
	v_mov_b32_e32 v21, 0x7f800000
	v_cmp_nlt_f32_e32 vcc, s2, v19
	v_cndmask_b32_e32 v22, v21, v20, vcc
	v_add_f32_e32 v23, 1.0, v22
	v_cvt_f64_f32_e32 v[19:20], v23
	v_add_f32_e32 v24, -1.0, v23
	v_sub_f32_e32 v25, v24, v23
	v_sub_f32_e32 v24, v22, v24
	v_frexp_exp_i32_f64_e32 v19, v[19:20]
	v_add_f32_e32 v20, 1.0, v25
	v_add_f32_e32 v20, v24, v20
	v_frexp_mant_f32_e32 v24, v23
	s_mov_b32 s4, 0x3f2aaaab
	v_cmp_gt_f32_e32 vcc, s4, v24
	s_mov_b32 s4, 0x3f317218
	s_mov_b32 s2, 0x7f800000
	v_subbrev_co_u32_e32 v19, vcc, 0, v19, vcc
	v_sub_u32_e32 v24, 0, v19
	v_ldexp_f32 v23, v23, v24
	v_ldexp_f32 v20, v20, v24
	v_add_f32_e32 v24, -1.0, v23
	v_add_f32_e32 v49, 1.0, v23
	v_add_f32_e32 v25, 1.0, v24
	v_add_f32_e32 v50, -1.0, v49
	v_sub_f32_e32 v25, v23, v25
	v_sub_f32_e32 v23, v23, v50
	v_add_f32_e32 v25, v20, v25
	v_add_f32_e32 v20, v20, v23
	;; [unrolled: 1-line block ×3, first 2 shown]
	v_rcp_f32_e32 v50, v23
	v_add_f32_e32 v26, v24, v25
	v_sub_f32_e32 v24, v24, v26
	v_add_f32_e32 v24, v25, v24
	v_sub_f32_e32 v25, v49, v23
	v_add_f32_e32 v20, v20, v25
	v_mul_f32_e32 v25, v26, v50
	v_mul_f32_e32 v49, v23, v25
	v_fma_f32 v51, v25, v23, -v49
	v_fmac_f32_e32 v51, v25, v20
	v_add_f32_e32 v52, v49, v51
	v_sub_f32_e32 v54, v26, v52
	v_sub_f32_e32 v26, v26, v54
	;; [unrolled: 1-line block ×4, first 2 shown]
	v_add_f32_e32 v24, v24, v26
	v_sub_f32_e32 v26, v49, v51
	v_add_f32_e32 v24, v26, v24
	v_add_f32_e32 v26, v54, v24
	v_mul_f32_e32 v49, v50, v26
	v_mul_f32_e32 v51, v23, v49
	v_fma_f32 v23, v49, v23, -v51
	v_fmac_f32_e32 v23, v49, v20
	v_sub_f32_e32 v20, v54, v26
	v_add_f32_e32 v20, v24, v20
	v_add_f32_e32 v24, v51, v23
	v_sub_f32_e32 v52, v26, v24
	v_sub_f32_e32 v26, v26, v52
	;; [unrolled: 1-line block ×4, first 2 shown]
	v_add_f32_e32 v20, v20, v24
	v_sub_f32_e32 v23, v51, v23
	v_add_f32_e32 v20, v23, v20
	v_add_f32_e32 v23, v25, v49
	v_add_f32_e32 v20, v52, v20
	v_sub_f32_e32 v24, v23, v25
	v_mul_f32_e32 v20, v50, v20
	v_sub_f32_e32 v24, v49, v24
	v_add_f32_e32 v20, v24, v20
	v_cvt_f32_i32_e32 v19, v19
	v_add_f32_e32 v24, v23, v20
	v_mul_f32_e32 v25, v24, v24
	v_mov_b32_e32 v26, 0x3ecc95a3
	v_fmac_f32_e32 v26, 0x3e9b6dac, v25
	v_mov_b32_e32 v49, 0x3f2aaada
	v_fmac_f32_e32 v49, v25, v26
	v_mul_f32_e32 v26, 0x3f317218, v19
	v_fma_f32 v50, v19, s4, -v26
	v_fmac_f32_e32 v50, 0xb102e308, v19
	v_sub_f32_e32 v19, v24, v23
	v_sub_f32_e32 v19, v20, v19
	v_add_f32_e32 v20, v26, v50
	v_sub_f32_e32 v23, v20, v26
	v_ldexp_f32 v26, v24, 1
	v_mul_f32_e32 v24, v24, v25
	v_mul_f32_e32 v24, v24, v49
	v_add_f32_e32 v25, v26, v24
	v_sub_f32_e32 v26, v25, v26
	v_ldexp_f32 v19, v19, 1
	v_sub_f32_e32 v24, v24, v26
	v_add_f32_e32 v19, v19, v24
	v_add_f32_e32 v24, v25, v19
	v_sub_f32_e32 v25, v24, v25
	v_sub_f32_e32 v19, v19, v25
	v_add_f32_e32 v25, v20, v24
	v_sub_f32_e32 v26, v25, v20
	v_sub_f32_e32 v49, v25, v26
	;; [unrolled: 1-line block ×5, first 2 shown]
	v_add_f32_e32 v20, v24, v20
	v_add_f32_e32 v24, v23, v19
	v_sub_f32_e32 v26, v24, v23
	v_sub_f32_e32 v49, v24, v26
	;; [unrolled: 1-line block ×4, first 2 shown]
	v_add_f32_e32 v20, v24, v20
	v_add_f32_e32 v19, v19, v23
	;; [unrolled: 1-line block ×3, first 2 shown]
	v_sub_f32_e32 v24, v23, v25
	v_sub_f32_e32 v20, v20, v24
	v_add_f32_e32 v19, v19, v20
	v_add_f32_e32 v19, v23, v19
	v_cmp_neq_f32_e32 vcc, s2, v22
	s_mov_b32 s2, 0x33800000
	v_cndmask_b32_e32 v19, v21, v19, vcc
	v_cmp_lt_f32_e64 vcc, |v22|, s2
	v_cndmask_b32_e32 v19, v19, v22, vcc
	v_add_f32_e32 v19, v18, v19
.LBB478_154:
	s_or_b64 exec, exec, s[0:1]
	v_bfe_u32 v18, v19, 16, 1
	v_add3_u32 v18, v19, v18, s3
	v_cmp_o_f32_e32 vcc, v19, v19
	v_cndmask_b32_sdwa v17, v17, v18, vcc dst_sel:DWORD dst_unused:UNUSED_PAD src0_sel:DWORD src1_sel:WORD_1
	v_lshlrev_b32_e32 v18, 16, v17
	v_max_f32_e32 v20, v18, v18
	v_min_f32_e32 v19, v20, v28
	v_cmp_u_f32_e32 vcc, v18, v18
	v_max_f32_e32 v20, v20, v28
	v_cndmask_b32_e32 v19, v19, v18, vcc
	v_cndmask_b32_e32 v20, v20, v18, vcc
	v_cndmask_b32_e64 v19, v19, v9, s[66:67]
	v_cndmask_b32_e64 v9, v20, v9, s[66:67]
	s_movk_i32 s2, 0x1f8
	v_cmp_neq_f32_e32 vcc, v19, v9
	v_cmp_class_f32_e64 s[0:1], v19, s2
	s_or_b64 s[4:5], vcc, s[0:1]
	s_and_saveexec_b64 s[0:1], s[4:5]
	s_cbranch_execz .LBB478_156
; %bb.155:
	v_sub_f32_e32 v18, v19, v9
	s_mov_b32 s3, 0x3fb8aa3b
	v_mul_f32_e32 v19, 0x3fb8aa3b, v18
	v_fma_f32 v20, v18, s3, -v19
	v_rndne_f32_e32 v21, v19
	v_fmac_f32_e32 v20, 0x32a5705f, v18
	v_sub_f32_e32 v19, v19, v21
	v_add_f32_e32 v19, v19, v20
	v_exp_f32_e32 v19, v19
	v_cvt_i32_f32_e32 v20, v21
	s_mov_b32 s3, 0xc2ce8ed0
	v_cmp_ngt_f32_e32 vcc, s3, v18
	s_mov_b32 s3, 0x42b17218
	v_ldexp_f32 v19, v19, v20
	v_cndmask_b32_e32 v19, 0, v19, vcc
	v_mov_b32_e32 v20, 0x7f800000
	v_cmp_nlt_f32_e32 vcc, s3, v18
	v_cndmask_b32_e32 v21, v20, v19, vcc
	v_add_f32_e32 v22, 1.0, v21
	v_cvt_f64_f32_e32 v[18:19], v22
	v_add_f32_e32 v23, -1.0, v22
	v_sub_f32_e32 v24, v23, v22
	v_sub_f32_e32 v23, v21, v23
	v_frexp_exp_i32_f64_e32 v18, v[18:19]
	v_add_f32_e32 v19, 1.0, v24
	v_add_f32_e32 v19, v23, v19
	v_frexp_mant_f32_e32 v23, v22
	s_mov_b32 s4, 0x3f2aaaab
	v_cmp_gt_f32_e32 vcc, s4, v23
	s_mov_b32 s4, 0x3f317218
	s_mov_b32 s3, 0x7f800000
	v_subbrev_co_u32_e32 v18, vcc, 0, v18, vcc
	v_sub_u32_e32 v23, 0, v18
	v_ldexp_f32 v22, v22, v23
	v_ldexp_f32 v19, v19, v23
	v_add_f32_e32 v23, -1.0, v22
	v_add_f32_e32 v26, 1.0, v22
	v_add_f32_e32 v24, 1.0, v23
	v_add_f32_e32 v28, -1.0, v26
	v_sub_f32_e32 v24, v22, v24
	v_sub_f32_e32 v22, v22, v28
	v_add_f32_e32 v24, v19, v24
	v_add_f32_e32 v19, v19, v22
	;; [unrolled: 1-line block ×3, first 2 shown]
	v_rcp_f32_e32 v28, v22
	v_add_f32_e32 v25, v23, v24
	v_sub_f32_e32 v23, v23, v25
	v_add_f32_e32 v23, v24, v23
	v_sub_f32_e32 v24, v26, v22
	v_add_f32_e32 v19, v19, v24
	v_mul_f32_e32 v24, v25, v28
	v_mul_f32_e32 v26, v22, v24
	v_fma_f32 v49, v24, v22, -v26
	v_fmac_f32_e32 v49, v24, v19
	v_add_f32_e32 v50, v26, v49
	v_sub_f32_e32 v51, v25, v50
	v_sub_f32_e32 v25, v25, v51
	;; [unrolled: 1-line block ×4, first 2 shown]
	v_add_f32_e32 v23, v23, v25
	v_sub_f32_e32 v25, v26, v49
	v_add_f32_e32 v23, v25, v23
	v_add_f32_e32 v25, v51, v23
	v_mul_f32_e32 v26, v28, v25
	v_mul_f32_e32 v49, v22, v26
	v_fma_f32 v22, v26, v22, -v49
	v_fmac_f32_e32 v22, v26, v19
	v_sub_f32_e32 v19, v51, v25
	v_add_f32_e32 v19, v23, v19
	v_add_f32_e32 v23, v49, v22
	v_sub_f32_e32 v50, v25, v23
	v_sub_f32_e32 v25, v25, v50
	;; [unrolled: 1-line block ×4, first 2 shown]
	v_add_f32_e32 v19, v19, v23
	v_sub_f32_e32 v22, v49, v22
	v_add_f32_e32 v19, v22, v19
	v_add_f32_e32 v22, v24, v26
	;; [unrolled: 1-line block ×3, first 2 shown]
	v_sub_f32_e32 v23, v22, v24
	v_mul_f32_e32 v19, v28, v19
	v_sub_f32_e32 v23, v26, v23
	v_add_f32_e32 v19, v23, v19
	v_cvt_f32_i32_e32 v18, v18
	v_add_f32_e32 v23, v22, v19
	v_mul_f32_e32 v24, v23, v23
	v_mov_b32_e32 v25, 0x3ecc95a3
	v_fmac_f32_e32 v25, 0x3e9b6dac, v24
	v_mov_b32_e32 v26, 0x3f2aaada
	v_fmac_f32_e32 v26, v24, v25
	v_mul_f32_e32 v25, 0x3f317218, v18
	v_fma_f32 v28, v18, s4, -v25
	v_fmac_f32_e32 v28, 0xb102e308, v18
	v_sub_f32_e32 v18, v23, v22
	v_sub_f32_e32 v18, v19, v18
	v_add_f32_e32 v19, v25, v28
	v_sub_f32_e32 v22, v19, v25
	v_ldexp_f32 v25, v23, 1
	v_mul_f32_e32 v23, v23, v24
	v_mul_f32_e32 v23, v23, v26
	v_add_f32_e32 v24, v25, v23
	v_sub_f32_e32 v25, v24, v25
	v_ldexp_f32 v18, v18, 1
	v_sub_f32_e32 v23, v23, v25
	v_add_f32_e32 v18, v18, v23
	v_add_f32_e32 v23, v24, v18
	v_sub_f32_e32 v24, v23, v24
	v_sub_f32_e32 v18, v18, v24
	v_add_f32_e32 v24, v19, v23
	v_sub_f32_e32 v25, v24, v19
	v_sub_f32_e32 v26, v24, v25
	;; [unrolled: 1-line block ×5, first 2 shown]
	v_add_f32_e32 v19, v23, v19
	v_add_f32_e32 v23, v22, v18
	v_sub_f32_e32 v25, v23, v22
	v_sub_f32_e32 v26, v23, v25
	;; [unrolled: 1-line block ×4, first 2 shown]
	v_add_f32_e32 v19, v23, v19
	v_add_f32_e32 v18, v18, v22
	v_add_f32_e32 v22, v24, v19
	v_sub_f32_e32 v23, v22, v24
	v_sub_f32_e32 v19, v19, v23
	v_add_f32_e32 v18, v18, v19
	v_add_f32_e32 v18, v22, v18
	v_cmp_neq_f32_e32 vcc, s3, v21
	s_mov_b32 s3, 0x33800000
	v_cndmask_b32_e32 v18, v20, v18, vcc
	v_cmp_lt_f32_e64 vcc, |v21|, s3
	v_cndmask_b32_e32 v18, v18, v21, vcc
	v_add_f32_e32 v18, v9, v18
.LBB478_156:
	s_or_b64 exec, exec, s[0:1]
	v_bfe_u32 v9, v18, 16, 1
	s_movk_i32 s3, 0x7fff
	v_add3_u32 v9, v18, v9, s3
	v_cmp_o_f32_e32 vcc, v18, v18
	v_mov_b32_e32 v18, 0x7fc0
	v_cndmask_b32_sdwa v9, v18, v9, vcc dst_sel:DWORD dst_unused:UNUSED_PAD src0_sel:DWORD src1_sel:WORD_1
	v_lshlrev_b32_e32 v20, 16, v9
	v_max_f32_e32 v19, v20, v20
	v_min_f32_e32 v21, v19, v29
	v_cmp_u_f32_e32 vcc, v20, v20
	v_max_f32_e32 v19, v19, v29
	v_cndmask_b32_e32 v21, v21, v20, vcc
	v_cndmask_b32_e32 v19, v19, v20, vcc
	v_cndmask_b32_e64 v21, v21, v27, s[68:69]
	v_cndmask_b32_e64 v19, v19, v27, s[68:69]
	v_cmp_neq_f32_e32 vcc, v21, v19
	v_cmp_class_f32_e64 s[0:1], v21, s2
	s_or_b64 s[4:5], vcc, s[0:1]
	s_and_saveexec_b64 s[0:1], s[4:5]
	s_cbranch_execz .LBB478_158
; %bb.157:
	v_sub_f32_e32 v20, v21, v19
	s_mov_b32 s2, 0x3fb8aa3b
	v_mul_f32_e32 v21, 0x3fb8aa3b, v20
	v_fma_f32 v22, v20, s2, -v21
	v_rndne_f32_e32 v23, v21
	v_fmac_f32_e32 v22, 0x32a5705f, v20
	v_sub_f32_e32 v21, v21, v23
	v_add_f32_e32 v21, v21, v22
	v_exp_f32_e32 v21, v21
	v_cvt_i32_f32_e32 v22, v23
	s_mov_b32 s2, 0xc2ce8ed0
	v_cmp_ngt_f32_e32 vcc, s2, v20
	s_mov_b32 s2, 0x42b17218
	v_ldexp_f32 v21, v21, v22
	v_cndmask_b32_e32 v21, 0, v21, vcc
	v_mov_b32_e32 v22, 0x7f800000
	v_cmp_nlt_f32_e32 vcc, s2, v20
	v_cndmask_b32_e32 v23, v22, v21, vcc
	v_add_f32_e32 v24, 1.0, v23
	v_cvt_f64_f32_e32 v[20:21], v24
	v_add_f32_e32 v25, -1.0, v24
	v_sub_f32_e32 v26, v25, v24
	v_sub_f32_e32 v25, v23, v25
	v_frexp_exp_i32_f64_e32 v20, v[20:21]
	v_add_f32_e32 v21, 1.0, v26
	v_add_f32_e32 v21, v25, v21
	v_frexp_mant_f32_e32 v25, v24
	s_mov_b32 s4, 0x3f2aaaab
	v_cmp_gt_f32_e32 vcc, s4, v25
	s_mov_b32 s4, 0x3f317218
	s_mov_b32 s2, 0x7f800000
	v_subbrev_co_u32_e32 v20, vcc, 0, v20, vcc
	v_sub_u32_e32 v25, 0, v20
	v_ldexp_f32 v24, v24, v25
	v_ldexp_f32 v21, v21, v25
	v_add_f32_e32 v25, -1.0, v24
	v_add_f32_e32 v28, 1.0, v24
	v_add_f32_e32 v26, 1.0, v25
	v_add_f32_e32 v29, -1.0, v28
	v_sub_f32_e32 v26, v24, v26
	v_sub_f32_e32 v24, v24, v29
	v_add_f32_e32 v26, v21, v26
	v_add_f32_e32 v21, v21, v24
	v_add_f32_e32 v24, v28, v21
	v_rcp_f32_e32 v29, v24
	v_add_f32_e32 v27, v25, v26
	v_sub_f32_e32 v25, v25, v27
	v_add_f32_e32 v25, v26, v25
	v_sub_f32_e32 v26, v28, v24
	v_add_f32_e32 v21, v21, v26
	v_mul_f32_e32 v26, v27, v29
	v_mul_f32_e32 v28, v24, v26
	v_fma_f32 v49, v26, v24, -v28
	v_fmac_f32_e32 v49, v26, v21
	v_add_f32_e32 v50, v28, v49
	v_sub_f32_e32 v51, v27, v50
	v_sub_f32_e32 v27, v27, v51
	;; [unrolled: 1-line block ×4, first 2 shown]
	v_add_f32_e32 v25, v25, v27
	v_sub_f32_e32 v27, v28, v49
	v_add_f32_e32 v25, v27, v25
	v_add_f32_e32 v27, v51, v25
	v_mul_f32_e32 v28, v29, v27
	v_mul_f32_e32 v49, v24, v28
	v_fma_f32 v24, v28, v24, -v49
	v_fmac_f32_e32 v24, v28, v21
	v_sub_f32_e32 v21, v51, v27
	v_add_f32_e32 v21, v25, v21
	v_add_f32_e32 v25, v49, v24
	v_sub_f32_e32 v50, v27, v25
	v_sub_f32_e32 v27, v27, v50
	;; [unrolled: 1-line block ×4, first 2 shown]
	v_add_f32_e32 v21, v21, v25
	v_sub_f32_e32 v24, v49, v24
	v_add_f32_e32 v21, v24, v21
	v_add_f32_e32 v24, v26, v28
	;; [unrolled: 1-line block ×3, first 2 shown]
	v_sub_f32_e32 v25, v24, v26
	v_mul_f32_e32 v21, v29, v21
	v_sub_f32_e32 v25, v28, v25
	v_add_f32_e32 v21, v25, v21
	v_cvt_f32_i32_e32 v20, v20
	v_add_f32_e32 v25, v24, v21
	v_mul_f32_e32 v26, v25, v25
	v_mov_b32_e32 v27, 0x3ecc95a3
	v_fmac_f32_e32 v27, 0x3e9b6dac, v26
	v_mov_b32_e32 v28, 0x3f2aaada
	v_fmac_f32_e32 v28, v26, v27
	v_mul_f32_e32 v27, 0x3f317218, v20
	v_fma_f32 v29, v20, s4, -v27
	v_fmac_f32_e32 v29, 0xb102e308, v20
	v_sub_f32_e32 v20, v25, v24
	v_sub_f32_e32 v20, v21, v20
	v_add_f32_e32 v21, v27, v29
	v_sub_f32_e32 v24, v21, v27
	v_ldexp_f32 v27, v25, 1
	v_mul_f32_e32 v25, v25, v26
	v_mul_f32_e32 v25, v25, v28
	v_add_f32_e32 v26, v27, v25
	v_sub_f32_e32 v27, v26, v27
	v_ldexp_f32 v20, v20, 1
	v_sub_f32_e32 v25, v25, v27
	v_add_f32_e32 v20, v20, v25
	v_add_f32_e32 v25, v26, v20
	v_sub_f32_e32 v26, v25, v26
	v_sub_f32_e32 v20, v20, v26
	v_add_f32_e32 v26, v21, v25
	v_sub_f32_e32 v27, v26, v21
	v_sub_f32_e32 v28, v26, v27
	;; [unrolled: 1-line block ×5, first 2 shown]
	v_add_f32_e32 v21, v25, v21
	v_add_f32_e32 v25, v24, v20
	v_sub_f32_e32 v27, v25, v24
	v_sub_f32_e32 v28, v25, v27
	;; [unrolled: 1-line block ×4, first 2 shown]
	v_add_f32_e32 v21, v25, v21
	v_add_f32_e32 v20, v20, v24
	;; [unrolled: 1-line block ×3, first 2 shown]
	v_sub_f32_e32 v25, v24, v26
	v_sub_f32_e32 v21, v21, v25
	v_add_f32_e32 v20, v20, v21
	v_add_f32_e32 v20, v24, v20
	v_cmp_neq_f32_e32 vcc, s2, v23
	s_mov_b32 s2, 0x33800000
	v_cndmask_b32_e32 v20, v22, v20, vcc
	v_cmp_lt_f32_e64 vcc, |v23|, s2
	v_cndmask_b32_e32 v20, v20, v23, vcc
	v_add_f32_e32 v20, v19, v20
.LBB478_158:
	s_or_b64 exec, exec, s[0:1]
	v_bfe_u32 v19, v20, 16, 1
	v_add3_u32 v19, v20, v19, s3
	v_cmp_o_f32_e32 vcc, v20, v20
	v_cndmask_b32_sdwa v18, v18, v19, vcc dst_sel:DWORD dst_unused:UNUSED_PAD src0_sel:DWORD src1_sel:WORD_1
	v_lshlrev_b32_e32 v19, 16, v18
	v_max_f32_e32 v21, v19, v19
	v_min_f32_e32 v20, v21, v31
	v_cmp_u_f32_e32 vcc, v19, v19
	v_max_f32_e32 v21, v21, v31
	v_cndmask_b32_e32 v20, v20, v19, vcc
	v_cndmask_b32_e32 v21, v21, v19, vcc
	v_cndmask_b32_e64 v20, v20, v10, s[70:71]
	v_cndmask_b32_e64 v10, v21, v10, s[70:71]
	s_movk_i32 s2, 0x1f8
	v_cmp_neq_f32_e32 vcc, v20, v10
	v_cmp_class_f32_e64 s[0:1], v20, s2
	s_or_b64 s[4:5], vcc, s[0:1]
	s_and_saveexec_b64 s[0:1], s[4:5]
	s_cbranch_execz .LBB478_160
; %bb.159:
	v_sub_f32_e32 v19, v20, v10
	s_mov_b32 s3, 0x3fb8aa3b
	v_mul_f32_e32 v20, 0x3fb8aa3b, v19
	v_fma_f32 v21, v19, s3, -v20
	v_rndne_f32_e32 v22, v20
	v_fmac_f32_e32 v21, 0x32a5705f, v19
	v_sub_f32_e32 v20, v20, v22
	v_add_f32_e32 v20, v20, v21
	v_exp_f32_e32 v20, v20
	v_cvt_i32_f32_e32 v21, v22
	s_mov_b32 s3, 0xc2ce8ed0
	v_cmp_ngt_f32_e32 vcc, s3, v19
	s_mov_b32 s3, 0x42b17218
	v_ldexp_f32 v20, v20, v21
	v_cndmask_b32_e32 v20, 0, v20, vcc
	v_mov_b32_e32 v21, 0x7f800000
	v_cmp_nlt_f32_e32 vcc, s3, v19
	v_cndmask_b32_e32 v22, v21, v20, vcc
	v_add_f32_e32 v23, 1.0, v22
	v_cvt_f64_f32_e32 v[19:20], v23
	v_add_f32_e32 v24, -1.0, v23
	v_sub_f32_e32 v25, v24, v23
	v_sub_f32_e32 v24, v22, v24
	v_frexp_exp_i32_f64_e32 v19, v[19:20]
	v_add_f32_e32 v20, 1.0, v25
	v_add_f32_e32 v20, v24, v20
	v_frexp_mant_f32_e32 v24, v23
	s_mov_b32 s4, 0x3f2aaaab
	v_cmp_gt_f32_e32 vcc, s4, v24
	s_mov_b32 s4, 0x3f317218
	s_mov_b32 s3, 0x7f800000
	v_subbrev_co_u32_e32 v19, vcc, 0, v19, vcc
	v_sub_u32_e32 v24, 0, v19
	v_ldexp_f32 v23, v23, v24
	v_ldexp_f32 v20, v20, v24
	v_add_f32_e32 v24, -1.0, v23
	v_add_f32_e32 v27, 1.0, v23
	v_add_f32_e32 v25, 1.0, v24
	v_add_f32_e32 v28, -1.0, v27
	v_sub_f32_e32 v25, v23, v25
	v_sub_f32_e32 v23, v23, v28
	v_add_f32_e32 v25, v20, v25
	v_add_f32_e32 v20, v20, v23
	;; [unrolled: 1-line block ×3, first 2 shown]
	v_rcp_f32_e32 v28, v23
	v_add_f32_e32 v26, v24, v25
	v_sub_f32_e32 v24, v24, v26
	v_add_f32_e32 v24, v25, v24
	v_sub_f32_e32 v25, v27, v23
	v_add_f32_e32 v20, v20, v25
	v_mul_f32_e32 v25, v26, v28
	v_mul_f32_e32 v27, v23, v25
	v_fma_f32 v29, v25, v23, -v27
	v_fmac_f32_e32 v29, v25, v20
	v_add_f32_e32 v31, v27, v29
	v_sub_f32_e32 v49, v26, v31
	v_sub_f32_e32 v26, v26, v49
	v_sub_f32_e32 v27, v31, v27
	v_sub_f32_e32 v26, v26, v31
	v_add_f32_e32 v24, v24, v26
	v_sub_f32_e32 v26, v27, v29
	v_add_f32_e32 v24, v26, v24
	v_add_f32_e32 v26, v49, v24
	v_mul_f32_e32 v27, v28, v26
	v_mul_f32_e32 v29, v23, v27
	v_fma_f32 v23, v27, v23, -v29
	v_fmac_f32_e32 v23, v27, v20
	v_sub_f32_e32 v20, v49, v26
	v_add_f32_e32 v20, v24, v20
	v_add_f32_e32 v24, v29, v23
	v_sub_f32_e32 v31, v26, v24
	v_sub_f32_e32 v26, v26, v31
	;; [unrolled: 1-line block ×4, first 2 shown]
	v_add_f32_e32 v20, v20, v24
	v_sub_f32_e32 v23, v29, v23
	v_add_f32_e32 v20, v23, v20
	v_add_f32_e32 v23, v25, v27
	;; [unrolled: 1-line block ×3, first 2 shown]
	v_sub_f32_e32 v24, v23, v25
	v_mul_f32_e32 v20, v28, v20
	v_sub_f32_e32 v24, v27, v24
	v_add_f32_e32 v20, v24, v20
	v_cvt_f32_i32_e32 v19, v19
	v_add_f32_e32 v24, v23, v20
	v_mul_f32_e32 v25, v24, v24
	v_mov_b32_e32 v26, 0x3ecc95a3
	v_fmac_f32_e32 v26, 0x3e9b6dac, v25
	v_mov_b32_e32 v27, 0x3f2aaada
	v_fmac_f32_e32 v27, v25, v26
	v_mul_f32_e32 v26, 0x3f317218, v19
	v_fma_f32 v28, v19, s4, -v26
	v_fmac_f32_e32 v28, 0xb102e308, v19
	v_sub_f32_e32 v19, v24, v23
	v_sub_f32_e32 v19, v20, v19
	v_add_f32_e32 v20, v26, v28
	v_sub_f32_e32 v23, v20, v26
	v_ldexp_f32 v26, v24, 1
	v_mul_f32_e32 v24, v24, v25
	v_mul_f32_e32 v24, v24, v27
	v_add_f32_e32 v25, v26, v24
	v_sub_f32_e32 v26, v25, v26
	v_ldexp_f32 v19, v19, 1
	v_sub_f32_e32 v24, v24, v26
	v_add_f32_e32 v19, v19, v24
	v_add_f32_e32 v24, v25, v19
	v_sub_f32_e32 v25, v24, v25
	v_sub_f32_e32 v19, v19, v25
	v_add_f32_e32 v25, v20, v24
	v_sub_f32_e32 v26, v25, v20
	v_sub_f32_e32 v27, v25, v26
	;; [unrolled: 1-line block ×5, first 2 shown]
	v_add_f32_e32 v20, v24, v20
	v_add_f32_e32 v24, v23, v19
	v_sub_f32_e32 v26, v24, v23
	v_sub_f32_e32 v27, v24, v26
	;; [unrolled: 1-line block ×4, first 2 shown]
	v_add_f32_e32 v20, v24, v20
	v_add_f32_e32 v19, v19, v23
	;; [unrolled: 1-line block ×3, first 2 shown]
	v_sub_f32_e32 v24, v23, v25
	v_sub_f32_e32 v20, v20, v24
	v_add_f32_e32 v19, v19, v20
	v_add_f32_e32 v19, v23, v19
	v_cmp_neq_f32_e32 vcc, s3, v22
	s_mov_b32 s3, 0x33800000
	v_cndmask_b32_e32 v19, v21, v19, vcc
	v_cmp_lt_f32_e64 vcc, |v22|, s3
	v_cndmask_b32_e32 v19, v19, v22, vcc
	v_add_f32_e32 v19, v10, v19
.LBB478_160:
	s_or_b64 exec, exec, s[0:1]
	v_bfe_u32 v10, v19, 16, 1
	s_movk_i32 s3, 0x7fff
	v_add3_u32 v10, v19, v10, s3
	v_cmp_o_f32_e32 vcc, v19, v19
	v_mov_b32_e32 v19, 0x7fc0
	v_cndmask_b32_sdwa v10, v19, v10, vcc dst_sel:DWORD dst_unused:UNUSED_PAD src0_sel:DWORD src1_sel:WORD_1
	v_lshlrev_b32_e32 v21, 16, v10
	v_max_f32_e32 v20, v21, v21
	v_min_f32_e32 v22, v20, v32
	v_cmp_u_f32_e32 vcc, v21, v21
	v_max_f32_e32 v20, v20, v32
	v_cndmask_b32_e32 v22, v22, v21, vcc
	v_cndmask_b32_e32 v20, v20, v21, vcc
	v_cndmask_b32_e64 v22, v22, v30, s[72:73]
	v_cndmask_b32_e64 v20, v20, v30, s[72:73]
	v_cmp_neq_f32_e32 vcc, v22, v20
	v_cmp_class_f32_e64 s[0:1], v22, s2
	s_or_b64 s[4:5], vcc, s[0:1]
	s_and_saveexec_b64 s[0:1], s[4:5]
	s_cbranch_execz .LBB478_162
; %bb.161:
	v_sub_f32_e32 v21, v22, v20
	s_mov_b32 s2, 0x3fb8aa3b
	v_mul_f32_e32 v22, 0x3fb8aa3b, v21
	v_fma_f32 v23, v21, s2, -v22
	v_rndne_f32_e32 v24, v22
	v_fmac_f32_e32 v23, 0x32a5705f, v21
	v_sub_f32_e32 v22, v22, v24
	v_add_f32_e32 v22, v22, v23
	v_exp_f32_e32 v22, v22
	v_cvt_i32_f32_e32 v23, v24
	s_mov_b32 s2, 0xc2ce8ed0
	v_cmp_ngt_f32_e32 vcc, s2, v21
	s_mov_b32 s2, 0x42b17218
	v_ldexp_f32 v22, v22, v23
	v_cndmask_b32_e32 v22, 0, v22, vcc
	v_mov_b32_e32 v23, 0x7f800000
	v_cmp_nlt_f32_e32 vcc, s2, v21
	v_cndmask_b32_e32 v24, v23, v22, vcc
	v_add_f32_e32 v25, 1.0, v24
	v_cvt_f64_f32_e32 v[21:22], v25
	v_add_f32_e32 v26, -1.0, v25
	v_sub_f32_e32 v27, v26, v25
	v_sub_f32_e32 v26, v24, v26
	v_frexp_exp_i32_f64_e32 v21, v[21:22]
	v_add_f32_e32 v22, 1.0, v27
	v_add_f32_e32 v22, v26, v22
	v_frexp_mant_f32_e32 v26, v25
	s_mov_b32 s4, 0x3f2aaaab
	v_cmp_gt_f32_e32 vcc, s4, v26
	s_mov_b32 s4, 0x3f317218
	s_mov_b32 s2, 0x7f800000
	v_subbrev_co_u32_e32 v21, vcc, 0, v21, vcc
	v_sub_u32_e32 v26, 0, v21
	v_ldexp_f32 v25, v25, v26
	v_ldexp_f32 v22, v22, v26
	v_add_f32_e32 v26, -1.0, v25
	v_add_f32_e32 v29, 1.0, v25
	v_add_f32_e32 v27, 1.0, v26
	v_add_f32_e32 v30, -1.0, v29
	v_sub_f32_e32 v27, v25, v27
	v_sub_f32_e32 v25, v25, v30
	v_add_f32_e32 v27, v22, v27
	v_add_f32_e32 v22, v22, v25
	;; [unrolled: 1-line block ×3, first 2 shown]
	v_rcp_f32_e32 v30, v25
	v_add_f32_e32 v28, v26, v27
	v_sub_f32_e32 v26, v26, v28
	v_add_f32_e32 v26, v27, v26
	v_sub_f32_e32 v27, v29, v25
	v_add_f32_e32 v22, v22, v27
	v_mul_f32_e32 v27, v28, v30
	v_mul_f32_e32 v29, v25, v27
	v_fma_f32 v31, v27, v25, -v29
	v_fmac_f32_e32 v31, v27, v22
	v_add_f32_e32 v32, v29, v31
	v_sub_f32_e32 v49, v28, v32
	v_sub_f32_e32 v28, v28, v49
	;; [unrolled: 1-line block ×4, first 2 shown]
	v_add_f32_e32 v26, v26, v28
	v_sub_f32_e32 v28, v29, v31
	v_add_f32_e32 v26, v28, v26
	v_add_f32_e32 v28, v49, v26
	v_mul_f32_e32 v29, v30, v28
	v_mul_f32_e32 v31, v25, v29
	v_fma_f32 v25, v29, v25, -v31
	v_fmac_f32_e32 v25, v29, v22
	v_sub_f32_e32 v22, v49, v28
	v_add_f32_e32 v22, v26, v22
	v_add_f32_e32 v26, v31, v25
	v_sub_f32_e32 v32, v28, v26
	v_sub_f32_e32 v28, v28, v32
	;; [unrolled: 1-line block ×4, first 2 shown]
	v_add_f32_e32 v22, v22, v26
	v_sub_f32_e32 v25, v31, v25
	v_add_f32_e32 v22, v25, v22
	v_add_f32_e32 v25, v27, v29
	;; [unrolled: 1-line block ×3, first 2 shown]
	v_sub_f32_e32 v26, v25, v27
	v_mul_f32_e32 v22, v30, v22
	v_sub_f32_e32 v26, v29, v26
	v_add_f32_e32 v22, v26, v22
	v_cvt_f32_i32_e32 v21, v21
	v_add_f32_e32 v26, v25, v22
	v_mul_f32_e32 v27, v26, v26
	v_mov_b32_e32 v28, 0x3ecc95a3
	v_fmac_f32_e32 v28, 0x3e9b6dac, v27
	v_mov_b32_e32 v29, 0x3f2aaada
	v_fmac_f32_e32 v29, v27, v28
	v_mul_f32_e32 v28, 0x3f317218, v21
	v_fma_f32 v30, v21, s4, -v28
	v_fmac_f32_e32 v30, 0xb102e308, v21
	v_sub_f32_e32 v21, v26, v25
	v_sub_f32_e32 v21, v22, v21
	v_add_f32_e32 v22, v28, v30
	v_sub_f32_e32 v25, v22, v28
	v_ldexp_f32 v28, v26, 1
	v_mul_f32_e32 v26, v26, v27
	v_mul_f32_e32 v26, v26, v29
	v_add_f32_e32 v27, v28, v26
	v_sub_f32_e32 v28, v27, v28
	v_ldexp_f32 v21, v21, 1
	v_sub_f32_e32 v26, v26, v28
	v_add_f32_e32 v21, v21, v26
	v_add_f32_e32 v26, v27, v21
	v_sub_f32_e32 v27, v26, v27
	v_sub_f32_e32 v21, v21, v27
	v_add_f32_e32 v27, v22, v26
	v_sub_f32_e32 v28, v27, v22
	v_sub_f32_e32 v29, v27, v28
	;; [unrolled: 1-line block ×5, first 2 shown]
	v_add_f32_e32 v22, v26, v22
	v_add_f32_e32 v26, v25, v21
	v_sub_f32_e32 v28, v26, v25
	v_sub_f32_e32 v29, v26, v28
	;; [unrolled: 1-line block ×4, first 2 shown]
	v_add_f32_e32 v22, v26, v22
	v_add_f32_e32 v21, v21, v25
	;; [unrolled: 1-line block ×3, first 2 shown]
	v_sub_f32_e32 v26, v25, v27
	v_sub_f32_e32 v22, v22, v26
	v_add_f32_e32 v21, v21, v22
	v_add_f32_e32 v21, v25, v21
	v_cmp_neq_f32_e32 vcc, s2, v24
	s_mov_b32 s2, 0x33800000
	v_cndmask_b32_e32 v21, v23, v21, vcc
	v_cmp_lt_f32_e64 vcc, |v24|, s2
	v_cndmask_b32_e32 v21, v21, v24, vcc
	v_add_f32_e32 v21, v20, v21
.LBB478_162:
	s_or_b64 exec, exec, s[0:1]
	v_bfe_u32 v20, v21, 16, 1
	v_add3_u32 v20, v21, v20, s3
	v_cmp_o_f32_e32 vcc, v21, v21
	v_cndmask_b32_sdwa v19, v19, v20, vcc dst_sel:DWORD dst_unused:UNUSED_PAD src0_sel:DWORD src1_sel:WORD_1
	v_lshlrev_b32_e32 v20, 16, v19
	v_max_f32_e32 v22, v20, v20
	v_min_f32_e32 v21, v22, v34
	v_cmp_u_f32_e32 vcc, v20, v20
	v_max_f32_e32 v22, v22, v34
	v_cndmask_b32_e32 v21, v21, v20, vcc
	v_cndmask_b32_e32 v22, v22, v20, vcc
	v_cndmask_b32_e64 v21, v21, v11, s[74:75]
	v_cndmask_b32_e64 v11, v22, v11, s[74:75]
	s_movk_i32 s2, 0x1f8
	v_cmp_neq_f32_e32 vcc, v21, v11
	v_cmp_class_f32_e64 s[0:1], v21, s2
	s_or_b64 s[4:5], vcc, s[0:1]
	s_and_saveexec_b64 s[0:1], s[4:5]
	s_cbranch_execz .LBB478_164
; %bb.163:
	v_sub_f32_e32 v20, v21, v11
	s_mov_b32 s3, 0x3fb8aa3b
	v_mul_f32_e32 v21, 0x3fb8aa3b, v20
	v_fma_f32 v22, v20, s3, -v21
	v_rndne_f32_e32 v23, v21
	v_fmac_f32_e32 v22, 0x32a5705f, v20
	v_sub_f32_e32 v21, v21, v23
	v_add_f32_e32 v21, v21, v22
	v_exp_f32_e32 v21, v21
	v_cvt_i32_f32_e32 v22, v23
	s_mov_b32 s3, 0xc2ce8ed0
	v_cmp_ngt_f32_e32 vcc, s3, v20
	s_mov_b32 s3, 0x42b17218
	v_ldexp_f32 v21, v21, v22
	v_cndmask_b32_e32 v21, 0, v21, vcc
	v_mov_b32_e32 v22, 0x7f800000
	v_cmp_nlt_f32_e32 vcc, s3, v20
	v_cndmask_b32_e32 v23, v22, v21, vcc
	v_add_f32_e32 v24, 1.0, v23
	v_cvt_f64_f32_e32 v[20:21], v24
	v_add_f32_e32 v25, -1.0, v24
	v_sub_f32_e32 v26, v25, v24
	v_sub_f32_e32 v25, v23, v25
	v_frexp_exp_i32_f64_e32 v20, v[20:21]
	v_add_f32_e32 v21, 1.0, v26
	v_add_f32_e32 v21, v25, v21
	v_frexp_mant_f32_e32 v25, v24
	s_mov_b32 s4, 0x3f2aaaab
	v_cmp_gt_f32_e32 vcc, s4, v25
	s_mov_b32 s4, 0x3f317218
	s_mov_b32 s3, 0x7f800000
	v_subbrev_co_u32_e32 v20, vcc, 0, v20, vcc
	v_sub_u32_e32 v25, 0, v20
	v_ldexp_f32 v24, v24, v25
	v_ldexp_f32 v21, v21, v25
	v_add_f32_e32 v25, -1.0, v24
	v_add_f32_e32 v28, 1.0, v24
	v_add_f32_e32 v26, 1.0, v25
	v_add_f32_e32 v29, -1.0, v28
	v_sub_f32_e32 v26, v24, v26
	v_sub_f32_e32 v24, v24, v29
	v_add_f32_e32 v26, v21, v26
	v_add_f32_e32 v21, v21, v24
	;; [unrolled: 1-line block ×3, first 2 shown]
	v_rcp_f32_e32 v29, v24
	v_add_f32_e32 v27, v25, v26
	v_sub_f32_e32 v25, v25, v27
	v_add_f32_e32 v25, v26, v25
	v_sub_f32_e32 v26, v28, v24
	v_add_f32_e32 v21, v21, v26
	v_mul_f32_e32 v26, v27, v29
	v_mul_f32_e32 v28, v24, v26
	v_fma_f32 v30, v26, v24, -v28
	v_fmac_f32_e32 v30, v26, v21
	v_add_f32_e32 v31, v28, v30
	v_sub_f32_e32 v32, v27, v31
	v_sub_f32_e32 v27, v27, v32
	;; [unrolled: 1-line block ×4, first 2 shown]
	v_add_f32_e32 v25, v25, v27
	v_sub_f32_e32 v27, v28, v30
	v_add_f32_e32 v25, v27, v25
	v_add_f32_e32 v27, v32, v25
	v_mul_f32_e32 v28, v29, v27
	v_mul_f32_e32 v30, v24, v28
	v_fma_f32 v24, v28, v24, -v30
	v_fmac_f32_e32 v24, v28, v21
	v_sub_f32_e32 v21, v32, v27
	v_add_f32_e32 v21, v25, v21
	v_add_f32_e32 v25, v30, v24
	v_sub_f32_e32 v31, v27, v25
	v_sub_f32_e32 v27, v27, v31
	;; [unrolled: 1-line block ×4, first 2 shown]
	v_add_f32_e32 v21, v21, v25
	v_sub_f32_e32 v24, v30, v24
	v_add_f32_e32 v21, v24, v21
	v_add_f32_e32 v24, v26, v28
	;; [unrolled: 1-line block ×3, first 2 shown]
	v_sub_f32_e32 v25, v24, v26
	v_mul_f32_e32 v21, v29, v21
	v_sub_f32_e32 v25, v28, v25
	v_add_f32_e32 v21, v25, v21
	v_cvt_f32_i32_e32 v20, v20
	v_add_f32_e32 v25, v24, v21
	v_mul_f32_e32 v26, v25, v25
	v_mov_b32_e32 v27, 0x3ecc95a3
	v_fmac_f32_e32 v27, 0x3e9b6dac, v26
	v_mov_b32_e32 v28, 0x3f2aaada
	v_fmac_f32_e32 v28, v26, v27
	v_mul_f32_e32 v27, 0x3f317218, v20
	v_fma_f32 v29, v20, s4, -v27
	v_fmac_f32_e32 v29, 0xb102e308, v20
	v_sub_f32_e32 v20, v25, v24
	v_sub_f32_e32 v20, v21, v20
	v_add_f32_e32 v21, v27, v29
	v_sub_f32_e32 v24, v21, v27
	v_ldexp_f32 v27, v25, 1
	v_mul_f32_e32 v25, v25, v26
	v_mul_f32_e32 v25, v25, v28
	v_add_f32_e32 v26, v27, v25
	v_sub_f32_e32 v27, v26, v27
	v_ldexp_f32 v20, v20, 1
	v_sub_f32_e32 v25, v25, v27
	v_add_f32_e32 v20, v20, v25
	v_add_f32_e32 v25, v26, v20
	v_sub_f32_e32 v26, v25, v26
	v_sub_f32_e32 v20, v20, v26
	v_add_f32_e32 v26, v21, v25
	v_sub_f32_e32 v27, v26, v21
	v_sub_f32_e32 v28, v26, v27
	;; [unrolled: 1-line block ×5, first 2 shown]
	v_add_f32_e32 v21, v25, v21
	v_add_f32_e32 v25, v24, v20
	v_sub_f32_e32 v27, v25, v24
	v_sub_f32_e32 v28, v25, v27
	;; [unrolled: 1-line block ×4, first 2 shown]
	v_add_f32_e32 v21, v25, v21
	v_add_f32_e32 v20, v20, v24
	;; [unrolled: 1-line block ×3, first 2 shown]
	v_sub_f32_e32 v25, v24, v26
	v_sub_f32_e32 v21, v21, v25
	v_add_f32_e32 v20, v20, v21
	v_add_f32_e32 v20, v24, v20
	v_cmp_neq_f32_e32 vcc, s3, v23
	s_mov_b32 s3, 0x33800000
	v_cndmask_b32_e32 v20, v22, v20, vcc
	v_cmp_lt_f32_e64 vcc, |v23|, s3
	v_cndmask_b32_e32 v20, v20, v23, vcc
	v_add_f32_e32 v20, v11, v20
.LBB478_164:
	s_or_b64 exec, exec, s[0:1]
	v_bfe_u32 v11, v20, 16, 1
	s_movk_i32 s3, 0x7fff
	v_add3_u32 v11, v20, v11, s3
	v_cmp_o_f32_e32 vcc, v20, v20
	v_mov_b32_e32 v20, 0x7fc0
	v_cndmask_b32_sdwa v11, v20, v11, vcc dst_sel:DWORD dst_unused:UNUSED_PAD src0_sel:DWORD src1_sel:WORD_1
	v_lshlrev_b32_e32 v22, 16, v11
	v_max_f32_e32 v21, v22, v22
	v_min_f32_e32 v23, v21, v35
	v_cmp_u_f32_e32 vcc, v22, v22
	v_max_f32_e32 v21, v21, v35
	v_cndmask_b32_e32 v23, v23, v22, vcc
	v_cndmask_b32_e32 v21, v21, v22, vcc
	v_cndmask_b32_e64 v23, v23, v33, s[76:77]
	v_cndmask_b32_e64 v21, v21, v33, s[76:77]
	v_cmp_neq_f32_e32 vcc, v23, v21
	v_cmp_class_f32_e64 s[0:1], v23, s2
	s_or_b64 s[4:5], vcc, s[0:1]
	s_and_saveexec_b64 s[0:1], s[4:5]
	s_cbranch_execz .LBB478_166
; %bb.165:
	v_sub_f32_e32 v22, v23, v21
	s_mov_b32 s2, 0x3fb8aa3b
	v_mul_f32_e32 v23, 0x3fb8aa3b, v22
	v_fma_f32 v24, v22, s2, -v23
	v_rndne_f32_e32 v25, v23
	v_fmac_f32_e32 v24, 0x32a5705f, v22
	v_sub_f32_e32 v23, v23, v25
	v_add_f32_e32 v23, v23, v24
	v_exp_f32_e32 v23, v23
	v_cvt_i32_f32_e32 v24, v25
	s_mov_b32 s2, 0xc2ce8ed0
	v_cmp_ngt_f32_e32 vcc, s2, v22
	s_mov_b32 s2, 0x42b17218
	v_ldexp_f32 v23, v23, v24
	v_cndmask_b32_e32 v23, 0, v23, vcc
	v_mov_b32_e32 v24, 0x7f800000
	v_cmp_nlt_f32_e32 vcc, s2, v22
	v_cndmask_b32_e32 v25, v24, v23, vcc
	v_add_f32_e32 v26, 1.0, v25
	v_cvt_f64_f32_e32 v[22:23], v26
	v_add_f32_e32 v27, -1.0, v26
	v_sub_f32_e32 v28, v27, v26
	v_sub_f32_e32 v27, v25, v27
	v_frexp_exp_i32_f64_e32 v22, v[22:23]
	v_add_f32_e32 v23, 1.0, v28
	v_add_f32_e32 v23, v27, v23
	v_frexp_mant_f32_e32 v27, v26
	s_mov_b32 s4, 0x3f2aaaab
	v_cmp_gt_f32_e32 vcc, s4, v27
	s_mov_b32 s4, 0x3f317218
	s_mov_b32 s2, 0x7f800000
	v_subbrev_co_u32_e32 v22, vcc, 0, v22, vcc
	v_sub_u32_e32 v27, 0, v22
	v_ldexp_f32 v26, v26, v27
	v_ldexp_f32 v23, v23, v27
	v_add_f32_e32 v27, -1.0, v26
	v_add_f32_e32 v30, 1.0, v26
	v_add_f32_e32 v28, 1.0, v27
	v_add_f32_e32 v31, -1.0, v30
	v_sub_f32_e32 v28, v26, v28
	v_sub_f32_e32 v26, v26, v31
	v_add_f32_e32 v28, v23, v28
	v_add_f32_e32 v23, v23, v26
	;; [unrolled: 1-line block ×3, first 2 shown]
	v_rcp_f32_e32 v31, v26
	v_add_f32_e32 v29, v27, v28
	v_sub_f32_e32 v27, v27, v29
	v_add_f32_e32 v27, v28, v27
	v_sub_f32_e32 v28, v30, v26
	v_add_f32_e32 v23, v23, v28
	v_mul_f32_e32 v28, v29, v31
	v_mul_f32_e32 v30, v26, v28
	v_fma_f32 v32, v28, v26, -v30
	v_fmac_f32_e32 v32, v28, v23
	v_add_f32_e32 v33, v30, v32
	v_sub_f32_e32 v34, v29, v33
	v_sub_f32_e32 v29, v29, v34
	;; [unrolled: 1-line block ×4, first 2 shown]
	v_add_f32_e32 v27, v27, v29
	v_sub_f32_e32 v29, v30, v32
	v_add_f32_e32 v27, v29, v27
	v_add_f32_e32 v29, v34, v27
	v_mul_f32_e32 v30, v31, v29
	v_mul_f32_e32 v32, v26, v30
	v_fma_f32 v26, v30, v26, -v32
	v_fmac_f32_e32 v26, v30, v23
	v_sub_f32_e32 v23, v34, v29
	v_add_f32_e32 v23, v27, v23
	v_add_f32_e32 v27, v32, v26
	v_sub_f32_e32 v33, v29, v27
	v_sub_f32_e32 v29, v29, v33
	;; [unrolled: 1-line block ×4, first 2 shown]
	v_add_f32_e32 v23, v23, v27
	v_sub_f32_e32 v26, v32, v26
	v_add_f32_e32 v23, v26, v23
	v_add_f32_e32 v26, v28, v30
	;; [unrolled: 1-line block ×3, first 2 shown]
	v_sub_f32_e32 v27, v26, v28
	v_mul_f32_e32 v23, v31, v23
	v_sub_f32_e32 v27, v30, v27
	v_add_f32_e32 v23, v27, v23
	v_cvt_f32_i32_e32 v22, v22
	v_add_f32_e32 v27, v26, v23
	v_mul_f32_e32 v28, v27, v27
	v_mov_b32_e32 v29, 0x3ecc95a3
	v_fmac_f32_e32 v29, 0x3e9b6dac, v28
	v_mov_b32_e32 v30, 0x3f2aaada
	v_fmac_f32_e32 v30, v28, v29
	v_mul_f32_e32 v29, 0x3f317218, v22
	v_fma_f32 v31, v22, s4, -v29
	v_fmac_f32_e32 v31, 0xb102e308, v22
	v_sub_f32_e32 v22, v27, v26
	v_sub_f32_e32 v22, v23, v22
	v_add_f32_e32 v23, v29, v31
	v_sub_f32_e32 v26, v23, v29
	v_ldexp_f32 v29, v27, 1
	v_mul_f32_e32 v27, v27, v28
	v_mul_f32_e32 v27, v27, v30
	v_add_f32_e32 v28, v29, v27
	v_sub_f32_e32 v29, v28, v29
	v_ldexp_f32 v22, v22, 1
	v_sub_f32_e32 v27, v27, v29
	v_add_f32_e32 v22, v22, v27
	v_add_f32_e32 v27, v28, v22
	v_sub_f32_e32 v28, v27, v28
	v_sub_f32_e32 v22, v22, v28
	v_add_f32_e32 v28, v23, v27
	v_sub_f32_e32 v29, v28, v23
	v_sub_f32_e32 v30, v28, v29
	;; [unrolled: 1-line block ×5, first 2 shown]
	v_add_f32_e32 v23, v27, v23
	v_add_f32_e32 v27, v26, v22
	v_sub_f32_e32 v29, v27, v26
	v_sub_f32_e32 v30, v27, v29
	;; [unrolled: 1-line block ×4, first 2 shown]
	v_add_f32_e32 v23, v27, v23
	v_add_f32_e32 v22, v22, v26
	v_add_f32_e32 v26, v28, v23
	v_sub_f32_e32 v27, v26, v28
	v_sub_f32_e32 v23, v23, v27
	v_add_f32_e32 v22, v22, v23
	v_add_f32_e32 v22, v26, v22
	v_cmp_neq_f32_e32 vcc, s2, v25
	s_mov_b32 s2, 0x33800000
	v_cndmask_b32_e32 v22, v24, v22, vcc
	v_cmp_lt_f32_e64 vcc, |v25|, s2
	v_cndmask_b32_e32 v22, v22, v25, vcc
	v_add_f32_e32 v22, v21, v22
.LBB478_166:
	s_or_b64 exec, exec, s[0:1]
	v_bfe_u32 v21, v22, 16, 1
	v_add3_u32 v21, v22, v21, s3
	v_cmp_o_f32_e32 vcc, v22, v22
	v_cndmask_b32_sdwa v20, v20, v21, vcc dst_sel:DWORD dst_unused:UNUSED_PAD src0_sel:DWORD src1_sel:WORD_1
	v_lshlrev_b32_e32 v21, 16, v20
	v_max_f32_e32 v23, v21, v21
	v_min_f32_e32 v22, v23, v37
	v_cmp_u_f32_e32 vcc, v21, v21
	v_max_f32_e32 v23, v23, v37
	v_cndmask_b32_e32 v22, v22, v21, vcc
	v_cndmask_b32_e32 v23, v23, v21, vcc
	v_cndmask_b32_e64 v22, v22, v12, s[78:79]
	v_cndmask_b32_e64 v12, v23, v12, s[78:79]
	s_movk_i32 s2, 0x1f8
	v_cmp_neq_f32_e32 vcc, v22, v12
	v_cmp_class_f32_e64 s[0:1], v22, s2
	s_or_b64 s[4:5], vcc, s[0:1]
	s_and_saveexec_b64 s[0:1], s[4:5]
	s_cbranch_execz .LBB478_168
; %bb.167:
	v_sub_f32_e32 v21, v22, v12
	s_mov_b32 s3, 0x3fb8aa3b
	v_mul_f32_e32 v22, 0x3fb8aa3b, v21
	v_fma_f32 v23, v21, s3, -v22
	v_rndne_f32_e32 v24, v22
	v_fmac_f32_e32 v23, 0x32a5705f, v21
	v_sub_f32_e32 v22, v22, v24
	v_add_f32_e32 v22, v22, v23
	v_exp_f32_e32 v22, v22
	v_cvt_i32_f32_e32 v23, v24
	s_mov_b32 s3, 0xc2ce8ed0
	v_cmp_ngt_f32_e32 vcc, s3, v21
	s_mov_b32 s3, 0x42b17218
	v_ldexp_f32 v22, v22, v23
	v_cndmask_b32_e32 v22, 0, v22, vcc
	v_mov_b32_e32 v23, 0x7f800000
	v_cmp_nlt_f32_e32 vcc, s3, v21
	v_cndmask_b32_e32 v24, v23, v22, vcc
	v_add_f32_e32 v25, 1.0, v24
	v_cvt_f64_f32_e32 v[21:22], v25
	v_add_f32_e32 v26, -1.0, v25
	v_sub_f32_e32 v27, v26, v25
	v_sub_f32_e32 v26, v24, v26
	v_frexp_exp_i32_f64_e32 v21, v[21:22]
	v_add_f32_e32 v22, 1.0, v27
	v_add_f32_e32 v22, v26, v22
	v_frexp_mant_f32_e32 v26, v25
	s_mov_b32 s4, 0x3f2aaaab
	v_cmp_gt_f32_e32 vcc, s4, v26
	s_mov_b32 s4, 0x3f317218
	s_mov_b32 s3, 0x7f800000
	v_subbrev_co_u32_e32 v21, vcc, 0, v21, vcc
	v_sub_u32_e32 v26, 0, v21
	v_ldexp_f32 v25, v25, v26
	v_ldexp_f32 v22, v22, v26
	v_add_f32_e32 v26, -1.0, v25
	v_add_f32_e32 v29, 1.0, v25
	v_add_f32_e32 v27, 1.0, v26
	v_add_f32_e32 v30, -1.0, v29
	v_sub_f32_e32 v27, v25, v27
	v_sub_f32_e32 v25, v25, v30
	v_add_f32_e32 v27, v22, v27
	v_add_f32_e32 v22, v22, v25
	v_add_f32_e32 v25, v29, v22
	v_rcp_f32_e32 v30, v25
	v_add_f32_e32 v28, v26, v27
	v_sub_f32_e32 v26, v26, v28
	v_add_f32_e32 v26, v27, v26
	v_sub_f32_e32 v27, v29, v25
	v_add_f32_e32 v22, v22, v27
	v_mul_f32_e32 v27, v28, v30
	v_mul_f32_e32 v29, v25, v27
	v_fma_f32 v31, v27, v25, -v29
	v_fmac_f32_e32 v31, v27, v22
	v_add_f32_e32 v32, v29, v31
	v_sub_f32_e32 v33, v28, v32
	v_sub_f32_e32 v28, v28, v33
	;; [unrolled: 1-line block ×4, first 2 shown]
	v_add_f32_e32 v26, v26, v28
	v_sub_f32_e32 v28, v29, v31
	v_add_f32_e32 v26, v28, v26
	v_add_f32_e32 v28, v33, v26
	v_mul_f32_e32 v29, v30, v28
	v_mul_f32_e32 v31, v25, v29
	v_fma_f32 v25, v29, v25, -v31
	v_fmac_f32_e32 v25, v29, v22
	v_sub_f32_e32 v22, v33, v28
	v_add_f32_e32 v22, v26, v22
	v_add_f32_e32 v26, v31, v25
	v_sub_f32_e32 v32, v28, v26
	v_sub_f32_e32 v28, v28, v32
	;; [unrolled: 1-line block ×4, first 2 shown]
	v_add_f32_e32 v22, v22, v26
	v_sub_f32_e32 v25, v31, v25
	v_add_f32_e32 v22, v25, v22
	v_add_f32_e32 v25, v27, v29
	;; [unrolled: 1-line block ×3, first 2 shown]
	v_sub_f32_e32 v26, v25, v27
	v_mul_f32_e32 v22, v30, v22
	v_sub_f32_e32 v26, v29, v26
	v_add_f32_e32 v22, v26, v22
	v_cvt_f32_i32_e32 v21, v21
	v_add_f32_e32 v26, v25, v22
	v_mul_f32_e32 v27, v26, v26
	v_mov_b32_e32 v28, 0x3ecc95a3
	v_fmac_f32_e32 v28, 0x3e9b6dac, v27
	v_mov_b32_e32 v29, 0x3f2aaada
	v_fmac_f32_e32 v29, v27, v28
	v_mul_f32_e32 v28, 0x3f317218, v21
	v_fma_f32 v30, v21, s4, -v28
	v_fmac_f32_e32 v30, 0xb102e308, v21
	v_sub_f32_e32 v21, v26, v25
	v_sub_f32_e32 v21, v22, v21
	v_add_f32_e32 v22, v28, v30
	v_sub_f32_e32 v25, v22, v28
	v_ldexp_f32 v28, v26, 1
	v_mul_f32_e32 v26, v26, v27
	v_mul_f32_e32 v26, v26, v29
	v_add_f32_e32 v27, v28, v26
	v_sub_f32_e32 v28, v27, v28
	v_ldexp_f32 v21, v21, 1
	v_sub_f32_e32 v26, v26, v28
	v_add_f32_e32 v21, v21, v26
	v_add_f32_e32 v26, v27, v21
	v_sub_f32_e32 v27, v26, v27
	v_sub_f32_e32 v21, v21, v27
	v_add_f32_e32 v27, v22, v26
	v_sub_f32_e32 v28, v27, v22
	v_sub_f32_e32 v29, v27, v28
	;; [unrolled: 1-line block ×5, first 2 shown]
	v_add_f32_e32 v22, v26, v22
	v_add_f32_e32 v26, v25, v21
	v_sub_f32_e32 v28, v26, v25
	v_sub_f32_e32 v29, v26, v28
	;; [unrolled: 1-line block ×4, first 2 shown]
	v_add_f32_e32 v22, v26, v22
	v_add_f32_e32 v21, v21, v25
	;; [unrolled: 1-line block ×3, first 2 shown]
	v_sub_f32_e32 v26, v25, v27
	v_sub_f32_e32 v22, v22, v26
	v_add_f32_e32 v21, v21, v22
	v_add_f32_e32 v21, v25, v21
	v_cmp_neq_f32_e32 vcc, s3, v24
	s_mov_b32 s3, 0x33800000
	v_cndmask_b32_e32 v21, v23, v21, vcc
	v_cmp_lt_f32_e64 vcc, |v24|, s3
	v_cndmask_b32_e32 v21, v21, v24, vcc
	v_add_f32_e32 v21, v12, v21
.LBB478_168:
	s_or_b64 exec, exec, s[0:1]
	v_bfe_u32 v12, v21, 16, 1
	s_movk_i32 s3, 0x7fff
	v_add3_u32 v12, v21, v12, s3
	v_cmp_o_f32_e32 vcc, v21, v21
	v_mov_b32_e32 v21, 0x7fc0
	v_cndmask_b32_sdwa v12, v21, v12, vcc dst_sel:DWORD dst_unused:UNUSED_PAD src0_sel:DWORD src1_sel:WORD_1
	v_lshlrev_b32_e32 v23, 16, v12
	v_max_f32_e32 v22, v23, v23
	v_min_f32_e32 v24, v22, v38
	v_cmp_u_f32_e32 vcc, v23, v23
	v_max_f32_e32 v22, v22, v38
	v_cndmask_b32_e32 v24, v24, v23, vcc
	v_cndmask_b32_e32 v22, v22, v23, vcc
	v_cndmask_b32_e64 v24, v24, v36, s[80:81]
	v_cndmask_b32_e64 v22, v22, v36, s[80:81]
	v_cmp_neq_f32_e32 vcc, v24, v22
	v_cmp_class_f32_e64 s[0:1], v24, s2
	s_or_b64 s[4:5], vcc, s[0:1]
	s_and_saveexec_b64 s[0:1], s[4:5]
	s_cbranch_execz .LBB478_170
; %bb.169:
	v_sub_f32_e32 v23, v24, v22
	s_mov_b32 s2, 0x3fb8aa3b
	v_mul_f32_e32 v24, 0x3fb8aa3b, v23
	v_fma_f32 v25, v23, s2, -v24
	v_rndne_f32_e32 v26, v24
	v_fmac_f32_e32 v25, 0x32a5705f, v23
	v_sub_f32_e32 v24, v24, v26
	v_add_f32_e32 v24, v24, v25
	v_exp_f32_e32 v24, v24
	v_cvt_i32_f32_e32 v25, v26
	s_mov_b32 s2, 0xc2ce8ed0
	v_cmp_ngt_f32_e32 vcc, s2, v23
	s_mov_b32 s2, 0x42b17218
	v_ldexp_f32 v24, v24, v25
	v_cndmask_b32_e32 v24, 0, v24, vcc
	v_mov_b32_e32 v25, 0x7f800000
	v_cmp_nlt_f32_e32 vcc, s2, v23
	v_cndmask_b32_e32 v26, v25, v24, vcc
	v_add_f32_e32 v27, 1.0, v26
	v_cvt_f64_f32_e32 v[23:24], v27
	v_add_f32_e32 v28, -1.0, v27
	v_sub_f32_e32 v29, v28, v27
	v_sub_f32_e32 v28, v26, v28
	v_frexp_exp_i32_f64_e32 v23, v[23:24]
	v_add_f32_e32 v24, 1.0, v29
	v_add_f32_e32 v24, v28, v24
	v_frexp_mant_f32_e32 v28, v27
	s_mov_b32 s4, 0x3f2aaaab
	v_cmp_gt_f32_e32 vcc, s4, v28
	s_mov_b32 s4, 0x3f317218
	s_mov_b32 s2, 0x7f800000
	v_subbrev_co_u32_e32 v23, vcc, 0, v23, vcc
	v_sub_u32_e32 v28, 0, v23
	v_ldexp_f32 v27, v27, v28
	v_ldexp_f32 v24, v24, v28
	v_add_f32_e32 v28, -1.0, v27
	v_add_f32_e32 v31, 1.0, v27
	v_add_f32_e32 v29, 1.0, v28
	v_add_f32_e32 v32, -1.0, v31
	v_sub_f32_e32 v29, v27, v29
	v_sub_f32_e32 v27, v27, v32
	v_add_f32_e32 v29, v24, v29
	v_add_f32_e32 v24, v24, v27
	;; [unrolled: 1-line block ×3, first 2 shown]
	v_rcp_f32_e32 v32, v27
	v_add_f32_e32 v30, v28, v29
	v_sub_f32_e32 v28, v28, v30
	v_add_f32_e32 v28, v29, v28
	v_sub_f32_e32 v29, v31, v27
	v_add_f32_e32 v24, v24, v29
	v_mul_f32_e32 v29, v30, v32
	v_mul_f32_e32 v31, v27, v29
	v_fma_f32 v33, v29, v27, -v31
	v_fmac_f32_e32 v33, v29, v24
	v_add_f32_e32 v34, v31, v33
	v_sub_f32_e32 v35, v30, v34
	v_sub_f32_e32 v30, v30, v35
	;; [unrolled: 1-line block ×4, first 2 shown]
	v_add_f32_e32 v28, v28, v30
	v_sub_f32_e32 v30, v31, v33
	v_add_f32_e32 v28, v30, v28
	v_add_f32_e32 v30, v35, v28
	v_mul_f32_e32 v31, v32, v30
	v_mul_f32_e32 v33, v27, v31
	v_fma_f32 v27, v31, v27, -v33
	v_fmac_f32_e32 v27, v31, v24
	v_sub_f32_e32 v24, v35, v30
	v_add_f32_e32 v24, v28, v24
	v_add_f32_e32 v28, v33, v27
	v_sub_f32_e32 v34, v30, v28
	v_sub_f32_e32 v30, v30, v34
	;; [unrolled: 1-line block ×4, first 2 shown]
	v_add_f32_e32 v24, v24, v28
	v_sub_f32_e32 v27, v33, v27
	v_add_f32_e32 v24, v27, v24
	v_add_f32_e32 v27, v29, v31
	;; [unrolled: 1-line block ×3, first 2 shown]
	v_sub_f32_e32 v28, v27, v29
	v_mul_f32_e32 v24, v32, v24
	v_sub_f32_e32 v28, v31, v28
	v_add_f32_e32 v24, v28, v24
	v_cvt_f32_i32_e32 v23, v23
	v_add_f32_e32 v28, v27, v24
	v_mul_f32_e32 v29, v28, v28
	v_mov_b32_e32 v30, 0x3ecc95a3
	v_fmac_f32_e32 v30, 0x3e9b6dac, v29
	v_mov_b32_e32 v31, 0x3f2aaada
	v_fmac_f32_e32 v31, v29, v30
	v_mul_f32_e32 v30, 0x3f317218, v23
	v_fma_f32 v32, v23, s4, -v30
	v_fmac_f32_e32 v32, 0xb102e308, v23
	v_sub_f32_e32 v23, v28, v27
	v_sub_f32_e32 v23, v24, v23
	v_add_f32_e32 v24, v30, v32
	v_sub_f32_e32 v27, v24, v30
	v_ldexp_f32 v30, v28, 1
	v_mul_f32_e32 v28, v28, v29
	v_mul_f32_e32 v28, v28, v31
	v_add_f32_e32 v29, v30, v28
	v_sub_f32_e32 v30, v29, v30
	v_ldexp_f32 v23, v23, 1
	v_sub_f32_e32 v28, v28, v30
	v_add_f32_e32 v23, v23, v28
	v_add_f32_e32 v28, v29, v23
	v_sub_f32_e32 v29, v28, v29
	v_sub_f32_e32 v23, v23, v29
	v_add_f32_e32 v29, v24, v28
	v_sub_f32_e32 v30, v29, v24
	v_sub_f32_e32 v31, v29, v30
	;; [unrolled: 1-line block ×5, first 2 shown]
	v_add_f32_e32 v24, v28, v24
	v_add_f32_e32 v28, v27, v23
	v_sub_f32_e32 v30, v28, v27
	v_sub_f32_e32 v31, v28, v30
	;; [unrolled: 1-line block ×4, first 2 shown]
	v_add_f32_e32 v24, v28, v24
	v_add_f32_e32 v23, v23, v27
	;; [unrolled: 1-line block ×3, first 2 shown]
	v_sub_f32_e32 v28, v27, v29
	v_sub_f32_e32 v24, v24, v28
	v_add_f32_e32 v23, v23, v24
	v_add_f32_e32 v23, v27, v23
	v_cmp_neq_f32_e32 vcc, s2, v26
	s_mov_b32 s2, 0x33800000
	v_cndmask_b32_e32 v23, v25, v23, vcc
	v_cmp_lt_f32_e64 vcc, |v26|, s2
	v_cndmask_b32_e32 v23, v23, v26, vcc
	v_add_f32_e32 v23, v22, v23
.LBB478_170:
	s_or_b64 exec, exec, s[0:1]
	v_bfe_u32 v22, v23, 16, 1
	v_add3_u32 v22, v23, v22, s3
	v_cmp_o_f32_e32 vcc, v23, v23
	v_cndmask_b32_sdwa v21, v21, v22, vcc dst_sel:DWORD dst_unused:UNUSED_PAD src0_sel:DWORD src1_sel:WORD_1
	v_lshlrev_b32_e32 v22, 16, v21
	v_max_f32_e32 v24, v22, v22
	v_min_f32_e32 v23, v24, v40
	v_cmp_u_f32_e32 vcc, v22, v22
	v_max_f32_e32 v24, v24, v40
	v_cndmask_b32_e32 v23, v23, v22, vcc
	v_cndmask_b32_e32 v24, v24, v22, vcc
	v_cndmask_b32_e64 v23, v23, v5, s[82:83]
	v_cndmask_b32_e64 v5, v24, v5, s[82:83]
	s_movk_i32 s2, 0x1f8
	v_cmp_neq_f32_e32 vcc, v23, v5
	v_cmp_class_f32_e64 s[0:1], v23, s2
	s_or_b64 s[4:5], vcc, s[0:1]
	s_and_saveexec_b64 s[0:1], s[4:5]
	s_cbranch_execz .LBB478_172
; %bb.171:
	v_sub_f32_e32 v22, v23, v5
	s_mov_b32 s3, 0x3fb8aa3b
	v_mul_f32_e32 v23, 0x3fb8aa3b, v22
	v_fma_f32 v24, v22, s3, -v23
	v_rndne_f32_e32 v25, v23
	v_fmac_f32_e32 v24, 0x32a5705f, v22
	v_sub_f32_e32 v23, v23, v25
	v_add_f32_e32 v23, v23, v24
	v_exp_f32_e32 v23, v23
	v_cvt_i32_f32_e32 v24, v25
	s_mov_b32 s3, 0xc2ce8ed0
	v_cmp_ngt_f32_e32 vcc, s3, v22
	s_mov_b32 s3, 0x42b17218
	v_ldexp_f32 v23, v23, v24
	v_cndmask_b32_e32 v23, 0, v23, vcc
	v_mov_b32_e32 v24, 0x7f800000
	v_cmp_nlt_f32_e32 vcc, s3, v22
	v_cndmask_b32_e32 v25, v24, v23, vcc
	v_add_f32_e32 v26, 1.0, v25
	v_cvt_f64_f32_e32 v[22:23], v26
	v_add_f32_e32 v27, -1.0, v26
	v_sub_f32_e32 v28, v27, v26
	v_sub_f32_e32 v27, v25, v27
	v_frexp_exp_i32_f64_e32 v22, v[22:23]
	v_add_f32_e32 v23, 1.0, v28
	v_add_f32_e32 v23, v27, v23
	v_frexp_mant_f32_e32 v27, v26
	s_mov_b32 s4, 0x3f2aaaab
	v_cmp_gt_f32_e32 vcc, s4, v27
	s_mov_b32 s4, 0x3f317218
	s_mov_b32 s3, 0x7f800000
	v_subbrev_co_u32_e32 v22, vcc, 0, v22, vcc
	v_sub_u32_e32 v27, 0, v22
	v_ldexp_f32 v26, v26, v27
	v_ldexp_f32 v23, v23, v27
	v_add_f32_e32 v27, -1.0, v26
	v_add_f32_e32 v30, 1.0, v26
	v_add_f32_e32 v28, 1.0, v27
	v_add_f32_e32 v31, -1.0, v30
	v_sub_f32_e32 v28, v26, v28
	v_sub_f32_e32 v26, v26, v31
	v_add_f32_e32 v28, v23, v28
	v_add_f32_e32 v23, v23, v26
	;; [unrolled: 1-line block ×3, first 2 shown]
	v_rcp_f32_e32 v31, v26
	v_add_f32_e32 v29, v27, v28
	v_sub_f32_e32 v27, v27, v29
	v_add_f32_e32 v27, v28, v27
	v_sub_f32_e32 v28, v30, v26
	v_add_f32_e32 v23, v23, v28
	v_mul_f32_e32 v28, v29, v31
	v_mul_f32_e32 v30, v26, v28
	v_fma_f32 v32, v28, v26, -v30
	v_fmac_f32_e32 v32, v28, v23
	v_add_f32_e32 v33, v30, v32
	v_sub_f32_e32 v34, v29, v33
	v_sub_f32_e32 v29, v29, v34
	;; [unrolled: 1-line block ×4, first 2 shown]
	v_add_f32_e32 v27, v27, v29
	v_sub_f32_e32 v29, v30, v32
	v_add_f32_e32 v27, v29, v27
	v_add_f32_e32 v29, v34, v27
	v_mul_f32_e32 v30, v31, v29
	v_mul_f32_e32 v32, v26, v30
	v_fma_f32 v26, v30, v26, -v32
	v_fmac_f32_e32 v26, v30, v23
	v_sub_f32_e32 v23, v34, v29
	v_add_f32_e32 v23, v27, v23
	v_add_f32_e32 v27, v32, v26
	v_sub_f32_e32 v33, v29, v27
	v_sub_f32_e32 v29, v29, v33
	;; [unrolled: 1-line block ×4, first 2 shown]
	v_add_f32_e32 v23, v23, v27
	v_sub_f32_e32 v26, v32, v26
	v_add_f32_e32 v23, v26, v23
	v_add_f32_e32 v26, v28, v30
	;; [unrolled: 1-line block ×3, first 2 shown]
	v_sub_f32_e32 v27, v26, v28
	v_mul_f32_e32 v23, v31, v23
	v_sub_f32_e32 v27, v30, v27
	v_add_f32_e32 v23, v27, v23
	v_cvt_f32_i32_e32 v22, v22
	v_add_f32_e32 v27, v26, v23
	v_mul_f32_e32 v28, v27, v27
	v_mov_b32_e32 v29, 0x3ecc95a3
	v_fmac_f32_e32 v29, 0x3e9b6dac, v28
	v_mov_b32_e32 v30, 0x3f2aaada
	v_fmac_f32_e32 v30, v28, v29
	v_mul_f32_e32 v29, 0x3f317218, v22
	v_fma_f32 v31, v22, s4, -v29
	v_fmac_f32_e32 v31, 0xb102e308, v22
	v_sub_f32_e32 v22, v27, v26
	v_sub_f32_e32 v22, v23, v22
	v_add_f32_e32 v23, v29, v31
	v_sub_f32_e32 v26, v23, v29
	v_ldexp_f32 v29, v27, 1
	v_mul_f32_e32 v27, v27, v28
	v_mul_f32_e32 v27, v27, v30
	v_add_f32_e32 v28, v29, v27
	v_sub_f32_e32 v29, v28, v29
	v_ldexp_f32 v22, v22, 1
	v_sub_f32_e32 v27, v27, v29
	v_add_f32_e32 v22, v22, v27
	v_add_f32_e32 v27, v28, v22
	v_sub_f32_e32 v28, v27, v28
	v_sub_f32_e32 v22, v22, v28
	v_add_f32_e32 v28, v23, v27
	v_sub_f32_e32 v29, v28, v23
	v_sub_f32_e32 v30, v28, v29
	;; [unrolled: 1-line block ×5, first 2 shown]
	v_add_f32_e32 v23, v27, v23
	v_add_f32_e32 v27, v26, v22
	v_sub_f32_e32 v29, v27, v26
	v_sub_f32_e32 v30, v27, v29
	;; [unrolled: 1-line block ×4, first 2 shown]
	v_add_f32_e32 v23, v27, v23
	v_add_f32_e32 v22, v22, v26
	v_add_f32_e32 v26, v28, v23
	v_sub_f32_e32 v27, v26, v28
	v_sub_f32_e32 v23, v23, v27
	v_add_f32_e32 v22, v22, v23
	v_add_f32_e32 v22, v26, v22
	v_cmp_neq_f32_e32 vcc, s3, v25
	s_mov_b32 s3, 0x33800000
	v_cndmask_b32_e32 v22, v24, v22, vcc
	v_cmp_lt_f32_e64 vcc, |v25|, s3
	v_cndmask_b32_e32 v22, v22, v25, vcc
	v_add_f32_e32 v22, v5, v22
.LBB478_172:
	s_or_b64 exec, exec, s[0:1]
	v_bfe_u32 v5, v22, 16, 1
	s_movk_i32 s3, 0x7fff
	v_add3_u32 v5, v22, v5, s3
	v_cmp_o_f32_e32 vcc, v22, v22
	v_mov_b32_e32 v22, 0x7fc0
	v_cndmask_b32_sdwa v5, v22, v5, vcc dst_sel:DWORD dst_unused:UNUSED_PAD src0_sel:DWORD src1_sel:WORD_1
	v_lshlrev_b32_e32 v24, 16, v5
	v_max_f32_e32 v23, v24, v24
	v_min_f32_e32 v25, v23, v41
	v_cmp_u_f32_e32 vcc, v24, v24
	v_max_f32_e32 v23, v23, v41
	v_cndmask_b32_e32 v25, v25, v24, vcc
	v_cndmask_b32_e32 v23, v23, v24, vcc
	v_cndmask_b32_e64 v25, v25, v39, s[84:85]
	v_cndmask_b32_e64 v23, v23, v39, s[84:85]
	v_cmp_neq_f32_e32 vcc, v25, v23
	v_cmp_class_f32_e64 s[0:1], v25, s2
	s_or_b64 s[4:5], vcc, s[0:1]
	s_and_saveexec_b64 s[0:1], s[4:5]
	s_cbranch_execz .LBB478_174
; %bb.173:
	v_sub_f32_e32 v24, v25, v23
	s_mov_b32 s2, 0x3fb8aa3b
	v_mul_f32_e32 v25, 0x3fb8aa3b, v24
	v_fma_f32 v26, v24, s2, -v25
	v_rndne_f32_e32 v27, v25
	v_fmac_f32_e32 v26, 0x32a5705f, v24
	v_sub_f32_e32 v25, v25, v27
	v_add_f32_e32 v25, v25, v26
	v_exp_f32_e32 v25, v25
	v_cvt_i32_f32_e32 v26, v27
	s_mov_b32 s2, 0xc2ce8ed0
	v_cmp_ngt_f32_e32 vcc, s2, v24
	s_mov_b32 s2, 0x42b17218
	v_ldexp_f32 v25, v25, v26
	v_cndmask_b32_e32 v25, 0, v25, vcc
	v_mov_b32_e32 v26, 0x7f800000
	v_cmp_nlt_f32_e32 vcc, s2, v24
	v_cndmask_b32_e32 v27, v26, v25, vcc
	v_add_f32_e32 v28, 1.0, v27
	v_cvt_f64_f32_e32 v[24:25], v28
	v_add_f32_e32 v29, -1.0, v28
	v_sub_f32_e32 v30, v29, v28
	v_sub_f32_e32 v29, v27, v29
	v_frexp_exp_i32_f64_e32 v24, v[24:25]
	v_add_f32_e32 v25, 1.0, v30
	v_add_f32_e32 v25, v29, v25
	v_frexp_mant_f32_e32 v29, v28
	s_mov_b32 s4, 0x3f2aaaab
	v_cmp_gt_f32_e32 vcc, s4, v29
	s_mov_b32 s4, 0x3f317218
	s_mov_b32 s2, 0x7f800000
	v_subbrev_co_u32_e32 v24, vcc, 0, v24, vcc
	v_sub_u32_e32 v29, 0, v24
	v_ldexp_f32 v28, v28, v29
	v_ldexp_f32 v25, v25, v29
	v_add_f32_e32 v29, -1.0, v28
	v_add_f32_e32 v32, 1.0, v28
	v_add_f32_e32 v30, 1.0, v29
	v_add_f32_e32 v33, -1.0, v32
	v_sub_f32_e32 v30, v28, v30
	v_sub_f32_e32 v28, v28, v33
	v_add_f32_e32 v30, v25, v30
	v_add_f32_e32 v25, v25, v28
	;; [unrolled: 1-line block ×3, first 2 shown]
	v_rcp_f32_e32 v33, v28
	v_add_f32_e32 v31, v29, v30
	v_sub_f32_e32 v29, v29, v31
	v_add_f32_e32 v29, v30, v29
	v_sub_f32_e32 v30, v32, v28
	v_add_f32_e32 v25, v25, v30
	v_mul_f32_e32 v30, v31, v33
	v_mul_f32_e32 v32, v28, v30
	v_fma_f32 v34, v30, v28, -v32
	v_fmac_f32_e32 v34, v30, v25
	v_add_f32_e32 v35, v32, v34
	v_sub_f32_e32 v36, v31, v35
	v_sub_f32_e32 v31, v31, v36
	;; [unrolled: 1-line block ×4, first 2 shown]
	v_add_f32_e32 v29, v29, v31
	v_sub_f32_e32 v31, v32, v34
	v_add_f32_e32 v29, v31, v29
	v_add_f32_e32 v31, v36, v29
	v_mul_f32_e32 v32, v33, v31
	v_mul_f32_e32 v34, v28, v32
	v_fma_f32 v28, v32, v28, -v34
	v_fmac_f32_e32 v28, v32, v25
	v_sub_f32_e32 v25, v36, v31
	v_add_f32_e32 v25, v29, v25
	v_add_f32_e32 v29, v34, v28
	v_sub_f32_e32 v35, v31, v29
	v_sub_f32_e32 v31, v31, v35
	;; [unrolled: 1-line block ×4, first 2 shown]
	v_add_f32_e32 v25, v25, v29
	v_sub_f32_e32 v28, v34, v28
	v_add_f32_e32 v25, v28, v25
	v_add_f32_e32 v28, v30, v32
	;; [unrolled: 1-line block ×3, first 2 shown]
	v_sub_f32_e32 v29, v28, v30
	v_mul_f32_e32 v25, v33, v25
	v_sub_f32_e32 v29, v32, v29
	v_add_f32_e32 v25, v29, v25
	v_cvt_f32_i32_e32 v24, v24
	v_add_f32_e32 v29, v28, v25
	v_mul_f32_e32 v30, v29, v29
	v_mov_b32_e32 v31, 0x3ecc95a3
	v_fmac_f32_e32 v31, 0x3e9b6dac, v30
	v_mov_b32_e32 v32, 0x3f2aaada
	v_fmac_f32_e32 v32, v30, v31
	v_mul_f32_e32 v31, 0x3f317218, v24
	v_fma_f32 v33, v24, s4, -v31
	v_fmac_f32_e32 v33, 0xb102e308, v24
	v_sub_f32_e32 v24, v29, v28
	v_sub_f32_e32 v24, v25, v24
	v_add_f32_e32 v25, v31, v33
	v_sub_f32_e32 v28, v25, v31
	v_ldexp_f32 v31, v29, 1
	v_mul_f32_e32 v29, v29, v30
	v_mul_f32_e32 v29, v29, v32
	v_add_f32_e32 v30, v31, v29
	v_sub_f32_e32 v31, v30, v31
	v_ldexp_f32 v24, v24, 1
	v_sub_f32_e32 v29, v29, v31
	v_add_f32_e32 v24, v24, v29
	v_add_f32_e32 v29, v30, v24
	v_sub_f32_e32 v30, v29, v30
	v_sub_f32_e32 v24, v24, v30
	v_add_f32_e32 v30, v25, v29
	v_sub_f32_e32 v31, v30, v25
	v_sub_f32_e32 v32, v30, v31
	;; [unrolled: 1-line block ×5, first 2 shown]
	v_add_f32_e32 v25, v29, v25
	v_add_f32_e32 v29, v28, v24
	v_sub_f32_e32 v31, v29, v28
	v_sub_f32_e32 v32, v29, v31
	;; [unrolled: 1-line block ×4, first 2 shown]
	v_add_f32_e32 v25, v29, v25
	v_add_f32_e32 v24, v24, v28
	v_add_f32_e32 v28, v30, v25
	v_sub_f32_e32 v29, v28, v30
	v_sub_f32_e32 v25, v25, v29
	v_add_f32_e32 v24, v24, v25
	v_add_f32_e32 v24, v28, v24
	v_cmp_neq_f32_e32 vcc, s2, v27
	s_mov_b32 s2, 0x33800000
	v_cndmask_b32_e32 v24, v26, v24, vcc
	v_cmp_lt_f32_e64 vcc, |v27|, s2
	v_cndmask_b32_e32 v24, v24, v27, vcc
	v_add_f32_e32 v24, v23, v24
.LBB478_174:
	s_or_b64 exec, exec, s[0:1]
	v_bfe_u32 v23, v24, 16, 1
	v_add3_u32 v23, v24, v23, s3
	v_cmp_o_f32_e32 vcc, v24, v24
	v_cndmask_b32_sdwa v22, v22, v23, vcc dst_sel:DWORD dst_unused:UNUSED_PAD src0_sel:DWORD src1_sel:WORD_1
	v_lshlrev_b32_e32 v23, 16, v22
	v_max_f32_e32 v25, v23, v23
	v_min_f32_e32 v24, v25, v43
	v_cmp_u_f32_e32 vcc, v23, v23
	v_max_f32_e32 v25, v25, v43
	v_cndmask_b32_e32 v24, v24, v23, vcc
	v_cndmask_b32_e32 v25, v25, v23, vcc
	v_cndmask_b32_e64 v24, v24, v6, s[86:87]
	v_cndmask_b32_e64 v6, v25, v6, s[86:87]
	s_movk_i32 s2, 0x1f8
	v_cmp_neq_f32_e32 vcc, v24, v6
	v_cmp_class_f32_e64 s[0:1], v24, s2
	s_or_b64 s[4:5], vcc, s[0:1]
	s_and_saveexec_b64 s[0:1], s[4:5]
	s_cbranch_execz .LBB478_176
; %bb.175:
	v_sub_f32_e32 v23, v24, v6
	s_mov_b32 s3, 0x3fb8aa3b
	v_mul_f32_e32 v24, 0x3fb8aa3b, v23
	v_fma_f32 v25, v23, s3, -v24
	v_rndne_f32_e32 v26, v24
	v_fmac_f32_e32 v25, 0x32a5705f, v23
	v_sub_f32_e32 v24, v24, v26
	v_add_f32_e32 v24, v24, v25
	v_exp_f32_e32 v24, v24
	v_cvt_i32_f32_e32 v25, v26
	s_mov_b32 s3, 0xc2ce8ed0
	v_cmp_ngt_f32_e32 vcc, s3, v23
	s_mov_b32 s3, 0x42b17218
	v_ldexp_f32 v24, v24, v25
	v_cndmask_b32_e32 v24, 0, v24, vcc
	v_mov_b32_e32 v25, 0x7f800000
	v_cmp_nlt_f32_e32 vcc, s3, v23
	v_cndmask_b32_e32 v26, v25, v24, vcc
	v_add_f32_e32 v27, 1.0, v26
	v_cvt_f64_f32_e32 v[23:24], v27
	v_add_f32_e32 v28, -1.0, v27
	v_sub_f32_e32 v29, v28, v27
	v_sub_f32_e32 v28, v26, v28
	v_frexp_exp_i32_f64_e32 v23, v[23:24]
	v_add_f32_e32 v24, 1.0, v29
	v_add_f32_e32 v24, v28, v24
	v_frexp_mant_f32_e32 v28, v27
	s_mov_b32 s4, 0x3f2aaaab
	v_cmp_gt_f32_e32 vcc, s4, v28
	s_mov_b32 s4, 0x3f317218
	s_mov_b32 s3, 0x7f800000
	v_subbrev_co_u32_e32 v23, vcc, 0, v23, vcc
	v_sub_u32_e32 v28, 0, v23
	v_ldexp_f32 v27, v27, v28
	v_ldexp_f32 v24, v24, v28
	v_add_f32_e32 v28, -1.0, v27
	v_add_f32_e32 v31, 1.0, v27
	v_add_f32_e32 v29, 1.0, v28
	v_add_f32_e32 v32, -1.0, v31
	v_sub_f32_e32 v29, v27, v29
	v_sub_f32_e32 v27, v27, v32
	v_add_f32_e32 v29, v24, v29
	v_add_f32_e32 v24, v24, v27
	;; [unrolled: 1-line block ×3, first 2 shown]
	v_rcp_f32_e32 v32, v27
	v_add_f32_e32 v30, v28, v29
	v_sub_f32_e32 v28, v28, v30
	v_add_f32_e32 v28, v29, v28
	v_sub_f32_e32 v29, v31, v27
	v_add_f32_e32 v24, v24, v29
	v_mul_f32_e32 v29, v30, v32
	v_mul_f32_e32 v31, v27, v29
	v_fma_f32 v33, v29, v27, -v31
	v_fmac_f32_e32 v33, v29, v24
	v_add_f32_e32 v34, v31, v33
	v_sub_f32_e32 v35, v30, v34
	v_sub_f32_e32 v30, v30, v35
	;; [unrolled: 1-line block ×4, first 2 shown]
	v_add_f32_e32 v28, v28, v30
	v_sub_f32_e32 v30, v31, v33
	v_add_f32_e32 v28, v30, v28
	v_add_f32_e32 v30, v35, v28
	v_mul_f32_e32 v31, v32, v30
	v_mul_f32_e32 v33, v27, v31
	v_fma_f32 v27, v31, v27, -v33
	v_fmac_f32_e32 v27, v31, v24
	v_sub_f32_e32 v24, v35, v30
	v_add_f32_e32 v24, v28, v24
	v_add_f32_e32 v28, v33, v27
	v_sub_f32_e32 v34, v30, v28
	v_sub_f32_e32 v30, v30, v34
	;; [unrolled: 1-line block ×4, first 2 shown]
	v_add_f32_e32 v24, v24, v28
	v_sub_f32_e32 v27, v33, v27
	v_add_f32_e32 v24, v27, v24
	v_add_f32_e32 v27, v29, v31
	;; [unrolled: 1-line block ×3, first 2 shown]
	v_sub_f32_e32 v28, v27, v29
	v_mul_f32_e32 v24, v32, v24
	v_sub_f32_e32 v28, v31, v28
	v_add_f32_e32 v24, v28, v24
	v_cvt_f32_i32_e32 v23, v23
	v_add_f32_e32 v28, v27, v24
	v_mul_f32_e32 v29, v28, v28
	v_mov_b32_e32 v30, 0x3ecc95a3
	v_fmac_f32_e32 v30, 0x3e9b6dac, v29
	v_mov_b32_e32 v31, 0x3f2aaada
	v_fmac_f32_e32 v31, v29, v30
	v_mul_f32_e32 v30, 0x3f317218, v23
	v_fma_f32 v32, v23, s4, -v30
	v_fmac_f32_e32 v32, 0xb102e308, v23
	v_sub_f32_e32 v23, v28, v27
	v_sub_f32_e32 v23, v24, v23
	v_add_f32_e32 v24, v30, v32
	v_sub_f32_e32 v27, v24, v30
	v_ldexp_f32 v30, v28, 1
	v_mul_f32_e32 v28, v28, v29
	v_mul_f32_e32 v28, v28, v31
	v_add_f32_e32 v29, v30, v28
	v_sub_f32_e32 v30, v29, v30
	v_ldexp_f32 v23, v23, 1
	v_sub_f32_e32 v28, v28, v30
	v_add_f32_e32 v23, v23, v28
	v_add_f32_e32 v28, v29, v23
	v_sub_f32_e32 v29, v28, v29
	v_sub_f32_e32 v23, v23, v29
	v_add_f32_e32 v29, v24, v28
	v_sub_f32_e32 v30, v29, v24
	v_sub_f32_e32 v31, v29, v30
	;; [unrolled: 1-line block ×5, first 2 shown]
	v_add_f32_e32 v24, v28, v24
	v_add_f32_e32 v28, v27, v23
	v_sub_f32_e32 v30, v28, v27
	v_sub_f32_e32 v31, v28, v30
	v_sub_f32_e32 v27, v27, v31
	v_sub_f32_e32 v23, v23, v30
	v_add_f32_e32 v24, v28, v24
	v_add_f32_e32 v23, v23, v27
	;; [unrolled: 1-line block ×3, first 2 shown]
	v_sub_f32_e32 v28, v27, v29
	v_sub_f32_e32 v24, v24, v28
	v_add_f32_e32 v23, v23, v24
	v_add_f32_e32 v23, v27, v23
	v_cmp_neq_f32_e32 vcc, s3, v26
	s_mov_b32 s3, 0x33800000
	v_cndmask_b32_e32 v23, v25, v23, vcc
	v_cmp_lt_f32_e64 vcc, |v26|, s3
	v_cndmask_b32_e32 v23, v23, v26, vcc
	v_add_f32_e32 v23, v6, v23
.LBB478_176:
	s_or_b64 exec, exec, s[0:1]
	v_bfe_u32 v6, v23, 16, 1
	s_movk_i32 s3, 0x7fff
	v_add3_u32 v6, v23, v6, s3
	v_cmp_o_f32_e32 vcc, v23, v23
	v_mov_b32_e32 v23, 0x7fc0
	v_cndmask_b32_sdwa v6, v23, v6, vcc dst_sel:DWORD dst_unused:UNUSED_PAD src0_sel:DWORD src1_sel:WORD_1
	v_lshlrev_b32_e32 v25, 16, v6
	v_max_f32_e32 v24, v25, v25
	v_min_f32_e32 v26, v24, v44
	v_cmp_u_f32_e32 vcc, v25, v25
	v_max_f32_e32 v24, v24, v44
	v_cndmask_b32_e32 v26, v26, v25, vcc
	v_cndmask_b32_e32 v24, v24, v25, vcc
	v_cndmask_b32_e64 v26, v26, v42, s[88:89]
	v_cndmask_b32_e64 v24, v24, v42, s[88:89]
	v_cmp_neq_f32_e32 vcc, v26, v24
	v_cmp_class_f32_e64 s[0:1], v26, s2
	s_or_b64 s[4:5], vcc, s[0:1]
	s_and_saveexec_b64 s[0:1], s[4:5]
	s_cbranch_execz .LBB478_178
; %bb.177:
	v_sub_f32_e32 v25, v26, v24
	s_mov_b32 s2, 0x3fb8aa3b
	v_mul_f32_e32 v26, 0x3fb8aa3b, v25
	v_fma_f32 v27, v25, s2, -v26
	v_rndne_f32_e32 v28, v26
	v_fmac_f32_e32 v27, 0x32a5705f, v25
	v_sub_f32_e32 v26, v26, v28
	v_add_f32_e32 v26, v26, v27
	v_exp_f32_e32 v26, v26
	v_cvt_i32_f32_e32 v27, v28
	s_mov_b32 s2, 0xc2ce8ed0
	v_cmp_ngt_f32_e32 vcc, s2, v25
	s_mov_b32 s2, 0x42b17218
	v_ldexp_f32 v26, v26, v27
	v_cndmask_b32_e32 v26, 0, v26, vcc
	v_mov_b32_e32 v27, 0x7f800000
	v_cmp_nlt_f32_e32 vcc, s2, v25
	v_cndmask_b32_e32 v28, v27, v26, vcc
	v_add_f32_e32 v29, 1.0, v28
	v_cvt_f64_f32_e32 v[25:26], v29
	v_add_f32_e32 v30, -1.0, v29
	v_sub_f32_e32 v31, v30, v29
	v_sub_f32_e32 v30, v28, v30
	v_frexp_exp_i32_f64_e32 v25, v[25:26]
	v_add_f32_e32 v26, 1.0, v31
	v_add_f32_e32 v26, v30, v26
	v_frexp_mant_f32_e32 v30, v29
	s_mov_b32 s4, 0x3f2aaaab
	v_cmp_gt_f32_e32 vcc, s4, v30
	s_mov_b32 s4, 0x3f317218
	s_mov_b32 s2, 0x7f800000
	v_subbrev_co_u32_e32 v25, vcc, 0, v25, vcc
	v_sub_u32_e32 v30, 0, v25
	v_ldexp_f32 v29, v29, v30
	v_ldexp_f32 v26, v26, v30
	v_add_f32_e32 v30, -1.0, v29
	v_add_f32_e32 v33, 1.0, v29
	v_add_f32_e32 v31, 1.0, v30
	v_add_f32_e32 v34, -1.0, v33
	v_sub_f32_e32 v31, v29, v31
	v_sub_f32_e32 v29, v29, v34
	v_add_f32_e32 v31, v26, v31
	v_add_f32_e32 v26, v26, v29
	;; [unrolled: 1-line block ×3, first 2 shown]
	v_rcp_f32_e32 v34, v29
	v_add_f32_e32 v32, v30, v31
	v_sub_f32_e32 v30, v30, v32
	v_add_f32_e32 v30, v31, v30
	v_sub_f32_e32 v31, v33, v29
	v_add_f32_e32 v26, v26, v31
	v_mul_f32_e32 v31, v32, v34
	v_mul_f32_e32 v33, v29, v31
	v_fma_f32 v35, v31, v29, -v33
	v_fmac_f32_e32 v35, v31, v26
	v_add_f32_e32 v36, v33, v35
	v_sub_f32_e32 v37, v32, v36
	v_sub_f32_e32 v32, v32, v37
	;; [unrolled: 1-line block ×4, first 2 shown]
	v_add_f32_e32 v30, v30, v32
	v_sub_f32_e32 v32, v33, v35
	v_add_f32_e32 v30, v32, v30
	v_add_f32_e32 v32, v37, v30
	v_mul_f32_e32 v33, v34, v32
	v_mul_f32_e32 v35, v29, v33
	v_fma_f32 v29, v33, v29, -v35
	v_fmac_f32_e32 v29, v33, v26
	v_sub_f32_e32 v26, v37, v32
	v_add_f32_e32 v26, v30, v26
	v_add_f32_e32 v30, v35, v29
	v_sub_f32_e32 v36, v32, v30
	v_sub_f32_e32 v32, v32, v36
	;; [unrolled: 1-line block ×4, first 2 shown]
	v_add_f32_e32 v26, v26, v30
	v_sub_f32_e32 v29, v35, v29
	v_add_f32_e32 v26, v29, v26
	v_add_f32_e32 v29, v31, v33
	;; [unrolled: 1-line block ×3, first 2 shown]
	v_sub_f32_e32 v30, v29, v31
	v_mul_f32_e32 v26, v34, v26
	v_sub_f32_e32 v30, v33, v30
	v_add_f32_e32 v26, v30, v26
	v_cvt_f32_i32_e32 v25, v25
	v_add_f32_e32 v30, v29, v26
	v_mul_f32_e32 v31, v30, v30
	v_mov_b32_e32 v32, 0x3ecc95a3
	v_fmac_f32_e32 v32, 0x3e9b6dac, v31
	v_mov_b32_e32 v33, 0x3f2aaada
	v_fmac_f32_e32 v33, v31, v32
	v_mul_f32_e32 v32, 0x3f317218, v25
	v_fma_f32 v34, v25, s4, -v32
	v_fmac_f32_e32 v34, 0xb102e308, v25
	v_sub_f32_e32 v25, v30, v29
	v_sub_f32_e32 v25, v26, v25
	v_add_f32_e32 v26, v32, v34
	v_sub_f32_e32 v29, v26, v32
	v_ldexp_f32 v32, v30, 1
	v_mul_f32_e32 v30, v30, v31
	v_mul_f32_e32 v30, v30, v33
	v_add_f32_e32 v31, v32, v30
	v_sub_f32_e32 v32, v31, v32
	v_ldexp_f32 v25, v25, 1
	v_sub_f32_e32 v30, v30, v32
	v_add_f32_e32 v25, v25, v30
	v_add_f32_e32 v30, v31, v25
	v_sub_f32_e32 v31, v30, v31
	v_sub_f32_e32 v25, v25, v31
	v_add_f32_e32 v31, v26, v30
	v_sub_f32_e32 v32, v31, v26
	v_sub_f32_e32 v33, v31, v32
	;; [unrolled: 1-line block ×5, first 2 shown]
	v_add_f32_e32 v26, v30, v26
	v_add_f32_e32 v30, v29, v25
	v_sub_f32_e32 v32, v30, v29
	v_sub_f32_e32 v33, v30, v32
	;; [unrolled: 1-line block ×4, first 2 shown]
	v_add_f32_e32 v26, v30, v26
	v_add_f32_e32 v25, v25, v29
	;; [unrolled: 1-line block ×3, first 2 shown]
	v_sub_f32_e32 v30, v29, v31
	v_sub_f32_e32 v26, v26, v30
	v_add_f32_e32 v25, v25, v26
	v_add_f32_e32 v25, v29, v25
	v_cmp_neq_f32_e32 vcc, s2, v28
	s_mov_b32 s2, 0x33800000
	v_cndmask_b32_e32 v25, v27, v25, vcc
	v_cmp_lt_f32_e64 vcc, |v28|, s2
	v_cndmask_b32_e32 v25, v25, v28, vcc
	v_add_f32_e32 v25, v24, v25
.LBB478_178:
	s_or_b64 exec, exec, s[0:1]
	v_bfe_u32 v24, v25, 16, 1
	v_add3_u32 v24, v25, v24, s3
	v_cmp_o_f32_e32 vcc, v25, v25
	v_cndmask_b32_sdwa v23, v23, v24, vcc dst_sel:DWORD dst_unused:UNUSED_PAD src0_sel:DWORD src1_sel:WORD_1
	v_lshlrev_b32_e32 v24, 16, v23
	v_max_f32_e32 v26, v24, v24
	v_min_f32_e32 v25, v26, v46
	v_cmp_u_f32_e32 vcc, v24, v24
	v_max_f32_e32 v26, v26, v46
	v_cndmask_b32_e32 v25, v25, v24, vcc
	v_cndmask_b32_e32 v26, v26, v24, vcc
	v_cndmask_b32_e64 v25, v25, v7, s[90:91]
	v_cndmask_b32_e64 v7, v26, v7, s[90:91]
	s_movk_i32 s2, 0x1f8
	v_cmp_neq_f32_e32 vcc, v25, v7
	v_cmp_class_f32_e64 s[0:1], v25, s2
	s_or_b64 s[4:5], vcc, s[0:1]
	s_and_saveexec_b64 s[0:1], s[4:5]
	s_cbranch_execz .LBB478_180
; %bb.179:
	v_sub_f32_e32 v24, v25, v7
	s_mov_b32 s3, 0x3fb8aa3b
	v_mul_f32_e32 v25, 0x3fb8aa3b, v24
	v_fma_f32 v26, v24, s3, -v25
	v_rndne_f32_e32 v27, v25
	v_fmac_f32_e32 v26, 0x32a5705f, v24
	v_sub_f32_e32 v25, v25, v27
	v_add_f32_e32 v25, v25, v26
	v_exp_f32_e32 v25, v25
	v_cvt_i32_f32_e32 v26, v27
	s_mov_b32 s3, 0xc2ce8ed0
	v_cmp_ngt_f32_e32 vcc, s3, v24
	s_mov_b32 s3, 0x42b17218
	v_ldexp_f32 v25, v25, v26
	v_cndmask_b32_e32 v25, 0, v25, vcc
	v_mov_b32_e32 v26, 0x7f800000
	v_cmp_nlt_f32_e32 vcc, s3, v24
	v_cndmask_b32_e32 v27, v26, v25, vcc
	v_add_f32_e32 v28, 1.0, v27
	v_cvt_f64_f32_e32 v[24:25], v28
	v_add_f32_e32 v29, -1.0, v28
	v_sub_f32_e32 v30, v29, v28
	v_sub_f32_e32 v29, v27, v29
	v_frexp_exp_i32_f64_e32 v24, v[24:25]
	v_add_f32_e32 v25, 1.0, v30
	v_add_f32_e32 v25, v29, v25
	v_frexp_mant_f32_e32 v29, v28
	s_mov_b32 s4, 0x3f2aaaab
	v_cmp_gt_f32_e32 vcc, s4, v29
	s_mov_b32 s4, 0x3f317218
	s_mov_b32 s3, 0x7f800000
	v_subbrev_co_u32_e32 v24, vcc, 0, v24, vcc
	v_sub_u32_e32 v29, 0, v24
	v_ldexp_f32 v28, v28, v29
	v_ldexp_f32 v25, v25, v29
	v_add_f32_e32 v29, -1.0, v28
	v_add_f32_e32 v32, 1.0, v28
	v_add_f32_e32 v30, 1.0, v29
	v_add_f32_e32 v33, -1.0, v32
	v_sub_f32_e32 v30, v28, v30
	v_sub_f32_e32 v28, v28, v33
	v_add_f32_e32 v30, v25, v30
	v_add_f32_e32 v25, v25, v28
	;; [unrolled: 1-line block ×3, first 2 shown]
	v_rcp_f32_e32 v33, v28
	v_add_f32_e32 v31, v29, v30
	v_sub_f32_e32 v29, v29, v31
	v_add_f32_e32 v29, v30, v29
	v_sub_f32_e32 v30, v32, v28
	v_add_f32_e32 v25, v25, v30
	v_mul_f32_e32 v30, v31, v33
	v_mul_f32_e32 v32, v28, v30
	v_fma_f32 v34, v30, v28, -v32
	v_fmac_f32_e32 v34, v30, v25
	v_add_f32_e32 v35, v32, v34
	v_sub_f32_e32 v36, v31, v35
	v_sub_f32_e32 v31, v31, v36
	;; [unrolled: 1-line block ×4, first 2 shown]
	v_add_f32_e32 v29, v29, v31
	v_sub_f32_e32 v31, v32, v34
	v_add_f32_e32 v29, v31, v29
	v_add_f32_e32 v31, v36, v29
	v_mul_f32_e32 v32, v33, v31
	v_mul_f32_e32 v34, v28, v32
	v_fma_f32 v28, v32, v28, -v34
	v_fmac_f32_e32 v28, v32, v25
	v_sub_f32_e32 v25, v36, v31
	v_add_f32_e32 v25, v29, v25
	v_add_f32_e32 v29, v34, v28
	v_sub_f32_e32 v35, v31, v29
	v_sub_f32_e32 v31, v31, v35
	v_sub_f32_e32 v34, v29, v34
	v_sub_f32_e32 v29, v31, v29
	v_add_f32_e32 v25, v25, v29
	v_sub_f32_e32 v28, v34, v28
	v_add_f32_e32 v25, v28, v25
	v_add_f32_e32 v28, v30, v32
	;; [unrolled: 1-line block ×3, first 2 shown]
	v_sub_f32_e32 v29, v28, v30
	v_mul_f32_e32 v25, v33, v25
	v_sub_f32_e32 v29, v32, v29
	v_add_f32_e32 v25, v29, v25
	v_cvt_f32_i32_e32 v24, v24
	v_add_f32_e32 v29, v28, v25
	v_mul_f32_e32 v30, v29, v29
	v_mov_b32_e32 v31, 0x3ecc95a3
	v_fmac_f32_e32 v31, 0x3e9b6dac, v30
	v_mov_b32_e32 v32, 0x3f2aaada
	v_fmac_f32_e32 v32, v30, v31
	v_mul_f32_e32 v31, 0x3f317218, v24
	v_fma_f32 v33, v24, s4, -v31
	v_fmac_f32_e32 v33, 0xb102e308, v24
	v_sub_f32_e32 v24, v29, v28
	v_sub_f32_e32 v24, v25, v24
	v_add_f32_e32 v25, v31, v33
	v_sub_f32_e32 v28, v25, v31
	v_ldexp_f32 v31, v29, 1
	v_mul_f32_e32 v29, v29, v30
	v_mul_f32_e32 v29, v29, v32
	v_add_f32_e32 v30, v31, v29
	v_sub_f32_e32 v31, v30, v31
	v_ldexp_f32 v24, v24, 1
	v_sub_f32_e32 v29, v29, v31
	v_add_f32_e32 v24, v24, v29
	v_add_f32_e32 v29, v30, v24
	v_sub_f32_e32 v30, v29, v30
	v_sub_f32_e32 v24, v24, v30
	v_add_f32_e32 v30, v25, v29
	v_sub_f32_e32 v31, v30, v25
	v_sub_f32_e32 v32, v30, v31
	;; [unrolled: 1-line block ×5, first 2 shown]
	v_add_f32_e32 v25, v29, v25
	v_add_f32_e32 v29, v28, v24
	v_sub_f32_e32 v31, v29, v28
	v_sub_f32_e32 v32, v29, v31
	;; [unrolled: 1-line block ×4, first 2 shown]
	v_add_f32_e32 v25, v29, v25
	v_add_f32_e32 v24, v24, v28
	;; [unrolled: 1-line block ×3, first 2 shown]
	v_sub_f32_e32 v29, v28, v30
	v_sub_f32_e32 v25, v25, v29
	v_add_f32_e32 v24, v24, v25
	v_add_f32_e32 v24, v28, v24
	v_cmp_neq_f32_e32 vcc, s3, v27
	s_mov_b32 s3, 0x33800000
	v_cndmask_b32_e32 v24, v26, v24, vcc
	v_cmp_lt_f32_e64 vcc, |v27|, s3
	v_cndmask_b32_e32 v24, v24, v27, vcc
	v_add_f32_e32 v24, v7, v24
.LBB478_180:
	s_or_b64 exec, exec, s[0:1]
	v_bfe_u32 v7, v24, 16, 1
	s_movk_i32 s3, 0x7fff
	v_add3_u32 v7, v24, v7, s3
	v_cmp_o_f32_e32 vcc, v24, v24
	v_mov_b32_e32 v24, 0x7fc0
	v_cndmask_b32_sdwa v7, v24, v7, vcc dst_sel:DWORD dst_unused:UNUSED_PAD src0_sel:DWORD src1_sel:WORD_1
	v_lshlrev_b32_e32 v26, 16, v7
	v_max_f32_e32 v25, v26, v26
	v_min_f32_e32 v27, v25, v47
	v_cmp_u_f32_e32 vcc, v26, v26
	v_max_f32_e32 v25, v25, v47
	v_cndmask_b32_e32 v27, v27, v26, vcc
	v_cndmask_b32_e32 v25, v25, v26, vcc
	v_cndmask_b32_e64 v27, v27, v45, s[92:93]
	v_cndmask_b32_e64 v25, v25, v45, s[92:93]
	v_cmp_neq_f32_e32 vcc, v27, v25
	v_cmp_class_f32_e64 s[0:1], v27, s2
	s_or_b64 s[4:5], vcc, s[0:1]
	s_and_saveexec_b64 s[0:1], s[4:5]
	s_cbranch_execz .LBB478_182
; %bb.181:
	v_sub_f32_e32 v26, v27, v25
	s_mov_b32 s2, 0x3fb8aa3b
	v_mul_f32_e32 v27, 0x3fb8aa3b, v26
	v_fma_f32 v28, v26, s2, -v27
	v_rndne_f32_e32 v29, v27
	v_fmac_f32_e32 v28, 0x32a5705f, v26
	v_sub_f32_e32 v27, v27, v29
	v_add_f32_e32 v27, v27, v28
	v_exp_f32_e32 v27, v27
	v_cvt_i32_f32_e32 v28, v29
	s_mov_b32 s2, 0xc2ce8ed0
	v_cmp_ngt_f32_e32 vcc, s2, v26
	s_mov_b32 s2, 0x42b17218
	v_ldexp_f32 v27, v27, v28
	v_cndmask_b32_e32 v27, 0, v27, vcc
	v_mov_b32_e32 v28, 0x7f800000
	v_cmp_nlt_f32_e32 vcc, s2, v26
	v_cndmask_b32_e32 v29, v28, v27, vcc
	v_add_f32_e32 v30, 1.0, v29
	v_cvt_f64_f32_e32 v[26:27], v30
	v_add_f32_e32 v31, -1.0, v30
	v_sub_f32_e32 v32, v31, v30
	v_sub_f32_e32 v31, v29, v31
	v_frexp_exp_i32_f64_e32 v26, v[26:27]
	v_add_f32_e32 v27, 1.0, v32
	v_add_f32_e32 v27, v31, v27
	v_frexp_mant_f32_e32 v31, v30
	s_mov_b32 s4, 0x3f2aaaab
	v_cmp_gt_f32_e32 vcc, s4, v31
	s_mov_b32 s4, 0x3f317218
	s_mov_b32 s2, 0x7f800000
	v_subbrev_co_u32_e32 v26, vcc, 0, v26, vcc
	v_sub_u32_e32 v31, 0, v26
	v_ldexp_f32 v30, v30, v31
	v_ldexp_f32 v27, v27, v31
	v_add_f32_e32 v31, -1.0, v30
	v_add_f32_e32 v34, 1.0, v30
	v_add_f32_e32 v32, 1.0, v31
	v_add_f32_e32 v35, -1.0, v34
	v_sub_f32_e32 v32, v30, v32
	v_sub_f32_e32 v30, v30, v35
	v_add_f32_e32 v32, v27, v32
	v_add_f32_e32 v27, v27, v30
	;; [unrolled: 1-line block ×3, first 2 shown]
	v_rcp_f32_e32 v35, v30
	v_add_f32_e32 v33, v31, v32
	v_sub_f32_e32 v31, v31, v33
	v_add_f32_e32 v31, v32, v31
	v_sub_f32_e32 v32, v34, v30
	v_add_f32_e32 v27, v27, v32
	v_mul_f32_e32 v32, v33, v35
	v_mul_f32_e32 v34, v30, v32
	v_fma_f32 v36, v32, v30, -v34
	v_fmac_f32_e32 v36, v32, v27
	v_add_f32_e32 v37, v34, v36
	v_sub_f32_e32 v38, v33, v37
	v_sub_f32_e32 v33, v33, v38
	;; [unrolled: 1-line block ×4, first 2 shown]
	v_add_f32_e32 v31, v31, v33
	v_sub_f32_e32 v33, v34, v36
	v_add_f32_e32 v31, v33, v31
	v_add_f32_e32 v33, v38, v31
	v_mul_f32_e32 v34, v35, v33
	v_mul_f32_e32 v36, v30, v34
	v_fma_f32 v30, v34, v30, -v36
	v_fmac_f32_e32 v30, v34, v27
	v_sub_f32_e32 v27, v38, v33
	v_add_f32_e32 v27, v31, v27
	v_add_f32_e32 v31, v36, v30
	v_sub_f32_e32 v37, v33, v31
	v_sub_f32_e32 v33, v33, v37
	;; [unrolled: 1-line block ×4, first 2 shown]
	v_add_f32_e32 v27, v27, v31
	v_sub_f32_e32 v30, v36, v30
	v_add_f32_e32 v27, v30, v27
	v_add_f32_e32 v30, v32, v34
	;; [unrolled: 1-line block ×3, first 2 shown]
	v_sub_f32_e32 v31, v30, v32
	v_mul_f32_e32 v27, v35, v27
	v_sub_f32_e32 v31, v34, v31
	v_add_f32_e32 v27, v31, v27
	v_cvt_f32_i32_e32 v26, v26
	v_add_f32_e32 v31, v30, v27
	v_mul_f32_e32 v32, v31, v31
	v_mov_b32_e32 v33, 0x3ecc95a3
	v_fmac_f32_e32 v33, 0x3e9b6dac, v32
	v_mov_b32_e32 v34, 0x3f2aaada
	v_fmac_f32_e32 v34, v32, v33
	v_mul_f32_e32 v33, 0x3f317218, v26
	v_fma_f32 v35, v26, s4, -v33
	v_fmac_f32_e32 v35, 0xb102e308, v26
	v_sub_f32_e32 v26, v31, v30
	v_sub_f32_e32 v26, v27, v26
	v_add_f32_e32 v27, v33, v35
	v_sub_f32_e32 v30, v27, v33
	v_ldexp_f32 v33, v31, 1
	v_mul_f32_e32 v31, v31, v32
	v_mul_f32_e32 v31, v31, v34
	v_add_f32_e32 v32, v33, v31
	v_sub_f32_e32 v33, v32, v33
	v_ldexp_f32 v26, v26, 1
	v_sub_f32_e32 v31, v31, v33
	v_add_f32_e32 v26, v26, v31
	v_add_f32_e32 v31, v32, v26
	v_sub_f32_e32 v32, v31, v32
	v_sub_f32_e32 v26, v26, v32
	v_add_f32_e32 v32, v27, v31
	v_sub_f32_e32 v33, v32, v27
	v_sub_f32_e32 v34, v32, v33
	;; [unrolled: 1-line block ×5, first 2 shown]
	v_add_f32_e32 v27, v31, v27
	v_add_f32_e32 v31, v30, v26
	v_sub_f32_e32 v33, v31, v30
	v_sub_f32_e32 v34, v31, v33
	;; [unrolled: 1-line block ×4, first 2 shown]
	v_add_f32_e32 v27, v31, v27
	v_add_f32_e32 v26, v26, v30
	;; [unrolled: 1-line block ×3, first 2 shown]
	v_sub_f32_e32 v31, v30, v32
	v_sub_f32_e32 v27, v27, v31
	v_add_f32_e32 v26, v26, v27
	v_add_f32_e32 v26, v30, v26
	v_cmp_neq_f32_e32 vcc, s2, v29
	s_mov_b32 s2, 0x33800000
	v_cndmask_b32_e32 v26, v28, v26, vcc
	v_cmp_lt_f32_e64 vcc, |v29|, s2
	v_cndmask_b32_e32 v26, v26, v29, vcc
	v_add_f32_e32 v26, v25, v26
.LBB478_182:
	s_or_b64 exec, exec, s[0:1]
	v_bfe_u32 v25, v26, 16, 1
	v_add3_u32 v25, v26, v25, s3
	v_cmp_o_f32_e32 vcc, v26, v26
	v_cndmask_b32_sdwa v24, v24, v25, vcc dst_sel:DWORD dst_unused:UNUSED_PAD src0_sel:DWORD src1_sel:WORD_1
	v_lshlrev_b32_e32 v25, 16, v24
	v_max_f32_e32 v27, v25, v25
	v_min_f32_e32 v26, v27, v48
	v_cmp_u_f32_e32 vcc, v25, v25
	v_max_f32_e32 v27, v27, v48
	v_cndmask_b32_e32 v26, v26, v25, vcc
	v_cndmask_b32_e32 v27, v27, v25, vcc
	v_cndmask_b32_e64 v26, v26, v8, s[94:95]
	v_cndmask_b32_e64 v8, v27, v8, s[94:95]
	s_movk_i32 s0, 0x1f8
	v_cmp_neq_f32_e32 vcc, v26, v8
	v_cmp_class_f32_e64 s[0:1], v26, s0
	s_or_b64 s[2:3], vcc, s[0:1]
	s_and_saveexec_b64 s[0:1], s[2:3]
	s_cbranch_execz .LBB478_184
; %bb.183:
	v_sub_f32_e32 v25, v26, v8
	s_mov_b32 s2, 0x3fb8aa3b
	v_mul_f32_e32 v26, 0x3fb8aa3b, v25
	v_fma_f32 v27, v25, s2, -v26
	v_rndne_f32_e32 v28, v26
	v_fmac_f32_e32 v27, 0x32a5705f, v25
	v_sub_f32_e32 v26, v26, v28
	v_add_f32_e32 v26, v26, v27
	v_exp_f32_e32 v26, v26
	v_cvt_i32_f32_e32 v27, v28
	s_mov_b32 s2, 0xc2ce8ed0
	v_cmp_ngt_f32_e32 vcc, s2, v25
	s_mov_b32 s2, 0x42b17218
	v_ldexp_f32 v26, v26, v27
	v_cndmask_b32_e32 v26, 0, v26, vcc
	v_mov_b32_e32 v27, 0x7f800000
	v_cmp_nlt_f32_e32 vcc, s2, v25
	v_cndmask_b32_e32 v28, v27, v26, vcc
	v_add_f32_e32 v29, 1.0, v28
	v_cvt_f64_f32_e32 v[25:26], v29
	v_add_f32_e32 v30, -1.0, v29
	v_sub_f32_e32 v31, v30, v29
	v_sub_f32_e32 v30, v28, v30
	v_frexp_exp_i32_f64_e32 v25, v[25:26]
	v_add_f32_e32 v26, 1.0, v31
	v_add_f32_e32 v26, v30, v26
	v_frexp_mant_f32_e32 v30, v29
	s_mov_b32 s3, 0x3f2aaaab
	v_cmp_gt_f32_e32 vcc, s3, v30
	s_mov_b32 s3, 0x3f317218
	s_mov_b32 s2, 0x7f800000
	v_subbrev_co_u32_e32 v25, vcc, 0, v25, vcc
	v_sub_u32_e32 v30, 0, v25
	v_ldexp_f32 v29, v29, v30
	v_ldexp_f32 v26, v26, v30
	v_add_f32_e32 v30, -1.0, v29
	v_add_f32_e32 v33, 1.0, v29
	v_add_f32_e32 v31, 1.0, v30
	v_add_f32_e32 v34, -1.0, v33
	v_sub_f32_e32 v31, v29, v31
	v_sub_f32_e32 v29, v29, v34
	v_add_f32_e32 v31, v26, v31
	v_add_f32_e32 v26, v26, v29
	;; [unrolled: 1-line block ×3, first 2 shown]
	v_rcp_f32_e32 v34, v29
	v_add_f32_e32 v32, v30, v31
	v_sub_f32_e32 v30, v30, v32
	v_add_f32_e32 v30, v31, v30
	v_sub_f32_e32 v31, v33, v29
	v_add_f32_e32 v26, v26, v31
	v_mul_f32_e32 v31, v32, v34
	v_mul_f32_e32 v33, v29, v31
	v_fma_f32 v35, v31, v29, -v33
	v_fmac_f32_e32 v35, v31, v26
	v_add_f32_e32 v36, v33, v35
	v_sub_f32_e32 v37, v32, v36
	v_sub_f32_e32 v32, v32, v37
	;; [unrolled: 1-line block ×4, first 2 shown]
	v_add_f32_e32 v30, v30, v32
	v_sub_f32_e32 v32, v33, v35
	v_add_f32_e32 v30, v32, v30
	v_add_f32_e32 v32, v37, v30
	v_mul_f32_e32 v33, v34, v32
	v_mul_f32_e32 v35, v29, v33
	v_fma_f32 v29, v33, v29, -v35
	v_fmac_f32_e32 v29, v33, v26
	v_sub_f32_e32 v26, v37, v32
	v_add_f32_e32 v26, v30, v26
	v_add_f32_e32 v30, v35, v29
	v_sub_f32_e32 v36, v32, v30
	v_sub_f32_e32 v32, v32, v36
	;; [unrolled: 1-line block ×4, first 2 shown]
	v_add_f32_e32 v26, v26, v30
	v_sub_f32_e32 v29, v35, v29
	v_add_f32_e32 v26, v29, v26
	v_add_f32_e32 v29, v31, v33
	;; [unrolled: 1-line block ×3, first 2 shown]
	v_sub_f32_e32 v30, v29, v31
	v_mul_f32_e32 v26, v34, v26
	v_sub_f32_e32 v30, v33, v30
	v_add_f32_e32 v26, v30, v26
	v_cvt_f32_i32_e32 v25, v25
	v_add_f32_e32 v30, v29, v26
	v_mul_f32_e32 v31, v30, v30
	v_mov_b32_e32 v32, 0x3ecc95a3
	v_fmac_f32_e32 v32, 0x3e9b6dac, v31
	v_mov_b32_e32 v33, 0x3f2aaada
	v_fmac_f32_e32 v33, v31, v32
	v_mul_f32_e32 v32, 0x3f317218, v25
	v_fma_f32 v34, v25, s3, -v32
	v_fmac_f32_e32 v34, 0xb102e308, v25
	v_sub_f32_e32 v25, v30, v29
	v_sub_f32_e32 v25, v26, v25
	v_add_f32_e32 v26, v32, v34
	v_sub_f32_e32 v29, v26, v32
	v_ldexp_f32 v32, v30, 1
	v_mul_f32_e32 v30, v30, v31
	v_mul_f32_e32 v30, v30, v33
	v_add_f32_e32 v31, v32, v30
	v_sub_f32_e32 v32, v31, v32
	v_ldexp_f32 v25, v25, 1
	v_sub_f32_e32 v30, v30, v32
	v_add_f32_e32 v25, v25, v30
	v_add_f32_e32 v30, v31, v25
	v_sub_f32_e32 v31, v30, v31
	v_sub_f32_e32 v25, v25, v31
	v_add_f32_e32 v31, v26, v30
	v_sub_f32_e32 v32, v31, v26
	v_sub_f32_e32 v33, v31, v32
	;; [unrolled: 1-line block ×5, first 2 shown]
	v_add_f32_e32 v26, v30, v26
	v_add_f32_e32 v30, v29, v25
	v_sub_f32_e32 v32, v30, v29
	v_sub_f32_e32 v33, v30, v32
	;; [unrolled: 1-line block ×4, first 2 shown]
	v_add_f32_e32 v26, v30, v26
	v_add_f32_e32 v25, v25, v29
	;; [unrolled: 1-line block ×3, first 2 shown]
	v_sub_f32_e32 v30, v29, v31
	v_sub_f32_e32 v26, v26, v30
	v_add_f32_e32 v25, v25, v26
	v_add_f32_e32 v25, v29, v25
	v_cmp_neq_f32_e32 vcc, s2, v28
	s_mov_b32 s2, 0x33800000
	v_cndmask_b32_e32 v25, v27, v25, vcc
	v_cmp_lt_f32_e64 vcc, |v28|, s2
	v_cndmask_b32_e32 v25, v25, v28, vcc
	v_add_f32_e32 v25, v8, v25
.LBB478_184:
	s_or_b64 exec, exec, s[0:1]
	v_bfe_u32 v8, v25, 16, 1
	s_movk_i32 s0, 0x7fff
	v_add3_u32 v8, v25, v8, s0
	v_cmp_o_f32_e32 vcc, v25, v25
	v_mov_b32_e32 v25, 0x7fc0
	s_mov_b32 s0, 0x5040100
	v_cndmask_b32_sdwa v8, v25, v8, vcc dst_sel:DWORD dst_unused:UNUSED_PAD src0_sel:DWORD src1_sel:WORD_1
	v_add_u32_e32 v25, v13, v53
	v_perm_b32 v4, v4, v16, s0
	v_perm_b32 v3, v3, v15, s0
	v_perm_b32 v2, v2, v14, s0
	v_perm_b32 v1, v0, v1, s0
	s_barrier
	ds_write_b128 v25, v[1:4]
	v_perm_b32 v3, v12, v20, s0
	v_perm_b32 v2, v11, v19, s0
	;; [unrolled: 1-line block ×4, first 2 shown]
	ds_write_b128 v25, v[0:3] offset:16
	v_perm_b32 v2, v7, v23, s0
	v_perm_b32 v1, v6, v22, s0
	;; [unrolled: 1-line block ×4, first 2 shown]
	ds_write_b128 v25, v[0:3] offset:32
	s_waitcnt lgkmcnt(0)
	s_barrier
	ds_read_u16 v25, v13 offset:512
	ds_read_u16 v24, v13 offset:1024
	;; [unrolled: 1-line block ×23, first 2 shown]
	v_mov_b32_e32 v1, s7
	v_add_co_u32_e32 v0, vcc, s6, v13
	v_addc_co_u32_e32 v1, vcc, 0, v1, vcc
	s_mov_b64 s[0:1], exec
	v_readlane_b32 s2, v73, 0
	v_readlane_b32 s3, v73, 1
	s_and_b64 s[2:3], s[0:1], s[2:3]
	s_mov_b64 exec, s[2:3]
	s_cbranch_execz .LBB478_186
; %bb.185:
	ds_read_u16 v13, v13
	s_waitcnt lgkmcnt(0)
	global_store_short v[0:1], v13, off
.LBB478_186:
	s_or_b64 exec, exec, s[0:1]
	s_mov_b64 s[0:1], exec
	v_readlane_b32 s2, v73, 2
	v_readlane_b32 s3, v73, 3
	s_and_b64 s[2:3], s[0:1], s[2:3]
	s_mov_b64 exec, s[2:3]
	s_cbranch_execz .LBB478_188
; %bb.187:
	s_waitcnt lgkmcnt(14)
	global_store_short v[0:1], v25, off offset:512
.LBB478_188:
	s_or_b64 exec, exec, s[0:1]
	s_mov_b64 s[0:1], exec
	v_readlane_b32 s2, v73, 4
	v_readlane_b32 s3, v73, 5
	s_and_b64 s[2:3], s[0:1], s[2:3]
	s_mov_b64 exec, s[2:3]
	s_cbranch_execz .LBB478_190
; %bb.189:
	s_waitcnt lgkmcnt(14)
	global_store_short v[0:1], v24, off offset:1024
.LBB478_190:
	;; [unrolled: 11-line block ×5, first 2 shown]
	s_or_b64 exec, exec, s[0:1]
	s_mov_b64 s[0:1], exec
	v_readlane_b32 s2, v73, 12
	v_readlane_b32 s3, v73, 13
	s_and_b64 s[2:3], s[0:1], s[2:3]
	s_mov_b64 exec, s[2:3]
	s_cbranch_execnz .LBB478_215
; %bb.197:
	s_or_b64 exec, exec, s[0:1]
	s_and_saveexec_b64 s[0:1], s[14:15]
	s_cbranch_execnz .LBB478_216
.LBB478_198:
	s_or_b64 exec, exec, s[0:1]
	s_and_saveexec_b64 s[0:1], s[16:17]
	s_cbranch_execnz .LBB478_217
.LBB478_199:
	s_or_b64 exec, exec, s[0:1]
	s_and_saveexec_b64 s[0:1], s[18:19]
	s_cbranch_execnz .LBB478_218
.LBB478_200:
	s_or_b64 exec, exec, s[0:1]
	s_and_saveexec_b64 s[0:1], s[20:21]
	s_cbranch_execnz .LBB478_219
.LBB478_201:
	s_or_b64 exec, exec, s[0:1]
	s_and_saveexec_b64 s[0:1], s[22:23]
	s_cbranch_execnz .LBB478_220
.LBB478_202:
	s_or_b64 exec, exec, s[0:1]
	s_and_saveexec_b64 s[0:1], s[24:25]
	s_cbranch_execnz .LBB478_221
.LBB478_203:
	s_or_b64 exec, exec, s[0:1]
	s_and_saveexec_b64 s[0:1], s[26:27]
	s_cbranch_execnz .LBB478_222
.LBB478_204:
	s_or_b64 exec, exec, s[0:1]
	s_and_saveexec_b64 s[0:1], s[28:29]
	s_cbranch_execnz .LBB478_223
.LBB478_205:
	s_or_b64 exec, exec, s[0:1]
	s_and_saveexec_b64 s[0:1], s[30:31]
	s_cbranch_execnz .LBB478_224
.LBB478_206:
	s_or_b64 exec, exec, s[0:1]
	s_and_saveexec_b64 s[0:1], s[34:35]
	s_cbranch_execnz .LBB478_225
.LBB478_207:
	s_or_b64 exec, exec, s[0:1]
	s_and_saveexec_b64 s[0:1], s[36:37]
	s_cbranch_execnz .LBB478_226
.LBB478_208:
	s_or_b64 exec, exec, s[0:1]
	s_and_saveexec_b64 s[0:1], s[38:39]
	s_cbranch_execnz .LBB478_227
.LBB478_209:
	s_or_b64 exec, exec, s[0:1]
	s_and_saveexec_b64 s[0:1], s[40:41]
	s_cbranch_execnz .LBB478_228
.LBB478_210:
	s_or_b64 exec, exec, s[0:1]
	s_and_saveexec_b64 s[0:1], s[42:43]
	s_cbranch_execnz .LBB478_229
.LBB478_211:
	s_or_b64 exec, exec, s[0:1]
	s_and_saveexec_b64 s[0:1], s[44:45]
	s_cbranch_execnz .LBB478_230
.LBB478_212:
	s_or_b64 exec, exec, s[0:1]
	s_and_saveexec_b64 s[0:1], s[46:47]
	s_cbranch_execnz .LBB478_231
.LBB478_213:
	s_or_b64 exec, exec, s[0:1]
	s_and_saveexec_b64 s[0:1], s[48:49]
	s_cbranch_execnz .LBB478_232
.LBB478_214:
	s_endpgm
.LBB478_215:
	s_waitcnt lgkmcnt(14)
	global_store_short v[0:1], v20, off offset:3072
	s_or_b64 exec, exec, s[0:1]
	s_and_saveexec_b64 s[0:1], s[14:15]
	s_cbranch_execz .LBB478_198
.LBB478_216:
	s_waitcnt lgkmcnt(14)
	global_store_short v[0:1], v19, off offset:3584
	s_or_b64 exec, exec, s[0:1]
	s_and_saveexec_b64 s[0:1], s[16:17]
	s_cbranch_execz .LBB478_199
.LBB478_217:
	s_waitcnt lgkmcnt(14)
	v_add_co_u32_e32 v19, vcc, 0x1000, v0
	v_addc_co_u32_e32 v20, vcc, 0, v1, vcc
	global_store_short v[19:20], v18, off
	s_or_b64 exec, exec, s[0:1]
	s_and_saveexec_b64 s[0:1], s[18:19]
	s_cbranch_execz .LBB478_200
.LBB478_218:
	s_waitcnt lgkmcnt(14)
	v_add_co_u32_e32 v18, vcc, 0x1000, v0
	v_addc_co_u32_e32 v19, vcc, 0, v1, vcc
	global_store_short v[18:19], v17, off offset:512
	s_or_b64 exec, exec, s[0:1]
	s_and_saveexec_b64 s[0:1], s[20:21]
	s_cbranch_execz .LBB478_201
.LBB478_219:
	s_waitcnt lgkmcnt(14)
	v_add_co_u32_e32 v17, vcc, 0x1000, v0
	v_addc_co_u32_e32 v18, vcc, 0, v1, vcc
	s_waitcnt lgkmcnt(13)
	global_store_short v[17:18], v16, off offset:1024
	s_or_b64 exec, exec, s[0:1]
	s_and_saveexec_b64 s[0:1], s[22:23]
	s_cbranch_execz .LBB478_202
.LBB478_220:
	s_waitcnt lgkmcnt(13)
	v_add_co_u32_e32 v16, vcc, 0x1000, v0
	v_addc_co_u32_e32 v17, vcc, 0, v1, vcc
	s_waitcnt lgkmcnt(12)
	global_store_short v[16:17], v15, off offset:1536
	s_or_b64 exec, exec, s[0:1]
	s_and_saveexec_b64 s[0:1], s[24:25]
	s_cbranch_execz .LBB478_203
.LBB478_221:
	s_waitcnt lgkmcnt(12)
	v_add_co_u32_e32 v15, vcc, 0x1000, v0
	v_addc_co_u32_e32 v16, vcc, 0, v1, vcc
	s_waitcnt lgkmcnt(11)
	global_store_short v[15:16], v14, off offset:2048
	s_or_b64 exec, exec, s[0:1]
	s_and_saveexec_b64 s[0:1], s[26:27]
	s_cbranch_execz .LBB478_204
.LBB478_222:
	v_add_co_u32_e32 v13, vcc, 0x1000, v0
	s_waitcnt lgkmcnt(11)
	v_addc_co_u32_e32 v14, vcc, 0, v1, vcc
	s_waitcnt lgkmcnt(10)
	global_store_short v[13:14], v12, off offset:2560
	s_or_b64 exec, exec, s[0:1]
	s_and_saveexec_b64 s[0:1], s[28:29]
	s_cbranch_execz .LBB478_205
.LBB478_223:
	s_waitcnt lgkmcnt(10)
	v_add_co_u32_e32 v12, vcc, 0x1000, v0
	v_addc_co_u32_e32 v13, vcc, 0, v1, vcc
	s_waitcnt lgkmcnt(9)
	global_store_short v[12:13], v11, off offset:3072
	s_or_b64 exec, exec, s[0:1]
	s_and_saveexec_b64 s[0:1], s[30:31]
	s_cbranch_execz .LBB478_206
.LBB478_224:
	s_waitcnt lgkmcnt(9)
	v_add_co_u32_e32 v11, vcc, 0x1000, v0
	v_addc_co_u32_e32 v12, vcc, 0, v1, vcc
	s_waitcnt lgkmcnt(8)
	global_store_short v[11:12], v10, off offset:3584
	s_or_b64 exec, exec, s[0:1]
	s_and_saveexec_b64 s[0:1], s[34:35]
	s_cbranch_execz .LBB478_207
.LBB478_225:
	s_waitcnt lgkmcnt(8)
	v_add_co_u32_e32 v10, vcc, 0x2000, v0
	v_addc_co_u32_e32 v11, vcc, 0, v1, vcc
	s_waitcnt lgkmcnt(7)
	global_store_short v[10:11], v9, off
	s_or_b64 exec, exec, s[0:1]
	s_and_saveexec_b64 s[0:1], s[36:37]
	s_cbranch_execz .LBB478_208
.LBB478_226:
	s_waitcnt lgkmcnt(7)
	v_add_co_u32_e32 v9, vcc, 0x2000, v0
	v_addc_co_u32_e32 v10, vcc, 0, v1, vcc
	s_waitcnt lgkmcnt(6)
	global_store_short v[9:10], v8, off offset:512
	s_or_b64 exec, exec, s[0:1]
	s_and_saveexec_b64 s[0:1], s[38:39]
	s_cbranch_execz .LBB478_209
.LBB478_227:
	s_waitcnt lgkmcnt(6)
	v_add_co_u32_e32 v8, vcc, 0x2000, v0
	v_addc_co_u32_e32 v9, vcc, 0, v1, vcc
	s_waitcnt lgkmcnt(5)
	global_store_short v[8:9], v7, off offset:1024
	s_or_b64 exec, exec, s[0:1]
	s_and_saveexec_b64 s[0:1], s[40:41]
	s_cbranch_execz .LBB478_210
.LBB478_228:
	s_waitcnt lgkmcnt(5)
	v_add_co_u32_e32 v7, vcc, 0x2000, v0
	v_addc_co_u32_e32 v8, vcc, 0, v1, vcc
	s_waitcnt lgkmcnt(4)
	global_store_short v[7:8], v6, off offset:1536
	s_or_b64 exec, exec, s[0:1]
	s_and_saveexec_b64 s[0:1], s[42:43]
	s_cbranch_execz .LBB478_211
.LBB478_229:
	s_waitcnt lgkmcnt(4)
	v_add_co_u32_e32 v6, vcc, 0x2000, v0
	v_addc_co_u32_e32 v7, vcc, 0, v1, vcc
	s_waitcnt lgkmcnt(3)
	global_store_short v[6:7], v5, off offset:2048
	s_or_b64 exec, exec, s[0:1]
	s_and_saveexec_b64 s[0:1], s[44:45]
	s_cbranch_execz .LBB478_212
.LBB478_230:
	s_waitcnt lgkmcnt(3)
	v_add_co_u32_e32 v5, vcc, 0x2000, v0
	v_addc_co_u32_e32 v6, vcc, 0, v1, vcc
	s_waitcnt lgkmcnt(2)
	global_store_short v[5:6], v4, off offset:2560
	s_or_b64 exec, exec, s[0:1]
	s_and_saveexec_b64 s[0:1], s[46:47]
	s_cbranch_execz .LBB478_213
.LBB478_231:
	s_waitcnt lgkmcnt(2)
	v_add_co_u32_e32 v4, vcc, 0x2000, v0
	v_addc_co_u32_e32 v5, vcc, 0, v1, vcc
	s_waitcnt lgkmcnt(1)
	global_store_short v[4:5], v3, off offset:3072
	s_or_b64 exec, exec, s[0:1]
	s_and_saveexec_b64 s[0:1], s[48:49]
	s_cbranch_execz .LBB478_214
.LBB478_232:
	v_add_co_u32_e32 v0, vcc, 0x2000, v0
	v_addc_co_u32_e32 v1, vcc, 0, v1, vcc
	s_waitcnt lgkmcnt(0)
	global_store_short v[0:1], v2, off offset:3584
	s_endpgm
	.section	.rodata,"a",@progbits
	.p2align	6, 0x0
	.amdhsa_kernel _ZN7rocprim17ROCPRIM_400000_NS6detail17trampoline_kernelINS0_14default_configENS1_20scan_config_selectorIN3c108BFloat16EEEZZNS1_9scan_implILNS1_25lookback_scan_determinismE0ELb0ELb0ES3_PKS6_PS6_S6_ZZZN2at6native31launch_logcumsumexp_cuda_kernelERKNSD_10TensorBaseESH_lENKUlvE_clEvENKUlvE4_clEvEUlS6_S6_E_S6_EEDaPvRmT3_T4_T5_mT6_P12ihipStream_tbENKUlT_T0_E_clISt17integral_constantIbLb1EESY_EEDaST_SU_EUlST_E0_NS1_11comp_targetILNS1_3genE2ELNS1_11target_archE906ELNS1_3gpuE6ELNS1_3repE0EEENS1_30default_config_static_selectorELNS0_4arch9wavefront6targetE1EEEvT1_
		.amdhsa_group_segment_fixed_size 12288
		.amdhsa_private_segment_fixed_size 0
		.amdhsa_kernarg_size 32
		.amdhsa_user_sgpr_count 6
		.amdhsa_user_sgpr_private_segment_buffer 1
		.amdhsa_user_sgpr_dispatch_ptr 0
		.amdhsa_user_sgpr_queue_ptr 0
		.amdhsa_user_sgpr_kernarg_segment_ptr 1
		.amdhsa_user_sgpr_dispatch_id 0
		.amdhsa_user_sgpr_flat_scratch_init 0
		.amdhsa_user_sgpr_private_segment_size 0
		.amdhsa_uses_dynamic_stack 0
		.amdhsa_system_sgpr_private_segment_wavefront_offset 0
		.amdhsa_system_sgpr_workgroup_id_x 1
		.amdhsa_system_sgpr_workgroup_id_y 0
		.amdhsa_system_sgpr_workgroup_id_z 0
		.amdhsa_system_sgpr_workgroup_info 0
		.amdhsa_system_vgpr_workitem_id 0
		.amdhsa_next_free_vgpr 74
		.amdhsa_next_free_sgpr 98
		.amdhsa_reserve_vcc 1
		.amdhsa_reserve_flat_scratch 0
		.amdhsa_float_round_mode_32 0
		.amdhsa_float_round_mode_16_64 0
		.amdhsa_float_denorm_mode_32 3
		.amdhsa_float_denorm_mode_16_64 3
		.amdhsa_dx10_clamp 1
		.amdhsa_ieee_mode 1
		.amdhsa_fp16_overflow 0
		.amdhsa_exception_fp_ieee_invalid_op 0
		.amdhsa_exception_fp_denorm_src 0
		.amdhsa_exception_fp_ieee_div_zero 0
		.amdhsa_exception_fp_ieee_overflow 0
		.amdhsa_exception_fp_ieee_underflow 0
		.amdhsa_exception_fp_ieee_inexact 0
		.amdhsa_exception_int_div_zero 0
	.end_amdhsa_kernel
	.section	.text._ZN7rocprim17ROCPRIM_400000_NS6detail17trampoline_kernelINS0_14default_configENS1_20scan_config_selectorIN3c108BFloat16EEEZZNS1_9scan_implILNS1_25lookback_scan_determinismE0ELb0ELb0ES3_PKS6_PS6_S6_ZZZN2at6native31launch_logcumsumexp_cuda_kernelERKNSD_10TensorBaseESH_lENKUlvE_clEvENKUlvE4_clEvEUlS6_S6_E_S6_EEDaPvRmT3_T4_T5_mT6_P12ihipStream_tbENKUlT_T0_E_clISt17integral_constantIbLb1EESY_EEDaST_SU_EUlST_E0_NS1_11comp_targetILNS1_3genE2ELNS1_11target_archE906ELNS1_3gpuE6ELNS1_3repE0EEENS1_30default_config_static_selectorELNS0_4arch9wavefront6targetE1EEEvT1_,"axG",@progbits,_ZN7rocprim17ROCPRIM_400000_NS6detail17trampoline_kernelINS0_14default_configENS1_20scan_config_selectorIN3c108BFloat16EEEZZNS1_9scan_implILNS1_25lookback_scan_determinismE0ELb0ELb0ES3_PKS6_PS6_S6_ZZZN2at6native31launch_logcumsumexp_cuda_kernelERKNSD_10TensorBaseESH_lENKUlvE_clEvENKUlvE4_clEvEUlS6_S6_E_S6_EEDaPvRmT3_T4_T5_mT6_P12ihipStream_tbENKUlT_T0_E_clISt17integral_constantIbLb1EESY_EEDaST_SU_EUlST_E0_NS1_11comp_targetILNS1_3genE2ELNS1_11target_archE906ELNS1_3gpuE6ELNS1_3repE0EEENS1_30default_config_static_selectorELNS0_4arch9wavefront6targetE1EEEvT1_,comdat
.Lfunc_end478:
	.size	_ZN7rocprim17ROCPRIM_400000_NS6detail17trampoline_kernelINS0_14default_configENS1_20scan_config_selectorIN3c108BFloat16EEEZZNS1_9scan_implILNS1_25lookback_scan_determinismE0ELb0ELb0ES3_PKS6_PS6_S6_ZZZN2at6native31launch_logcumsumexp_cuda_kernelERKNSD_10TensorBaseESH_lENKUlvE_clEvENKUlvE4_clEvEUlS6_S6_E_S6_EEDaPvRmT3_T4_T5_mT6_P12ihipStream_tbENKUlT_T0_E_clISt17integral_constantIbLb1EESY_EEDaST_SU_EUlST_E0_NS1_11comp_targetILNS1_3genE2ELNS1_11target_archE906ELNS1_3gpuE6ELNS1_3repE0EEENS1_30default_config_static_selectorELNS0_4arch9wavefront6targetE1EEEvT1_, .Lfunc_end478-_ZN7rocprim17ROCPRIM_400000_NS6detail17trampoline_kernelINS0_14default_configENS1_20scan_config_selectorIN3c108BFloat16EEEZZNS1_9scan_implILNS1_25lookback_scan_determinismE0ELb0ELb0ES3_PKS6_PS6_S6_ZZZN2at6native31launch_logcumsumexp_cuda_kernelERKNSD_10TensorBaseESH_lENKUlvE_clEvENKUlvE4_clEvEUlS6_S6_E_S6_EEDaPvRmT3_T4_T5_mT6_P12ihipStream_tbENKUlT_T0_E_clISt17integral_constantIbLb1EESY_EEDaST_SU_EUlST_E0_NS1_11comp_targetILNS1_3genE2ELNS1_11target_archE906ELNS1_3gpuE6ELNS1_3repE0EEENS1_30default_config_static_selectorELNS0_4arch9wavefront6targetE1EEEvT1_
                                        ; -- End function
	.set _ZN7rocprim17ROCPRIM_400000_NS6detail17trampoline_kernelINS0_14default_configENS1_20scan_config_selectorIN3c108BFloat16EEEZZNS1_9scan_implILNS1_25lookback_scan_determinismE0ELb0ELb0ES3_PKS6_PS6_S6_ZZZN2at6native31launch_logcumsumexp_cuda_kernelERKNSD_10TensorBaseESH_lENKUlvE_clEvENKUlvE4_clEvEUlS6_S6_E_S6_EEDaPvRmT3_T4_T5_mT6_P12ihipStream_tbENKUlT_T0_E_clISt17integral_constantIbLb1EESY_EEDaST_SU_EUlST_E0_NS1_11comp_targetILNS1_3genE2ELNS1_11target_archE906ELNS1_3gpuE6ELNS1_3repE0EEENS1_30default_config_static_selectorELNS0_4arch9wavefront6targetE1EEEvT1_.num_vgpr, 74
	.set _ZN7rocprim17ROCPRIM_400000_NS6detail17trampoline_kernelINS0_14default_configENS1_20scan_config_selectorIN3c108BFloat16EEEZZNS1_9scan_implILNS1_25lookback_scan_determinismE0ELb0ELb0ES3_PKS6_PS6_S6_ZZZN2at6native31launch_logcumsumexp_cuda_kernelERKNSD_10TensorBaseESH_lENKUlvE_clEvENKUlvE4_clEvEUlS6_S6_E_S6_EEDaPvRmT3_T4_T5_mT6_P12ihipStream_tbENKUlT_T0_E_clISt17integral_constantIbLb1EESY_EEDaST_SU_EUlST_E0_NS1_11comp_targetILNS1_3genE2ELNS1_11target_archE906ELNS1_3gpuE6ELNS1_3repE0EEENS1_30default_config_static_selectorELNS0_4arch9wavefront6targetE1EEEvT1_.num_agpr, 0
	.set _ZN7rocprim17ROCPRIM_400000_NS6detail17trampoline_kernelINS0_14default_configENS1_20scan_config_selectorIN3c108BFloat16EEEZZNS1_9scan_implILNS1_25lookback_scan_determinismE0ELb0ELb0ES3_PKS6_PS6_S6_ZZZN2at6native31launch_logcumsumexp_cuda_kernelERKNSD_10TensorBaseESH_lENKUlvE_clEvENKUlvE4_clEvEUlS6_S6_E_S6_EEDaPvRmT3_T4_T5_mT6_P12ihipStream_tbENKUlT_T0_E_clISt17integral_constantIbLb1EESY_EEDaST_SU_EUlST_E0_NS1_11comp_targetILNS1_3genE2ELNS1_11target_archE906ELNS1_3gpuE6ELNS1_3repE0EEENS1_30default_config_static_selectorELNS0_4arch9wavefront6targetE1EEEvT1_.numbered_sgpr, 96
	.set _ZN7rocprim17ROCPRIM_400000_NS6detail17trampoline_kernelINS0_14default_configENS1_20scan_config_selectorIN3c108BFloat16EEEZZNS1_9scan_implILNS1_25lookback_scan_determinismE0ELb0ELb0ES3_PKS6_PS6_S6_ZZZN2at6native31launch_logcumsumexp_cuda_kernelERKNSD_10TensorBaseESH_lENKUlvE_clEvENKUlvE4_clEvEUlS6_S6_E_S6_EEDaPvRmT3_T4_T5_mT6_P12ihipStream_tbENKUlT_T0_E_clISt17integral_constantIbLb1EESY_EEDaST_SU_EUlST_E0_NS1_11comp_targetILNS1_3genE2ELNS1_11target_archE906ELNS1_3gpuE6ELNS1_3repE0EEENS1_30default_config_static_selectorELNS0_4arch9wavefront6targetE1EEEvT1_.num_named_barrier, 0
	.set _ZN7rocprim17ROCPRIM_400000_NS6detail17trampoline_kernelINS0_14default_configENS1_20scan_config_selectorIN3c108BFloat16EEEZZNS1_9scan_implILNS1_25lookback_scan_determinismE0ELb0ELb0ES3_PKS6_PS6_S6_ZZZN2at6native31launch_logcumsumexp_cuda_kernelERKNSD_10TensorBaseESH_lENKUlvE_clEvENKUlvE4_clEvEUlS6_S6_E_S6_EEDaPvRmT3_T4_T5_mT6_P12ihipStream_tbENKUlT_T0_E_clISt17integral_constantIbLb1EESY_EEDaST_SU_EUlST_E0_NS1_11comp_targetILNS1_3genE2ELNS1_11target_archE906ELNS1_3gpuE6ELNS1_3repE0EEENS1_30default_config_static_selectorELNS0_4arch9wavefront6targetE1EEEvT1_.private_seg_size, 0
	.set _ZN7rocprim17ROCPRIM_400000_NS6detail17trampoline_kernelINS0_14default_configENS1_20scan_config_selectorIN3c108BFloat16EEEZZNS1_9scan_implILNS1_25lookback_scan_determinismE0ELb0ELb0ES3_PKS6_PS6_S6_ZZZN2at6native31launch_logcumsumexp_cuda_kernelERKNSD_10TensorBaseESH_lENKUlvE_clEvENKUlvE4_clEvEUlS6_S6_E_S6_EEDaPvRmT3_T4_T5_mT6_P12ihipStream_tbENKUlT_T0_E_clISt17integral_constantIbLb1EESY_EEDaST_SU_EUlST_E0_NS1_11comp_targetILNS1_3genE2ELNS1_11target_archE906ELNS1_3gpuE6ELNS1_3repE0EEENS1_30default_config_static_selectorELNS0_4arch9wavefront6targetE1EEEvT1_.uses_vcc, 1
	.set _ZN7rocprim17ROCPRIM_400000_NS6detail17trampoline_kernelINS0_14default_configENS1_20scan_config_selectorIN3c108BFloat16EEEZZNS1_9scan_implILNS1_25lookback_scan_determinismE0ELb0ELb0ES3_PKS6_PS6_S6_ZZZN2at6native31launch_logcumsumexp_cuda_kernelERKNSD_10TensorBaseESH_lENKUlvE_clEvENKUlvE4_clEvEUlS6_S6_E_S6_EEDaPvRmT3_T4_T5_mT6_P12ihipStream_tbENKUlT_T0_E_clISt17integral_constantIbLb1EESY_EEDaST_SU_EUlST_E0_NS1_11comp_targetILNS1_3genE2ELNS1_11target_archE906ELNS1_3gpuE6ELNS1_3repE0EEENS1_30default_config_static_selectorELNS0_4arch9wavefront6targetE1EEEvT1_.uses_flat_scratch, 0
	.set _ZN7rocprim17ROCPRIM_400000_NS6detail17trampoline_kernelINS0_14default_configENS1_20scan_config_selectorIN3c108BFloat16EEEZZNS1_9scan_implILNS1_25lookback_scan_determinismE0ELb0ELb0ES3_PKS6_PS6_S6_ZZZN2at6native31launch_logcumsumexp_cuda_kernelERKNSD_10TensorBaseESH_lENKUlvE_clEvENKUlvE4_clEvEUlS6_S6_E_S6_EEDaPvRmT3_T4_T5_mT6_P12ihipStream_tbENKUlT_T0_E_clISt17integral_constantIbLb1EESY_EEDaST_SU_EUlST_E0_NS1_11comp_targetILNS1_3genE2ELNS1_11target_archE906ELNS1_3gpuE6ELNS1_3repE0EEENS1_30default_config_static_selectorELNS0_4arch9wavefront6targetE1EEEvT1_.has_dyn_sized_stack, 0
	.set _ZN7rocprim17ROCPRIM_400000_NS6detail17trampoline_kernelINS0_14default_configENS1_20scan_config_selectorIN3c108BFloat16EEEZZNS1_9scan_implILNS1_25lookback_scan_determinismE0ELb0ELb0ES3_PKS6_PS6_S6_ZZZN2at6native31launch_logcumsumexp_cuda_kernelERKNSD_10TensorBaseESH_lENKUlvE_clEvENKUlvE4_clEvEUlS6_S6_E_S6_EEDaPvRmT3_T4_T5_mT6_P12ihipStream_tbENKUlT_T0_E_clISt17integral_constantIbLb1EESY_EEDaST_SU_EUlST_E0_NS1_11comp_targetILNS1_3genE2ELNS1_11target_archE906ELNS1_3gpuE6ELNS1_3repE0EEENS1_30default_config_static_selectorELNS0_4arch9wavefront6targetE1EEEvT1_.has_recursion, 0
	.set _ZN7rocprim17ROCPRIM_400000_NS6detail17trampoline_kernelINS0_14default_configENS1_20scan_config_selectorIN3c108BFloat16EEEZZNS1_9scan_implILNS1_25lookback_scan_determinismE0ELb0ELb0ES3_PKS6_PS6_S6_ZZZN2at6native31launch_logcumsumexp_cuda_kernelERKNSD_10TensorBaseESH_lENKUlvE_clEvENKUlvE4_clEvEUlS6_S6_E_S6_EEDaPvRmT3_T4_T5_mT6_P12ihipStream_tbENKUlT_T0_E_clISt17integral_constantIbLb1EESY_EEDaST_SU_EUlST_E0_NS1_11comp_targetILNS1_3genE2ELNS1_11target_archE906ELNS1_3gpuE6ELNS1_3repE0EEENS1_30default_config_static_selectorELNS0_4arch9wavefront6targetE1EEEvT1_.has_indirect_call, 0
	.section	.AMDGPU.csdata,"",@progbits
; Kernel info:
; codeLenInByte = 48648
; TotalNumSgprs: 100
; NumVgprs: 74
; ScratchSize: 0
; MemoryBound: 0
; FloatMode: 240
; IeeeMode: 1
; LDSByteSize: 12288 bytes/workgroup (compile time only)
; SGPRBlocks: 12
; VGPRBlocks: 18
; NumSGPRsForWavesPerEU: 102
; NumVGPRsForWavesPerEU: 74
; Occupancy: 3
; WaveLimiterHint : 0
; COMPUTE_PGM_RSRC2:SCRATCH_EN: 0
; COMPUTE_PGM_RSRC2:USER_SGPR: 6
; COMPUTE_PGM_RSRC2:TRAP_HANDLER: 0
; COMPUTE_PGM_RSRC2:TGID_X_EN: 1
; COMPUTE_PGM_RSRC2:TGID_Y_EN: 0
; COMPUTE_PGM_RSRC2:TGID_Z_EN: 0
; COMPUTE_PGM_RSRC2:TIDIG_COMP_CNT: 0
	.section	.text._ZN7rocprim17ROCPRIM_400000_NS6detail17trampoline_kernelINS0_14default_configENS1_20scan_config_selectorIN3c108BFloat16EEEZZNS1_9scan_implILNS1_25lookback_scan_determinismE0ELb0ELb0ES3_PKS6_PS6_S6_ZZZN2at6native31launch_logcumsumexp_cuda_kernelERKNSD_10TensorBaseESH_lENKUlvE_clEvENKUlvE4_clEvEUlS6_S6_E_S6_EEDaPvRmT3_T4_T5_mT6_P12ihipStream_tbENKUlT_T0_E_clISt17integral_constantIbLb1EESY_EEDaST_SU_EUlST_E0_NS1_11comp_targetILNS1_3genE10ELNS1_11target_archE1201ELNS1_3gpuE5ELNS1_3repE0EEENS1_30default_config_static_selectorELNS0_4arch9wavefront6targetE1EEEvT1_,"axG",@progbits,_ZN7rocprim17ROCPRIM_400000_NS6detail17trampoline_kernelINS0_14default_configENS1_20scan_config_selectorIN3c108BFloat16EEEZZNS1_9scan_implILNS1_25lookback_scan_determinismE0ELb0ELb0ES3_PKS6_PS6_S6_ZZZN2at6native31launch_logcumsumexp_cuda_kernelERKNSD_10TensorBaseESH_lENKUlvE_clEvENKUlvE4_clEvEUlS6_S6_E_S6_EEDaPvRmT3_T4_T5_mT6_P12ihipStream_tbENKUlT_T0_E_clISt17integral_constantIbLb1EESY_EEDaST_SU_EUlST_E0_NS1_11comp_targetILNS1_3genE10ELNS1_11target_archE1201ELNS1_3gpuE5ELNS1_3repE0EEENS1_30default_config_static_selectorELNS0_4arch9wavefront6targetE1EEEvT1_,comdat
	.globl	_ZN7rocprim17ROCPRIM_400000_NS6detail17trampoline_kernelINS0_14default_configENS1_20scan_config_selectorIN3c108BFloat16EEEZZNS1_9scan_implILNS1_25lookback_scan_determinismE0ELb0ELb0ES3_PKS6_PS6_S6_ZZZN2at6native31launch_logcumsumexp_cuda_kernelERKNSD_10TensorBaseESH_lENKUlvE_clEvENKUlvE4_clEvEUlS6_S6_E_S6_EEDaPvRmT3_T4_T5_mT6_P12ihipStream_tbENKUlT_T0_E_clISt17integral_constantIbLb1EESY_EEDaST_SU_EUlST_E0_NS1_11comp_targetILNS1_3genE10ELNS1_11target_archE1201ELNS1_3gpuE5ELNS1_3repE0EEENS1_30default_config_static_selectorELNS0_4arch9wavefront6targetE1EEEvT1_ ; -- Begin function _ZN7rocprim17ROCPRIM_400000_NS6detail17trampoline_kernelINS0_14default_configENS1_20scan_config_selectorIN3c108BFloat16EEEZZNS1_9scan_implILNS1_25lookback_scan_determinismE0ELb0ELb0ES3_PKS6_PS6_S6_ZZZN2at6native31launch_logcumsumexp_cuda_kernelERKNSD_10TensorBaseESH_lENKUlvE_clEvENKUlvE4_clEvEUlS6_S6_E_S6_EEDaPvRmT3_T4_T5_mT6_P12ihipStream_tbENKUlT_T0_E_clISt17integral_constantIbLb1EESY_EEDaST_SU_EUlST_E0_NS1_11comp_targetILNS1_3genE10ELNS1_11target_archE1201ELNS1_3gpuE5ELNS1_3repE0EEENS1_30default_config_static_selectorELNS0_4arch9wavefront6targetE1EEEvT1_
	.p2align	8
	.type	_ZN7rocprim17ROCPRIM_400000_NS6detail17trampoline_kernelINS0_14default_configENS1_20scan_config_selectorIN3c108BFloat16EEEZZNS1_9scan_implILNS1_25lookback_scan_determinismE0ELb0ELb0ES3_PKS6_PS6_S6_ZZZN2at6native31launch_logcumsumexp_cuda_kernelERKNSD_10TensorBaseESH_lENKUlvE_clEvENKUlvE4_clEvEUlS6_S6_E_S6_EEDaPvRmT3_T4_T5_mT6_P12ihipStream_tbENKUlT_T0_E_clISt17integral_constantIbLb1EESY_EEDaST_SU_EUlST_E0_NS1_11comp_targetILNS1_3genE10ELNS1_11target_archE1201ELNS1_3gpuE5ELNS1_3repE0EEENS1_30default_config_static_selectorELNS0_4arch9wavefront6targetE1EEEvT1_,@function
_ZN7rocprim17ROCPRIM_400000_NS6detail17trampoline_kernelINS0_14default_configENS1_20scan_config_selectorIN3c108BFloat16EEEZZNS1_9scan_implILNS1_25lookback_scan_determinismE0ELb0ELb0ES3_PKS6_PS6_S6_ZZZN2at6native31launch_logcumsumexp_cuda_kernelERKNSD_10TensorBaseESH_lENKUlvE_clEvENKUlvE4_clEvEUlS6_S6_E_S6_EEDaPvRmT3_T4_T5_mT6_P12ihipStream_tbENKUlT_T0_E_clISt17integral_constantIbLb1EESY_EEDaST_SU_EUlST_E0_NS1_11comp_targetILNS1_3genE10ELNS1_11target_archE1201ELNS1_3gpuE5ELNS1_3repE0EEENS1_30default_config_static_selectorELNS0_4arch9wavefront6targetE1EEEvT1_: ; @_ZN7rocprim17ROCPRIM_400000_NS6detail17trampoline_kernelINS0_14default_configENS1_20scan_config_selectorIN3c108BFloat16EEEZZNS1_9scan_implILNS1_25lookback_scan_determinismE0ELb0ELb0ES3_PKS6_PS6_S6_ZZZN2at6native31launch_logcumsumexp_cuda_kernelERKNSD_10TensorBaseESH_lENKUlvE_clEvENKUlvE4_clEvEUlS6_S6_E_S6_EEDaPvRmT3_T4_T5_mT6_P12ihipStream_tbENKUlT_T0_E_clISt17integral_constantIbLb1EESY_EEDaST_SU_EUlST_E0_NS1_11comp_targetILNS1_3genE10ELNS1_11target_archE1201ELNS1_3gpuE5ELNS1_3repE0EEENS1_30default_config_static_selectorELNS0_4arch9wavefront6targetE1EEEvT1_
; %bb.0:
	.section	.rodata,"a",@progbits
	.p2align	6, 0x0
	.amdhsa_kernel _ZN7rocprim17ROCPRIM_400000_NS6detail17trampoline_kernelINS0_14default_configENS1_20scan_config_selectorIN3c108BFloat16EEEZZNS1_9scan_implILNS1_25lookback_scan_determinismE0ELb0ELb0ES3_PKS6_PS6_S6_ZZZN2at6native31launch_logcumsumexp_cuda_kernelERKNSD_10TensorBaseESH_lENKUlvE_clEvENKUlvE4_clEvEUlS6_S6_E_S6_EEDaPvRmT3_T4_T5_mT6_P12ihipStream_tbENKUlT_T0_E_clISt17integral_constantIbLb1EESY_EEDaST_SU_EUlST_E0_NS1_11comp_targetILNS1_3genE10ELNS1_11target_archE1201ELNS1_3gpuE5ELNS1_3repE0EEENS1_30default_config_static_selectorELNS0_4arch9wavefront6targetE1EEEvT1_
		.amdhsa_group_segment_fixed_size 0
		.amdhsa_private_segment_fixed_size 0
		.amdhsa_kernarg_size 32
		.amdhsa_user_sgpr_count 6
		.amdhsa_user_sgpr_private_segment_buffer 1
		.amdhsa_user_sgpr_dispatch_ptr 0
		.amdhsa_user_sgpr_queue_ptr 0
		.amdhsa_user_sgpr_kernarg_segment_ptr 1
		.amdhsa_user_sgpr_dispatch_id 0
		.amdhsa_user_sgpr_flat_scratch_init 0
		.amdhsa_user_sgpr_private_segment_size 0
		.amdhsa_uses_dynamic_stack 0
		.amdhsa_system_sgpr_private_segment_wavefront_offset 0
		.amdhsa_system_sgpr_workgroup_id_x 1
		.amdhsa_system_sgpr_workgroup_id_y 0
		.amdhsa_system_sgpr_workgroup_id_z 0
		.amdhsa_system_sgpr_workgroup_info 0
		.amdhsa_system_vgpr_workitem_id 0
		.amdhsa_next_free_vgpr 1
		.amdhsa_next_free_sgpr 0
		.amdhsa_reserve_vcc 0
		.amdhsa_reserve_flat_scratch 0
		.amdhsa_float_round_mode_32 0
		.amdhsa_float_round_mode_16_64 0
		.amdhsa_float_denorm_mode_32 3
		.amdhsa_float_denorm_mode_16_64 3
		.amdhsa_dx10_clamp 1
		.amdhsa_ieee_mode 1
		.amdhsa_fp16_overflow 0
		.amdhsa_exception_fp_ieee_invalid_op 0
		.amdhsa_exception_fp_denorm_src 0
		.amdhsa_exception_fp_ieee_div_zero 0
		.amdhsa_exception_fp_ieee_overflow 0
		.amdhsa_exception_fp_ieee_underflow 0
		.amdhsa_exception_fp_ieee_inexact 0
		.amdhsa_exception_int_div_zero 0
	.end_amdhsa_kernel
	.section	.text._ZN7rocprim17ROCPRIM_400000_NS6detail17trampoline_kernelINS0_14default_configENS1_20scan_config_selectorIN3c108BFloat16EEEZZNS1_9scan_implILNS1_25lookback_scan_determinismE0ELb0ELb0ES3_PKS6_PS6_S6_ZZZN2at6native31launch_logcumsumexp_cuda_kernelERKNSD_10TensorBaseESH_lENKUlvE_clEvENKUlvE4_clEvEUlS6_S6_E_S6_EEDaPvRmT3_T4_T5_mT6_P12ihipStream_tbENKUlT_T0_E_clISt17integral_constantIbLb1EESY_EEDaST_SU_EUlST_E0_NS1_11comp_targetILNS1_3genE10ELNS1_11target_archE1201ELNS1_3gpuE5ELNS1_3repE0EEENS1_30default_config_static_selectorELNS0_4arch9wavefront6targetE1EEEvT1_,"axG",@progbits,_ZN7rocprim17ROCPRIM_400000_NS6detail17trampoline_kernelINS0_14default_configENS1_20scan_config_selectorIN3c108BFloat16EEEZZNS1_9scan_implILNS1_25lookback_scan_determinismE0ELb0ELb0ES3_PKS6_PS6_S6_ZZZN2at6native31launch_logcumsumexp_cuda_kernelERKNSD_10TensorBaseESH_lENKUlvE_clEvENKUlvE4_clEvEUlS6_S6_E_S6_EEDaPvRmT3_T4_T5_mT6_P12ihipStream_tbENKUlT_T0_E_clISt17integral_constantIbLb1EESY_EEDaST_SU_EUlST_E0_NS1_11comp_targetILNS1_3genE10ELNS1_11target_archE1201ELNS1_3gpuE5ELNS1_3repE0EEENS1_30default_config_static_selectorELNS0_4arch9wavefront6targetE1EEEvT1_,comdat
.Lfunc_end479:
	.size	_ZN7rocprim17ROCPRIM_400000_NS6detail17trampoline_kernelINS0_14default_configENS1_20scan_config_selectorIN3c108BFloat16EEEZZNS1_9scan_implILNS1_25lookback_scan_determinismE0ELb0ELb0ES3_PKS6_PS6_S6_ZZZN2at6native31launch_logcumsumexp_cuda_kernelERKNSD_10TensorBaseESH_lENKUlvE_clEvENKUlvE4_clEvEUlS6_S6_E_S6_EEDaPvRmT3_T4_T5_mT6_P12ihipStream_tbENKUlT_T0_E_clISt17integral_constantIbLb1EESY_EEDaST_SU_EUlST_E0_NS1_11comp_targetILNS1_3genE10ELNS1_11target_archE1201ELNS1_3gpuE5ELNS1_3repE0EEENS1_30default_config_static_selectorELNS0_4arch9wavefront6targetE1EEEvT1_, .Lfunc_end479-_ZN7rocprim17ROCPRIM_400000_NS6detail17trampoline_kernelINS0_14default_configENS1_20scan_config_selectorIN3c108BFloat16EEEZZNS1_9scan_implILNS1_25lookback_scan_determinismE0ELb0ELb0ES3_PKS6_PS6_S6_ZZZN2at6native31launch_logcumsumexp_cuda_kernelERKNSD_10TensorBaseESH_lENKUlvE_clEvENKUlvE4_clEvEUlS6_S6_E_S6_EEDaPvRmT3_T4_T5_mT6_P12ihipStream_tbENKUlT_T0_E_clISt17integral_constantIbLb1EESY_EEDaST_SU_EUlST_E0_NS1_11comp_targetILNS1_3genE10ELNS1_11target_archE1201ELNS1_3gpuE5ELNS1_3repE0EEENS1_30default_config_static_selectorELNS0_4arch9wavefront6targetE1EEEvT1_
                                        ; -- End function
	.set _ZN7rocprim17ROCPRIM_400000_NS6detail17trampoline_kernelINS0_14default_configENS1_20scan_config_selectorIN3c108BFloat16EEEZZNS1_9scan_implILNS1_25lookback_scan_determinismE0ELb0ELb0ES3_PKS6_PS6_S6_ZZZN2at6native31launch_logcumsumexp_cuda_kernelERKNSD_10TensorBaseESH_lENKUlvE_clEvENKUlvE4_clEvEUlS6_S6_E_S6_EEDaPvRmT3_T4_T5_mT6_P12ihipStream_tbENKUlT_T0_E_clISt17integral_constantIbLb1EESY_EEDaST_SU_EUlST_E0_NS1_11comp_targetILNS1_3genE10ELNS1_11target_archE1201ELNS1_3gpuE5ELNS1_3repE0EEENS1_30default_config_static_selectorELNS0_4arch9wavefront6targetE1EEEvT1_.num_vgpr, 0
	.set _ZN7rocprim17ROCPRIM_400000_NS6detail17trampoline_kernelINS0_14default_configENS1_20scan_config_selectorIN3c108BFloat16EEEZZNS1_9scan_implILNS1_25lookback_scan_determinismE0ELb0ELb0ES3_PKS6_PS6_S6_ZZZN2at6native31launch_logcumsumexp_cuda_kernelERKNSD_10TensorBaseESH_lENKUlvE_clEvENKUlvE4_clEvEUlS6_S6_E_S6_EEDaPvRmT3_T4_T5_mT6_P12ihipStream_tbENKUlT_T0_E_clISt17integral_constantIbLb1EESY_EEDaST_SU_EUlST_E0_NS1_11comp_targetILNS1_3genE10ELNS1_11target_archE1201ELNS1_3gpuE5ELNS1_3repE0EEENS1_30default_config_static_selectorELNS0_4arch9wavefront6targetE1EEEvT1_.num_agpr, 0
	.set _ZN7rocprim17ROCPRIM_400000_NS6detail17trampoline_kernelINS0_14default_configENS1_20scan_config_selectorIN3c108BFloat16EEEZZNS1_9scan_implILNS1_25lookback_scan_determinismE0ELb0ELb0ES3_PKS6_PS6_S6_ZZZN2at6native31launch_logcumsumexp_cuda_kernelERKNSD_10TensorBaseESH_lENKUlvE_clEvENKUlvE4_clEvEUlS6_S6_E_S6_EEDaPvRmT3_T4_T5_mT6_P12ihipStream_tbENKUlT_T0_E_clISt17integral_constantIbLb1EESY_EEDaST_SU_EUlST_E0_NS1_11comp_targetILNS1_3genE10ELNS1_11target_archE1201ELNS1_3gpuE5ELNS1_3repE0EEENS1_30default_config_static_selectorELNS0_4arch9wavefront6targetE1EEEvT1_.numbered_sgpr, 0
	.set _ZN7rocprim17ROCPRIM_400000_NS6detail17trampoline_kernelINS0_14default_configENS1_20scan_config_selectorIN3c108BFloat16EEEZZNS1_9scan_implILNS1_25lookback_scan_determinismE0ELb0ELb0ES3_PKS6_PS6_S6_ZZZN2at6native31launch_logcumsumexp_cuda_kernelERKNSD_10TensorBaseESH_lENKUlvE_clEvENKUlvE4_clEvEUlS6_S6_E_S6_EEDaPvRmT3_T4_T5_mT6_P12ihipStream_tbENKUlT_T0_E_clISt17integral_constantIbLb1EESY_EEDaST_SU_EUlST_E0_NS1_11comp_targetILNS1_3genE10ELNS1_11target_archE1201ELNS1_3gpuE5ELNS1_3repE0EEENS1_30default_config_static_selectorELNS0_4arch9wavefront6targetE1EEEvT1_.num_named_barrier, 0
	.set _ZN7rocprim17ROCPRIM_400000_NS6detail17trampoline_kernelINS0_14default_configENS1_20scan_config_selectorIN3c108BFloat16EEEZZNS1_9scan_implILNS1_25lookback_scan_determinismE0ELb0ELb0ES3_PKS6_PS6_S6_ZZZN2at6native31launch_logcumsumexp_cuda_kernelERKNSD_10TensorBaseESH_lENKUlvE_clEvENKUlvE4_clEvEUlS6_S6_E_S6_EEDaPvRmT3_T4_T5_mT6_P12ihipStream_tbENKUlT_T0_E_clISt17integral_constantIbLb1EESY_EEDaST_SU_EUlST_E0_NS1_11comp_targetILNS1_3genE10ELNS1_11target_archE1201ELNS1_3gpuE5ELNS1_3repE0EEENS1_30default_config_static_selectorELNS0_4arch9wavefront6targetE1EEEvT1_.private_seg_size, 0
	.set _ZN7rocprim17ROCPRIM_400000_NS6detail17trampoline_kernelINS0_14default_configENS1_20scan_config_selectorIN3c108BFloat16EEEZZNS1_9scan_implILNS1_25lookback_scan_determinismE0ELb0ELb0ES3_PKS6_PS6_S6_ZZZN2at6native31launch_logcumsumexp_cuda_kernelERKNSD_10TensorBaseESH_lENKUlvE_clEvENKUlvE4_clEvEUlS6_S6_E_S6_EEDaPvRmT3_T4_T5_mT6_P12ihipStream_tbENKUlT_T0_E_clISt17integral_constantIbLb1EESY_EEDaST_SU_EUlST_E0_NS1_11comp_targetILNS1_3genE10ELNS1_11target_archE1201ELNS1_3gpuE5ELNS1_3repE0EEENS1_30default_config_static_selectorELNS0_4arch9wavefront6targetE1EEEvT1_.uses_vcc, 0
	.set _ZN7rocprim17ROCPRIM_400000_NS6detail17trampoline_kernelINS0_14default_configENS1_20scan_config_selectorIN3c108BFloat16EEEZZNS1_9scan_implILNS1_25lookback_scan_determinismE0ELb0ELb0ES3_PKS6_PS6_S6_ZZZN2at6native31launch_logcumsumexp_cuda_kernelERKNSD_10TensorBaseESH_lENKUlvE_clEvENKUlvE4_clEvEUlS6_S6_E_S6_EEDaPvRmT3_T4_T5_mT6_P12ihipStream_tbENKUlT_T0_E_clISt17integral_constantIbLb1EESY_EEDaST_SU_EUlST_E0_NS1_11comp_targetILNS1_3genE10ELNS1_11target_archE1201ELNS1_3gpuE5ELNS1_3repE0EEENS1_30default_config_static_selectorELNS0_4arch9wavefront6targetE1EEEvT1_.uses_flat_scratch, 0
	.set _ZN7rocprim17ROCPRIM_400000_NS6detail17trampoline_kernelINS0_14default_configENS1_20scan_config_selectorIN3c108BFloat16EEEZZNS1_9scan_implILNS1_25lookback_scan_determinismE0ELb0ELb0ES3_PKS6_PS6_S6_ZZZN2at6native31launch_logcumsumexp_cuda_kernelERKNSD_10TensorBaseESH_lENKUlvE_clEvENKUlvE4_clEvEUlS6_S6_E_S6_EEDaPvRmT3_T4_T5_mT6_P12ihipStream_tbENKUlT_T0_E_clISt17integral_constantIbLb1EESY_EEDaST_SU_EUlST_E0_NS1_11comp_targetILNS1_3genE10ELNS1_11target_archE1201ELNS1_3gpuE5ELNS1_3repE0EEENS1_30default_config_static_selectorELNS0_4arch9wavefront6targetE1EEEvT1_.has_dyn_sized_stack, 0
	.set _ZN7rocprim17ROCPRIM_400000_NS6detail17trampoline_kernelINS0_14default_configENS1_20scan_config_selectorIN3c108BFloat16EEEZZNS1_9scan_implILNS1_25lookback_scan_determinismE0ELb0ELb0ES3_PKS6_PS6_S6_ZZZN2at6native31launch_logcumsumexp_cuda_kernelERKNSD_10TensorBaseESH_lENKUlvE_clEvENKUlvE4_clEvEUlS6_S6_E_S6_EEDaPvRmT3_T4_T5_mT6_P12ihipStream_tbENKUlT_T0_E_clISt17integral_constantIbLb1EESY_EEDaST_SU_EUlST_E0_NS1_11comp_targetILNS1_3genE10ELNS1_11target_archE1201ELNS1_3gpuE5ELNS1_3repE0EEENS1_30default_config_static_selectorELNS0_4arch9wavefront6targetE1EEEvT1_.has_recursion, 0
	.set _ZN7rocprim17ROCPRIM_400000_NS6detail17trampoline_kernelINS0_14default_configENS1_20scan_config_selectorIN3c108BFloat16EEEZZNS1_9scan_implILNS1_25lookback_scan_determinismE0ELb0ELb0ES3_PKS6_PS6_S6_ZZZN2at6native31launch_logcumsumexp_cuda_kernelERKNSD_10TensorBaseESH_lENKUlvE_clEvENKUlvE4_clEvEUlS6_S6_E_S6_EEDaPvRmT3_T4_T5_mT6_P12ihipStream_tbENKUlT_T0_E_clISt17integral_constantIbLb1EESY_EEDaST_SU_EUlST_E0_NS1_11comp_targetILNS1_3genE10ELNS1_11target_archE1201ELNS1_3gpuE5ELNS1_3repE0EEENS1_30default_config_static_selectorELNS0_4arch9wavefront6targetE1EEEvT1_.has_indirect_call, 0
	.section	.AMDGPU.csdata,"",@progbits
; Kernel info:
; codeLenInByte = 0
; TotalNumSgprs: 4
; NumVgprs: 0
; ScratchSize: 0
; MemoryBound: 0
; FloatMode: 240
; IeeeMode: 1
; LDSByteSize: 0 bytes/workgroup (compile time only)
; SGPRBlocks: 0
; VGPRBlocks: 0
; NumSGPRsForWavesPerEU: 4
; NumVGPRsForWavesPerEU: 1
; Occupancy: 10
; WaveLimiterHint : 0
; COMPUTE_PGM_RSRC2:SCRATCH_EN: 0
; COMPUTE_PGM_RSRC2:USER_SGPR: 6
; COMPUTE_PGM_RSRC2:TRAP_HANDLER: 0
; COMPUTE_PGM_RSRC2:TGID_X_EN: 1
; COMPUTE_PGM_RSRC2:TGID_Y_EN: 0
; COMPUTE_PGM_RSRC2:TGID_Z_EN: 0
; COMPUTE_PGM_RSRC2:TIDIG_COMP_CNT: 0
	.section	.text._ZN7rocprim17ROCPRIM_400000_NS6detail17trampoline_kernelINS0_14default_configENS1_20scan_config_selectorIN3c108BFloat16EEEZZNS1_9scan_implILNS1_25lookback_scan_determinismE0ELb0ELb0ES3_PKS6_PS6_S6_ZZZN2at6native31launch_logcumsumexp_cuda_kernelERKNSD_10TensorBaseESH_lENKUlvE_clEvENKUlvE4_clEvEUlS6_S6_E_S6_EEDaPvRmT3_T4_T5_mT6_P12ihipStream_tbENKUlT_T0_E_clISt17integral_constantIbLb1EESY_EEDaST_SU_EUlST_E0_NS1_11comp_targetILNS1_3genE10ELNS1_11target_archE1200ELNS1_3gpuE4ELNS1_3repE0EEENS1_30default_config_static_selectorELNS0_4arch9wavefront6targetE1EEEvT1_,"axG",@progbits,_ZN7rocprim17ROCPRIM_400000_NS6detail17trampoline_kernelINS0_14default_configENS1_20scan_config_selectorIN3c108BFloat16EEEZZNS1_9scan_implILNS1_25lookback_scan_determinismE0ELb0ELb0ES3_PKS6_PS6_S6_ZZZN2at6native31launch_logcumsumexp_cuda_kernelERKNSD_10TensorBaseESH_lENKUlvE_clEvENKUlvE4_clEvEUlS6_S6_E_S6_EEDaPvRmT3_T4_T5_mT6_P12ihipStream_tbENKUlT_T0_E_clISt17integral_constantIbLb1EESY_EEDaST_SU_EUlST_E0_NS1_11comp_targetILNS1_3genE10ELNS1_11target_archE1200ELNS1_3gpuE4ELNS1_3repE0EEENS1_30default_config_static_selectorELNS0_4arch9wavefront6targetE1EEEvT1_,comdat
	.globl	_ZN7rocprim17ROCPRIM_400000_NS6detail17trampoline_kernelINS0_14default_configENS1_20scan_config_selectorIN3c108BFloat16EEEZZNS1_9scan_implILNS1_25lookback_scan_determinismE0ELb0ELb0ES3_PKS6_PS6_S6_ZZZN2at6native31launch_logcumsumexp_cuda_kernelERKNSD_10TensorBaseESH_lENKUlvE_clEvENKUlvE4_clEvEUlS6_S6_E_S6_EEDaPvRmT3_T4_T5_mT6_P12ihipStream_tbENKUlT_T0_E_clISt17integral_constantIbLb1EESY_EEDaST_SU_EUlST_E0_NS1_11comp_targetILNS1_3genE10ELNS1_11target_archE1200ELNS1_3gpuE4ELNS1_3repE0EEENS1_30default_config_static_selectorELNS0_4arch9wavefront6targetE1EEEvT1_ ; -- Begin function _ZN7rocprim17ROCPRIM_400000_NS6detail17trampoline_kernelINS0_14default_configENS1_20scan_config_selectorIN3c108BFloat16EEEZZNS1_9scan_implILNS1_25lookback_scan_determinismE0ELb0ELb0ES3_PKS6_PS6_S6_ZZZN2at6native31launch_logcumsumexp_cuda_kernelERKNSD_10TensorBaseESH_lENKUlvE_clEvENKUlvE4_clEvEUlS6_S6_E_S6_EEDaPvRmT3_T4_T5_mT6_P12ihipStream_tbENKUlT_T0_E_clISt17integral_constantIbLb1EESY_EEDaST_SU_EUlST_E0_NS1_11comp_targetILNS1_3genE10ELNS1_11target_archE1200ELNS1_3gpuE4ELNS1_3repE0EEENS1_30default_config_static_selectorELNS0_4arch9wavefront6targetE1EEEvT1_
	.p2align	8
	.type	_ZN7rocprim17ROCPRIM_400000_NS6detail17trampoline_kernelINS0_14default_configENS1_20scan_config_selectorIN3c108BFloat16EEEZZNS1_9scan_implILNS1_25lookback_scan_determinismE0ELb0ELb0ES3_PKS6_PS6_S6_ZZZN2at6native31launch_logcumsumexp_cuda_kernelERKNSD_10TensorBaseESH_lENKUlvE_clEvENKUlvE4_clEvEUlS6_S6_E_S6_EEDaPvRmT3_T4_T5_mT6_P12ihipStream_tbENKUlT_T0_E_clISt17integral_constantIbLb1EESY_EEDaST_SU_EUlST_E0_NS1_11comp_targetILNS1_3genE10ELNS1_11target_archE1200ELNS1_3gpuE4ELNS1_3repE0EEENS1_30default_config_static_selectorELNS0_4arch9wavefront6targetE1EEEvT1_,@function
_ZN7rocprim17ROCPRIM_400000_NS6detail17trampoline_kernelINS0_14default_configENS1_20scan_config_selectorIN3c108BFloat16EEEZZNS1_9scan_implILNS1_25lookback_scan_determinismE0ELb0ELb0ES3_PKS6_PS6_S6_ZZZN2at6native31launch_logcumsumexp_cuda_kernelERKNSD_10TensorBaseESH_lENKUlvE_clEvENKUlvE4_clEvEUlS6_S6_E_S6_EEDaPvRmT3_T4_T5_mT6_P12ihipStream_tbENKUlT_T0_E_clISt17integral_constantIbLb1EESY_EEDaST_SU_EUlST_E0_NS1_11comp_targetILNS1_3genE10ELNS1_11target_archE1200ELNS1_3gpuE4ELNS1_3repE0EEENS1_30default_config_static_selectorELNS0_4arch9wavefront6targetE1EEEvT1_: ; @_ZN7rocprim17ROCPRIM_400000_NS6detail17trampoline_kernelINS0_14default_configENS1_20scan_config_selectorIN3c108BFloat16EEEZZNS1_9scan_implILNS1_25lookback_scan_determinismE0ELb0ELb0ES3_PKS6_PS6_S6_ZZZN2at6native31launch_logcumsumexp_cuda_kernelERKNSD_10TensorBaseESH_lENKUlvE_clEvENKUlvE4_clEvEUlS6_S6_E_S6_EEDaPvRmT3_T4_T5_mT6_P12ihipStream_tbENKUlT_T0_E_clISt17integral_constantIbLb1EESY_EEDaST_SU_EUlST_E0_NS1_11comp_targetILNS1_3genE10ELNS1_11target_archE1200ELNS1_3gpuE4ELNS1_3repE0EEENS1_30default_config_static_selectorELNS0_4arch9wavefront6targetE1EEEvT1_
; %bb.0:
	.section	.rodata,"a",@progbits
	.p2align	6, 0x0
	.amdhsa_kernel _ZN7rocprim17ROCPRIM_400000_NS6detail17trampoline_kernelINS0_14default_configENS1_20scan_config_selectorIN3c108BFloat16EEEZZNS1_9scan_implILNS1_25lookback_scan_determinismE0ELb0ELb0ES3_PKS6_PS6_S6_ZZZN2at6native31launch_logcumsumexp_cuda_kernelERKNSD_10TensorBaseESH_lENKUlvE_clEvENKUlvE4_clEvEUlS6_S6_E_S6_EEDaPvRmT3_T4_T5_mT6_P12ihipStream_tbENKUlT_T0_E_clISt17integral_constantIbLb1EESY_EEDaST_SU_EUlST_E0_NS1_11comp_targetILNS1_3genE10ELNS1_11target_archE1200ELNS1_3gpuE4ELNS1_3repE0EEENS1_30default_config_static_selectorELNS0_4arch9wavefront6targetE1EEEvT1_
		.amdhsa_group_segment_fixed_size 0
		.amdhsa_private_segment_fixed_size 0
		.amdhsa_kernarg_size 32
		.amdhsa_user_sgpr_count 6
		.amdhsa_user_sgpr_private_segment_buffer 1
		.amdhsa_user_sgpr_dispatch_ptr 0
		.amdhsa_user_sgpr_queue_ptr 0
		.amdhsa_user_sgpr_kernarg_segment_ptr 1
		.amdhsa_user_sgpr_dispatch_id 0
		.amdhsa_user_sgpr_flat_scratch_init 0
		.amdhsa_user_sgpr_private_segment_size 0
		.amdhsa_uses_dynamic_stack 0
		.amdhsa_system_sgpr_private_segment_wavefront_offset 0
		.amdhsa_system_sgpr_workgroup_id_x 1
		.amdhsa_system_sgpr_workgroup_id_y 0
		.amdhsa_system_sgpr_workgroup_id_z 0
		.amdhsa_system_sgpr_workgroup_info 0
		.amdhsa_system_vgpr_workitem_id 0
		.amdhsa_next_free_vgpr 1
		.amdhsa_next_free_sgpr 0
		.amdhsa_reserve_vcc 0
		.amdhsa_reserve_flat_scratch 0
		.amdhsa_float_round_mode_32 0
		.amdhsa_float_round_mode_16_64 0
		.amdhsa_float_denorm_mode_32 3
		.amdhsa_float_denorm_mode_16_64 3
		.amdhsa_dx10_clamp 1
		.amdhsa_ieee_mode 1
		.amdhsa_fp16_overflow 0
		.amdhsa_exception_fp_ieee_invalid_op 0
		.amdhsa_exception_fp_denorm_src 0
		.amdhsa_exception_fp_ieee_div_zero 0
		.amdhsa_exception_fp_ieee_overflow 0
		.amdhsa_exception_fp_ieee_underflow 0
		.amdhsa_exception_fp_ieee_inexact 0
		.amdhsa_exception_int_div_zero 0
	.end_amdhsa_kernel
	.section	.text._ZN7rocprim17ROCPRIM_400000_NS6detail17trampoline_kernelINS0_14default_configENS1_20scan_config_selectorIN3c108BFloat16EEEZZNS1_9scan_implILNS1_25lookback_scan_determinismE0ELb0ELb0ES3_PKS6_PS6_S6_ZZZN2at6native31launch_logcumsumexp_cuda_kernelERKNSD_10TensorBaseESH_lENKUlvE_clEvENKUlvE4_clEvEUlS6_S6_E_S6_EEDaPvRmT3_T4_T5_mT6_P12ihipStream_tbENKUlT_T0_E_clISt17integral_constantIbLb1EESY_EEDaST_SU_EUlST_E0_NS1_11comp_targetILNS1_3genE10ELNS1_11target_archE1200ELNS1_3gpuE4ELNS1_3repE0EEENS1_30default_config_static_selectorELNS0_4arch9wavefront6targetE1EEEvT1_,"axG",@progbits,_ZN7rocprim17ROCPRIM_400000_NS6detail17trampoline_kernelINS0_14default_configENS1_20scan_config_selectorIN3c108BFloat16EEEZZNS1_9scan_implILNS1_25lookback_scan_determinismE0ELb0ELb0ES3_PKS6_PS6_S6_ZZZN2at6native31launch_logcumsumexp_cuda_kernelERKNSD_10TensorBaseESH_lENKUlvE_clEvENKUlvE4_clEvEUlS6_S6_E_S6_EEDaPvRmT3_T4_T5_mT6_P12ihipStream_tbENKUlT_T0_E_clISt17integral_constantIbLb1EESY_EEDaST_SU_EUlST_E0_NS1_11comp_targetILNS1_3genE10ELNS1_11target_archE1200ELNS1_3gpuE4ELNS1_3repE0EEENS1_30default_config_static_selectorELNS0_4arch9wavefront6targetE1EEEvT1_,comdat
.Lfunc_end480:
	.size	_ZN7rocprim17ROCPRIM_400000_NS6detail17trampoline_kernelINS0_14default_configENS1_20scan_config_selectorIN3c108BFloat16EEEZZNS1_9scan_implILNS1_25lookback_scan_determinismE0ELb0ELb0ES3_PKS6_PS6_S6_ZZZN2at6native31launch_logcumsumexp_cuda_kernelERKNSD_10TensorBaseESH_lENKUlvE_clEvENKUlvE4_clEvEUlS6_S6_E_S6_EEDaPvRmT3_T4_T5_mT6_P12ihipStream_tbENKUlT_T0_E_clISt17integral_constantIbLb1EESY_EEDaST_SU_EUlST_E0_NS1_11comp_targetILNS1_3genE10ELNS1_11target_archE1200ELNS1_3gpuE4ELNS1_3repE0EEENS1_30default_config_static_selectorELNS0_4arch9wavefront6targetE1EEEvT1_, .Lfunc_end480-_ZN7rocprim17ROCPRIM_400000_NS6detail17trampoline_kernelINS0_14default_configENS1_20scan_config_selectorIN3c108BFloat16EEEZZNS1_9scan_implILNS1_25lookback_scan_determinismE0ELb0ELb0ES3_PKS6_PS6_S6_ZZZN2at6native31launch_logcumsumexp_cuda_kernelERKNSD_10TensorBaseESH_lENKUlvE_clEvENKUlvE4_clEvEUlS6_S6_E_S6_EEDaPvRmT3_T4_T5_mT6_P12ihipStream_tbENKUlT_T0_E_clISt17integral_constantIbLb1EESY_EEDaST_SU_EUlST_E0_NS1_11comp_targetILNS1_3genE10ELNS1_11target_archE1200ELNS1_3gpuE4ELNS1_3repE0EEENS1_30default_config_static_selectorELNS0_4arch9wavefront6targetE1EEEvT1_
                                        ; -- End function
	.set _ZN7rocprim17ROCPRIM_400000_NS6detail17trampoline_kernelINS0_14default_configENS1_20scan_config_selectorIN3c108BFloat16EEEZZNS1_9scan_implILNS1_25lookback_scan_determinismE0ELb0ELb0ES3_PKS6_PS6_S6_ZZZN2at6native31launch_logcumsumexp_cuda_kernelERKNSD_10TensorBaseESH_lENKUlvE_clEvENKUlvE4_clEvEUlS6_S6_E_S6_EEDaPvRmT3_T4_T5_mT6_P12ihipStream_tbENKUlT_T0_E_clISt17integral_constantIbLb1EESY_EEDaST_SU_EUlST_E0_NS1_11comp_targetILNS1_3genE10ELNS1_11target_archE1200ELNS1_3gpuE4ELNS1_3repE0EEENS1_30default_config_static_selectorELNS0_4arch9wavefront6targetE1EEEvT1_.num_vgpr, 0
	.set _ZN7rocprim17ROCPRIM_400000_NS6detail17trampoline_kernelINS0_14default_configENS1_20scan_config_selectorIN3c108BFloat16EEEZZNS1_9scan_implILNS1_25lookback_scan_determinismE0ELb0ELb0ES3_PKS6_PS6_S6_ZZZN2at6native31launch_logcumsumexp_cuda_kernelERKNSD_10TensorBaseESH_lENKUlvE_clEvENKUlvE4_clEvEUlS6_S6_E_S6_EEDaPvRmT3_T4_T5_mT6_P12ihipStream_tbENKUlT_T0_E_clISt17integral_constantIbLb1EESY_EEDaST_SU_EUlST_E0_NS1_11comp_targetILNS1_3genE10ELNS1_11target_archE1200ELNS1_3gpuE4ELNS1_3repE0EEENS1_30default_config_static_selectorELNS0_4arch9wavefront6targetE1EEEvT1_.num_agpr, 0
	.set _ZN7rocprim17ROCPRIM_400000_NS6detail17trampoline_kernelINS0_14default_configENS1_20scan_config_selectorIN3c108BFloat16EEEZZNS1_9scan_implILNS1_25lookback_scan_determinismE0ELb0ELb0ES3_PKS6_PS6_S6_ZZZN2at6native31launch_logcumsumexp_cuda_kernelERKNSD_10TensorBaseESH_lENKUlvE_clEvENKUlvE4_clEvEUlS6_S6_E_S6_EEDaPvRmT3_T4_T5_mT6_P12ihipStream_tbENKUlT_T0_E_clISt17integral_constantIbLb1EESY_EEDaST_SU_EUlST_E0_NS1_11comp_targetILNS1_3genE10ELNS1_11target_archE1200ELNS1_3gpuE4ELNS1_3repE0EEENS1_30default_config_static_selectorELNS0_4arch9wavefront6targetE1EEEvT1_.numbered_sgpr, 0
	.set _ZN7rocprim17ROCPRIM_400000_NS6detail17trampoline_kernelINS0_14default_configENS1_20scan_config_selectorIN3c108BFloat16EEEZZNS1_9scan_implILNS1_25lookback_scan_determinismE0ELb0ELb0ES3_PKS6_PS6_S6_ZZZN2at6native31launch_logcumsumexp_cuda_kernelERKNSD_10TensorBaseESH_lENKUlvE_clEvENKUlvE4_clEvEUlS6_S6_E_S6_EEDaPvRmT3_T4_T5_mT6_P12ihipStream_tbENKUlT_T0_E_clISt17integral_constantIbLb1EESY_EEDaST_SU_EUlST_E0_NS1_11comp_targetILNS1_3genE10ELNS1_11target_archE1200ELNS1_3gpuE4ELNS1_3repE0EEENS1_30default_config_static_selectorELNS0_4arch9wavefront6targetE1EEEvT1_.num_named_barrier, 0
	.set _ZN7rocprim17ROCPRIM_400000_NS6detail17trampoline_kernelINS0_14default_configENS1_20scan_config_selectorIN3c108BFloat16EEEZZNS1_9scan_implILNS1_25lookback_scan_determinismE0ELb0ELb0ES3_PKS6_PS6_S6_ZZZN2at6native31launch_logcumsumexp_cuda_kernelERKNSD_10TensorBaseESH_lENKUlvE_clEvENKUlvE4_clEvEUlS6_S6_E_S6_EEDaPvRmT3_T4_T5_mT6_P12ihipStream_tbENKUlT_T0_E_clISt17integral_constantIbLb1EESY_EEDaST_SU_EUlST_E0_NS1_11comp_targetILNS1_3genE10ELNS1_11target_archE1200ELNS1_3gpuE4ELNS1_3repE0EEENS1_30default_config_static_selectorELNS0_4arch9wavefront6targetE1EEEvT1_.private_seg_size, 0
	.set _ZN7rocprim17ROCPRIM_400000_NS6detail17trampoline_kernelINS0_14default_configENS1_20scan_config_selectorIN3c108BFloat16EEEZZNS1_9scan_implILNS1_25lookback_scan_determinismE0ELb0ELb0ES3_PKS6_PS6_S6_ZZZN2at6native31launch_logcumsumexp_cuda_kernelERKNSD_10TensorBaseESH_lENKUlvE_clEvENKUlvE4_clEvEUlS6_S6_E_S6_EEDaPvRmT3_T4_T5_mT6_P12ihipStream_tbENKUlT_T0_E_clISt17integral_constantIbLb1EESY_EEDaST_SU_EUlST_E0_NS1_11comp_targetILNS1_3genE10ELNS1_11target_archE1200ELNS1_3gpuE4ELNS1_3repE0EEENS1_30default_config_static_selectorELNS0_4arch9wavefront6targetE1EEEvT1_.uses_vcc, 0
	.set _ZN7rocprim17ROCPRIM_400000_NS6detail17trampoline_kernelINS0_14default_configENS1_20scan_config_selectorIN3c108BFloat16EEEZZNS1_9scan_implILNS1_25lookback_scan_determinismE0ELb0ELb0ES3_PKS6_PS6_S6_ZZZN2at6native31launch_logcumsumexp_cuda_kernelERKNSD_10TensorBaseESH_lENKUlvE_clEvENKUlvE4_clEvEUlS6_S6_E_S6_EEDaPvRmT3_T4_T5_mT6_P12ihipStream_tbENKUlT_T0_E_clISt17integral_constantIbLb1EESY_EEDaST_SU_EUlST_E0_NS1_11comp_targetILNS1_3genE10ELNS1_11target_archE1200ELNS1_3gpuE4ELNS1_3repE0EEENS1_30default_config_static_selectorELNS0_4arch9wavefront6targetE1EEEvT1_.uses_flat_scratch, 0
	.set _ZN7rocprim17ROCPRIM_400000_NS6detail17trampoline_kernelINS0_14default_configENS1_20scan_config_selectorIN3c108BFloat16EEEZZNS1_9scan_implILNS1_25lookback_scan_determinismE0ELb0ELb0ES3_PKS6_PS6_S6_ZZZN2at6native31launch_logcumsumexp_cuda_kernelERKNSD_10TensorBaseESH_lENKUlvE_clEvENKUlvE4_clEvEUlS6_S6_E_S6_EEDaPvRmT3_T4_T5_mT6_P12ihipStream_tbENKUlT_T0_E_clISt17integral_constantIbLb1EESY_EEDaST_SU_EUlST_E0_NS1_11comp_targetILNS1_3genE10ELNS1_11target_archE1200ELNS1_3gpuE4ELNS1_3repE0EEENS1_30default_config_static_selectorELNS0_4arch9wavefront6targetE1EEEvT1_.has_dyn_sized_stack, 0
	.set _ZN7rocprim17ROCPRIM_400000_NS6detail17trampoline_kernelINS0_14default_configENS1_20scan_config_selectorIN3c108BFloat16EEEZZNS1_9scan_implILNS1_25lookback_scan_determinismE0ELb0ELb0ES3_PKS6_PS6_S6_ZZZN2at6native31launch_logcumsumexp_cuda_kernelERKNSD_10TensorBaseESH_lENKUlvE_clEvENKUlvE4_clEvEUlS6_S6_E_S6_EEDaPvRmT3_T4_T5_mT6_P12ihipStream_tbENKUlT_T0_E_clISt17integral_constantIbLb1EESY_EEDaST_SU_EUlST_E0_NS1_11comp_targetILNS1_3genE10ELNS1_11target_archE1200ELNS1_3gpuE4ELNS1_3repE0EEENS1_30default_config_static_selectorELNS0_4arch9wavefront6targetE1EEEvT1_.has_recursion, 0
	.set _ZN7rocprim17ROCPRIM_400000_NS6detail17trampoline_kernelINS0_14default_configENS1_20scan_config_selectorIN3c108BFloat16EEEZZNS1_9scan_implILNS1_25lookback_scan_determinismE0ELb0ELb0ES3_PKS6_PS6_S6_ZZZN2at6native31launch_logcumsumexp_cuda_kernelERKNSD_10TensorBaseESH_lENKUlvE_clEvENKUlvE4_clEvEUlS6_S6_E_S6_EEDaPvRmT3_T4_T5_mT6_P12ihipStream_tbENKUlT_T0_E_clISt17integral_constantIbLb1EESY_EEDaST_SU_EUlST_E0_NS1_11comp_targetILNS1_3genE10ELNS1_11target_archE1200ELNS1_3gpuE4ELNS1_3repE0EEENS1_30default_config_static_selectorELNS0_4arch9wavefront6targetE1EEEvT1_.has_indirect_call, 0
	.section	.AMDGPU.csdata,"",@progbits
; Kernel info:
; codeLenInByte = 0
; TotalNumSgprs: 4
; NumVgprs: 0
; ScratchSize: 0
; MemoryBound: 0
; FloatMode: 240
; IeeeMode: 1
; LDSByteSize: 0 bytes/workgroup (compile time only)
; SGPRBlocks: 0
; VGPRBlocks: 0
; NumSGPRsForWavesPerEU: 4
; NumVGPRsForWavesPerEU: 1
; Occupancy: 10
; WaveLimiterHint : 0
; COMPUTE_PGM_RSRC2:SCRATCH_EN: 0
; COMPUTE_PGM_RSRC2:USER_SGPR: 6
; COMPUTE_PGM_RSRC2:TRAP_HANDLER: 0
; COMPUTE_PGM_RSRC2:TGID_X_EN: 1
; COMPUTE_PGM_RSRC2:TGID_Y_EN: 0
; COMPUTE_PGM_RSRC2:TGID_Z_EN: 0
; COMPUTE_PGM_RSRC2:TIDIG_COMP_CNT: 0
	.section	.text._ZN7rocprim17ROCPRIM_400000_NS6detail17trampoline_kernelINS0_14default_configENS1_20scan_config_selectorIN3c108BFloat16EEEZZNS1_9scan_implILNS1_25lookback_scan_determinismE0ELb0ELb0ES3_PKS6_PS6_S6_ZZZN2at6native31launch_logcumsumexp_cuda_kernelERKNSD_10TensorBaseESH_lENKUlvE_clEvENKUlvE4_clEvEUlS6_S6_E_S6_EEDaPvRmT3_T4_T5_mT6_P12ihipStream_tbENKUlT_T0_E_clISt17integral_constantIbLb1EESY_EEDaST_SU_EUlST_E0_NS1_11comp_targetILNS1_3genE9ELNS1_11target_archE1100ELNS1_3gpuE3ELNS1_3repE0EEENS1_30default_config_static_selectorELNS0_4arch9wavefront6targetE1EEEvT1_,"axG",@progbits,_ZN7rocprim17ROCPRIM_400000_NS6detail17trampoline_kernelINS0_14default_configENS1_20scan_config_selectorIN3c108BFloat16EEEZZNS1_9scan_implILNS1_25lookback_scan_determinismE0ELb0ELb0ES3_PKS6_PS6_S6_ZZZN2at6native31launch_logcumsumexp_cuda_kernelERKNSD_10TensorBaseESH_lENKUlvE_clEvENKUlvE4_clEvEUlS6_S6_E_S6_EEDaPvRmT3_T4_T5_mT6_P12ihipStream_tbENKUlT_T0_E_clISt17integral_constantIbLb1EESY_EEDaST_SU_EUlST_E0_NS1_11comp_targetILNS1_3genE9ELNS1_11target_archE1100ELNS1_3gpuE3ELNS1_3repE0EEENS1_30default_config_static_selectorELNS0_4arch9wavefront6targetE1EEEvT1_,comdat
	.globl	_ZN7rocprim17ROCPRIM_400000_NS6detail17trampoline_kernelINS0_14default_configENS1_20scan_config_selectorIN3c108BFloat16EEEZZNS1_9scan_implILNS1_25lookback_scan_determinismE0ELb0ELb0ES3_PKS6_PS6_S6_ZZZN2at6native31launch_logcumsumexp_cuda_kernelERKNSD_10TensorBaseESH_lENKUlvE_clEvENKUlvE4_clEvEUlS6_S6_E_S6_EEDaPvRmT3_T4_T5_mT6_P12ihipStream_tbENKUlT_T0_E_clISt17integral_constantIbLb1EESY_EEDaST_SU_EUlST_E0_NS1_11comp_targetILNS1_3genE9ELNS1_11target_archE1100ELNS1_3gpuE3ELNS1_3repE0EEENS1_30default_config_static_selectorELNS0_4arch9wavefront6targetE1EEEvT1_ ; -- Begin function _ZN7rocprim17ROCPRIM_400000_NS6detail17trampoline_kernelINS0_14default_configENS1_20scan_config_selectorIN3c108BFloat16EEEZZNS1_9scan_implILNS1_25lookback_scan_determinismE0ELb0ELb0ES3_PKS6_PS6_S6_ZZZN2at6native31launch_logcumsumexp_cuda_kernelERKNSD_10TensorBaseESH_lENKUlvE_clEvENKUlvE4_clEvEUlS6_S6_E_S6_EEDaPvRmT3_T4_T5_mT6_P12ihipStream_tbENKUlT_T0_E_clISt17integral_constantIbLb1EESY_EEDaST_SU_EUlST_E0_NS1_11comp_targetILNS1_3genE9ELNS1_11target_archE1100ELNS1_3gpuE3ELNS1_3repE0EEENS1_30default_config_static_selectorELNS0_4arch9wavefront6targetE1EEEvT1_
	.p2align	8
	.type	_ZN7rocprim17ROCPRIM_400000_NS6detail17trampoline_kernelINS0_14default_configENS1_20scan_config_selectorIN3c108BFloat16EEEZZNS1_9scan_implILNS1_25lookback_scan_determinismE0ELb0ELb0ES3_PKS6_PS6_S6_ZZZN2at6native31launch_logcumsumexp_cuda_kernelERKNSD_10TensorBaseESH_lENKUlvE_clEvENKUlvE4_clEvEUlS6_S6_E_S6_EEDaPvRmT3_T4_T5_mT6_P12ihipStream_tbENKUlT_T0_E_clISt17integral_constantIbLb1EESY_EEDaST_SU_EUlST_E0_NS1_11comp_targetILNS1_3genE9ELNS1_11target_archE1100ELNS1_3gpuE3ELNS1_3repE0EEENS1_30default_config_static_selectorELNS0_4arch9wavefront6targetE1EEEvT1_,@function
_ZN7rocprim17ROCPRIM_400000_NS6detail17trampoline_kernelINS0_14default_configENS1_20scan_config_selectorIN3c108BFloat16EEEZZNS1_9scan_implILNS1_25lookback_scan_determinismE0ELb0ELb0ES3_PKS6_PS6_S6_ZZZN2at6native31launch_logcumsumexp_cuda_kernelERKNSD_10TensorBaseESH_lENKUlvE_clEvENKUlvE4_clEvEUlS6_S6_E_S6_EEDaPvRmT3_T4_T5_mT6_P12ihipStream_tbENKUlT_T0_E_clISt17integral_constantIbLb1EESY_EEDaST_SU_EUlST_E0_NS1_11comp_targetILNS1_3genE9ELNS1_11target_archE1100ELNS1_3gpuE3ELNS1_3repE0EEENS1_30default_config_static_selectorELNS0_4arch9wavefront6targetE1EEEvT1_: ; @_ZN7rocprim17ROCPRIM_400000_NS6detail17trampoline_kernelINS0_14default_configENS1_20scan_config_selectorIN3c108BFloat16EEEZZNS1_9scan_implILNS1_25lookback_scan_determinismE0ELb0ELb0ES3_PKS6_PS6_S6_ZZZN2at6native31launch_logcumsumexp_cuda_kernelERKNSD_10TensorBaseESH_lENKUlvE_clEvENKUlvE4_clEvEUlS6_S6_E_S6_EEDaPvRmT3_T4_T5_mT6_P12ihipStream_tbENKUlT_T0_E_clISt17integral_constantIbLb1EESY_EEDaST_SU_EUlST_E0_NS1_11comp_targetILNS1_3genE9ELNS1_11target_archE1100ELNS1_3gpuE3ELNS1_3repE0EEENS1_30default_config_static_selectorELNS0_4arch9wavefront6targetE1EEEvT1_
; %bb.0:
	.section	.rodata,"a",@progbits
	.p2align	6, 0x0
	.amdhsa_kernel _ZN7rocprim17ROCPRIM_400000_NS6detail17trampoline_kernelINS0_14default_configENS1_20scan_config_selectorIN3c108BFloat16EEEZZNS1_9scan_implILNS1_25lookback_scan_determinismE0ELb0ELb0ES3_PKS6_PS6_S6_ZZZN2at6native31launch_logcumsumexp_cuda_kernelERKNSD_10TensorBaseESH_lENKUlvE_clEvENKUlvE4_clEvEUlS6_S6_E_S6_EEDaPvRmT3_T4_T5_mT6_P12ihipStream_tbENKUlT_T0_E_clISt17integral_constantIbLb1EESY_EEDaST_SU_EUlST_E0_NS1_11comp_targetILNS1_3genE9ELNS1_11target_archE1100ELNS1_3gpuE3ELNS1_3repE0EEENS1_30default_config_static_selectorELNS0_4arch9wavefront6targetE1EEEvT1_
		.amdhsa_group_segment_fixed_size 0
		.amdhsa_private_segment_fixed_size 0
		.amdhsa_kernarg_size 32
		.amdhsa_user_sgpr_count 6
		.amdhsa_user_sgpr_private_segment_buffer 1
		.amdhsa_user_sgpr_dispatch_ptr 0
		.amdhsa_user_sgpr_queue_ptr 0
		.amdhsa_user_sgpr_kernarg_segment_ptr 1
		.amdhsa_user_sgpr_dispatch_id 0
		.amdhsa_user_sgpr_flat_scratch_init 0
		.amdhsa_user_sgpr_private_segment_size 0
		.amdhsa_uses_dynamic_stack 0
		.amdhsa_system_sgpr_private_segment_wavefront_offset 0
		.amdhsa_system_sgpr_workgroup_id_x 1
		.amdhsa_system_sgpr_workgroup_id_y 0
		.amdhsa_system_sgpr_workgroup_id_z 0
		.amdhsa_system_sgpr_workgroup_info 0
		.amdhsa_system_vgpr_workitem_id 0
		.amdhsa_next_free_vgpr 1
		.amdhsa_next_free_sgpr 0
		.amdhsa_reserve_vcc 0
		.amdhsa_reserve_flat_scratch 0
		.amdhsa_float_round_mode_32 0
		.amdhsa_float_round_mode_16_64 0
		.amdhsa_float_denorm_mode_32 3
		.amdhsa_float_denorm_mode_16_64 3
		.amdhsa_dx10_clamp 1
		.amdhsa_ieee_mode 1
		.amdhsa_fp16_overflow 0
		.amdhsa_exception_fp_ieee_invalid_op 0
		.amdhsa_exception_fp_denorm_src 0
		.amdhsa_exception_fp_ieee_div_zero 0
		.amdhsa_exception_fp_ieee_overflow 0
		.amdhsa_exception_fp_ieee_underflow 0
		.amdhsa_exception_fp_ieee_inexact 0
		.amdhsa_exception_int_div_zero 0
	.end_amdhsa_kernel
	.section	.text._ZN7rocprim17ROCPRIM_400000_NS6detail17trampoline_kernelINS0_14default_configENS1_20scan_config_selectorIN3c108BFloat16EEEZZNS1_9scan_implILNS1_25lookback_scan_determinismE0ELb0ELb0ES3_PKS6_PS6_S6_ZZZN2at6native31launch_logcumsumexp_cuda_kernelERKNSD_10TensorBaseESH_lENKUlvE_clEvENKUlvE4_clEvEUlS6_S6_E_S6_EEDaPvRmT3_T4_T5_mT6_P12ihipStream_tbENKUlT_T0_E_clISt17integral_constantIbLb1EESY_EEDaST_SU_EUlST_E0_NS1_11comp_targetILNS1_3genE9ELNS1_11target_archE1100ELNS1_3gpuE3ELNS1_3repE0EEENS1_30default_config_static_selectorELNS0_4arch9wavefront6targetE1EEEvT1_,"axG",@progbits,_ZN7rocprim17ROCPRIM_400000_NS6detail17trampoline_kernelINS0_14default_configENS1_20scan_config_selectorIN3c108BFloat16EEEZZNS1_9scan_implILNS1_25lookback_scan_determinismE0ELb0ELb0ES3_PKS6_PS6_S6_ZZZN2at6native31launch_logcumsumexp_cuda_kernelERKNSD_10TensorBaseESH_lENKUlvE_clEvENKUlvE4_clEvEUlS6_S6_E_S6_EEDaPvRmT3_T4_T5_mT6_P12ihipStream_tbENKUlT_T0_E_clISt17integral_constantIbLb1EESY_EEDaST_SU_EUlST_E0_NS1_11comp_targetILNS1_3genE9ELNS1_11target_archE1100ELNS1_3gpuE3ELNS1_3repE0EEENS1_30default_config_static_selectorELNS0_4arch9wavefront6targetE1EEEvT1_,comdat
.Lfunc_end481:
	.size	_ZN7rocprim17ROCPRIM_400000_NS6detail17trampoline_kernelINS0_14default_configENS1_20scan_config_selectorIN3c108BFloat16EEEZZNS1_9scan_implILNS1_25lookback_scan_determinismE0ELb0ELb0ES3_PKS6_PS6_S6_ZZZN2at6native31launch_logcumsumexp_cuda_kernelERKNSD_10TensorBaseESH_lENKUlvE_clEvENKUlvE4_clEvEUlS6_S6_E_S6_EEDaPvRmT3_T4_T5_mT6_P12ihipStream_tbENKUlT_T0_E_clISt17integral_constantIbLb1EESY_EEDaST_SU_EUlST_E0_NS1_11comp_targetILNS1_3genE9ELNS1_11target_archE1100ELNS1_3gpuE3ELNS1_3repE0EEENS1_30default_config_static_selectorELNS0_4arch9wavefront6targetE1EEEvT1_, .Lfunc_end481-_ZN7rocprim17ROCPRIM_400000_NS6detail17trampoline_kernelINS0_14default_configENS1_20scan_config_selectorIN3c108BFloat16EEEZZNS1_9scan_implILNS1_25lookback_scan_determinismE0ELb0ELb0ES3_PKS6_PS6_S6_ZZZN2at6native31launch_logcumsumexp_cuda_kernelERKNSD_10TensorBaseESH_lENKUlvE_clEvENKUlvE4_clEvEUlS6_S6_E_S6_EEDaPvRmT3_T4_T5_mT6_P12ihipStream_tbENKUlT_T0_E_clISt17integral_constantIbLb1EESY_EEDaST_SU_EUlST_E0_NS1_11comp_targetILNS1_3genE9ELNS1_11target_archE1100ELNS1_3gpuE3ELNS1_3repE0EEENS1_30default_config_static_selectorELNS0_4arch9wavefront6targetE1EEEvT1_
                                        ; -- End function
	.set _ZN7rocprim17ROCPRIM_400000_NS6detail17trampoline_kernelINS0_14default_configENS1_20scan_config_selectorIN3c108BFloat16EEEZZNS1_9scan_implILNS1_25lookback_scan_determinismE0ELb0ELb0ES3_PKS6_PS6_S6_ZZZN2at6native31launch_logcumsumexp_cuda_kernelERKNSD_10TensorBaseESH_lENKUlvE_clEvENKUlvE4_clEvEUlS6_S6_E_S6_EEDaPvRmT3_T4_T5_mT6_P12ihipStream_tbENKUlT_T0_E_clISt17integral_constantIbLb1EESY_EEDaST_SU_EUlST_E0_NS1_11comp_targetILNS1_3genE9ELNS1_11target_archE1100ELNS1_3gpuE3ELNS1_3repE0EEENS1_30default_config_static_selectorELNS0_4arch9wavefront6targetE1EEEvT1_.num_vgpr, 0
	.set _ZN7rocprim17ROCPRIM_400000_NS6detail17trampoline_kernelINS0_14default_configENS1_20scan_config_selectorIN3c108BFloat16EEEZZNS1_9scan_implILNS1_25lookback_scan_determinismE0ELb0ELb0ES3_PKS6_PS6_S6_ZZZN2at6native31launch_logcumsumexp_cuda_kernelERKNSD_10TensorBaseESH_lENKUlvE_clEvENKUlvE4_clEvEUlS6_S6_E_S6_EEDaPvRmT3_T4_T5_mT6_P12ihipStream_tbENKUlT_T0_E_clISt17integral_constantIbLb1EESY_EEDaST_SU_EUlST_E0_NS1_11comp_targetILNS1_3genE9ELNS1_11target_archE1100ELNS1_3gpuE3ELNS1_3repE0EEENS1_30default_config_static_selectorELNS0_4arch9wavefront6targetE1EEEvT1_.num_agpr, 0
	.set _ZN7rocprim17ROCPRIM_400000_NS6detail17trampoline_kernelINS0_14default_configENS1_20scan_config_selectorIN3c108BFloat16EEEZZNS1_9scan_implILNS1_25lookback_scan_determinismE0ELb0ELb0ES3_PKS6_PS6_S6_ZZZN2at6native31launch_logcumsumexp_cuda_kernelERKNSD_10TensorBaseESH_lENKUlvE_clEvENKUlvE4_clEvEUlS6_S6_E_S6_EEDaPvRmT3_T4_T5_mT6_P12ihipStream_tbENKUlT_T0_E_clISt17integral_constantIbLb1EESY_EEDaST_SU_EUlST_E0_NS1_11comp_targetILNS1_3genE9ELNS1_11target_archE1100ELNS1_3gpuE3ELNS1_3repE0EEENS1_30default_config_static_selectorELNS0_4arch9wavefront6targetE1EEEvT1_.numbered_sgpr, 0
	.set _ZN7rocprim17ROCPRIM_400000_NS6detail17trampoline_kernelINS0_14default_configENS1_20scan_config_selectorIN3c108BFloat16EEEZZNS1_9scan_implILNS1_25lookback_scan_determinismE0ELb0ELb0ES3_PKS6_PS6_S6_ZZZN2at6native31launch_logcumsumexp_cuda_kernelERKNSD_10TensorBaseESH_lENKUlvE_clEvENKUlvE4_clEvEUlS6_S6_E_S6_EEDaPvRmT3_T4_T5_mT6_P12ihipStream_tbENKUlT_T0_E_clISt17integral_constantIbLb1EESY_EEDaST_SU_EUlST_E0_NS1_11comp_targetILNS1_3genE9ELNS1_11target_archE1100ELNS1_3gpuE3ELNS1_3repE0EEENS1_30default_config_static_selectorELNS0_4arch9wavefront6targetE1EEEvT1_.num_named_barrier, 0
	.set _ZN7rocprim17ROCPRIM_400000_NS6detail17trampoline_kernelINS0_14default_configENS1_20scan_config_selectorIN3c108BFloat16EEEZZNS1_9scan_implILNS1_25lookback_scan_determinismE0ELb0ELb0ES3_PKS6_PS6_S6_ZZZN2at6native31launch_logcumsumexp_cuda_kernelERKNSD_10TensorBaseESH_lENKUlvE_clEvENKUlvE4_clEvEUlS6_S6_E_S6_EEDaPvRmT3_T4_T5_mT6_P12ihipStream_tbENKUlT_T0_E_clISt17integral_constantIbLb1EESY_EEDaST_SU_EUlST_E0_NS1_11comp_targetILNS1_3genE9ELNS1_11target_archE1100ELNS1_3gpuE3ELNS1_3repE0EEENS1_30default_config_static_selectorELNS0_4arch9wavefront6targetE1EEEvT1_.private_seg_size, 0
	.set _ZN7rocprim17ROCPRIM_400000_NS6detail17trampoline_kernelINS0_14default_configENS1_20scan_config_selectorIN3c108BFloat16EEEZZNS1_9scan_implILNS1_25lookback_scan_determinismE0ELb0ELb0ES3_PKS6_PS6_S6_ZZZN2at6native31launch_logcumsumexp_cuda_kernelERKNSD_10TensorBaseESH_lENKUlvE_clEvENKUlvE4_clEvEUlS6_S6_E_S6_EEDaPvRmT3_T4_T5_mT6_P12ihipStream_tbENKUlT_T0_E_clISt17integral_constantIbLb1EESY_EEDaST_SU_EUlST_E0_NS1_11comp_targetILNS1_3genE9ELNS1_11target_archE1100ELNS1_3gpuE3ELNS1_3repE0EEENS1_30default_config_static_selectorELNS0_4arch9wavefront6targetE1EEEvT1_.uses_vcc, 0
	.set _ZN7rocprim17ROCPRIM_400000_NS6detail17trampoline_kernelINS0_14default_configENS1_20scan_config_selectorIN3c108BFloat16EEEZZNS1_9scan_implILNS1_25lookback_scan_determinismE0ELb0ELb0ES3_PKS6_PS6_S6_ZZZN2at6native31launch_logcumsumexp_cuda_kernelERKNSD_10TensorBaseESH_lENKUlvE_clEvENKUlvE4_clEvEUlS6_S6_E_S6_EEDaPvRmT3_T4_T5_mT6_P12ihipStream_tbENKUlT_T0_E_clISt17integral_constantIbLb1EESY_EEDaST_SU_EUlST_E0_NS1_11comp_targetILNS1_3genE9ELNS1_11target_archE1100ELNS1_3gpuE3ELNS1_3repE0EEENS1_30default_config_static_selectorELNS0_4arch9wavefront6targetE1EEEvT1_.uses_flat_scratch, 0
	.set _ZN7rocprim17ROCPRIM_400000_NS6detail17trampoline_kernelINS0_14default_configENS1_20scan_config_selectorIN3c108BFloat16EEEZZNS1_9scan_implILNS1_25lookback_scan_determinismE0ELb0ELb0ES3_PKS6_PS6_S6_ZZZN2at6native31launch_logcumsumexp_cuda_kernelERKNSD_10TensorBaseESH_lENKUlvE_clEvENKUlvE4_clEvEUlS6_S6_E_S6_EEDaPvRmT3_T4_T5_mT6_P12ihipStream_tbENKUlT_T0_E_clISt17integral_constantIbLb1EESY_EEDaST_SU_EUlST_E0_NS1_11comp_targetILNS1_3genE9ELNS1_11target_archE1100ELNS1_3gpuE3ELNS1_3repE0EEENS1_30default_config_static_selectorELNS0_4arch9wavefront6targetE1EEEvT1_.has_dyn_sized_stack, 0
	.set _ZN7rocprim17ROCPRIM_400000_NS6detail17trampoline_kernelINS0_14default_configENS1_20scan_config_selectorIN3c108BFloat16EEEZZNS1_9scan_implILNS1_25lookback_scan_determinismE0ELb0ELb0ES3_PKS6_PS6_S6_ZZZN2at6native31launch_logcumsumexp_cuda_kernelERKNSD_10TensorBaseESH_lENKUlvE_clEvENKUlvE4_clEvEUlS6_S6_E_S6_EEDaPvRmT3_T4_T5_mT6_P12ihipStream_tbENKUlT_T0_E_clISt17integral_constantIbLb1EESY_EEDaST_SU_EUlST_E0_NS1_11comp_targetILNS1_3genE9ELNS1_11target_archE1100ELNS1_3gpuE3ELNS1_3repE0EEENS1_30default_config_static_selectorELNS0_4arch9wavefront6targetE1EEEvT1_.has_recursion, 0
	.set _ZN7rocprim17ROCPRIM_400000_NS6detail17trampoline_kernelINS0_14default_configENS1_20scan_config_selectorIN3c108BFloat16EEEZZNS1_9scan_implILNS1_25lookback_scan_determinismE0ELb0ELb0ES3_PKS6_PS6_S6_ZZZN2at6native31launch_logcumsumexp_cuda_kernelERKNSD_10TensorBaseESH_lENKUlvE_clEvENKUlvE4_clEvEUlS6_S6_E_S6_EEDaPvRmT3_T4_T5_mT6_P12ihipStream_tbENKUlT_T0_E_clISt17integral_constantIbLb1EESY_EEDaST_SU_EUlST_E0_NS1_11comp_targetILNS1_3genE9ELNS1_11target_archE1100ELNS1_3gpuE3ELNS1_3repE0EEENS1_30default_config_static_selectorELNS0_4arch9wavefront6targetE1EEEvT1_.has_indirect_call, 0
	.section	.AMDGPU.csdata,"",@progbits
; Kernel info:
; codeLenInByte = 0
; TotalNumSgprs: 4
; NumVgprs: 0
; ScratchSize: 0
; MemoryBound: 0
; FloatMode: 240
; IeeeMode: 1
; LDSByteSize: 0 bytes/workgroup (compile time only)
; SGPRBlocks: 0
; VGPRBlocks: 0
; NumSGPRsForWavesPerEU: 4
; NumVGPRsForWavesPerEU: 1
; Occupancy: 10
; WaveLimiterHint : 0
; COMPUTE_PGM_RSRC2:SCRATCH_EN: 0
; COMPUTE_PGM_RSRC2:USER_SGPR: 6
; COMPUTE_PGM_RSRC2:TRAP_HANDLER: 0
; COMPUTE_PGM_RSRC2:TGID_X_EN: 1
; COMPUTE_PGM_RSRC2:TGID_Y_EN: 0
; COMPUTE_PGM_RSRC2:TGID_Z_EN: 0
; COMPUTE_PGM_RSRC2:TIDIG_COMP_CNT: 0
	.section	.text._ZN7rocprim17ROCPRIM_400000_NS6detail17trampoline_kernelINS0_14default_configENS1_20scan_config_selectorIN3c108BFloat16EEEZZNS1_9scan_implILNS1_25lookback_scan_determinismE0ELb0ELb0ES3_PKS6_PS6_S6_ZZZN2at6native31launch_logcumsumexp_cuda_kernelERKNSD_10TensorBaseESH_lENKUlvE_clEvENKUlvE4_clEvEUlS6_S6_E_S6_EEDaPvRmT3_T4_T5_mT6_P12ihipStream_tbENKUlT_T0_E_clISt17integral_constantIbLb1EESY_EEDaST_SU_EUlST_E0_NS1_11comp_targetILNS1_3genE8ELNS1_11target_archE1030ELNS1_3gpuE2ELNS1_3repE0EEENS1_30default_config_static_selectorELNS0_4arch9wavefront6targetE1EEEvT1_,"axG",@progbits,_ZN7rocprim17ROCPRIM_400000_NS6detail17trampoline_kernelINS0_14default_configENS1_20scan_config_selectorIN3c108BFloat16EEEZZNS1_9scan_implILNS1_25lookback_scan_determinismE0ELb0ELb0ES3_PKS6_PS6_S6_ZZZN2at6native31launch_logcumsumexp_cuda_kernelERKNSD_10TensorBaseESH_lENKUlvE_clEvENKUlvE4_clEvEUlS6_S6_E_S6_EEDaPvRmT3_T4_T5_mT6_P12ihipStream_tbENKUlT_T0_E_clISt17integral_constantIbLb1EESY_EEDaST_SU_EUlST_E0_NS1_11comp_targetILNS1_3genE8ELNS1_11target_archE1030ELNS1_3gpuE2ELNS1_3repE0EEENS1_30default_config_static_selectorELNS0_4arch9wavefront6targetE1EEEvT1_,comdat
	.globl	_ZN7rocprim17ROCPRIM_400000_NS6detail17trampoline_kernelINS0_14default_configENS1_20scan_config_selectorIN3c108BFloat16EEEZZNS1_9scan_implILNS1_25lookback_scan_determinismE0ELb0ELb0ES3_PKS6_PS6_S6_ZZZN2at6native31launch_logcumsumexp_cuda_kernelERKNSD_10TensorBaseESH_lENKUlvE_clEvENKUlvE4_clEvEUlS6_S6_E_S6_EEDaPvRmT3_T4_T5_mT6_P12ihipStream_tbENKUlT_T0_E_clISt17integral_constantIbLb1EESY_EEDaST_SU_EUlST_E0_NS1_11comp_targetILNS1_3genE8ELNS1_11target_archE1030ELNS1_3gpuE2ELNS1_3repE0EEENS1_30default_config_static_selectorELNS0_4arch9wavefront6targetE1EEEvT1_ ; -- Begin function _ZN7rocprim17ROCPRIM_400000_NS6detail17trampoline_kernelINS0_14default_configENS1_20scan_config_selectorIN3c108BFloat16EEEZZNS1_9scan_implILNS1_25lookback_scan_determinismE0ELb0ELb0ES3_PKS6_PS6_S6_ZZZN2at6native31launch_logcumsumexp_cuda_kernelERKNSD_10TensorBaseESH_lENKUlvE_clEvENKUlvE4_clEvEUlS6_S6_E_S6_EEDaPvRmT3_T4_T5_mT6_P12ihipStream_tbENKUlT_T0_E_clISt17integral_constantIbLb1EESY_EEDaST_SU_EUlST_E0_NS1_11comp_targetILNS1_3genE8ELNS1_11target_archE1030ELNS1_3gpuE2ELNS1_3repE0EEENS1_30default_config_static_selectorELNS0_4arch9wavefront6targetE1EEEvT1_
	.p2align	8
	.type	_ZN7rocprim17ROCPRIM_400000_NS6detail17trampoline_kernelINS0_14default_configENS1_20scan_config_selectorIN3c108BFloat16EEEZZNS1_9scan_implILNS1_25lookback_scan_determinismE0ELb0ELb0ES3_PKS6_PS6_S6_ZZZN2at6native31launch_logcumsumexp_cuda_kernelERKNSD_10TensorBaseESH_lENKUlvE_clEvENKUlvE4_clEvEUlS6_S6_E_S6_EEDaPvRmT3_T4_T5_mT6_P12ihipStream_tbENKUlT_T0_E_clISt17integral_constantIbLb1EESY_EEDaST_SU_EUlST_E0_NS1_11comp_targetILNS1_3genE8ELNS1_11target_archE1030ELNS1_3gpuE2ELNS1_3repE0EEENS1_30default_config_static_selectorELNS0_4arch9wavefront6targetE1EEEvT1_,@function
_ZN7rocprim17ROCPRIM_400000_NS6detail17trampoline_kernelINS0_14default_configENS1_20scan_config_selectorIN3c108BFloat16EEEZZNS1_9scan_implILNS1_25lookback_scan_determinismE0ELb0ELb0ES3_PKS6_PS6_S6_ZZZN2at6native31launch_logcumsumexp_cuda_kernelERKNSD_10TensorBaseESH_lENKUlvE_clEvENKUlvE4_clEvEUlS6_S6_E_S6_EEDaPvRmT3_T4_T5_mT6_P12ihipStream_tbENKUlT_T0_E_clISt17integral_constantIbLb1EESY_EEDaST_SU_EUlST_E0_NS1_11comp_targetILNS1_3genE8ELNS1_11target_archE1030ELNS1_3gpuE2ELNS1_3repE0EEENS1_30default_config_static_selectorELNS0_4arch9wavefront6targetE1EEEvT1_: ; @_ZN7rocprim17ROCPRIM_400000_NS6detail17trampoline_kernelINS0_14default_configENS1_20scan_config_selectorIN3c108BFloat16EEEZZNS1_9scan_implILNS1_25lookback_scan_determinismE0ELb0ELb0ES3_PKS6_PS6_S6_ZZZN2at6native31launch_logcumsumexp_cuda_kernelERKNSD_10TensorBaseESH_lENKUlvE_clEvENKUlvE4_clEvEUlS6_S6_E_S6_EEDaPvRmT3_T4_T5_mT6_P12ihipStream_tbENKUlT_T0_E_clISt17integral_constantIbLb1EESY_EEDaST_SU_EUlST_E0_NS1_11comp_targetILNS1_3genE8ELNS1_11target_archE1030ELNS1_3gpuE2ELNS1_3repE0EEENS1_30default_config_static_selectorELNS0_4arch9wavefront6targetE1EEEvT1_
; %bb.0:
	.section	.rodata,"a",@progbits
	.p2align	6, 0x0
	.amdhsa_kernel _ZN7rocprim17ROCPRIM_400000_NS6detail17trampoline_kernelINS0_14default_configENS1_20scan_config_selectorIN3c108BFloat16EEEZZNS1_9scan_implILNS1_25lookback_scan_determinismE0ELb0ELb0ES3_PKS6_PS6_S6_ZZZN2at6native31launch_logcumsumexp_cuda_kernelERKNSD_10TensorBaseESH_lENKUlvE_clEvENKUlvE4_clEvEUlS6_S6_E_S6_EEDaPvRmT3_T4_T5_mT6_P12ihipStream_tbENKUlT_T0_E_clISt17integral_constantIbLb1EESY_EEDaST_SU_EUlST_E0_NS1_11comp_targetILNS1_3genE8ELNS1_11target_archE1030ELNS1_3gpuE2ELNS1_3repE0EEENS1_30default_config_static_selectorELNS0_4arch9wavefront6targetE1EEEvT1_
		.amdhsa_group_segment_fixed_size 0
		.amdhsa_private_segment_fixed_size 0
		.amdhsa_kernarg_size 32
		.amdhsa_user_sgpr_count 6
		.amdhsa_user_sgpr_private_segment_buffer 1
		.amdhsa_user_sgpr_dispatch_ptr 0
		.amdhsa_user_sgpr_queue_ptr 0
		.amdhsa_user_sgpr_kernarg_segment_ptr 1
		.amdhsa_user_sgpr_dispatch_id 0
		.amdhsa_user_sgpr_flat_scratch_init 0
		.amdhsa_user_sgpr_private_segment_size 0
		.amdhsa_uses_dynamic_stack 0
		.amdhsa_system_sgpr_private_segment_wavefront_offset 0
		.amdhsa_system_sgpr_workgroup_id_x 1
		.amdhsa_system_sgpr_workgroup_id_y 0
		.amdhsa_system_sgpr_workgroup_id_z 0
		.amdhsa_system_sgpr_workgroup_info 0
		.amdhsa_system_vgpr_workitem_id 0
		.amdhsa_next_free_vgpr 1
		.amdhsa_next_free_sgpr 0
		.amdhsa_reserve_vcc 0
		.amdhsa_reserve_flat_scratch 0
		.amdhsa_float_round_mode_32 0
		.amdhsa_float_round_mode_16_64 0
		.amdhsa_float_denorm_mode_32 3
		.amdhsa_float_denorm_mode_16_64 3
		.amdhsa_dx10_clamp 1
		.amdhsa_ieee_mode 1
		.amdhsa_fp16_overflow 0
		.amdhsa_exception_fp_ieee_invalid_op 0
		.amdhsa_exception_fp_denorm_src 0
		.amdhsa_exception_fp_ieee_div_zero 0
		.amdhsa_exception_fp_ieee_overflow 0
		.amdhsa_exception_fp_ieee_underflow 0
		.amdhsa_exception_fp_ieee_inexact 0
		.amdhsa_exception_int_div_zero 0
	.end_amdhsa_kernel
	.section	.text._ZN7rocprim17ROCPRIM_400000_NS6detail17trampoline_kernelINS0_14default_configENS1_20scan_config_selectorIN3c108BFloat16EEEZZNS1_9scan_implILNS1_25lookback_scan_determinismE0ELb0ELb0ES3_PKS6_PS6_S6_ZZZN2at6native31launch_logcumsumexp_cuda_kernelERKNSD_10TensorBaseESH_lENKUlvE_clEvENKUlvE4_clEvEUlS6_S6_E_S6_EEDaPvRmT3_T4_T5_mT6_P12ihipStream_tbENKUlT_T0_E_clISt17integral_constantIbLb1EESY_EEDaST_SU_EUlST_E0_NS1_11comp_targetILNS1_3genE8ELNS1_11target_archE1030ELNS1_3gpuE2ELNS1_3repE0EEENS1_30default_config_static_selectorELNS0_4arch9wavefront6targetE1EEEvT1_,"axG",@progbits,_ZN7rocprim17ROCPRIM_400000_NS6detail17trampoline_kernelINS0_14default_configENS1_20scan_config_selectorIN3c108BFloat16EEEZZNS1_9scan_implILNS1_25lookback_scan_determinismE0ELb0ELb0ES3_PKS6_PS6_S6_ZZZN2at6native31launch_logcumsumexp_cuda_kernelERKNSD_10TensorBaseESH_lENKUlvE_clEvENKUlvE4_clEvEUlS6_S6_E_S6_EEDaPvRmT3_T4_T5_mT6_P12ihipStream_tbENKUlT_T0_E_clISt17integral_constantIbLb1EESY_EEDaST_SU_EUlST_E0_NS1_11comp_targetILNS1_3genE8ELNS1_11target_archE1030ELNS1_3gpuE2ELNS1_3repE0EEENS1_30default_config_static_selectorELNS0_4arch9wavefront6targetE1EEEvT1_,comdat
.Lfunc_end482:
	.size	_ZN7rocprim17ROCPRIM_400000_NS6detail17trampoline_kernelINS0_14default_configENS1_20scan_config_selectorIN3c108BFloat16EEEZZNS1_9scan_implILNS1_25lookback_scan_determinismE0ELb0ELb0ES3_PKS6_PS6_S6_ZZZN2at6native31launch_logcumsumexp_cuda_kernelERKNSD_10TensorBaseESH_lENKUlvE_clEvENKUlvE4_clEvEUlS6_S6_E_S6_EEDaPvRmT3_T4_T5_mT6_P12ihipStream_tbENKUlT_T0_E_clISt17integral_constantIbLb1EESY_EEDaST_SU_EUlST_E0_NS1_11comp_targetILNS1_3genE8ELNS1_11target_archE1030ELNS1_3gpuE2ELNS1_3repE0EEENS1_30default_config_static_selectorELNS0_4arch9wavefront6targetE1EEEvT1_, .Lfunc_end482-_ZN7rocprim17ROCPRIM_400000_NS6detail17trampoline_kernelINS0_14default_configENS1_20scan_config_selectorIN3c108BFloat16EEEZZNS1_9scan_implILNS1_25lookback_scan_determinismE0ELb0ELb0ES3_PKS6_PS6_S6_ZZZN2at6native31launch_logcumsumexp_cuda_kernelERKNSD_10TensorBaseESH_lENKUlvE_clEvENKUlvE4_clEvEUlS6_S6_E_S6_EEDaPvRmT3_T4_T5_mT6_P12ihipStream_tbENKUlT_T0_E_clISt17integral_constantIbLb1EESY_EEDaST_SU_EUlST_E0_NS1_11comp_targetILNS1_3genE8ELNS1_11target_archE1030ELNS1_3gpuE2ELNS1_3repE0EEENS1_30default_config_static_selectorELNS0_4arch9wavefront6targetE1EEEvT1_
                                        ; -- End function
	.set _ZN7rocprim17ROCPRIM_400000_NS6detail17trampoline_kernelINS0_14default_configENS1_20scan_config_selectorIN3c108BFloat16EEEZZNS1_9scan_implILNS1_25lookback_scan_determinismE0ELb0ELb0ES3_PKS6_PS6_S6_ZZZN2at6native31launch_logcumsumexp_cuda_kernelERKNSD_10TensorBaseESH_lENKUlvE_clEvENKUlvE4_clEvEUlS6_S6_E_S6_EEDaPvRmT3_T4_T5_mT6_P12ihipStream_tbENKUlT_T0_E_clISt17integral_constantIbLb1EESY_EEDaST_SU_EUlST_E0_NS1_11comp_targetILNS1_3genE8ELNS1_11target_archE1030ELNS1_3gpuE2ELNS1_3repE0EEENS1_30default_config_static_selectorELNS0_4arch9wavefront6targetE1EEEvT1_.num_vgpr, 0
	.set _ZN7rocprim17ROCPRIM_400000_NS6detail17trampoline_kernelINS0_14default_configENS1_20scan_config_selectorIN3c108BFloat16EEEZZNS1_9scan_implILNS1_25lookback_scan_determinismE0ELb0ELb0ES3_PKS6_PS6_S6_ZZZN2at6native31launch_logcumsumexp_cuda_kernelERKNSD_10TensorBaseESH_lENKUlvE_clEvENKUlvE4_clEvEUlS6_S6_E_S6_EEDaPvRmT3_T4_T5_mT6_P12ihipStream_tbENKUlT_T0_E_clISt17integral_constantIbLb1EESY_EEDaST_SU_EUlST_E0_NS1_11comp_targetILNS1_3genE8ELNS1_11target_archE1030ELNS1_3gpuE2ELNS1_3repE0EEENS1_30default_config_static_selectorELNS0_4arch9wavefront6targetE1EEEvT1_.num_agpr, 0
	.set _ZN7rocprim17ROCPRIM_400000_NS6detail17trampoline_kernelINS0_14default_configENS1_20scan_config_selectorIN3c108BFloat16EEEZZNS1_9scan_implILNS1_25lookback_scan_determinismE0ELb0ELb0ES3_PKS6_PS6_S6_ZZZN2at6native31launch_logcumsumexp_cuda_kernelERKNSD_10TensorBaseESH_lENKUlvE_clEvENKUlvE4_clEvEUlS6_S6_E_S6_EEDaPvRmT3_T4_T5_mT6_P12ihipStream_tbENKUlT_T0_E_clISt17integral_constantIbLb1EESY_EEDaST_SU_EUlST_E0_NS1_11comp_targetILNS1_3genE8ELNS1_11target_archE1030ELNS1_3gpuE2ELNS1_3repE0EEENS1_30default_config_static_selectorELNS0_4arch9wavefront6targetE1EEEvT1_.numbered_sgpr, 0
	.set _ZN7rocprim17ROCPRIM_400000_NS6detail17trampoline_kernelINS0_14default_configENS1_20scan_config_selectorIN3c108BFloat16EEEZZNS1_9scan_implILNS1_25lookback_scan_determinismE0ELb0ELb0ES3_PKS6_PS6_S6_ZZZN2at6native31launch_logcumsumexp_cuda_kernelERKNSD_10TensorBaseESH_lENKUlvE_clEvENKUlvE4_clEvEUlS6_S6_E_S6_EEDaPvRmT3_T4_T5_mT6_P12ihipStream_tbENKUlT_T0_E_clISt17integral_constantIbLb1EESY_EEDaST_SU_EUlST_E0_NS1_11comp_targetILNS1_3genE8ELNS1_11target_archE1030ELNS1_3gpuE2ELNS1_3repE0EEENS1_30default_config_static_selectorELNS0_4arch9wavefront6targetE1EEEvT1_.num_named_barrier, 0
	.set _ZN7rocprim17ROCPRIM_400000_NS6detail17trampoline_kernelINS0_14default_configENS1_20scan_config_selectorIN3c108BFloat16EEEZZNS1_9scan_implILNS1_25lookback_scan_determinismE0ELb0ELb0ES3_PKS6_PS6_S6_ZZZN2at6native31launch_logcumsumexp_cuda_kernelERKNSD_10TensorBaseESH_lENKUlvE_clEvENKUlvE4_clEvEUlS6_S6_E_S6_EEDaPvRmT3_T4_T5_mT6_P12ihipStream_tbENKUlT_T0_E_clISt17integral_constantIbLb1EESY_EEDaST_SU_EUlST_E0_NS1_11comp_targetILNS1_3genE8ELNS1_11target_archE1030ELNS1_3gpuE2ELNS1_3repE0EEENS1_30default_config_static_selectorELNS0_4arch9wavefront6targetE1EEEvT1_.private_seg_size, 0
	.set _ZN7rocprim17ROCPRIM_400000_NS6detail17trampoline_kernelINS0_14default_configENS1_20scan_config_selectorIN3c108BFloat16EEEZZNS1_9scan_implILNS1_25lookback_scan_determinismE0ELb0ELb0ES3_PKS6_PS6_S6_ZZZN2at6native31launch_logcumsumexp_cuda_kernelERKNSD_10TensorBaseESH_lENKUlvE_clEvENKUlvE4_clEvEUlS6_S6_E_S6_EEDaPvRmT3_T4_T5_mT6_P12ihipStream_tbENKUlT_T0_E_clISt17integral_constantIbLb1EESY_EEDaST_SU_EUlST_E0_NS1_11comp_targetILNS1_3genE8ELNS1_11target_archE1030ELNS1_3gpuE2ELNS1_3repE0EEENS1_30default_config_static_selectorELNS0_4arch9wavefront6targetE1EEEvT1_.uses_vcc, 0
	.set _ZN7rocprim17ROCPRIM_400000_NS6detail17trampoline_kernelINS0_14default_configENS1_20scan_config_selectorIN3c108BFloat16EEEZZNS1_9scan_implILNS1_25lookback_scan_determinismE0ELb0ELb0ES3_PKS6_PS6_S6_ZZZN2at6native31launch_logcumsumexp_cuda_kernelERKNSD_10TensorBaseESH_lENKUlvE_clEvENKUlvE4_clEvEUlS6_S6_E_S6_EEDaPvRmT3_T4_T5_mT6_P12ihipStream_tbENKUlT_T0_E_clISt17integral_constantIbLb1EESY_EEDaST_SU_EUlST_E0_NS1_11comp_targetILNS1_3genE8ELNS1_11target_archE1030ELNS1_3gpuE2ELNS1_3repE0EEENS1_30default_config_static_selectorELNS0_4arch9wavefront6targetE1EEEvT1_.uses_flat_scratch, 0
	.set _ZN7rocprim17ROCPRIM_400000_NS6detail17trampoline_kernelINS0_14default_configENS1_20scan_config_selectorIN3c108BFloat16EEEZZNS1_9scan_implILNS1_25lookback_scan_determinismE0ELb0ELb0ES3_PKS6_PS6_S6_ZZZN2at6native31launch_logcumsumexp_cuda_kernelERKNSD_10TensorBaseESH_lENKUlvE_clEvENKUlvE4_clEvEUlS6_S6_E_S6_EEDaPvRmT3_T4_T5_mT6_P12ihipStream_tbENKUlT_T0_E_clISt17integral_constantIbLb1EESY_EEDaST_SU_EUlST_E0_NS1_11comp_targetILNS1_3genE8ELNS1_11target_archE1030ELNS1_3gpuE2ELNS1_3repE0EEENS1_30default_config_static_selectorELNS0_4arch9wavefront6targetE1EEEvT1_.has_dyn_sized_stack, 0
	.set _ZN7rocprim17ROCPRIM_400000_NS6detail17trampoline_kernelINS0_14default_configENS1_20scan_config_selectorIN3c108BFloat16EEEZZNS1_9scan_implILNS1_25lookback_scan_determinismE0ELb0ELb0ES3_PKS6_PS6_S6_ZZZN2at6native31launch_logcumsumexp_cuda_kernelERKNSD_10TensorBaseESH_lENKUlvE_clEvENKUlvE4_clEvEUlS6_S6_E_S6_EEDaPvRmT3_T4_T5_mT6_P12ihipStream_tbENKUlT_T0_E_clISt17integral_constantIbLb1EESY_EEDaST_SU_EUlST_E0_NS1_11comp_targetILNS1_3genE8ELNS1_11target_archE1030ELNS1_3gpuE2ELNS1_3repE0EEENS1_30default_config_static_selectorELNS0_4arch9wavefront6targetE1EEEvT1_.has_recursion, 0
	.set _ZN7rocprim17ROCPRIM_400000_NS6detail17trampoline_kernelINS0_14default_configENS1_20scan_config_selectorIN3c108BFloat16EEEZZNS1_9scan_implILNS1_25lookback_scan_determinismE0ELb0ELb0ES3_PKS6_PS6_S6_ZZZN2at6native31launch_logcumsumexp_cuda_kernelERKNSD_10TensorBaseESH_lENKUlvE_clEvENKUlvE4_clEvEUlS6_S6_E_S6_EEDaPvRmT3_T4_T5_mT6_P12ihipStream_tbENKUlT_T0_E_clISt17integral_constantIbLb1EESY_EEDaST_SU_EUlST_E0_NS1_11comp_targetILNS1_3genE8ELNS1_11target_archE1030ELNS1_3gpuE2ELNS1_3repE0EEENS1_30default_config_static_selectorELNS0_4arch9wavefront6targetE1EEEvT1_.has_indirect_call, 0
	.section	.AMDGPU.csdata,"",@progbits
; Kernel info:
; codeLenInByte = 0
; TotalNumSgprs: 4
; NumVgprs: 0
; ScratchSize: 0
; MemoryBound: 0
; FloatMode: 240
; IeeeMode: 1
; LDSByteSize: 0 bytes/workgroup (compile time only)
; SGPRBlocks: 0
; VGPRBlocks: 0
; NumSGPRsForWavesPerEU: 4
; NumVGPRsForWavesPerEU: 1
; Occupancy: 10
; WaveLimiterHint : 0
; COMPUTE_PGM_RSRC2:SCRATCH_EN: 0
; COMPUTE_PGM_RSRC2:USER_SGPR: 6
; COMPUTE_PGM_RSRC2:TRAP_HANDLER: 0
; COMPUTE_PGM_RSRC2:TGID_X_EN: 1
; COMPUTE_PGM_RSRC2:TGID_Y_EN: 0
; COMPUTE_PGM_RSRC2:TGID_Z_EN: 0
; COMPUTE_PGM_RSRC2:TIDIG_COMP_CNT: 0
	.section	.text._ZN7rocprim17ROCPRIM_400000_NS6detail31init_lookback_scan_state_kernelINS1_19lookback_scan_stateIN3c108BFloat16ELb1ELb1EEENS1_16block_id_wrapperIjLb0EEEEEvT_jT0_jPNS9_10value_typeE,"axG",@progbits,_ZN7rocprim17ROCPRIM_400000_NS6detail31init_lookback_scan_state_kernelINS1_19lookback_scan_stateIN3c108BFloat16ELb1ELb1EEENS1_16block_id_wrapperIjLb0EEEEEvT_jT0_jPNS9_10value_typeE,comdat
	.protected	_ZN7rocprim17ROCPRIM_400000_NS6detail31init_lookback_scan_state_kernelINS1_19lookback_scan_stateIN3c108BFloat16ELb1ELb1EEENS1_16block_id_wrapperIjLb0EEEEEvT_jT0_jPNS9_10value_typeE ; -- Begin function _ZN7rocprim17ROCPRIM_400000_NS6detail31init_lookback_scan_state_kernelINS1_19lookback_scan_stateIN3c108BFloat16ELb1ELb1EEENS1_16block_id_wrapperIjLb0EEEEEvT_jT0_jPNS9_10value_typeE
	.globl	_ZN7rocprim17ROCPRIM_400000_NS6detail31init_lookback_scan_state_kernelINS1_19lookback_scan_stateIN3c108BFloat16ELb1ELb1EEENS1_16block_id_wrapperIjLb0EEEEEvT_jT0_jPNS9_10value_typeE
	.p2align	8
	.type	_ZN7rocprim17ROCPRIM_400000_NS6detail31init_lookback_scan_state_kernelINS1_19lookback_scan_stateIN3c108BFloat16ELb1ELb1EEENS1_16block_id_wrapperIjLb0EEEEEvT_jT0_jPNS9_10value_typeE,@function
_ZN7rocprim17ROCPRIM_400000_NS6detail31init_lookback_scan_state_kernelINS1_19lookback_scan_stateIN3c108BFloat16ELb1ELb1EEENS1_16block_id_wrapperIjLb0EEEEEvT_jT0_jPNS9_10value_typeE: ; @_ZN7rocprim17ROCPRIM_400000_NS6detail31init_lookback_scan_state_kernelINS1_19lookback_scan_stateIN3c108BFloat16ELb1ELb1EEENS1_16block_id_wrapperIjLb0EEEEEvT_jT0_jPNS9_10value_typeE
; %bb.0:
	s_load_dword s7, s[4:5], 0x2c
	s_load_dwordx2 s[2:3], s[4:5], 0x18
	s_load_dwordx2 s[0:1], s[4:5], 0x0
	s_load_dword s8, s[4:5], 0x8
	s_waitcnt lgkmcnt(0)
	s_and_b32 s7, s7, 0xffff
	s_mul_i32 s6, s6, s7
	s_cmp_eq_u64 s[2:3], 0
	v_add_u32_e32 v0, s6, v0
	s_cbranch_scc1 .LBB483_9
; %bb.1:
	s_load_dword s6, s[4:5], 0x10
	s_mov_b32 s7, 0
	s_waitcnt lgkmcnt(0)
	s_cmp_lt_u32 s6, s8
	s_cselect_b32 s4, s6, 0
	v_cmp_eq_u32_e32 vcc, s4, v0
	s_and_saveexec_b64 s[4:5], vcc
	s_cbranch_execz .LBB483_8
; %bb.2:
	s_add_i32 s6, s6, 64
	s_lshl_b64 s[6:7], s[6:7], 2
	s_add_u32 s6, s0, s6
	s_addc_u32 s7, s1, s7
	v_mov_b32_e32 v1, 0
	global_load_dword v2, v1, s[6:7] glc
	s_waitcnt vmcnt(0)
	v_and_b32_e32 v3, 0xff0000, v2
	v_cmp_ne_u32_e32 vcc, 0, v3
	s_cbranch_vccnz .LBB483_7
; %bb.3:
	s_mov_b32 s9, 1
.LBB483_4:                              ; =>This Loop Header: Depth=1
                                        ;     Child Loop BB483_5 Depth 2
	s_mov_b32 s10, s9
.LBB483_5:                              ;   Parent Loop BB483_4 Depth=1
                                        ; =>  This Inner Loop Header: Depth=2
	s_add_i32 s10, s10, -1
	s_cmp_eq_u32 s10, 0
	s_sleep 1
	s_cbranch_scc0 .LBB483_5
; %bb.6:                                ;   in Loop: Header=BB483_4 Depth=1
	global_load_dword v2, v1, s[6:7] glc
	s_cmp_lt_u32 s9, 32
	s_cselect_b64 s[10:11], -1, 0
	s_cmp_lg_u64 s[10:11], 0
	s_addc_u32 s9, s9, 0
	s_waitcnt vmcnt(0)
	v_and_b32_e32 v3, 0xff0000, v2
	v_cmp_ne_u32_e32 vcc, 0, v3
	s_cbranch_vccz .LBB483_4
.LBB483_7:
	v_mov_b32_e32 v1, 0
	global_store_short v1, v2, s[2:3]
.LBB483_8:
	s_or_b64 exec, exec, s[4:5]
.LBB483_9:
	v_cmp_gt_u32_e32 vcc, s8, v0
	s_and_saveexec_b64 s[2:3], vcc
	s_cbranch_execnz .LBB483_12
; %bb.10:
	s_or_b64 exec, exec, s[2:3]
	v_cmp_gt_u32_e32 vcc, 64, v0
	s_and_saveexec_b64 s[2:3], vcc
	s_cbranch_execnz .LBB483_13
.LBB483_11:
	s_endpgm
.LBB483_12:
	v_add_u32_e32 v1, 64, v0
	v_mov_b32_e32 v2, 0
	v_lshlrev_b64 v[3:4], 2, v[1:2]
	v_mov_b32_e32 v1, s1
	v_add_co_u32_e32 v3, vcc, s0, v3
	v_addc_co_u32_e32 v4, vcc, v1, v4, vcc
	global_store_dword v[3:4], v2, off
	s_or_b64 exec, exec, s[2:3]
	v_cmp_gt_u32_e32 vcc, 64, v0
	s_and_saveexec_b64 s[2:3], vcc
	s_cbranch_execz .LBB483_11
.LBB483_13:
	v_mov_b32_e32 v1, 0
	v_lshlrev_b64 v[0:1], 2, v[0:1]
	v_mov_b32_e32 v2, s1
	v_add_co_u32_e32 v0, vcc, s0, v0
	v_addc_co_u32_e32 v1, vcc, v2, v1, vcc
	v_mov_b32_e32 v2, 0xff0000
	global_store_dword v[0:1], v2, off
	s_endpgm
	.section	.rodata,"a",@progbits
	.p2align	6, 0x0
	.amdhsa_kernel _ZN7rocprim17ROCPRIM_400000_NS6detail31init_lookback_scan_state_kernelINS1_19lookback_scan_stateIN3c108BFloat16ELb1ELb1EEENS1_16block_id_wrapperIjLb0EEEEEvT_jT0_jPNS9_10value_typeE
		.amdhsa_group_segment_fixed_size 0
		.amdhsa_private_segment_fixed_size 0
		.amdhsa_kernarg_size 288
		.amdhsa_user_sgpr_count 6
		.amdhsa_user_sgpr_private_segment_buffer 1
		.amdhsa_user_sgpr_dispatch_ptr 0
		.amdhsa_user_sgpr_queue_ptr 0
		.amdhsa_user_sgpr_kernarg_segment_ptr 1
		.amdhsa_user_sgpr_dispatch_id 0
		.amdhsa_user_sgpr_flat_scratch_init 0
		.amdhsa_user_sgpr_private_segment_size 0
		.amdhsa_uses_dynamic_stack 0
		.amdhsa_system_sgpr_private_segment_wavefront_offset 0
		.amdhsa_system_sgpr_workgroup_id_x 1
		.amdhsa_system_sgpr_workgroup_id_y 0
		.amdhsa_system_sgpr_workgroup_id_z 0
		.amdhsa_system_sgpr_workgroup_info 0
		.amdhsa_system_vgpr_workitem_id 0
		.amdhsa_next_free_vgpr 5
		.amdhsa_next_free_sgpr 12
		.amdhsa_reserve_vcc 1
		.amdhsa_reserve_flat_scratch 0
		.amdhsa_float_round_mode_32 0
		.amdhsa_float_round_mode_16_64 0
		.amdhsa_float_denorm_mode_32 3
		.amdhsa_float_denorm_mode_16_64 3
		.amdhsa_dx10_clamp 1
		.amdhsa_ieee_mode 1
		.amdhsa_fp16_overflow 0
		.amdhsa_exception_fp_ieee_invalid_op 0
		.amdhsa_exception_fp_denorm_src 0
		.amdhsa_exception_fp_ieee_div_zero 0
		.amdhsa_exception_fp_ieee_overflow 0
		.amdhsa_exception_fp_ieee_underflow 0
		.amdhsa_exception_fp_ieee_inexact 0
		.amdhsa_exception_int_div_zero 0
	.end_amdhsa_kernel
	.section	.text._ZN7rocprim17ROCPRIM_400000_NS6detail31init_lookback_scan_state_kernelINS1_19lookback_scan_stateIN3c108BFloat16ELb1ELb1EEENS1_16block_id_wrapperIjLb0EEEEEvT_jT0_jPNS9_10value_typeE,"axG",@progbits,_ZN7rocprim17ROCPRIM_400000_NS6detail31init_lookback_scan_state_kernelINS1_19lookback_scan_stateIN3c108BFloat16ELb1ELb1EEENS1_16block_id_wrapperIjLb0EEEEEvT_jT0_jPNS9_10value_typeE,comdat
.Lfunc_end483:
	.size	_ZN7rocprim17ROCPRIM_400000_NS6detail31init_lookback_scan_state_kernelINS1_19lookback_scan_stateIN3c108BFloat16ELb1ELb1EEENS1_16block_id_wrapperIjLb0EEEEEvT_jT0_jPNS9_10value_typeE, .Lfunc_end483-_ZN7rocprim17ROCPRIM_400000_NS6detail31init_lookback_scan_state_kernelINS1_19lookback_scan_stateIN3c108BFloat16ELb1ELb1EEENS1_16block_id_wrapperIjLb0EEEEEvT_jT0_jPNS9_10value_typeE
                                        ; -- End function
	.set _ZN7rocprim17ROCPRIM_400000_NS6detail31init_lookback_scan_state_kernelINS1_19lookback_scan_stateIN3c108BFloat16ELb1ELb1EEENS1_16block_id_wrapperIjLb0EEEEEvT_jT0_jPNS9_10value_typeE.num_vgpr, 5
	.set _ZN7rocprim17ROCPRIM_400000_NS6detail31init_lookback_scan_state_kernelINS1_19lookback_scan_stateIN3c108BFloat16ELb1ELb1EEENS1_16block_id_wrapperIjLb0EEEEEvT_jT0_jPNS9_10value_typeE.num_agpr, 0
	.set _ZN7rocprim17ROCPRIM_400000_NS6detail31init_lookback_scan_state_kernelINS1_19lookback_scan_stateIN3c108BFloat16ELb1ELb1EEENS1_16block_id_wrapperIjLb0EEEEEvT_jT0_jPNS9_10value_typeE.numbered_sgpr, 12
	.set _ZN7rocprim17ROCPRIM_400000_NS6detail31init_lookback_scan_state_kernelINS1_19lookback_scan_stateIN3c108BFloat16ELb1ELb1EEENS1_16block_id_wrapperIjLb0EEEEEvT_jT0_jPNS9_10value_typeE.num_named_barrier, 0
	.set _ZN7rocprim17ROCPRIM_400000_NS6detail31init_lookback_scan_state_kernelINS1_19lookback_scan_stateIN3c108BFloat16ELb1ELb1EEENS1_16block_id_wrapperIjLb0EEEEEvT_jT0_jPNS9_10value_typeE.private_seg_size, 0
	.set _ZN7rocprim17ROCPRIM_400000_NS6detail31init_lookback_scan_state_kernelINS1_19lookback_scan_stateIN3c108BFloat16ELb1ELb1EEENS1_16block_id_wrapperIjLb0EEEEEvT_jT0_jPNS9_10value_typeE.uses_vcc, 1
	.set _ZN7rocprim17ROCPRIM_400000_NS6detail31init_lookback_scan_state_kernelINS1_19lookback_scan_stateIN3c108BFloat16ELb1ELb1EEENS1_16block_id_wrapperIjLb0EEEEEvT_jT0_jPNS9_10value_typeE.uses_flat_scratch, 0
	.set _ZN7rocprim17ROCPRIM_400000_NS6detail31init_lookback_scan_state_kernelINS1_19lookback_scan_stateIN3c108BFloat16ELb1ELb1EEENS1_16block_id_wrapperIjLb0EEEEEvT_jT0_jPNS9_10value_typeE.has_dyn_sized_stack, 0
	.set _ZN7rocprim17ROCPRIM_400000_NS6detail31init_lookback_scan_state_kernelINS1_19lookback_scan_stateIN3c108BFloat16ELb1ELb1EEENS1_16block_id_wrapperIjLb0EEEEEvT_jT0_jPNS9_10value_typeE.has_recursion, 0
	.set _ZN7rocprim17ROCPRIM_400000_NS6detail31init_lookback_scan_state_kernelINS1_19lookback_scan_stateIN3c108BFloat16ELb1ELb1EEENS1_16block_id_wrapperIjLb0EEEEEvT_jT0_jPNS9_10value_typeE.has_indirect_call, 0
	.section	.AMDGPU.csdata,"",@progbits
; Kernel info:
; codeLenInByte = 356
; TotalNumSgprs: 16
; NumVgprs: 5
; ScratchSize: 0
; MemoryBound: 0
; FloatMode: 240
; IeeeMode: 1
; LDSByteSize: 0 bytes/workgroup (compile time only)
; SGPRBlocks: 1
; VGPRBlocks: 1
; NumSGPRsForWavesPerEU: 16
; NumVGPRsForWavesPerEU: 5
; Occupancy: 10
; WaveLimiterHint : 0
; COMPUTE_PGM_RSRC2:SCRATCH_EN: 0
; COMPUTE_PGM_RSRC2:USER_SGPR: 6
; COMPUTE_PGM_RSRC2:TRAP_HANDLER: 0
; COMPUTE_PGM_RSRC2:TGID_X_EN: 1
; COMPUTE_PGM_RSRC2:TGID_Y_EN: 0
; COMPUTE_PGM_RSRC2:TGID_Z_EN: 0
; COMPUTE_PGM_RSRC2:TIDIG_COMP_CNT: 0
	.section	.text._ZN7rocprim17ROCPRIM_400000_NS6detail17trampoline_kernelINS0_14default_configENS1_20scan_config_selectorIN3c108BFloat16EEEZZNS1_9scan_implILNS1_25lookback_scan_determinismE0ELb0ELb0ES3_PKS6_PS6_S6_ZZZN2at6native31launch_logcumsumexp_cuda_kernelERKNSD_10TensorBaseESH_lENKUlvE_clEvENKUlvE4_clEvEUlS6_S6_E_S6_EEDaPvRmT3_T4_T5_mT6_P12ihipStream_tbENKUlT_T0_E_clISt17integral_constantIbLb1EESX_IbLb0EEEEDaST_SU_EUlST_E_NS1_11comp_targetILNS1_3genE0ELNS1_11target_archE4294967295ELNS1_3gpuE0ELNS1_3repE0EEENS1_30default_config_static_selectorELNS0_4arch9wavefront6targetE1EEEvT1_,"axG",@progbits,_ZN7rocprim17ROCPRIM_400000_NS6detail17trampoline_kernelINS0_14default_configENS1_20scan_config_selectorIN3c108BFloat16EEEZZNS1_9scan_implILNS1_25lookback_scan_determinismE0ELb0ELb0ES3_PKS6_PS6_S6_ZZZN2at6native31launch_logcumsumexp_cuda_kernelERKNSD_10TensorBaseESH_lENKUlvE_clEvENKUlvE4_clEvEUlS6_S6_E_S6_EEDaPvRmT3_T4_T5_mT6_P12ihipStream_tbENKUlT_T0_E_clISt17integral_constantIbLb1EESX_IbLb0EEEEDaST_SU_EUlST_E_NS1_11comp_targetILNS1_3genE0ELNS1_11target_archE4294967295ELNS1_3gpuE0ELNS1_3repE0EEENS1_30default_config_static_selectorELNS0_4arch9wavefront6targetE1EEEvT1_,comdat
	.globl	_ZN7rocprim17ROCPRIM_400000_NS6detail17trampoline_kernelINS0_14default_configENS1_20scan_config_selectorIN3c108BFloat16EEEZZNS1_9scan_implILNS1_25lookback_scan_determinismE0ELb0ELb0ES3_PKS6_PS6_S6_ZZZN2at6native31launch_logcumsumexp_cuda_kernelERKNSD_10TensorBaseESH_lENKUlvE_clEvENKUlvE4_clEvEUlS6_S6_E_S6_EEDaPvRmT3_T4_T5_mT6_P12ihipStream_tbENKUlT_T0_E_clISt17integral_constantIbLb1EESX_IbLb0EEEEDaST_SU_EUlST_E_NS1_11comp_targetILNS1_3genE0ELNS1_11target_archE4294967295ELNS1_3gpuE0ELNS1_3repE0EEENS1_30default_config_static_selectorELNS0_4arch9wavefront6targetE1EEEvT1_ ; -- Begin function _ZN7rocprim17ROCPRIM_400000_NS6detail17trampoline_kernelINS0_14default_configENS1_20scan_config_selectorIN3c108BFloat16EEEZZNS1_9scan_implILNS1_25lookback_scan_determinismE0ELb0ELb0ES3_PKS6_PS6_S6_ZZZN2at6native31launch_logcumsumexp_cuda_kernelERKNSD_10TensorBaseESH_lENKUlvE_clEvENKUlvE4_clEvEUlS6_S6_E_S6_EEDaPvRmT3_T4_T5_mT6_P12ihipStream_tbENKUlT_T0_E_clISt17integral_constantIbLb1EESX_IbLb0EEEEDaST_SU_EUlST_E_NS1_11comp_targetILNS1_3genE0ELNS1_11target_archE4294967295ELNS1_3gpuE0ELNS1_3repE0EEENS1_30default_config_static_selectorELNS0_4arch9wavefront6targetE1EEEvT1_
	.p2align	8
	.type	_ZN7rocprim17ROCPRIM_400000_NS6detail17trampoline_kernelINS0_14default_configENS1_20scan_config_selectorIN3c108BFloat16EEEZZNS1_9scan_implILNS1_25lookback_scan_determinismE0ELb0ELb0ES3_PKS6_PS6_S6_ZZZN2at6native31launch_logcumsumexp_cuda_kernelERKNSD_10TensorBaseESH_lENKUlvE_clEvENKUlvE4_clEvEUlS6_S6_E_S6_EEDaPvRmT3_T4_T5_mT6_P12ihipStream_tbENKUlT_T0_E_clISt17integral_constantIbLb1EESX_IbLb0EEEEDaST_SU_EUlST_E_NS1_11comp_targetILNS1_3genE0ELNS1_11target_archE4294967295ELNS1_3gpuE0ELNS1_3repE0EEENS1_30default_config_static_selectorELNS0_4arch9wavefront6targetE1EEEvT1_,@function
_ZN7rocprim17ROCPRIM_400000_NS6detail17trampoline_kernelINS0_14default_configENS1_20scan_config_selectorIN3c108BFloat16EEEZZNS1_9scan_implILNS1_25lookback_scan_determinismE0ELb0ELb0ES3_PKS6_PS6_S6_ZZZN2at6native31launch_logcumsumexp_cuda_kernelERKNSD_10TensorBaseESH_lENKUlvE_clEvENKUlvE4_clEvEUlS6_S6_E_S6_EEDaPvRmT3_T4_T5_mT6_P12ihipStream_tbENKUlT_T0_E_clISt17integral_constantIbLb1EESX_IbLb0EEEEDaST_SU_EUlST_E_NS1_11comp_targetILNS1_3genE0ELNS1_11target_archE4294967295ELNS1_3gpuE0ELNS1_3repE0EEENS1_30default_config_static_selectorELNS0_4arch9wavefront6targetE1EEEvT1_: ; @_ZN7rocprim17ROCPRIM_400000_NS6detail17trampoline_kernelINS0_14default_configENS1_20scan_config_selectorIN3c108BFloat16EEEZZNS1_9scan_implILNS1_25lookback_scan_determinismE0ELb0ELb0ES3_PKS6_PS6_S6_ZZZN2at6native31launch_logcumsumexp_cuda_kernelERKNSD_10TensorBaseESH_lENKUlvE_clEvENKUlvE4_clEvEUlS6_S6_E_S6_EEDaPvRmT3_T4_T5_mT6_P12ihipStream_tbENKUlT_T0_E_clISt17integral_constantIbLb1EESX_IbLb0EEEEDaST_SU_EUlST_E_NS1_11comp_targetILNS1_3genE0ELNS1_11target_archE4294967295ELNS1_3gpuE0ELNS1_3repE0EEENS1_30default_config_static_selectorELNS0_4arch9wavefront6targetE1EEEvT1_
; %bb.0:
	.section	.rodata,"a",@progbits
	.p2align	6, 0x0
	.amdhsa_kernel _ZN7rocprim17ROCPRIM_400000_NS6detail17trampoline_kernelINS0_14default_configENS1_20scan_config_selectorIN3c108BFloat16EEEZZNS1_9scan_implILNS1_25lookback_scan_determinismE0ELb0ELb0ES3_PKS6_PS6_S6_ZZZN2at6native31launch_logcumsumexp_cuda_kernelERKNSD_10TensorBaseESH_lENKUlvE_clEvENKUlvE4_clEvEUlS6_S6_E_S6_EEDaPvRmT3_T4_T5_mT6_P12ihipStream_tbENKUlT_T0_E_clISt17integral_constantIbLb1EESX_IbLb0EEEEDaST_SU_EUlST_E_NS1_11comp_targetILNS1_3genE0ELNS1_11target_archE4294967295ELNS1_3gpuE0ELNS1_3repE0EEENS1_30default_config_static_selectorELNS0_4arch9wavefront6targetE1EEEvT1_
		.amdhsa_group_segment_fixed_size 0
		.amdhsa_private_segment_fixed_size 0
		.amdhsa_kernarg_size 96
		.amdhsa_user_sgpr_count 6
		.amdhsa_user_sgpr_private_segment_buffer 1
		.amdhsa_user_sgpr_dispatch_ptr 0
		.amdhsa_user_sgpr_queue_ptr 0
		.amdhsa_user_sgpr_kernarg_segment_ptr 1
		.amdhsa_user_sgpr_dispatch_id 0
		.amdhsa_user_sgpr_flat_scratch_init 0
		.amdhsa_user_sgpr_private_segment_size 0
		.amdhsa_uses_dynamic_stack 0
		.amdhsa_system_sgpr_private_segment_wavefront_offset 0
		.amdhsa_system_sgpr_workgroup_id_x 1
		.amdhsa_system_sgpr_workgroup_id_y 0
		.amdhsa_system_sgpr_workgroup_id_z 0
		.amdhsa_system_sgpr_workgroup_info 0
		.amdhsa_system_vgpr_workitem_id 0
		.amdhsa_next_free_vgpr 1
		.amdhsa_next_free_sgpr 0
		.amdhsa_reserve_vcc 0
		.amdhsa_reserve_flat_scratch 0
		.amdhsa_float_round_mode_32 0
		.amdhsa_float_round_mode_16_64 0
		.amdhsa_float_denorm_mode_32 3
		.amdhsa_float_denorm_mode_16_64 3
		.amdhsa_dx10_clamp 1
		.amdhsa_ieee_mode 1
		.amdhsa_fp16_overflow 0
		.amdhsa_exception_fp_ieee_invalid_op 0
		.amdhsa_exception_fp_denorm_src 0
		.amdhsa_exception_fp_ieee_div_zero 0
		.amdhsa_exception_fp_ieee_overflow 0
		.amdhsa_exception_fp_ieee_underflow 0
		.amdhsa_exception_fp_ieee_inexact 0
		.amdhsa_exception_int_div_zero 0
	.end_amdhsa_kernel
	.section	.text._ZN7rocprim17ROCPRIM_400000_NS6detail17trampoline_kernelINS0_14default_configENS1_20scan_config_selectorIN3c108BFloat16EEEZZNS1_9scan_implILNS1_25lookback_scan_determinismE0ELb0ELb0ES3_PKS6_PS6_S6_ZZZN2at6native31launch_logcumsumexp_cuda_kernelERKNSD_10TensorBaseESH_lENKUlvE_clEvENKUlvE4_clEvEUlS6_S6_E_S6_EEDaPvRmT3_T4_T5_mT6_P12ihipStream_tbENKUlT_T0_E_clISt17integral_constantIbLb1EESX_IbLb0EEEEDaST_SU_EUlST_E_NS1_11comp_targetILNS1_3genE0ELNS1_11target_archE4294967295ELNS1_3gpuE0ELNS1_3repE0EEENS1_30default_config_static_selectorELNS0_4arch9wavefront6targetE1EEEvT1_,"axG",@progbits,_ZN7rocprim17ROCPRIM_400000_NS6detail17trampoline_kernelINS0_14default_configENS1_20scan_config_selectorIN3c108BFloat16EEEZZNS1_9scan_implILNS1_25lookback_scan_determinismE0ELb0ELb0ES3_PKS6_PS6_S6_ZZZN2at6native31launch_logcumsumexp_cuda_kernelERKNSD_10TensorBaseESH_lENKUlvE_clEvENKUlvE4_clEvEUlS6_S6_E_S6_EEDaPvRmT3_T4_T5_mT6_P12ihipStream_tbENKUlT_T0_E_clISt17integral_constantIbLb1EESX_IbLb0EEEEDaST_SU_EUlST_E_NS1_11comp_targetILNS1_3genE0ELNS1_11target_archE4294967295ELNS1_3gpuE0ELNS1_3repE0EEENS1_30default_config_static_selectorELNS0_4arch9wavefront6targetE1EEEvT1_,comdat
.Lfunc_end484:
	.size	_ZN7rocprim17ROCPRIM_400000_NS6detail17trampoline_kernelINS0_14default_configENS1_20scan_config_selectorIN3c108BFloat16EEEZZNS1_9scan_implILNS1_25lookback_scan_determinismE0ELb0ELb0ES3_PKS6_PS6_S6_ZZZN2at6native31launch_logcumsumexp_cuda_kernelERKNSD_10TensorBaseESH_lENKUlvE_clEvENKUlvE4_clEvEUlS6_S6_E_S6_EEDaPvRmT3_T4_T5_mT6_P12ihipStream_tbENKUlT_T0_E_clISt17integral_constantIbLb1EESX_IbLb0EEEEDaST_SU_EUlST_E_NS1_11comp_targetILNS1_3genE0ELNS1_11target_archE4294967295ELNS1_3gpuE0ELNS1_3repE0EEENS1_30default_config_static_selectorELNS0_4arch9wavefront6targetE1EEEvT1_, .Lfunc_end484-_ZN7rocprim17ROCPRIM_400000_NS6detail17trampoline_kernelINS0_14default_configENS1_20scan_config_selectorIN3c108BFloat16EEEZZNS1_9scan_implILNS1_25lookback_scan_determinismE0ELb0ELb0ES3_PKS6_PS6_S6_ZZZN2at6native31launch_logcumsumexp_cuda_kernelERKNSD_10TensorBaseESH_lENKUlvE_clEvENKUlvE4_clEvEUlS6_S6_E_S6_EEDaPvRmT3_T4_T5_mT6_P12ihipStream_tbENKUlT_T0_E_clISt17integral_constantIbLb1EESX_IbLb0EEEEDaST_SU_EUlST_E_NS1_11comp_targetILNS1_3genE0ELNS1_11target_archE4294967295ELNS1_3gpuE0ELNS1_3repE0EEENS1_30default_config_static_selectorELNS0_4arch9wavefront6targetE1EEEvT1_
                                        ; -- End function
	.set _ZN7rocprim17ROCPRIM_400000_NS6detail17trampoline_kernelINS0_14default_configENS1_20scan_config_selectorIN3c108BFloat16EEEZZNS1_9scan_implILNS1_25lookback_scan_determinismE0ELb0ELb0ES3_PKS6_PS6_S6_ZZZN2at6native31launch_logcumsumexp_cuda_kernelERKNSD_10TensorBaseESH_lENKUlvE_clEvENKUlvE4_clEvEUlS6_S6_E_S6_EEDaPvRmT3_T4_T5_mT6_P12ihipStream_tbENKUlT_T0_E_clISt17integral_constantIbLb1EESX_IbLb0EEEEDaST_SU_EUlST_E_NS1_11comp_targetILNS1_3genE0ELNS1_11target_archE4294967295ELNS1_3gpuE0ELNS1_3repE0EEENS1_30default_config_static_selectorELNS0_4arch9wavefront6targetE1EEEvT1_.num_vgpr, 0
	.set _ZN7rocprim17ROCPRIM_400000_NS6detail17trampoline_kernelINS0_14default_configENS1_20scan_config_selectorIN3c108BFloat16EEEZZNS1_9scan_implILNS1_25lookback_scan_determinismE0ELb0ELb0ES3_PKS6_PS6_S6_ZZZN2at6native31launch_logcumsumexp_cuda_kernelERKNSD_10TensorBaseESH_lENKUlvE_clEvENKUlvE4_clEvEUlS6_S6_E_S6_EEDaPvRmT3_T4_T5_mT6_P12ihipStream_tbENKUlT_T0_E_clISt17integral_constantIbLb1EESX_IbLb0EEEEDaST_SU_EUlST_E_NS1_11comp_targetILNS1_3genE0ELNS1_11target_archE4294967295ELNS1_3gpuE0ELNS1_3repE0EEENS1_30default_config_static_selectorELNS0_4arch9wavefront6targetE1EEEvT1_.num_agpr, 0
	.set _ZN7rocprim17ROCPRIM_400000_NS6detail17trampoline_kernelINS0_14default_configENS1_20scan_config_selectorIN3c108BFloat16EEEZZNS1_9scan_implILNS1_25lookback_scan_determinismE0ELb0ELb0ES3_PKS6_PS6_S6_ZZZN2at6native31launch_logcumsumexp_cuda_kernelERKNSD_10TensorBaseESH_lENKUlvE_clEvENKUlvE4_clEvEUlS6_S6_E_S6_EEDaPvRmT3_T4_T5_mT6_P12ihipStream_tbENKUlT_T0_E_clISt17integral_constantIbLb1EESX_IbLb0EEEEDaST_SU_EUlST_E_NS1_11comp_targetILNS1_3genE0ELNS1_11target_archE4294967295ELNS1_3gpuE0ELNS1_3repE0EEENS1_30default_config_static_selectorELNS0_4arch9wavefront6targetE1EEEvT1_.numbered_sgpr, 0
	.set _ZN7rocprim17ROCPRIM_400000_NS6detail17trampoline_kernelINS0_14default_configENS1_20scan_config_selectorIN3c108BFloat16EEEZZNS1_9scan_implILNS1_25lookback_scan_determinismE0ELb0ELb0ES3_PKS6_PS6_S6_ZZZN2at6native31launch_logcumsumexp_cuda_kernelERKNSD_10TensorBaseESH_lENKUlvE_clEvENKUlvE4_clEvEUlS6_S6_E_S6_EEDaPvRmT3_T4_T5_mT6_P12ihipStream_tbENKUlT_T0_E_clISt17integral_constantIbLb1EESX_IbLb0EEEEDaST_SU_EUlST_E_NS1_11comp_targetILNS1_3genE0ELNS1_11target_archE4294967295ELNS1_3gpuE0ELNS1_3repE0EEENS1_30default_config_static_selectorELNS0_4arch9wavefront6targetE1EEEvT1_.num_named_barrier, 0
	.set _ZN7rocprim17ROCPRIM_400000_NS6detail17trampoline_kernelINS0_14default_configENS1_20scan_config_selectorIN3c108BFloat16EEEZZNS1_9scan_implILNS1_25lookback_scan_determinismE0ELb0ELb0ES3_PKS6_PS6_S6_ZZZN2at6native31launch_logcumsumexp_cuda_kernelERKNSD_10TensorBaseESH_lENKUlvE_clEvENKUlvE4_clEvEUlS6_S6_E_S6_EEDaPvRmT3_T4_T5_mT6_P12ihipStream_tbENKUlT_T0_E_clISt17integral_constantIbLb1EESX_IbLb0EEEEDaST_SU_EUlST_E_NS1_11comp_targetILNS1_3genE0ELNS1_11target_archE4294967295ELNS1_3gpuE0ELNS1_3repE0EEENS1_30default_config_static_selectorELNS0_4arch9wavefront6targetE1EEEvT1_.private_seg_size, 0
	.set _ZN7rocprim17ROCPRIM_400000_NS6detail17trampoline_kernelINS0_14default_configENS1_20scan_config_selectorIN3c108BFloat16EEEZZNS1_9scan_implILNS1_25lookback_scan_determinismE0ELb0ELb0ES3_PKS6_PS6_S6_ZZZN2at6native31launch_logcumsumexp_cuda_kernelERKNSD_10TensorBaseESH_lENKUlvE_clEvENKUlvE4_clEvEUlS6_S6_E_S6_EEDaPvRmT3_T4_T5_mT6_P12ihipStream_tbENKUlT_T0_E_clISt17integral_constantIbLb1EESX_IbLb0EEEEDaST_SU_EUlST_E_NS1_11comp_targetILNS1_3genE0ELNS1_11target_archE4294967295ELNS1_3gpuE0ELNS1_3repE0EEENS1_30default_config_static_selectorELNS0_4arch9wavefront6targetE1EEEvT1_.uses_vcc, 0
	.set _ZN7rocprim17ROCPRIM_400000_NS6detail17trampoline_kernelINS0_14default_configENS1_20scan_config_selectorIN3c108BFloat16EEEZZNS1_9scan_implILNS1_25lookback_scan_determinismE0ELb0ELb0ES3_PKS6_PS6_S6_ZZZN2at6native31launch_logcumsumexp_cuda_kernelERKNSD_10TensorBaseESH_lENKUlvE_clEvENKUlvE4_clEvEUlS6_S6_E_S6_EEDaPvRmT3_T4_T5_mT6_P12ihipStream_tbENKUlT_T0_E_clISt17integral_constantIbLb1EESX_IbLb0EEEEDaST_SU_EUlST_E_NS1_11comp_targetILNS1_3genE0ELNS1_11target_archE4294967295ELNS1_3gpuE0ELNS1_3repE0EEENS1_30default_config_static_selectorELNS0_4arch9wavefront6targetE1EEEvT1_.uses_flat_scratch, 0
	.set _ZN7rocprim17ROCPRIM_400000_NS6detail17trampoline_kernelINS0_14default_configENS1_20scan_config_selectorIN3c108BFloat16EEEZZNS1_9scan_implILNS1_25lookback_scan_determinismE0ELb0ELb0ES3_PKS6_PS6_S6_ZZZN2at6native31launch_logcumsumexp_cuda_kernelERKNSD_10TensorBaseESH_lENKUlvE_clEvENKUlvE4_clEvEUlS6_S6_E_S6_EEDaPvRmT3_T4_T5_mT6_P12ihipStream_tbENKUlT_T0_E_clISt17integral_constantIbLb1EESX_IbLb0EEEEDaST_SU_EUlST_E_NS1_11comp_targetILNS1_3genE0ELNS1_11target_archE4294967295ELNS1_3gpuE0ELNS1_3repE0EEENS1_30default_config_static_selectorELNS0_4arch9wavefront6targetE1EEEvT1_.has_dyn_sized_stack, 0
	.set _ZN7rocprim17ROCPRIM_400000_NS6detail17trampoline_kernelINS0_14default_configENS1_20scan_config_selectorIN3c108BFloat16EEEZZNS1_9scan_implILNS1_25lookback_scan_determinismE0ELb0ELb0ES3_PKS6_PS6_S6_ZZZN2at6native31launch_logcumsumexp_cuda_kernelERKNSD_10TensorBaseESH_lENKUlvE_clEvENKUlvE4_clEvEUlS6_S6_E_S6_EEDaPvRmT3_T4_T5_mT6_P12ihipStream_tbENKUlT_T0_E_clISt17integral_constantIbLb1EESX_IbLb0EEEEDaST_SU_EUlST_E_NS1_11comp_targetILNS1_3genE0ELNS1_11target_archE4294967295ELNS1_3gpuE0ELNS1_3repE0EEENS1_30default_config_static_selectorELNS0_4arch9wavefront6targetE1EEEvT1_.has_recursion, 0
	.set _ZN7rocprim17ROCPRIM_400000_NS6detail17trampoline_kernelINS0_14default_configENS1_20scan_config_selectorIN3c108BFloat16EEEZZNS1_9scan_implILNS1_25lookback_scan_determinismE0ELb0ELb0ES3_PKS6_PS6_S6_ZZZN2at6native31launch_logcumsumexp_cuda_kernelERKNSD_10TensorBaseESH_lENKUlvE_clEvENKUlvE4_clEvEUlS6_S6_E_S6_EEDaPvRmT3_T4_T5_mT6_P12ihipStream_tbENKUlT_T0_E_clISt17integral_constantIbLb1EESX_IbLb0EEEEDaST_SU_EUlST_E_NS1_11comp_targetILNS1_3genE0ELNS1_11target_archE4294967295ELNS1_3gpuE0ELNS1_3repE0EEENS1_30default_config_static_selectorELNS0_4arch9wavefront6targetE1EEEvT1_.has_indirect_call, 0
	.section	.AMDGPU.csdata,"",@progbits
; Kernel info:
; codeLenInByte = 0
; TotalNumSgprs: 4
; NumVgprs: 0
; ScratchSize: 0
; MemoryBound: 0
; FloatMode: 240
; IeeeMode: 1
; LDSByteSize: 0 bytes/workgroup (compile time only)
; SGPRBlocks: 0
; VGPRBlocks: 0
; NumSGPRsForWavesPerEU: 4
; NumVGPRsForWavesPerEU: 1
; Occupancy: 10
; WaveLimiterHint : 0
; COMPUTE_PGM_RSRC2:SCRATCH_EN: 0
; COMPUTE_PGM_RSRC2:USER_SGPR: 6
; COMPUTE_PGM_RSRC2:TRAP_HANDLER: 0
; COMPUTE_PGM_RSRC2:TGID_X_EN: 1
; COMPUTE_PGM_RSRC2:TGID_Y_EN: 0
; COMPUTE_PGM_RSRC2:TGID_Z_EN: 0
; COMPUTE_PGM_RSRC2:TIDIG_COMP_CNT: 0
	.section	.text._ZN7rocprim17ROCPRIM_400000_NS6detail17trampoline_kernelINS0_14default_configENS1_20scan_config_selectorIN3c108BFloat16EEEZZNS1_9scan_implILNS1_25lookback_scan_determinismE0ELb0ELb0ES3_PKS6_PS6_S6_ZZZN2at6native31launch_logcumsumexp_cuda_kernelERKNSD_10TensorBaseESH_lENKUlvE_clEvENKUlvE4_clEvEUlS6_S6_E_S6_EEDaPvRmT3_T4_T5_mT6_P12ihipStream_tbENKUlT_T0_E_clISt17integral_constantIbLb1EESX_IbLb0EEEEDaST_SU_EUlST_E_NS1_11comp_targetILNS1_3genE5ELNS1_11target_archE942ELNS1_3gpuE9ELNS1_3repE0EEENS1_30default_config_static_selectorELNS0_4arch9wavefront6targetE1EEEvT1_,"axG",@progbits,_ZN7rocprim17ROCPRIM_400000_NS6detail17trampoline_kernelINS0_14default_configENS1_20scan_config_selectorIN3c108BFloat16EEEZZNS1_9scan_implILNS1_25lookback_scan_determinismE0ELb0ELb0ES3_PKS6_PS6_S6_ZZZN2at6native31launch_logcumsumexp_cuda_kernelERKNSD_10TensorBaseESH_lENKUlvE_clEvENKUlvE4_clEvEUlS6_S6_E_S6_EEDaPvRmT3_T4_T5_mT6_P12ihipStream_tbENKUlT_T0_E_clISt17integral_constantIbLb1EESX_IbLb0EEEEDaST_SU_EUlST_E_NS1_11comp_targetILNS1_3genE5ELNS1_11target_archE942ELNS1_3gpuE9ELNS1_3repE0EEENS1_30default_config_static_selectorELNS0_4arch9wavefront6targetE1EEEvT1_,comdat
	.globl	_ZN7rocprim17ROCPRIM_400000_NS6detail17trampoline_kernelINS0_14default_configENS1_20scan_config_selectorIN3c108BFloat16EEEZZNS1_9scan_implILNS1_25lookback_scan_determinismE0ELb0ELb0ES3_PKS6_PS6_S6_ZZZN2at6native31launch_logcumsumexp_cuda_kernelERKNSD_10TensorBaseESH_lENKUlvE_clEvENKUlvE4_clEvEUlS6_S6_E_S6_EEDaPvRmT3_T4_T5_mT6_P12ihipStream_tbENKUlT_T0_E_clISt17integral_constantIbLb1EESX_IbLb0EEEEDaST_SU_EUlST_E_NS1_11comp_targetILNS1_3genE5ELNS1_11target_archE942ELNS1_3gpuE9ELNS1_3repE0EEENS1_30default_config_static_selectorELNS0_4arch9wavefront6targetE1EEEvT1_ ; -- Begin function _ZN7rocprim17ROCPRIM_400000_NS6detail17trampoline_kernelINS0_14default_configENS1_20scan_config_selectorIN3c108BFloat16EEEZZNS1_9scan_implILNS1_25lookback_scan_determinismE0ELb0ELb0ES3_PKS6_PS6_S6_ZZZN2at6native31launch_logcumsumexp_cuda_kernelERKNSD_10TensorBaseESH_lENKUlvE_clEvENKUlvE4_clEvEUlS6_S6_E_S6_EEDaPvRmT3_T4_T5_mT6_P12ihipStream_tbENKUlT_T0_E_clISt17integral_constantIbLb1EESX_IbLb0EEEEDaST_SU_EUlST_E_NS1_11comp_targetILNS1_3genE5ELNS1_11target_archE942ELNS1_3gpuE9ELNS1_3repE0EEENS1_30default_config_static_selectorELNS0_4arch9wavefront6targetE1EEEvT1_
	.p2align	8
	.type	_ZN7rocprim17ROCPRIM_400000_NS6detail17trampoline_kernelINS0_14default_configENS1_20scan_config_selectorIN3c108BFloat16EEEZZNS1_9scan_implILNS1_25lookback_scan_determinismE0ELb0ELb0ES3_PKS6_PS6_S6_ZZZN2at6native31launch_logcumsumexp_cuda_kernelERKNSD_10TensorBaseESH_lENKUlvE_clEvENKUlvE4_clEvEUlS6_S6_E_S6_EEDaPvRmT3_T4_T5_mT6_P12ihipStream_tbENKUlT_T0_E_clISt17integral_constantIbLb1EESX_IbLb0EEEEDaST_SU_EUlST_E_NS1_11comp_targetILNS1_3genE5ELNS1_11target_archE942ELNS1_3gpuE9ELNS1_3repE0EEENS1_30default_config_static_selectorELNS0_4arch9wavefront6targetE1EEEvT1_,@function
_ZN7rocprim17ROCPRIM_400000_NS6detail17trampoline_kernelINS0_14default_configENS1_20scan_config_selectorIN3c108BFloat16EEEZZNS1_9scan_implILNS1_25lookback_scan_determinismE0ELb0ELb0ES3_PKS6_PS6_S6_ZZZN2at6native31launch_logcumsumexp_cuda_kernelERKNSD_10TensorBaseESH_lENKUlvE_clEvENKUlvE4_clEvEUlS6_S6_E_S6_EEDaPvRmT3_T4_T5_mT6_P12ihipStream_tbENKUlT_T0_E_clISt17integral_constantIbLb1EESX_IbLb0EEEEDaST_SU_EUlST_E_NS1_11comp_targetILNS1_3genE5ELNS1_11target_archE942ELNS1_3gpuE9ELNS1_3repE0EEENS1_30default_config_static_selectorELNS0_4arch9wavefront6targetE1EEEvT1_: ; @_ZN7rocprim17ROCPRIM_400000_NS6detail17trampoline_kernelINS0_14default_configENS1_20scan_config_selectorIN3c108BFloat16EEEZZNS1_9scan_implILNS1_25lookback_scan_determinismE0ELb0ELb0ES3_PKS6_PS6_S6_ZZZN2at6native31launch_logcumsumexp_cuda_kernelERKNSD_10TensorBaseESH_lENKUlvE_clEvENKUlvE4_clEvEUlS6_S6_E_S6_EEDaPvRmT3_T4_T5_mT6_P12ihipStream_tbENKUlT_T0_E_clISt17integral_constantIbLb1EESX_IbLb0EEEEDaST_SU_EUlST_E_NS1_11comp_targetILNS1_3genE5ELNS1_11target_archE942ELNS1_3gpuE9ELNS1_3repE0EEENS1_30default_config_static_selectorELNS0_4arch9wavefront6targetE1EEEvT1_
; %bb.0:
	.section	.rodata,"a",@progbits
	.p2align	6, 0x0
	.amdhsa_kernel _ZN7rocprim17ROCPRIM_400000_NS6detail17trampoline_kernelINS0_14default_configENS1_20scan_config_selectorIN3c108BFloat16EEEZZNS1_9scan_implILNS1_25lookback_scan_determinismE0ELb0ELb0ES3_PKS6_PS6_S6_ZZZN2at6native31launch_logcumsumexp_cuda_kernelERKNSD_10TensorBaseESH_lENKUlvE_clEvENKUlvE4_clEvEUlS6_S6_E_S6_EEDaPvRmT3_T4_T5_mT6_P12ihipStream_tbENKUlT_T0_E_clISt17integral_constantIbLb1EESX_IbLb0EEEEDaST_SU_EUlST_E_NS1_11comp_targetILNS1_3genE5ELNS1_11target_archE942ELNS1_3gpuE9ELNS1_3repE0EEENS1_30default_config_static_selectorELNS0_4arch9wavefront6targetE1EEEvT1_
		.amdhsa_group_segment_fixed_size 0
		.amdhsa_private_segment_fixed_size 0
		.amdhsa_kernarg_size 96
		.amdhsa_user_sgpr_count 6
		.amdhsa_user_sgpr_private_segment_buffer 1
		.amdhsa_user_sgpr_dispatch_ptr 0
		.amdhsa_user_sgpr_queue_ptr 0
		.amdhsa_user_sgpr_kernarg_segment_ptr 1
		.amdhsa_user_sgpr_dispatch_id 0
		.amdhsa_user_sgpr_flat_scratch_init 0
		.amdhsa_user_sgpr_private_segment_size 0
		.amdhsa_uses_dynamic_stack 0
		.amdhsa_system_sgpr_private_segment_wavefront_offset 0
		.amdhsa_system_sgpr_workgroup_id_x 1
		.amdhsa_system_sgpr_workgroup_id_y 0
		.amdhsa_system_sgpr_workgroup_id_z 0
		.amdhsa_system_sgpr_workgroup_info 0
		.amdhsa_system_vgpr_workitem_id 0
		.amdhsa_next_free_vgpr 1
		.amdhsa_next_free_sgpr 0
		.amdhsa_reserve_vcc 0
		.amdhsa_reserve_flat_scratch 0
		.amdhsa_float_round_mode_32 0
		.amdhsa_float_round_mode_16_64 0
		.amdhsa_float_denorm_mode_32 3
		.amdhsa_float_denorm_mode_16_64 3
		.amdhsa_dx10_clamp 1
		.amdhsa_ieee_mode 1
		.amdhsa_fp16_overflow 0
		.amdhsa_exception_fp_ieee_invalid_op 0
		.amdhsa_exception_fp_denorm_src 0
		.amdhsa_exception_fp_ieee_div_zero 0
		.amdhsa_exception_fp_ieee_overflow 0
		.amdhsa_exception_fp_ieee_underflow 0
		.amdhsa_exception_fp_ieee_inexact 0
		.amdhsa_exception_int_div_zero 0
	.end_amdhsa_kernel
	.section	.text._ZN7rocprim17ROCPRIM_400000_NS6detail17trampoline_kernelINS0_14default_configENS1_20scan_config_selectorIN3c108BFloat16EEEZZNS1_9scan_implILNS1_25lookback_scan_determinismE0ELb0ELb0ES3_PKS6_PS6_S6_ZZZN2at6native31launch_logcumsumexp_cuda_kernelERKNSD_10TensorBaseESH_lENKUlvE_clEvENKUlvE4_clEvEUlS6_S6_E_S6_EEDaPvRmT3_T4_T5_mT6_P12ihipStream_tbENKUlT_T0_E_clISt17integral_constantIbLb1EESX_IbLb0EEEEDaST_SU_EUlST_E_NS1_11comp_targetILNS1_3genE5ELNS1_11target_archE942ELNS1_3gpuE9ELNS1_3repE0EEENS1_30default_config_static_selectorELNS0_4arch9wavefront6targetE1EEEvT1_,"axG",@progbits,_ZN7rocprim17ROCPRIM_400000_NS6detail17trampoline_kernelINS0_14default_configENS1_20scan_config_selectorIN3c108BFloat16EEEZZNS1_9scan_implILNS1_25lookback_scan_determinismE0ELb0ELb0ES3_PKS6_PS6_S6_ZZZN2at6native31launch_logcumsumexp_cuda_kernelERKNSD_10TensorBaseESH_lENKUlvE_clEvENKUlvE4_clEvEUlS6_S6_E_S6_EEDaPvRmT3_T4_T5_mT6_P12ihipStream_tbENKUlT_T0_E_clISt17integral_constantIbLb1EESX_IbLb0EEEEDaST_SU_EUlST_E_NS1_11comp_targetILNS1_3genE5ELNS1_11target_archE942ELNS1_3gpuE9ELNS1_3repE0EEENS1_30default_config_static_selectorELNS0_4arch9wavefront6targetE1EEEvT1_,comdat
.Lfunc_end485:
	.size	_ZN7rocprim17ROCPRIM_400000_NS6detail17trampoline_kernelINS0_14default_configENS1_20scan_config_selectorIN3c108BFloat16EEEZZNS1_9scan_implILNS1_25lookback_scan_determinismE0ELb0ELb0ES3_PKS6_PS6_S6_ZZZN2at6native31launch_logcumsumexp_cuda_kernelERKNSD_10TensorBaseESH_lENKUlvE_clEvENKUlvE4_clEvEUlS6_S6_E_S6_EEDaPvRmT3_T4_T5_mT6_P12ihipStream_tbENKUlT_T0_E_clISt17integral_constantIbLb1EESX_IbLb0EEEEDaST_SU_EUlST_E_NS1_11comp_targetILNS1_3genE5ELNS1_11target_archE942ELNS1_3gpuE9ELNS1_3repE0EEENS1_30default_config_static_selectorELNS0_4arch9wavefront6targetE1EEEvT1_, .Lfunc_end485-_ZN7rocprim17ROCPRIM_400000_NS6detail17trampoline_kernelINS0_14default_configENS1_20scan_config_selectorIN3c108BFloat16EEEZZNS1_9scan_implILNS1_25lookback_scan_determinismE0ELb0ELb0ES3_PKS6_PS6_S6_ZZZN2at6native31launch_logcumsumexp_cuda_kernelERKNSD_10TensorBaseESH_lENKUlvE_clEvENKUlvE4_clEvEUlS6_S6_E_S6_EEDaPvRmT3_T4_T5_mT6_P12ihipStream_tbENKUlT_T0_E_clISt17integral_constantIbLb1EESX_IbLb0EEEEDaST_SU_EUlST_E_NS1_11comp_targetILNS1_3genE5ELNS1_11target_archE942ELNS1_3gpuE9ELNS1_3repE0EEENS1_30default_config_static_selectorELNS0_4arch9wavefront6targetE1EEEvT1_
                                        ; -- End function
	.set _ZN7rocprim17ROCPRIM_400000_NS6detail17trampoline_kernelINS0_14default_configENS1_20scan_config_selectorIN3c108BFloat16EEEZZNS1_9scan_implILNS1_25lookback_scan_determinismE0ELb0ELb0ES3_PKS6_PS6_S6_ZZZN2at6native31launch_logcumsumexp_cuda_kernelERKNSD_10TensorBaseESH_lENKUlvE_clEvENKUlvE4_clEvEUlS6_S6_E_S6_EEDaPvRmT3_T4_T5_mT6_P12ihipStream_tbENKUlT_T0_E_clISt17integral_constantIbLb1EESX_IbLb0EEEEDaST_SU_EUlST_E_NS1_11comp_targetILNS1_3genE5ELNS1_11target_archE942ELNS1_3gpuE9ELNS1_3repE0EEENS1_30default_config_static_selectorELNS0_4arch9wavefront6targetE1EEEvT1_.num_vgpr, 0
	.set _ZN7rocprim17ROCPRIM_400000_NS6detail17trampoline_kernelINS0_14default_configENS1_20scan_config_selectorIN3c108BFloat16EEEZZNS1_9scan_implILNS1_25lookback_scan_determinismE0ELb0ELb0ES3_PKS6_PS6_S6_ZZZN2at6native31launch_logcumsumexp_cuda_kernelERKNSD_10TensorBaseESH_lENKUlvE_clEvENKUlvE4_clEvEUlS6_S6_E_S6_EEDaPvRmT3_T4_T5_mT6_P12ihipStream_tbENKUlT_T0_E_clISt17integral_constantIbLb1EESX_IbLb0EEEEDaST_SU_EUlST_E_NS1_11comp_targetILNS1_3genE5ELNS1_11target_archE942ELNS1_3gpuE9ELNS1_3repE0EEENS1_30default_config_static_selectorELNS0_4arch9wavefront6targetE1EEEvT1_.num_agpr, 0
	.set _ZN7rocprim17ROCPRIM_400000_NS6detail17trampoline_kernelINS0_14default_configENS1_20scan_config_selectorIN3c108BFloat16EEEZZNS1_9scan_implILNS1_25lookback_scan_determinismE0ELb0ELb0ES3_PKS6_PS6_S6_ZZZN2at6native31launch_logcumsumexp_cuda_kernelERKNSD_10TensorBaseESH_lENKUlvE_clEvENKUlvE4_clEvEUlS6_S6_E_S6_EEDaPvRmT3_T4_T5_mT6_P12ihipStream_tbENKUlT_T0_E_clISt17integral_constantIbLb1EESX_IbLb0EEEEDaST_SU_EUlST_E_NS1_11comp_targetILNS1_3genE5ELNS1_11target_archE942ELNS1_3gpuE9ELNS1_3repE0EEENS1_30default_config_static_selectorELNS0_4arch9wavefront6targetE1EEEvT1_.numbered_sgpr, 0
	.set _ZN7rocprim17ROCPRIM_400000_NS6detail17trampoline_kernelINS0_14default_configENS1_20scan_config_selectorIN3c108BFloat16EEEZZNS1_9scan_implILNS1_25lookback_scan_determinismE0ELb0ELb0ES3_PKS6_PS6_S6_ZZZN2at6native31launch_logcumsumexp_cuda_kernelERKNSD_10TensorBaseESH_lENKUlvE_clEvENKUlvE4_clEvEUlS6_S6_E_S6_EEDaPvRmT3_T4_T5_mT6_P12ihipStream_tbENKUlT_T0_E_clISt17integral_constantIbLb1EESX_IbLb0EEEEDaST_SU_EUlST_E_NS1_11comp_targetILNS1_3genE5ELNS1_11target_archE942ELNS1_3gpuE9ELNS1_3repE0EEENS1_30default_config_static_selectorELNS0_4arch9wavefront6targetE1EEEvT1_.num_named_barrier, 0
	.set _ZN7rocprim17ROCPRIM_400000_NS6detail17trampoline_kernelINS0_14default_configENS1_20scan_config_selectorIN3c108BFloat16EEEZZNS1_9scan_implILNS1_25lookback_scan_determinismE0ELb0ELb0ES3_PKS6_PS6_S6_ZZZN2at6native31launch_logcumsumexp_cuda_kernelERKNSD_10TensorBaseESH_lENKUlvE_clEvENKUlvE4_clEvEUlS6_S6_E_S6_EEDaPvRmT3_T4_T5_mT6_P12ihipStream_tbENKUlT_T0_E_clISt17integral_constantIbLb1EESX_IbLb0EEEEDaST_SU_EUlST_E_NS1_11comp_targetILNS1_3genE5ELNS1_11target_archE942ELNS1_3gpuE9ELNS1_3repE0EEENS1_30default_config_static_selectorELNS0_4arch9wavefront6targetE1EEEvT1_.private_seg_size, 0
	.set _ZN7rocprim17ROCPRIM_400000_NS6detail17trampoline_kernelINS0_14default_configENS1_20scan_config_selectorIN3c108BFloat16EEEZZNS1_9scan_implILNS1_25lookback_scan_determinismE0ELb0ELb0ES3_PKS6_PS6_S6_ZZZN2at6native31launch_logcumsumexp_cuda_kernelERKNSD_10TensorBaseESH_lENKUlvE_clEvENKUlvE4_clEvEUlS6_S6_E_S6_EEDaPvRmT3_T4_T5_mT6_P12ihipStream_tbENKUlT_T0_E_clISt17integral_constantIbLb1EESX_IbLb0EEEEDaST_SU_EUlST_E_NS1_11comp_targetILNS1_3genE5ELNS1_11target_archE942ELNS1_3gpuE9ELNS1_3repE0EEENS1_30default_config_static_selectorELNS0_4arch9wavefront6targetE1EEEvT1_.uses_vcc, 0
	.set _ZN7rocprim17ROCPRIM_400000_NS6detail17trampoline_kernelINS0_14default_configENS1_20scan_config_selectorIN3c108BFloat16EEEZZNS1_9scan_implILNS1_25lookback_scan_determinismE0ELb0ELb0ES3_PKS6_PS6_S6_ZZZN2at6native31launch_logcumsumexp_cuda_kernelERKNSD_10TensorBaseESH_lENKUlvE_clEvENKUlvE4_clEvEUlS6_S6_E_S6_EEDaPvRmT3_T4_T5_mT6_P12ihipStream_tbENKUlT_T0_E_clISt17integral_constantIbLb1EESX_IbLb0EEEEDaST_SU_EUlST_E_NS1_11comp_targetILNS1_3genE5ELNS1_11target_archE942ELNS1_3gpuE9ELNS1_3repE0EEENS1_30default_config_static_selectorELNS0_4arch9wavefront6targetE1EEEvT1_.uses_flat_scratch, 0
	.set _ZN7rocprim17ROCPRIM_400000_NS6detail17trampoline_kernelINS0_14default_configENS1_20scan_config_selectorIN3c108BFloat16EEEZZNS1_9scan_implILNS1_25lookback_scan_determinismE0ELb0ELb0ES3_PKS6_PS6_S6_ZZZN2at6native31launch_logcumsumexp_cuda_kernelERKNSD_10TensorBaseESH_lENKUlvE_clEvENKUlvE4_clEvEUlS6_S6_E_S6_EEDaPvRmT3_T4_T5_mT6_P12ihipStream_tbENKUlT_T0_E_clISt17integral_constantIbLb1EESX_IbLb0EEEEDaST_SU_EUlST_E_NS1_11comp_targetILNS1_3genE5ELNS1_11target_archE942ELNS1_3gpuE9ELNS1_3repE0EEENS1_30default_config_static_selectorELNS0_4arch9wavefront6targetE1EEEvT1_.has_dyn_sized_stack, 0
	.set _ZN7rocprim17ROCPRIM_400000_NS6detail17trampoline_kernelINS0_14default_configENS1_20scan_config_selectorIN3c108BFloat16EEEZZNS1_9scan_implILNS1_25lookback_scan_determinismE0ELb0ELb0ES3_PKS6_PS6_S6_ZZZN2at6native31launch_logcumsumexp_cuda_kernelERKNSD_10TensorBaseESH_lENKUlvE_clEvENKUlvE4_clEvEUlS6_S6_E_S6_EEDaPvRmT3_T4_T5_mT6_P12ihipStream_tbENKUlT_T0_E_clISt17integral_constantIbLb1EESX_IbLb0EEEEDaST_SU_EUlST_E_NS1_11comp_targetILNS1_3genE5ELNS1_11target_archE942ELNS1_3gpuE9ELNS1_3repE0EEENS1_30default_config_static_selectorELNS0_4arch9wavefront6targetE1EEEvT1_.has_recursion, 0
	.set _ZN7rocprim17ROCPRIM_400000_NS6detail17trampoline_kernelINS0_14default_configENS1_20scan_config_selectorIN3c108BFloat16EEEZZNS1_9scan_implILNS1_25lookback_scan_determinismE0ELb0ELb0ES3_PKS6_PS6_S6_ZZZN2at6native31launch_logcumsumexp_cuda_kernelERKNSD_10TensorBaseESH_lENKUlvE_clEvENKUlvE4_clEvEUlS6_S6_E_S6_EEDaPvRmT3_T4_T5_mT6_P12ihipStream_tbENKUlT_T0_E_clISt17integral_constantIbLb1EESX_IbLb0EEEEDaST_SU_EUlST_E_NS1_11comp_targetILNS1_3genE5ELNS1_11target_archE942ELNS1_3gpuE9ELNS1_3repE0EEENS1_30default_config_static_selectorELNS0_4arch9wavefront6targetE1EEEvT1_.has_indirect_call, 0
	.section	.AMDGPU.csdata,"",@progbits
; Kernel info:
; codeLenInByte = 0
; TotalNumSgprs: 4
; NumVgprs: 0
; ScratchSize: 0
; MemoryBound: 0
; FloatMode: 240
; IeeeMode: 1
; LDSByteSize: 0 bytes/workgroup (compile time only)
; SGPRBlocks: 0
; VGPRBlocks: 0
; NumSGPRsForWavesPerEU: 4
; NumVGPRsForWavesPerEU: 1
; Occupancy: 10
; WaveLimiterHint : 0
; COMPUTE_PGM_RSRC2:SCRATCH_EN: 0
; COMPUTE_PGM_RSRC2:USER_SGPR: 6
; COMPUTE_PGM_RSRC2:TRAP_HANDLER: 0
; COMPUTE_PGM_RSRC2:TGID_X_EN: 1
; COMPUTE_PGM_RSRC2:TGID_Y_EN: 0
; COMPUTE_PGM_RSRC2:TGID_Z_EN: 0
; COMPUTE_PGM_RSRC2:TIDIG_COMP_CNT: 0
	.section	.text._ZN7rocprim17ROCPRIM_400000_NS6detail17trampoline_kernelINS0_14default_configENS1_20scan_config_selectorIN3c108BFloat16EEEZZNS1_9scan_implILNS1_25lookback_scan_determinismE0ELb0ELb0ES3_PKS6_PS6_S6_ZZZN2at6native31launch_logcumsumexp_cuda_kernelERKNSD_10TensorBaseESH_lENKUlvE_clEvENKUlvE4_clEvEUlS6_S6_E_S6_EEDaPvRmT3_T4_T5_mT6_P12ihipStream_tbENKUlT_T0_E_clISt17integral_constantIbLb1EESX_IbLb0EEEEDaST_SU_EUlST_E_NS1_11comp_targetILNS1_3genE4ELNS1_11target_archE910ELNS1_3gpuE8ELNS1_3repE0EEENS1_30default_config_static_selectorELNS0_4arch9wavefront6targetE1EEEvT1_,"axG",@progbits,_ZN7rocprim17ROCPRIM_400000_NS6detail17trampoline_kernelINS0_14default_configENS1_20scan_config_selectorIN3c108BFloat16EEEZZNS1_9scan_implILNS1_25lookback_scan_determinismE0ELb0ELb0ES3_PKS6_PS6_S6_ZZZN2at6native31launch_logcumsumexp_cuda_kernelERKNSD_10TensorBaseESH_lENKUlvE_clEvENKUlvE4_clEvEUlS6_S6_E_S6_EEDaPvRmT3_T4_T5_mT6_P12ihipStream_tbENKUlT_T0_E_clISt17integral_constantIbLb1EESX_IbLb0EEEEDaST_SU_EUlST_E_NS1_11comp_targetILNS1_3genE4ELNS1_11target_archE910ELNS1_3gpuE8ELNS1_3repE0EEENS1_30default_config_static_selectorELNS0_4arch9wavefront6targetE1EEEvT1_,comdat
	.globl	_ZN7rocprim17ROCPRIM_400000_NS6detail17trampoline_kernelINS0_14default_configENS1_20scan_config_selectorIN3c108BFloat16EEEZZNS1_9scan_implILNS1_25lookback_scan_determinismE0ELb0ELb0ES3_PKS6_PS6_S6_ZZZN2at6native31launch_logcumsumexp_cuda_kernelERKNSD_10TensorBaseESH_lENKUlvE_clEvENKUlvE4_clEvEUlS6_S6_E_S6_EEDaPvRmT3_T4_T5_mT6_P12ihipStream_tbENKUlT_T0_E_clISt17integral_constantIbLb1EESX_IbLb0EEEEDaST_SU_EUlST_E_NS1_11comp_targetILNS1_3genE4ELNS1_11target_archE910ELNS1_3gpuE8ELNS1_3repE0EEENS1_30default_config_static_selectorELNS0_4arch9wavefront6targetE1EEEvT1_ ; -- Begin function _ZN7rocprim17ROCPRIM_400000_NS6detail17trampoline_kernelINS0_14default_configENS1_20scan_config_selectorIN3c108BFloat16EEEZZNS1_9scan_implILNS1_25lookback_scan_determinismE0ELb0ELb0ES3_PKS6_PS6_S6_ZZZN2at6native31launch_logcumsumexp_cuda_kernelERKNSD_10TensorBaseESH_lENKUlvE_clEvENKUlvE4_clEvEUlS6_S6_E_S6_EEDaPvRmT3_T4_T5_mT6_P12ihipStream_tbENKUlT_T0_E_clISt17integral_constantIbLb1EESX_IbLb0EEEEDaST_SU_EUlST_E_NS1_11comp_targetILNS1_3genE4ELNS1_11target_archE910ELNS1_3gpuE8ELNS1_3repE0EEENS1_30default_config_static_selectorELNS0_4arch9wavefront6targetE1EEEvT1_
	.p2align	8
	.type	_ZN7rocprim17ROCPRIM_400000_NS6detail17trampoline_kernelINS0_14default_configENS1_20scan_config_selectorIN3c108BFloat16EEEZZNS1_9scan_implILNS1_25lookback_scan_determinismE0ELb0ELb0ES3_PKS6_PS6_S6_ZZZN2at6native31launch_logcumsumexp_cuda_kernelERKNSD_10TensorBaseESH_lENKUlvE_clEvENKUlvE4_clEvEUlS6_S6_E_S6_EEDaPvRmT3_T4_T5_mT6_P12ihipStream_tbENKUlT_T0_E_clISt17integral_constantIbLb1EESX_IbLb0EEEEDaST_SU_EUlST_E_NS1_11comp_targetILNS1_3genE4ELNS1_11target_archE910ELNS1_3gpuE8ELNS1_3repE0EEENS1_30default_config_static_selectorELNS0_4arch9wavefront6targetE1EEEvT1_,@function
_ZN7rocprim17ROCPRIM_400000_NS6detail17trampoline_kernelINS0_14default_configENS1_20scan_config_selectorIN3c108BFloat16EEEZZNS1_9scan_implILNS1_25lookback_scan_determinismE0ELb0ELb0ES3_PKS6_PS6_S6_ZZZN2at6native31launch_logcumsumexp_cuda_kernelERKNSD_10TensorBaseESH_lENKUlvE_clEvENKUlvE4_clEvEUlS6_S6_E_S6_EEDaPvRmT3_T4_T5_mT6_P12ihipStream_tbENKUlT_T0_E_clISt17integral_constantIbLb1EESX_IbLb0EEEEDaST_SU_EUlST_E_NS1_11comp_targetILNS1_3genE4ELNS1_11target_archE910ELNS1_3gpuE8ELNS1_3repE0EEENS1_30default_config_static_selectorELNS0_4arch9wavefront6targetE1EEEvT1_: ; @_ZN7rocprim17ROCPRIM_400000_NS6detail17trampoline_kernelINS0_14default_configENS1_20scan_config_selectorIN3c108BFloat16EEEZZNS1_9scan_implILNS1_25lookback_scan_determinismE0ELb0ELb0ES3_PKS6_PS6_S6_ZZZN2at6native31launch_logcumsumexp_cuda_kernelERKNSD_10TensorBaseESH_lENKUlvE_clEvENKUlvE4_clEvEUlS6_S6_E_S6_EEDaPvRmT3_T4_T5_mT6_P12ihipStream_tbENKUlT_T0_E_clISt17integral_constantIbLb1EESX_IbLb0EEEEDaST_SU_EUlST_E_NS1_11comp_targetILNS1_3genE4ELNS1_11target_archE910ELNS1_3gpuE8ELNS1_3repE0EEENS1_30default_config_static_selectorELNS0_4arch9wavefront6targetE1EEEvT1_
; %bb.0:
	.section	.rodata,"a",@progbits
	.p2align	6, 0x0
	.amdhsa_kernel _ZN7rocprim17ROCPRIM_400000_NS6detail17trampoline_kernelINS0_14default_configENS1_20scan_config_selectorIN3c108BFloat16EEEZZNS1_9scan_implILNS1_25lookback_scan_determinismE0ELb0ELb0ES3_PKS6_PS6_S6_ZZZN2at6native31launch_logcumsumexp_cuda_kernelERKNSD_10TensorBaseESH_lENKUlvE_clEvENKUlvE4_clEvEUlS6_S6_E_S6_EEDaPvRmT3_T4_T5_mT6_P12ihipStream_tbENKUlT_T0_E_clISt17integral_constantIbLb1EESX_IbLb0EEEEDaST_SU_EUlST_E_NS1_11comp_targetILNS1_3genE4ELNS1_11target_archE910ELNS1_3gpuE8ELNS1_3repE0EEENS1_30default_config_static_selectorELNS0_4arch9wavefront6targetE1EEEvT1_
		.amdhsa_group_segment_fixed_size 0
		.amdhsa_private_segment_fixed_size 0
		.amdhsa_kernarg_size 96
		.amdhsa_user_sgpr_count 6
		.amdhsa_user_sgpr_private_segment_buffer 1
		.amdhsa_user_sgpr_dispatch_ptr 0
		.amdhsa_user_sgpr_queue_ptr 0
		.amdhsa_user_sgpr_kernarg_segment_ptr 1
		.amdhsa_user_sgpr_dispatch_id 0
		.amdhsa_user_sgpr_flat_scratch_init 0
		.amdhsa_user_sgpr_private_segment_size 0
		.amdhsa_uses_dynamic_stack 0
		.amdhsa_system_sgpr_private_segment_wavefront_offset 0
		.amdhsa_system_sgpr_workgroup_id_x 1
		.amdhsa_system_sgpr_workgroup_id_y 0
		.amdhsa_system_sgpr_workgroup_id_z 0
		.amdhsa_system_sgpr_workgroup_info 0
		.amdhsa_system_vgpr_workitem_id 0
		.amdhsa_next_free_vgpr 1
		.amdhsa_next_free_sgpr 0
		.amdhsa_reserve_vcc 0
		.amdhsa_reserve_flat_scratch 0
		.amdhsa_float_round_mode_32 0
		.amdhsa_float_round_mode_16_64 0
		.amdhsa_float_denorm_mode_32 3
		.amdhsa_float_denorm_mode_16_64 3
		.amdhsa_dx10_clamp 1
		.amdhsa_ieee_mode 1
		.amdhsa_fp16_overflow 0
		.amdhsa_exception_fp_ieee_invalid_op 0
		.amdhsa_exception_fp_denorm_src 0
		.amdhsa_exception_fp_ieee_div_zero 0
		.amdhsa_exception_fp_ieee_overflow 0
		.amdhsa_exception_fp_ieee_underflow 0
		.amdhsa_exception_fp_ieee_inexact 0
		.amdhsa_exception_int_div_zero 0
	.end_amdhsa_kernel
	.section	.text._ZN7rocprim17ROCPRIM_400000_NS6detail17trampoline_kernelINS0_14default_configENS1_20scan_config_selectorIN3c108BFloat16EEEZZNS1_9scan_implILNS1_25lookback_scan_determinismE0ELb0ELb0ES3_PKS6_PS6_S6_ZZZN2at6native31launch_logcumsumexp_cuda_kernelERKNSD_10TensorBaseESH_lENKUlvE_clEvENKUlvE4_clEvEUlS6_S6_E_S6_EEDaPvRmT3_T4_T5_mT6_P12ihipStream_tbENKUlT_T0_E_clISt17integral_constantIbLb1EESX_IbLb0EEEEDaST_SU_EUlST_E_NS1_11comp_targetILNS1_3genE4ELNS1_11target_archE910ELNS1_3gpuE8ELNS1_3repE0EEENS1_30default_config_static_selectorELNS0_4arch9wavefront6targetE1EEEvT1_,"axG",@progbits,_ZN7rocprim17ROCPRIM_400000_NS6detail17trampoline_kernelINS0_14default_configENS1_20scan_config_selectorIN3c108BFloat16EEEZZNS1_9scan_implILNS1_25lookback_scan_determinismE0ELb0ELb0ES3_PKS6_PS6_S6_ZZZN2at6native31launch_logcumsumexp_cuda_kernelERKNSD_10TensorBaseESH_lENKUlvE_clEvENKUlvE4_clEvEUlS6_S6_E_S6_EEDaPvRmT3_T4_T5_mT6_P12ihipStream_tbENKUlT_T0_E_clISt17integral_constantIbLb1EESX_IbLb0EEEEDaST_SU_EUlST_E_NS1_11comp_targetILNS1_3genE4ELNS1_11target_archE910ELNS1_3gpuE8ELNS1_3repE0EEENS1_30default_config_static_selectorELNS0_4arch9wavefront6targetE1EEEvT1_,comdat
.Lfunc_end486:
	.size	_ZN7rocprim17ROCPRIM_400000_NS6detail17trampoline_kernelINS0_14default_configENS1_20scan_config_selectorIN3c108BFloat16EEEZZNS1_9scan_implILNS1_25lookback_scan_determinismE0ELb0ELb0ES3_PKS6_PS6_S6_ZZZN2at6native31launch_logcumsumexp_cuda_kernelERKNSD_10TensorBaseESH_lENKUlvE_clEvENKUlvE4_clEvEUlS6_S6_E_S6_EEDaPvRmT3_T4_T5_mT6_P12ihipStream_tbENKUlT_T0_E_clISt17integral_constantIbLb1EESX_IbLb0EEEEDaST_SU_EUlST_E_NS1_11comp_targetILNS1_3genE4ELNS1_11target_archE910ELNS1_3gpuE8ELNS1_3repE0EEENS1_30default_config_static_selectorELNS0_4arch9wavefront6targetE1EEEvT1_, .Lfunc_end486-_ZN7rocprim17ROCPRIM_400000_NS6detail17trampoline_kernelINS0_14default_configENS1_20scan_config_selectorIN3c108BFloat16EEEZZNS1_9scan_implILNS1_25lookback_scan_determinismE0ELb0ELb0ES3_PKS6_PS6_S6_ZZZN2at6native31launch_logcumsumexp_cuda_kernelERKNSD_10TensorBaseESH_lENKUlvE_clEvENKUlvE4_clEvEUlS6_S6_E_S6_EEDaPvRmT3_T4_T5_mT6_P12ihipStream_tbENKUlT_T0_E_clISt17integral_constantIbLb1EESX_IbLb0EEEEDaST_SU_EUlST_E_NS1_11comp_targetILNS1_3genE4ELNS1_11target_archE910ELNS1_3gpuE8ELNS1_3repE0EEENS1_30default_config_static_selectorELNS0_4arch9wavefront6targetE1EEEvT1_
                                        ; -- End function
	.set _ZN7rocprim17ROCPRIM_400000_NS6detail17trampoline_kernelINS0_14default_configENS1_20scan_config_selectorIN3c108BFloat16EEEZZNS1_9scan_implILNS1_25lookback_scan_determinismE0ELb0ELb0ES3_PKS6_PS6_S6_ZZZN2at6native31launch_logcumsumexp_cuda_kernelERKNSD_10TensorBaseESH_lENKUlvE_clEvENKUlvE4_clEvEUlS6_S6_E_S6_EEDaPvRmT3_T4_T5_mT6_P12ihipStream_tbENKUlT_T0_E_clISt17integral_constantIbLb1EESX_IbLb0EEEEDaST_SU_EUlST_E_NS1_11comp_targetILNS1_3genE4ELNS1_11target_archE910ELNS1_3gpuE8ELNS1_3repE0EEENS1_30default_config_static_selectorELNS0_4arch9wavefront6targetE1EEEvT1_.num_vgpr, 0
	.set _ZN7rocprim17ROCPRIM_400000_NS6detail17trampoline_kernelINS0_14default_configENS1_20scan_config_selectorIN3c108BFloat16EEEZZNS1_9scan_implILNS1_25lookback_scan_determinismE0ELb0ELb0ES3_PKS6_PS6_S6_ZZZN2at6native31launch_logcumsumexp_cuda_kernelERKNSD_10TensorBaseESH_lENKUlvE_clEvENKUlvE4_clEvEUlS6_S6_E_S6_EEDaPvRmT3_T4_T5_mT6_P12ihipStream_tbENKUlT_T0_E_clISt17integral_constantIbLb1EESX_IbLb0EEEEDaST_SU_EUlST_E_NS1_11comp_targetILNS1_3genE4ELNS1_11target_archE910ELNS1_3gpuE8ELNS1_3repE0EEENS1_30default_config_static_selectorELNS0_4arch9wavefront6targetE1EEEvT1_.num_agpr, 0
	.set _ZN7rocprim17ROCPRIM_400000_NS6detail17trampoline_kernelINS0_14default_configENS1_20scan_config_selectorIN3c108BFloat16EEEZZNS1_9scan_implILNS1_25lookback_scan_determinismE0ELb0ELb0ES3_PKS6_PS6_S6_ZZZN2at6native31launch_logcumsumexp_cuda_kernelERKNSD_10TensorBaseESH_lENKUlvE_clEvENKUlvE4_clEvEUlS6_S6_E_S6_EEDaPvRmT3_T4_T5_mT6_P12ihipStream_tbENKUlT_T0_E_clISt17integral_constantIbLb1EESX_IbLb0EEEEDaST_SU_EUlST_E_NS1_11comp_targetILNS1_3genE4ELNS1_11target_archE910ELNS1_3gpuE8ELNS1_3repE0EEENS1_30default_config_static_selectorELNS0_4arch9wavefront6targetE1EEEvT1_.numbered_sgpr, 0
	.set _ZN7rocprim17ROCPRIM_400000_NS6detail17trampoline_kernelINS0_14default_configENS1_20scan_config_selectorIN3c108BFloat16EEEZZNS1_9scan_implILNS1_25lookback_scan_determinismE0ELb0ELb0ES3_PKS6_PS6_S6_ZZZN2at6native31launch_logcumsumexp_cuda_kernelERKNSD_10TensorBaseESH_lENKUlvE_clEvENKUlvE4_clEvEUlS6_S6_E_S6_EEDaPvRmT3_T4_T5_mT6_P12ihipStream_tbENKUlT_T0_E_clISt17integral_constantIbLb1EESX_IbLb0EEEEDaST_SU_EUlST_E_NS1_11comp_targetILNS1_3genE4ELNS1_11target_archE910ELNS1_3gpuE8ELNS1_3repE0EEENS1_30default_config_static_selectorELNS0_4arch9wavefront6targetE1EEEvT1_.num_named_barrier, 0
	.set _ZN7rocprim17ROCPRIM_400000_NS6detail17trampoline_kernelINS0_14default_configENS1_20scan_config_selectorIN3c108BFloat16EEEZZNS1_9scan_implILNS1_25lookback_scan_determinismE0ELb0ELb0ES3_PKS6_PS6_S6_ZZZN2at6native31launch_logcumsumexp_cuda_kernelERKNSD_10TensorBaseESH_lENKUlvE_clEvENKUlvE4_clEvEUlS6_S6_E_S6_EEDaPvRmT3_T4_T5_mT6_P12ihipStream_tbENKUlT_T0_E_clISt17integral_constantIbLb1EESX_IbLb0EEEEDaST_SU_EUlST_E_NS1_11comp_targetILNS1_3genE4ELNS1_11target_archE910ELNS1_3gpuE8ELNS1_3repE0EEENS1_30default_config_static_selectorELNS0_4arch9wavefront6targetE1EEEvT1_.private_seg_size, 0
	.set _ZN7rocprim17ROCPRIM_400000_NS6detail17trampoline_kernelINS0_14default_configENS1_20scan_config_selectorIN3c108BFloat16EEEZZNS1_9scan_implILNS1_25lookback_scan_determinismE0ELb0ELb0ES3_PKS6_PS6_S6_ZZZN2at6native31launch_logcumsumexp_cuda_kernelERKNSD_10TensorBaseESH_lENKUlvE_clEvENKUlvE4_clEvEUlS6_S6_E_S6_EEDaPvRmT3_T4_T5_mT6_P12ihipStream_tbENKUlT_T0_E_clISt17integral_constantIbLb1EESX_IbLb0EEEEDaST_SU_EUlST_E_NS1_11comp_targetILNS1_3genE4ELNS1_11target_archE910ELNS1_3gpuE8ELNS1_3repE0EEENS1_30default_config_static_selectorELNS0_4arch9wavefront6targetE1EEEvT1_.uses_vcc, 0
	.set _ZN7rocprim17ROCPRIM_400000_NS6detail17trampoline_kernelINS0_14default_configENS1_20scan_config_selectorIN3c108BFloat16EEEZZNS1_9scan_implILNS1_25lookback_scan_determinismE0ELb0ELb0ES3_PKS6_PS6_S6_ZZZN2at6native31launch_logcumsumexp_cuda_kernelERKNSD_10TensorBaseESH_lENKUlvE_clEvENKUlvE4_clEvEUlS6_S6_E_S6_EEDaPvRmT3_T4_T5_mT6_P12ihipStream_tbENKUlT_T0_E_clISt17integral_constantIbLb1EESX_IbLb0EEEEDaST_SU_EUlST_E_NS1_11comp_targetILNS1_3genE4ELNS1_11target_archE910ELNS1_3gpuE8ELNS1_3repE0EEENS1_30default_config_static_selectorELNS0_4arch9wavefront6targetE1EEEvT1_.uses_flat_scratch, 0
	.set _ZN7rocprim17ROCPRIM_400000_NS6detail17trampoline_kernelINS0_14default_configENS1_20scan_config_selectorIN3c108BFloat16EEEZZNS1_9scan_implILNS1_25lookback_scan_determinismE0ELb0ELb0ES3_PKS6_PS6_S6_ZZZN2at6native31launch_logcumsumexp_cuda_kernelERKNSD_10TensorBaseESH_lENKUlvE_clEvENKUlvE4_clEvEUlS6_S6_E_S6_EEDaPvRmT3_T4_T5_mT6_P12ihipStream_tbENKUlT_T0_E_clISt17integral_constantIbLb1EESX_IbLb0EEEEDaST_SU_EUlST_E_NS1_11comp_targetILNS1_3genE4ELNS1_11target_archE910ELNS1_3gpuE8ELNS1_3repE0EEENS1_30default_config_static_selectorELNS0_4arch9wavefront6targetE1EEEvT1_.has_dyn_sized_stack, 0
	.set _ZN7rocprim17ROCPRIM_400000_NS6detail17trampoline_kernelINS0_14default_configENS1_20scan_config_selectorIN3c108BFloat16EEEZZNS1_9scan_implILNS1_25lookback_scan_determinismE0ELb0ELb0ES3_PKS6_PS6_S6_ZZZN2at6native31launch_logcumsumexp_cuda_kernelERKNSD_10TensorBaseESH_lENKUlvE_clEvENKUlvE4_clEvEUlS6_S6_E_S6_EEDaPvRmT3_T4_T5_mT6_P12ihipStream_tbENKUlT_T0_E_clISt17integral_constantIbLb1EESX_IbLb0EEEEDaST_SU_EUlST_E_NS1_11comp_targetILNS1_3genE4ELNS1_11target_archE910ELNS1_3gpuE8ELNS1_3repE0EEENS1_30default_config_static_selectorELNS0_4arch9wavefront6targetE1EEEvT1_.has_recursion, 0
	.set _ZN7rocprim17ROCPRIM_400000_NS6detail17trampoline_kernelINS0_14default_configENS1_20scan_config_selectorIN3c108BFloat16EEEZZNS1_9scan_implILNS1_25lookback_scan_determinismE0ELb0ELb0ES3_PKS6_PS6_S6_ZZZN2at6native31launch_logcumsumexp_cuda_kernelERKNSD_10TensorBaseESH_lENKUlvE_clEvENKUlvE4_clEvEUlS6_S6_E_S6_EEDaPvRmT3_T4_T5_mT6_P12ihipStream_tbENKUlT_T0_E_clISt17integral_constantIbLb1EESX_IbLb0EEEEDaST_SU_EUlST_E_NS1_11comp_targetILNS1_3genE4ELNS1_11target_archE910ELNS1_3gpuE8ELNS1_3repE0EEENS1_30default_config_static_selectorELNS0_4arch9wavefront6targetE1EEEvT1_.has_indirect_call, 0
	.section	.AMDGPU.csdata,"",@progbits
; Kernel info:
; codeLenInByte = 0
; TotalNumSgprs: 4
; NumVgprs: 0
; ScratchSize: 0
; MemoryBound: 0
; FloatMode: 240
; IeeeMode: 1
; LDSByteSize: 0 bytes/workgroup (compile time only)
; SGPRBlocks: 0
; VGPRBlocks: 0
; NumSGPRsForWavesPerEU: 4
; NumVGPRsForWavesPerEU: 1
; Occupancy: 10
; WaveLimiterHint : 0
; COMPUTE_PGM_RSRC2:SCRATCH_EN: 0
; COMPUTE_PGM_RSRC2:USER_SGPR: 6
; COMPUTE_PGM_RSRC2:TRAP_HANDLER: 0
; COMPUTE_PGM_RSRC2:TGID_X_EN: 1
; COMPUTE_PGM_RSRC2:TGID_Y_EN: 0
; COMPUTE_PGM_RSRC2:TGID_Z_EN: 0
; COMPUTE_PGM_RSRC2:TIDIG_COMP_CNT: 0
	.section	.text._ZN7rocprim17ROCPRIM_400000_NS6detail17trampoline_kernelINS0_14default_configENS1_20scan_config_selectorIN3c108BFloat16EEEZZNS1_9scan_implILNS1_25lookback_scan_determinismE0ELb0ELb0ES3_PKS6_PS6_S6_ZZZN2at6native31launch_logcumsumexp_cuda_kernelERKNSD_10TensorBaseESH_lENKUlvE_clEvENKUlvE4_clEvEUlS6_S6_E_S6_EEDaPvRmT3_T4_T5_mT6_P12ihipStream_tbENKUlT_T0_E_clISt17integral_constantIbLb1EESX_IbLb0EEEEDaST_SU_EUlST_E_NS1_11comp_targetILNS1_3genE3ELNS1_11target_archE908ELNS1_3gpuE7ELNS1_3repE0EEENS1_30default_config_static_selectorELNS0_4arch9wavefront6targetE1EEEvT1_,"axG",@progbits,_ZN7rocprim17ROCPRIM_400000_NS6detail17trampoline_kernelINS0_14default_configENS1_20scan_config_selectorIN3c108BFloat16EEEZZNS1_9scan_implILNS1_25lookback_scan_determinismE0ELb0ELb0ES3_PKS6_PS6_S6_ZZZN2at6native31launch_logcumsumexp_cuda_kernelERKNSD_10TensorBaseESH_lENKUlvE_clEvENKUlvE4_clEvEUlS6_S6_E_S6_EEDaPvRmT3_T4_T5_mT6_P12ihipStream_tbENKUlT_T0_E_clISt17integral_constantIbLb1EESX_IbLb0EEEEDaST_SU_EUlST_E_NS1_11comp_targetILNS1_3genE3ELNS1_11target_archE908ELNS1_3gpuE7ELNS1_3repE0EEENS1_30default_config_static_selectorELNS0_4arch9wavefront6targetE1EEEvT1_,comdat
	.globl	_ZN7rocprim17ROCPRIM_400000_NS6detail17trampoline_kernelINS0_14default_configENS1_20scan_config_selectorIN3c108BFloat16EEEZZNS1_9scan_implILNS1_25lookback_scan_determinismE0ELb0ELb0ES3_PKS6_PS6_S6_ZZZN2at6native31launch_logcumsumexp_cuda_kernelERKNSD_10TensorBaseESH_lENKUlvE_clEvENKUlvE4_clEvEUlS6_S6_E_S6_EEDaPvRmT3_T4_T5_mT6_P12ihipStream_tbENKUlT_T0_E_clISt17integral_constantIbLb1EESX_IbLb0EEEEDaST_SU_EUlST_E_NS1_11comp_targetILNS1_3genE3ELNS1_11target_archE908ELNS1_3gpuE7ELNS1_3repE0EEENS1_30default_config_static_selectorELNS0_4arch9wavefront6targetE1EEEvT1_ ; -- Begin function _ZN7rocprim17ROCPRIM_400000_NS6detail17trampoline_kernelINS0_14default_configENS1_20scan_config_selectorIN3c108BFloat16EEEZZNS1_9scan_implILNS1_25lookback_scan_determinismE0ELb0ELb0ES3_PKS6_PS6_S6_ZZZN2at6native31launch_logcumsumexp_cuda_kernelERKNSD_10TensorBaseESH_lENKUlvE_clEvENKUlvE4_clEvEUlS6_S6_E_S6_EEDaPvRmT3_T4_T5_mT6_P12ihipStream_tbENKUlT_T0_E_clISt17integral_constantIbLb1EESX_IbLb0EEEEDaST_SU_EUlST_E_NS1_11comp_targetILNS1_3genE3ELNS1_11target_archE908ELNS1_3gpuE7ELNS1_3repE0EEENS1_30default_config_static_selectorELNS0_4arch9wavefront6targetE1EEEvT1_
	.p2align	8
	.type	_ZN7rocprim17ROCPRIM_400000_NS6detail17trampoline_kernelINS0_14default_configENS1_20scan_config_selectorIN3c108BFloat16EEEZZNS1_9scan_implILNS1_25lookback_scan_determinismE0ELb0ELb0ES3_PKS6_PS6_S6_ZZZN2at6native31launch_logcumsumexp_cuda_kernelERKNSD_10TensorBaseESH_lENKUlvE_clEvENKUlvE4_clEvEUlS6_S6_E_S6_EEDaPvRmT3_T4_T5_mT6_P12ihipStream_tbENKUlT_T0_E_clISt17integral_constantIbLb1EESX_IbLb0EEEEDaST_SU_EUlST_E_NS1_11comp_targetILNS1_3genE3ELNS1_11target_archE908ELNS1_3gpuE7ELNS1_3repE0EEENS1_30default_config_static_selectorELNS0_4arch9wavefront6targetE1EEEvT1_,@function
_ZN7rocprim17ROCPRIM_400000_NS6detail17trampoline_kernelINS0_14default_configENS1_20scan_config_selectorIN3c108BFloat16EEEZZNS1_9scan_implILNS1_25lookback_scan_determinismE0ELb0ELb0ES3_PKS6_PS6_S6_ZZZN2at6native31launch_logcumsumexp_cuda_kernelERKNSD_10TensorBaseESH_lENKUlvE_clEvENKUlvE4_clEvEUlS6_S6_E_S6_EEDaPvRmT3_T4_T5_mT6_P12ihipStream_tbENKUlT_T0_E_clISt17integral_constantIbLb1EESX_IbLb0EEEEDaST_SU_EUlST_E_NS1_11comp_targetILNS1_3genE3ELNS1_11target_archE908ELNS1_3gpuE7ELNS1_3repE0EEENS1_30default_config_static_selectorELNS0_4arch9wavefront6targetE1EEEvT1_: ; @_ZN7rocprim17ROCPRIM_400000_NS6detail17trampoline_kernelINS0_14default_configENS1_20scan_config_selectorIN3c108BFloat16EEEZZNS1_9scan_implILNS1_25lookback_scan_determinismE0ELb0ELb0ES3_PKS6_PS6_S6_ZZZN2at6native31launch_logcumsumexp_cuda_kernelERKNSD_10TensorBaseESH_lENKUlvE_clEvENKUlvE4_clEvEUlS6_S6_E_S6_EEDaPvRmT3_T4_T5_mT6_P12ihipStream_tbENKUlT_T0_E_clISt17integral_constantIbLb1EESX_IbLb0EEEEDaST_SU_EUlST_E_NS1_11comp_targetILNS1_3genE3ELNS1_11target_archE908ELNS1_3gpuE7ELNS1_3repE0EEENS1_30default_config_static_selectorELNS0_4arch9wavefront6targetE1EEEvT1_
; %bb.0:
	.section	.rodata,"a",@progbits
	.p2align	6, 0x0
	.amdhsa_kernel _ZN7rocprim17ROCPRIM_400000_NS6detail17trampoline_kernelINS0_14default_configENS1_20scan_config_selectorIN3c108BFloat16EEEZZNS1_9scan_implILNS1_25lookback_scan_determinismE0ELb0ELb0ES3_PKS6_PS6_S6_ZZZN2at6native31launch_logcumsumexp_cuda_kernelERKNSD_10TensorBaseESH_lENKUlvE_clEvENKUlvE4_clEvEUlS6_S6_E_S6_EEDaPvRmT3_T4_T5_mT6_P12ihipStream_tbENKUlT_T0_E_clISt17integral_constantIbLb1EESX_IbLb0EEEEDaST_SU_EUlST_E_NS1_11comp_targetILNS1_3genE3ELNS1_11target_archE908ELNS1_3gpuE7ELNS1_3repE0EEENS1_30default_config_static_selectorELNS0_4arch9wavefront6targetE1EEEvT1_
		.amdhsa_group_segment_fixed_size 0
		.amdhsa_private_segment_fixed_size 0
		.amdhsa_kernarg_size 96
		.amdhsa_user_sgpr_count 6
		.amdhsa_user_sgpr_private_segment_buffer 1
		.amdhsa_user_sgpr_dispatch_ptr 0
		.amdhsa_user_sgpr_queue_ptr 0
		.amdhsa_user_sgpr_kernarg_segment_ptr 1
		.amdhsa_user_sgpr_dispatch_id 0
		.amdhsa_user_sgpr_flat_scratch_init 0
		.amdhsa_user_sgpr_private_segment_size 0
		.amdhsa_uses_dynamic_stack 0
		.amdhsa_system_sgpr_private_segment_wavefront_offset 0
		.amdhsa_system_sgpr_workgroup_id_x 1
		.amdhsa_system_sgpr_workgroup_id_y 0
		.amdhsa_system_sgpr_workgroup_id_z 0
		.amdhsa_system_sgpr_workgroup_info 0
		.amdhsa_system_vgpr_workitem_id 0
		.amdhsa_next_free_vgpr 1
		.amdhsa_next_free_sgpr 0
		.amdhsa_reserve_vcc 0
		.amdhsa_reserve_flat_scratch 0
		.amdhsa_float_round_mode_32 0
		.amdhsa_float_round_mode_16_64 0
		.amdhsa_float_denorm_mode_32 3
		.amdhsa_float_denorm_mode_16_64 3
		.amdhsa_dx10_clamp 1
		.amdhsa_ieee_mode 1
		.amdhsa_fp16_overflow 0
		.amdhsa_exception_fp_ieee_invalid_op 0
		.amdhsa_exception_fp_denorm_src 0
		.amdhsa_exception_fp_ieee_div_zero 0
		.amdhsa_exception_fp_ieee_overflow 0
		.amdhsa_exception_fp_ieee_underflow 0
		.amdhsa_exception_fp_ieee_inexact 0
		.amdhsa_exception_int_div_zero 0
	.end_amdhsa_kernel
	.section	.text._ZN7rocprim17ROCPRIM_400000_NS6detail17trampoline_kernelINS0_14default_configENS1_20scan_config_selectorIN3c108BFloat16EEEZZNS1_9scan_implILNS1_25lookback_scan_determinismE0ELb0ELb0ES3_PKS6_PS6_S6_ZZZN2at6native31launch_logcumsumexp_cuda_kernelERKNSD_10TensorBaseESH_lENKUlvE_clEvENKUlvE4_clEvEUlS6_S6_E_S6_EEDaPvRmT3_T4_T5_mT6_P12ihipStream_tbENKUlT_T0_E_clISt17integral_constantIbLb1EESX_IbLb0EEEEDaST_SU_EUlST_E_NS1_11comp_targetILNS1_3genE3ELNS1_11target_archE908ELNS1_3gpuE7ELNS1_3repE0EEENS1_30default_config_static_selectorELNS0_4arch9wavefront6targetE1EEEvT1_,"axG",@progbits,_ZN7rocprim17ROCPRIM_400000_NS6detail17trampoline_kernelINS0_14default_configENS1_20scan_config_selectorIN3c108BFloat16EEEZZNS1_9scan_implILNS1_25lookback_scan_determinismE0ELb0ELb0ES3_PKS6_PS6_S6_ZZZN2at6native31launch_logcumsumexp_cuda_kernelERKNSD_10TensorBaseESH_lENKUlvE_clEvENKUlvE4_clEvEUlS6_S6_E_S6_EEDaPvRmT3_T4_T5_mT6_P12ihipStream_tbENKUlT_T0_E_clISt17integral_constantIbLb1EESX_IbLb0EEEEDaST_SU_EUlST_E_NS1_11comp_targetILNS1_3genE3ELNS1_11target_archE908ELNS1_3gpuE7ELNS1_3repE0EEENS1_30default_config_static_selectorELNS0_4arch9wavefront6targetE1EEEvT1_,comdat
.Lfunc_end487:
	.size	_ZN7rocprim17ROCPRIM_400000_NS6detail17trampoline_kernelINS0_14default_configENS1_20scan_config_selectorIN3c108BFloat16EEEZZNS1_9scan_implILNS1_25lookback_scan_determinismE0ELb0ELb0ES3_PKS6_PS6_S6_ZZZN2at6native31launch_logcumsumexp_cuda_kernelERKNSD_10TensorBaseESH_lENKUlvE_clEvENKUlvE4_clEvEUlS6_S6_E_S6_EEDaPvRmT3_T4_T5_mT6_P12ihipStream_tbENKUlT_T0_E_clISt17integral_constantIbLb1EESX_IbLb0EEEEDaST_SU_EUlST_E_NS1_11comp_targetILNS1_3genE3ELNS1_11target_archE908ELNS1_3gpuE7ELNS1_3repE0EEENS1_30default_config_static_selectorELNS0_4arch9wavefront6targetE1EEEvT1_, .Lfunc_end487-_ZN7rocprim17ROCPRIM_400000_NS6detail17trampoline_kernelINS0_14default_configENS1_20scan_config_selectorIN3c108BFloat16EEEZZNS1_9scan_implILNS1_25lookback_scan_determinismE0ELb0ELb0ES3_PKS6_PS6_S6_ZZZN2at6native31launch_logcumsumexp_cuda_kernelERKNSD_10TensorBaseESH_lENKUlvE_clEvENKUlvE4_clEvEUlS6_S6_E_S6_EEDaPvRmT3_T4_T5_mT6_P12ihipStream_tbENKUlT_T0_E_clISt17integral_constantIbLb1EESX_IbLb0EEEEDaST_SU_EUlST_E_NS1_11comp_targetILNS1_3genE3ELNS1_11target_archE908ELNS1_3gpuE7ELNS1_3repE0EEENS1_30default_config_static_selectorELNS0_4arch9wavefront6targetE1EEEvT1_
                                        ; -- End function
	.set _ZN7rocprim17ROCPRIM_400000_NS6detail17trampoline_kernelINS0_14default_configENS1_20scan_config_selectorIN3c108BFloat16EEEZZNS1_9scan_implILNS1_25lookback_scan_determinismE0ELb0ELb0ES3_PKS6_PS6_S6_ZZZN2at6native31launch_logcumsumexp_cuda_kernelERKNSD_10TensorBaseESH_lENKUlvE_clEvENKUlvE4_clEvEUlS6_S6_E_S6_EEDaPvRmT3_T4_T5_mT6_P12ihipStream_tbENKUlT_T0_E_clISt17integral_constantIbLb1EESX_IbLb0EEEEDaST_SU_EUlST_E_NS1_11comp_targetILNS1_3genE3ELNS1_11target_archE908ELNS1_3gpuE7ELNS1_3repE0EEENS1_30default_config_static_selectorELNS0_4arch9wavefront6targetE1EEEvT1_.num_vgpr, 0
	.set _ZN7rocprim17ROCPRIM_400000_NS6detail17trampoline_kernelINS0_14default_configENS1_20scan_config_selectorIN3c108BFloat16EEEZZNS1_9scan_implILNS1_25lookback_scan_determinismE0ELb0ELb0ES3_PKS6_PS6_S6_ZZZN2at6native31launch_logcumsumexp_cuda_kernelERKNSD_10TensorBaseESH_lENKUlvE_clEvENKUlvE4_clEvEUlS6_S6_E_S6_EEDaPvRmT3_T4_T5_mT6_P12ihipStream_tbENKUlT_T0_E_clISt17integral_constantIbLb1EESX_IbLb0EEEEDaST_SU_EUlST_E_NS1_11comp_targetILNS1_3genE3ELNS1_11target_archE908ELNS1_3gpuE7ELNS1_3repE0EEENS1_30default_config_static_selectorELNS0_4arch9wavefront6targetE1EEEvT1_.num_agpr, 0
	.set _ZN7rocprim17ROCPRIM_400000_NS6detail17trampoline_kernelINS0_14default_configENS1_20scan_config_selectorIN3c108BFloat16EEEZZNS1_9scan_implILNS1_25lookback_scan_determinismE0ELb0ELb0ES3_PKS6_PS6_S6_ZZZN2at6native31launch_logcumsumexp_cuda_kernelERKNSD_10TensorBaseESH_lENKUlvE_clEvENKUlvE4_clEvEUlS6_S6_E_S6_EEDaPvRmT3_T4_T5_mT6_P12ihipStream_tbENKUlT_T0_E_clISt17integral_constantIbLb1EESX_IbLb0EEEEDaST_SU_EUlST_E_NS1_11comp_targetILNS1_3genE3ELNS1_11target_archE908ELNS1_3gpuE7ELNS1_3repE0EEENS1_30default_config_static_selectorELNS0_4arch9wavefront6targetE1EEEvT1_.numbered_sgpr, 0
	.set _ZN7rocprim17ROCPRIM_400000_NS6detail17trampoline_kernelINS0_14default_configENS1_20scan_config_selectorIN3c108BFloat16EEEZZNS1_9scan_implILNS1_25lookback_scan_determinismE0ELb0ELb0ES3_PKS6_PS6_S6_ZZZN2at6native31launch_logcumsumexp_cuda_kernelERKNSD_10TensorBaseESH_lENKUlvE_clEvENKUlvE4_clEvEUlS6_S6_E_S6_EEDaPvRmT3_T4_T5_mT6_P12ihipStream_tbENKUlT_T0_E_clISt17integral_constantIbLb1EESX_IbLb0EEEEDaST_SU_EUlST_E_NS1_11comp_targetILNS1_3genE3ELNS1_11target_archE908ELNS1_3gpuE7ELNS1_3repE0EEENS1_30default_config_static_selectorELNS0_4arch9wavefront6targetE1EEEvT1_.num_named_barrier, 0
	.set _ZN7rocprim17ROCPRIM_400000_NS6detail17trampoline_kernelINS0_14default_configENS1_20scan_config_selectorIN3c108BFloat16EEEZZNS1_9scan_implILNS1_25lookback_scan_determinismE0ELb0ELb0ES3_PKS6_PS6_S6_ZZZN2at6native31launch_logcumsumexp_cuda_kernelERKNSD_10TensorBaseESH_lENKUlvE_clEvENKUlvE4_clEvEUlS6_S6_E_S6_EEDaPvRmT3_T4_T5_mT6_P12ihipStream_tbENKUlT_T0_E_clISt17integral_constantIbLb1EESX_IbLb0EEEEDaST_SU_EUlST_E_NS1_11comp_targetILNS1_3genE3ELNS1_11target_archE908ELNS1_3gpuE7ELNS1_3repE0EEENS1_30default_config_static_selectorELNS0_4arch9wavefront6targetE1EEEvT1_.private_seg_size, 0
	.set _ZN7rocprim17ROCPRIM_400000_NS6detail17trampoline_kernelINS0_14default_configENS1_20scan_config_selectorIN3c108BFloat16EEEZZNS1_9scan_implILNS1_25lookback_scan_determinismE0ELb0ELb0ES3_PKS6_PS6_S6_ZZZN2at6native31launch_logcumsumexp_cuda_kernelERKNSD_10TensorBaseESH_lENKUlvE_clEvENKUlvE4_clEvEUlS6_S6_E_S6_EEDaPvRmT3_T4_T5_mT6_P12ihipStream_tbENKUlT_T0_E_clISt17integral_constantIbLb1EESX_IbLb0EEEEDaST_SU_EUlST_E_NS1_11comp_targetILNS1_3genE3ELNS1_11target_archE908ELNS1_3gpuE7ELNS1_3repE0EEENS1_30default_config_static_selectorELNS0_4arch9wavefront6targetE1EEEvT1_.uses_vcc, 0
	.set _ZN7rocprim17ROCPRIM_400000_NS6detail17trampoline_kernelINS0_14default_configENS1_20scan_config_selectorIN3c108BFloat16EEEZZNS1_9scan_implILNS1_25lookback_scan_determinismE0ELb0ELb0ES3_PKS6_PS6_S6_ZZZN2at6native31launch_logcumsumexp_cuda_kernelERKNSD_10TensorBaseESH_lENKUlvE_clEvENKUlvE4_clEvEUlS6_S6_E_S6_EEDaPvRmT3_T4_T5_mT6_P12ihipStream_tbENKUlT_T0_E_clISt17integral_constantIbLb1EESX_IbLb0EEEEDaST_SU_EUlST_E_NS1_11comp_targetILNS1_3genE3ELNS1_11target_archE908ELNS1_3gpuE7ELNS1_3repE0EEENS1_30default_config_static_selectorELNS0_4arch9wavefront6targetE1EEEvT1_.uses_flat_scratch, 0
	.set _ZN7rocprim17ROCPRIM_400000_NS6detail17trampoline_kernelINS0_14default_configENS1_20scan_config_selectorIN3c108BFloat16EEEZZNS1_9scan_implILNS1_25lookback_scan_determinismE0ELb0ELb0ES3_PKS6_PS6_S6_ZZZN2at6native31launch_logcumsumexp_cuda_kernelERKNSD_10TensorBaseESH_lENKUlvE_clEvENKUlvE4_clEvEUlS6_S6_E_S6_EEDaPvRmT3_T4_T5_mT6_P12ihipStream_tbENKUlT_T0_E_clISt17integral_constantIbLb1EESX_IbLb0EEEEDaST_SU_EUlST_E_NS1_11comp_targetILNS1_3genE3ELNS1_11target_archE908ELNS1_3gpuE7ELNS1_3repE0EEENS1_30default_config_static_selectorELNS0_4arch9wavefront6targetE1EEEvT1_.has_dyn_sized_stack, 0
	.set _ZN7rocprim17ROCPRIM_400000_NS6detail17trampoline_kernelINS0_14default_configENS1_20scan_config_selectorIN3c108BFloat16EEEZZNS1_9scan_implILNS1_25lookback_scan_determinismE0ELb0ELb0ES3_PKS6_PS6_S6_ZZZN2at6native31launch_logcumsumexp_cuda_kernelERKNSD_10TensorBaseESH_lENKUlvE_clEvENKUlvE4_clEvEUlS6_S6_E_S6_EEDaPvRmT3_T4_T5_mT6_P12ihipStream_tbENKUlT_T0_E_clISt17integral_constantIbLb1EESX_IbLb0EEEEDaST_SU_EUlST_E_NS1_11comp_targetILNS1_3genE3ELNS1_11target_archE908ELNS1_3gpuE7ELNS1_3repE0EEENS1_30default_config_static_selectorELNS0_4arch9wavefront6targetE1EEEvT1_.has_recursion, 0
	.set _ZN7rocprim17ROCPRIM_400000_NS6detail17trampoline_kernelINS0_14default_configENS1_20scan_config_selectorIN3c108BFloat16EEEZZNS1_9scan_implILNS1_25lookback_scan_determinismE0ELb0ELb0ES3_PKS6_PS6_S6_ZZZN2at6native31launch_logcumsumexp_cuda_kernelERKNSD_10TensorBaseESH_lENKUlvE_clEvENKUlvE4_clEvEUlS6_S6_E_S6_EEDaPvRmT3_T4_T5_mT6_P12ihipStream_tbENKUlT_T0_E_clISt17integral_constantIbLb1EESX_IbLb0EEEEDaST_SU_EUlST_E_NS1_11comp_targetILNS1_3genE3ELNS1_11target_archE908ELNS1_3gpuE7ELNS1_3repE0EEENS1_30default_config_static_selectorELNS0_4arch9wavefront6targetE1EEEvT1_.has_indirect_call, 0
	.section	.AMDGPU.csdata,"",@progbits
; Kernel info:
; codeLenInByte = 0
; TotalNumSgprs: 4
; NumVgprs: 0
; ScratchSize: 0
; MemoryBound: 0
; FloatMode: 240
; IeeeMode: 1
; LDSByteSize: 0 bytes/workgroup (compile time only)
; SGPRBlocks: 0
; VGPRBlocks: 0
; NumSGPRsForWavesPerEU: 4
; NumVGPRsForWavesPerEU: 1
; Occupancy: 10
; WaveLimiterHint : 0
; COMPUTE_PGM_RSRC2:SCRATCH_EN: 0
; COMPUTE_PGM_RSRC2:USER_SGPR: 6
; COMPUTE_PGM_RSRC2:TRAP_HANDLER: 0
; COMPUTE_PGM_RSRC2:TGID_X_EN: 1
; COMPUTE_PGM_RSRC2:TGID_Y_EN: 0
; COMPUTE_PGM_RSRC2:TGID_Z_EN: 0
; COMPUTE_PGM_RSRC2:TIDIG_COMP_CNT: 0
	.section	.text._ZN7rocprim17ROCPRIM_400000_NS6detail17trampoline_kernelINS0_14default_configENS1_20scan_config_selectorIN3c108BFloat16EEEZZNS1_9scan_implILNS1_25lookback_scan_determinismE0ELb0ELb0ES3_PKS6_PS6_S6_ZZZN2at6native31launch_logcumsumexp_cuda_kernelERKNSD_10TensorBaseESH_lENKUlvE_clEvENKUlvE4_clEvEUlS6_S6_E_S6_EEDaPvRmT3_T4_T5_mT6_P12ihipStream_tbENKUlT_T0_E_clISt17integral_constantIbLb1EESX_IbLb0EEEEDaST_SU_EUlST_E_NS1_11comp_targetILNS1_3genE2ELNS1_11target_archE906ELNS1_3gpuE6ELNS1_3repE0EEENS1_30default_config_static_selectorELNS0_4arch9wavefront6targetE1EEEvT1_,"axG",@progbits,_ZN7rocprim17ROCPRIM_400000_NS6detail17trampoline_kernelINS0_14default_configENS1_20scan_config_selectorIN3c108BFloat16EEEZZNS1_9scan_implILNS1_25lookback_scan_determinismE0ELb0ELb0ES3_PKS6_PS6_S6_ZZZN2at6native31launch_logcumsumexp_cuda_kernelERKNSD_10TensorBaseESH_lENKUlvE_clEvENKUlvE4_clEvEUlS6_S6_E_S6_EEDaPvRmT3_T4_T5_mT6_P12ihipStream_tbENKUlT_T0_E_clISt17integral_constantIbLb1EESX_IbLb0EEEEDaST_SU_EUlST_E_NS1_11comp_targetILNS1_3genE2ELNS1_11target_archE906ELNS1_3gpuE6ELNS1_3repE0EEENS1_30default_config_static_selectorELNS0_4arch9wavefront6targetE1EEEvT1_,comdat
	.globl	_ZN7rocprim17ROCPRIM_400000_NS6detail17trampoline_kernelINS0_14default_configENS1_20scan_config_selectorIN3c108BFloat16EEEZZNS1_9scan_implILNS1_25lookback_scan_determinismE0ELb0ELb0ES3_PKS6_PS6_S6_ZZZN2at6native31launch_logcumsumexp_cuda_kernelERKNSD_10TensorBaseESH_lENKUlvE_clEvENKUlvE4_clEvEUlS6_S6_E_S6_EEDaPvRmT3_T4_T5_mT6_P12ihipStream_tbENKUlT_T0_E_clISt17integral_constantIbLb1EESX_IbLb0EEEEDaST_SU_EUlST_E_NS1_11comp_targetILNS1_3genE2ELNS1_11target_archE906ELNS1_3gpuE6ELNS1_3repE0EEENS1_30default_config_static_selectorELNS0_4arch9wavefront6targetE1EEEvT1_ ; -- Begin function _ZN7rocprim17ROCPRIM_400000_NS6detail17trampoline_kernelINS0_14default_configENS1_20scan_config_selectorIN3c108BFloat16EEEZZNS1_9scan_implILNS1_25lookback_scan_determinismE0ELb0ELb0ES3_PKS6_PS6_S6_ZZZN2at6native31launch_logcumsumexp_cuda_kernelERKNSD_10TensorBaseESH_lENKUlvE_clEvENKUlvE4_clEvEUlS6_S6_E_S6_EEDaPvRmT3_T4_T5_mT6_P12ihipStream_tbENKUlT_T0_E_clISt17integral_constantIbLb1EESX_IbLb0EEEEDaST_SU_EUlST_E_NS1_11comp_targetILNS1_3genE2ELNS1_11target_archE906ELNS1_3gpuE6ELNS1_3repE0EEENS1_30default_config_static_selectorELNS0_4arch9wavefront6targetE1EEEvT1_
	.p2align	8
	.type	_ZN7rocprim17ROCPRIM_400000_NS6detail17trampoline_kernelINS0_14default_configENS1_20scan_config_selectorIN3c108BFloat16EEEZZNS1_9scan_implILNS1_25lookback_scan_determinismE0ELb0ELb0ES3_PKS6_PS6_S6_ZZZN2at6native31launch_logcumsumexp_cuda_kernelERKNSD_10TensorBaseESH_lENKUlvE_clEvENKUlvE4_clEvEUlS6_S6_E_S6_EEDaPvRmT3_T4_T5_mT6_P12ihipStream_tbENKUlT_T0_E_clISt17integral_constantIbLb1EESX_IbLb0EEEEDaST_SU_EUlST_E_NS1_11comp_targetILNS1_3genE2ELNS1_11target_archE906ELNS1_3gpuE6ELNS1_3repE0EEENS1_30default_config_static_selectorELNS0_4arch9wavefront6targetE1EEEvT1_,@function
_ZN7rocprim17ROCPRIM_400000_NS6detail17trampoline_kernelINS0_14default_configENS1_20scan_config_selectorIN3c108BFloat16EEEZZNS1_9scan_implILNS1_25lookback_scan_determinismE0ELb0ELb0ES3_PKS6_PS6_S6_ZZZN2at6native31launch_logcumsumexp_cuda_kernelERKNSD_10TensorBaseESH_lENKUlvE_clEvENKUlvE4_clEvEUlS6_S6_E_S6_EEDaPvRmT3_T4_T5_mT6_P12ihipStream_tbENKUlT_T0_E_clISt17integral_constantIbLb1EESX_IbLb0EEEEDaST_SU_EUlST_E_NS1_11comp_targetILNS1_3genE2ELNS1_11target_archE906ELNS1_3gpuE6ELNS1_3repE0EEENS1_30default_config_static_selectorELNS0_4arch9wavefront6targetE1EEEvT1_: ; @_ZN7rocprim17ROCPRIM_400000_NS6detail17trampoline_kernelINS0_14default_configENS1_20scan_config_selectorIN3c108BFloat16EEEZZNS1_9scan_implILNS1_25lookback_scan_determinismE0ELb0ELb0ES3_PKS6_PS6_S6_ZZZN2at6native31launch_logcumsumexp_cuda_kernelERKNSD_10TensorBaseESH_lENKUlvE_clEvENKUlvE4_clEvEUlS6_S6_E_S6_EEDaPvRmT3_T4_T5_mT6_P12ihipStream_tbENKUlT_T0_E_clISt17integral_constantIbLb1EESX_IbLb0EEEEDaST_SU_EUlST_E_NS1_11comp_targetILNS1_3genE2ELNS1_11target_archE906ELNS1_3gpuE6ELNS1_3repE0EEENS1_30default_config_static_selectorELNS0_4arch9wavefront6targetE1EEEvT1_
; %bb.0:
	s_endpgm
	.section	.rodata,"a",@progbits
	.p2align	6, 0x0
	.amdhsa_kernel _ZN7rocprim17ROCPRIM_400000_NS6detail17trampoline_kernelINS0_14default_configENS1_20scan_config_selectorIN3c108BFloat16EEEZZNS1_9scan_implILNS1_25lookback_scan_determinismE0ELb0ELb0ES3_PKS6_PS6_S6_ZZZN2at6native31launch_logcumsumexp_cuda_kernelERKNSD_10TensorBaseESH_lENKUlvE_clEvENKUlvE4_clEvEUlS6_S6_E_S6_EEDaPvRmT3_T4_T5_mT6_P12ihipStream_tbENKUlT_T0_E_clISt17integral_constantIbLb1EESX_IbLb0EEEEDaST_SU_EUlST_E_NS1_11comp_targetILNS1_3genE2ELNS1_11target_archE906ELNS1_3gpuE6ELNS1_3repE0EEENS1_30default_config_static_selectorELNS0_4arch9wavefront6targetE1EEEvT1_
		.amdhsa_group_segment_fixed_size 0
		.amdhsa_private_segment_fixed_size 0
		.amdhsa_kernarg_size 96
		.amdhsa_user_sgpr_count 6
		.amdhsa_user_sgpr_private_segment_buffer 1
		.amdhsa_user_sgpr_dispatch_ptr 0
		.amdhsa_user_sgpr_queue_ptr 0
		.amdhsa_user_sgpr_kernarg_segment_ptr 1
		.amdhsa_user_sgpr_dispatch_id 0
		.amdhsa_user_sgpr_flat_scratch_init 0
		.amdhsa_user_sgpr_private_segment_size 0
		.amdhsa_uses_dynamic_stack 0
		.amdhsa_system_sgpr_private_segment_wavefront_offset 0
		.amdhsa_system_sgpr_workgroup_id_x 1
		.amdhsa_system_sgpr_workgroup_id_y 0
		.amdhsa_system_sgpr_workgroup_id_z 0
		.amdhsa_system_sgpr_workgroup_info 0
		.amdhsa_system_vgpr_workitem_id 0
		.amdhsa_next_free_vgpr 1
		.amdhsa_next_free_sgpr 0
		.amdhsa_reserve_vcc 0
		.amdhsa_reserve_flat_scratch 0
		.amdhsa_float_round_mode_32 0
		.amdhsa_float_round_mode_16_64 0
		.amdhsa_float_denorm_mode_32 3
		.amdhsa_float_denorm_mode_16_64 3
		.amdhsa_dx10_clamp 1
		.amdhsa_ieee_mode 1
		.amdhsa_fp16_overflow 0
		.amdhsa_exception_fp_ieee_invalid_op 0
		.amdhsa_exception_fp_denorm_src 0
		.amdhsa_exception_fp_ieee_div_zero 0
		.amdhsa_exception_fp_ieee_overflow 0
		.amdhsa_exception_fp_ieee_underflow 0
		.amdhsa_exception_fp_ieee_inexact 0
		.amdhsa_exception_int_div_zero 0
	.end_amdhsa_kernel
	.section	.text._ZN7rocprim17ROCPRIM_400000_NS6detail17trampoline_kernelINS0_14default_configENS1_20scan_config_selectorIN3c108BFloat16EEEZZNS1_9scan_implILNS1_25lookback_scan_determinismE0ELb0ELb0ES3_PKS6_PS6_S6_ZZZN2at6native31launch_logcumsumexp_cuda_kernelERKNSD_10TensorBaseESH_lENKUlvE_clEvENKUlvE4_clEvEUlS6_S6_E_S6_EEDaPvRmT3_T4_T5_mT6_P12ihipStream_tbENKUlT_T0_E_clISt17integral_constantIbLb1EESX_IbLb0EEEEDaST_SU_EUlST_E_NS1_11comp_targetILNS1_3genE2ELNS1_11target_archE906ELNS1_3gpuE6ELNS1_3repE0EEENS1_30default_config_static_selectorELNS0_4arch9wavefront6targetE1EEEvT1_,"axG",@progbits,_ZN7rocprim17ROCPRIM_400000_NS6detail17trampoline_kernelINS0_14default_configENS1_20scan_config_selectorIN3c108BFloat16EEEZZNS1_9scan_implILNS1_25lookback_scan_determinismE0ELb0ELb0ES3_PKS6_PS6_S6_ZZZN2at6native31launch_logcumsumexp_cuda_kernelERKNSD_10TensorBaseESH_lENKUlvE_clEvENKUlvE4_clEvEUlS6_S6_E_S6_EEDaPvRmT3_T4_T5_mT6_P12ihipStream_tbENKUlT_T0_E_clISt17integral_constantIbLb1EESX_IbLb0EEEEDaST_SU_EUlST_E_NS1_11comp_targetILNS1_3genE2ELNS1_11target_archE906ELNS1_3gpuE6ELNS1_3repE0EEENS1_30default_config_static_selectorELNS0_4arch9wavefront6targetE1EEEvT1_,comdat
.Lfunc_end488:
	.size	_ZN7rocprim17ROCPRIM_400000_NS6detail17trampoline_kernelINS0_14default_configENS1_20scan_config_selectorIN3c108BFloat16EEEZZNS1_9scan_implILNS1_25lookback_scan_determinismE0ELb0ELb0ES3_PKS6_PS6_S6_ZZZN2at6native31launch_logcumsumexp_cuda_kernelERKNSD_10TensorBaseESH_lENKUlvE_clEvENKUlvE4_clEvEUlS6_S6_E_S6_EEDaPvRmT3_T4_T5_mT6_P12ihipStream_tbENKUlT_T0_E_clISt17integral_constantIbLb1EESX_IbLb0EEEEDaST_SU_EUlST_E_NS1_11comp_targetILNS1_3genE2ELNS1_11target_archE906ELNS1_3gpuE6ELNS1_3repE0EEENS1_30default_config_static_selectorELNS0_4arch9wavefront6targetE1EEEvT1_, .Lfunc_end488-_ZN7rocprim17ROCPRIM_400000_NS6detail17trampoline_kernelINS0_14default_configENS1_20scan_config_selectorIN3c108BFloat16EEEZZNS1_9scan_implILNS1_25lookback_scan_determinismE0ELb0ELb0ES3_PKS6_PS6_S6_ZZZN2at6native31launch_logcumsumexp_cuda_kernelERKNSD_10TensorBaseESH_lENKUlvE_clEvENKUlvE4_clEvEUlS6_S6_E_S6_EEDaPvRmT3_T4_T5_mT6_P12ihipStream_tbENKUlT_T0_E_clISt17integral_constantIbLb1EESX_IbLb0EEEEDaST_SU_EUlST_E_NS1_11comp_targetILNS1_3genE2ELNS1_11target_archE906ELNS1_3gpuE6ELNS1_3repE0EEENS1_30default_config_static_selectorELNS0_4arch9wavefront6targetE1EEEvT1_
                                        ; -- End function
	.set _ZN7rocprim17ROCPRIM_400000_NS6detail17trampoline_kernelINS0_14default_configENS1_20scan_config_selectorIN3c108BFloat16EEEZZNS1_9scan_implILNS1_25lookback_scan_determinismE0ELb0ELb0ES3_PKS6_PS6_S6_ZZZN2at6native31launch_logcumsumexp_cuda_kernelERKNSD_10TensorBaseESH_lENKUlvE_clEvENKUlvE4_clEvEUlS6_S6_E_S6_EEDaPvRmT3_T4_T5_mT6_P12ihipStream_tbENKUlT_T0_E_clISt17integral_constantIbLb1EESX_IbLb0EEEEDaST_SU_EUlST_E_NS1_11comp_targetILNS1_3genE2ELNS1_11target_archE906ELNS1_3gpuE6ELNS1_3repE0EEENS1_30default_config_static_selectorELNS0_4arch9wavefront6targetE1EEEvT1_.num_vgpr, 0
	.set _ZN7rocprim17ROCPRIM_400000_NS6detail17trampoline_kernelINS0_14default_configENS1_20scan_config_selectorIN3c108BFloat16EEEZZNS1_9scan_implILNS1_25lookback_scan_determinismE0ELb0ELb0ES3_PKS6_PS6_S6_ZZZN2at6native31launch_logcumsumexp_cuda_kernelERKNSD_10TensorBaseESH_lENKUlvE_clEvENKUlvE4_clEvEUlS6_S6_E_S6_EEDaPvRmT3_T4_T5_mT6_P12ihipStream_tbENKUlT_T0_E_clISt17integral_constantIbLb1EESX_IbLb0EEEEDaST_SU_EUlST_E_NS1_11comp_targetILNS1_3genE2ELNS1_11target_archE906ELNS1_3gpuE6ELNS1_3repE0EEENS1_30default_config_static_selectorELNS0_4arch9wavefront6targetE1EEEvT1_.num_agpr, 0
	.set _ZN7rocprim17ROCPRIM_400000_NS6detail17trampoline_kernelINS0_14default_configENS1_20scan_config_selectorIN3c108BFloat16EEEZZNS1_9scan_implILNS1_25lookback_scan_determinismE0ELb0ELb0ES3_PKS6_PS6_S6_ZZZN2at6native31launch_logcumsumexp_cuda_kernelERKNSD_10TensorBaseESH_lENKUlvE_clEvENKUlvE4_clEvEUlS6_S6_E_S6_EEDaPvRmT3_T4_T5_mT6_P12ihipStream_tbENKUlT_T0_E_clISt17integral_constantIbLb1EESX_IbLb0EEEEDaST_SU_EUlST_E_NS1_11comp_targetILNS1_3genE2ELNS1_11target_archE906ELNS1_3gpuE6ELNS1_3repE0EEENS1_30default_config_static_selectorELNS0_4arch9wavefront6targetE1EEEvT1_.numbered_sgpr, 0
	.set _ZN7rocprim17ROCPRIM_400000_NS6detail17trampoline_kernelINS0_14default_configENS1_20scan_config_selectorIN3c108BFloat16EEEZZNS1_9scan_implILNS1_25lookback_scan_determinismE0ELb0ELb0ES3_PKS6_PS6_S6_ZZZN2at6native31launch_logcumsumexp_cuda_kernelERKNSD_10TensorBaseESH_lENKUlvE_clEvENKUlvE4_clEvEUlS6_S6_E_S6_EEDaPvRmT3_T4_T5_mT6_P12ihipStream_tbENKUlT_T0_E_clISt17integral_constantIbLb1EESX_IbLb0EEEEDaST_SU_EUlST_E_NS1_11comp_targetILNS1_3genE2ELNS1_11target_archE906ELNS1_3gpuE6ELNS1_3repE0EEENS1_30default_config_static_selectorELNS0_4arch9wavefront6targetE1EEEvT1_.num_named_barrier, 0
	.set _ZN7rocprim17ROCPRIM_400000_NS6detail17trampoline_kernelINS0_14default_configENS1_20scan_config_selectorIN3c108BFloat16EEEZZNS1_9scan_implILNS1_25lookback_scan_determinismE0ELb0ELb0ES3_PKS6_PS6_S6_ZZZN2at6native31launch_logcumsumexp_cuda_kernelERKNSD_10TensorBaseESH_lENKUlvE_clEvENKUlvE4_clEvEUlS6_S6_E_S6_EEDaPvRmT3_T4_T5_mT6_P12ihipStream_tbENKUlT_T0_E_clISt17integral_constantIbLb1EESX_IbLb0EEEEDaST_SU_EUlST_E_NS1_11comp_targetILNS1_3genE2ELNS1_11target_archE906ELNS1_3gpuE6ELNS1_3repE0EEENS1_30default_config_static_selectorELNS0_4arch9wavefront6targetE1EEEvT1_.private_seg_size, 0
	.set _ZN7rocprim17ROCPRIM_400000_NS6detail17trampoline_kernelINS0_14default_configENS1_20scan_config_selectorIN3c108BFloat16EEEZZNS1_9scan_implILNS1_25lookback_scan_determinismE0ELb0ELb0ES3_PKS6_PS6_S6_ZZZN2at6native31launch_logcumsumexp_cuda_kernelERKNSD_10TensorBaseESH_lENKUlvE_clEvENKUlvE4_clEvEUlS6_S6_E_S6_EEDaPvRmT3_T4_T5_mT6_P12ihipStream_tbENKUlT_T0_E_clISt17integral_constantIbLb1EESX_IbLb0EEEEDaST_SU_EUlST_E_NS1_11comp_targetILNS1_3genE2ELNS1_11target_archE906ELNS1_3gpuE6ELNS1_3repE0EEENS1_30default_config_static_selectorELNS0_4arch9wavefront6targetE1EEEvT1_.uses_vcc, 0
	.set _ZN7rocprim17ROCPRIM_400000_NS6detail17trampoline_kernelINS0_14default_configENS1_20scan_config_selectorIN3c108BFloat16EEEZZNS1_9scan_implILNS1_25lookback_scan_determinismE0ELb0ELb0ES3_PKS6_PS6_S6_ZZZN2at6native31launch_logcumsumexp_cuda_kernelERKNSD_10TensorBaseESH_lENKUlvE_clEvENKUlvE4_clEvEUlS6_S6_E_S6_EEDaPvRmT3_T4_T5_mT6_P12ihipStream_tbENKUlT_T0_E_clISt17integral_constantIbLb1EESX_IbLb0EEEEDaST_SU_EUlST_E_NS1_11comp_targetILNS1_3genE2ELNS1_11target_archE906ELNS1_3gpuE6ELNS1_3repE0EEENS1_30default_config_static_selectorELNS0_4arch9wavefront6targetE1EEEvT1_.uses_flat_scratch, 0
	.set _ZN7rocprim17ROCPRIM_400000_NS6detail17trampoline_kernelINS0_14default_configENS1_20scan_config_selectorIN3c108BFloat16EEEZZNS1_9scan_implILNS1_25lookback_scan_determinismE0ELb0ELb0ES3_PKS6_PS6_S6_ZZZN2at6native31launch_logcumsumexp_cuda_kernelERKNSD_10TensorBaseESH_lENKUlvE_clEvENKUlvE4_clEvEUlS6_S6_E_S6_EEDaPvRmT3_T4_T5_mT6_P12ihipStream_tbENKUlT_T0_E_clISt17integral_constantIbLb1EESX_IbLb0EEEEDaST_SU_EUlST_E_NS1_11comp_targetILNS1_3genE2ELNS1_11target_archE906ELNS1_3gpuE6ELNS1_3repE0EEENS1_30default_config_static_selectorELNS0_4arch9wavefront6targetE1EEEvT1_.has_dyn_sized_stack, 0
	.set _ZN7rocprim17ROCPRIM_400000_NS6detail17trampoline_kernelINS0_14default_configENS1_20scan_config_selectorIN3c108BFloat16EEEZZNS1_9scan_implILNS1_25lookback_scan_determinismE0ELb0ELb0ES3_PKS6_PS6_S6_ZZZN2at6native31launch_logcumsumexp_cuda_kernelERKNSD_10TensorBaseESH_lENKUlvE_clEvENKUlvE4_clEvEUlS6_S6_E_S6_EEDaPvRmT3_T4_T5_mT6_P12ihipStream_tbENKUlT_T0_E_clISt17integral_constantIbLb1EESX_IbLb0EEEEDaST_SU_EUlST_E_NS1_11comp_targetILNS1_3genE2ELNS1_11target_archE906ELNS1_3gpuE6ELNS1_3repE0EEENS1_30default_config_static_selectorELNS0_4arch9wavefront6targetE1EEEvT1_.has_recursion, 0
	.set _ZN7rocprim17ROCPRIM_400000_NS6detail17trampoline_kernelINS0_14default_configENS1_20scan_config_selectorIN3c108BFloat16EEEZZNS1_9scan_implILNS1_25lookback_scan_determinismE0ELb0ELb0ES3_PKS6_PS6_S6_ZZZN2at6native31launch_logcumsumexp_cuda_kernelERKNSD_10TensorBaseESH_lENKUlvE_clEvENKUlvE4_clEvEUlS6_S6_E_S6_EEDaPvRmT3_T4_T5_mT6_P12ihipStream_tbENKUlT_T0_E_clISt17integral_constantIbLb1EESX_IbLb0EEEEDaST_SU_EUlST_E_NS1_11comp_targetILNS1_3genE2ELNS1_11target_archE906ELNS1_3gpuE6ELNS1_3repE0EEENS1_30default_config_static_selectorELNS0_4arch9wavefront6targetE1EEEvT1_.has_indirect_call, 0
	.section	.AMDGPU.csdata,"",@progbits
; Kernel info:
; codeLenInByte = 4
; TotalNumSgprs: 4
; NumVgprs: 0
; ScratchSize: 0
; MemoryBound: 0
; FloatMode: 240
; IeeeMode: 1
; LDSByteSize: 0 bytes/workgroup (compile time only)
; SGPRBlocks: 0
; VGPRBlocks: 0
; NumSGPRsForWavesPerEU: 4
; NumVGPRsForWavesPerEU: 1
; Occupancy: 10
; WaveLimiterHint : 0
; COMPUTE_PGM_RSRC2:SCRATCH_EN: 0
; COMPUTE_PGM_RSRC2:USER_SGPR: 6
; COMPUTE_PGM_RSRC2:TRAP_HANDLER: 0
; COMPUTE_PGM_RSRC2:TGID_X_EN: 1
; COMPUTE_PGM_RSRC2:TGID_Y_EN: 0
; COMPUTE_PGM_RSRC2:TGID_Z_EN: 0
; COMPUTE_PGM_RSRC2:TIDIG_COMP_CNT: 0
	.section	.text._ZN7rocprim17ROCPRIM_400000_NS6detail17trampoline_kernelINS0_14default_configENS1_20scan_config_selectorIN3c108BFloat16EEEZZNS1_9scan_implILNS1_25lookback_scan_determinismE0ELb0ELb0ES3_PKS6_PS6_S6_ZZZN2at6native31launch_logcumsumexp_cuda_kernelERKNSD_10TensorBaseESH_lENKUlvE_clEvENKUlvE4_clEvEUlS6_S6_E_S6_EEDaPvRmT3_T4_T5_mT6_P12ihipStream_tbENKUlT_T0_E_clISt17integral_constantIbLb1EESX_IbLb0EEEEDaST_SU_EUlST_E_NS1_11comp_targetILNS1_3genE10ELNS1_11target_archE1201ELNS1_3gpuE5ELNS1_3repE0EEENS1_30default_config_static_selectorELNS0_4arch9wavefront6targetE1EEEvT1_,"axG",@progbits,_ZN7rocprim17ROCPRIM_400000_NS6detail17trampoline_kernelINS0_14default_configENS1_20scan_config_selectorIN3c108BFloat16EEEZZNS1_9scan_implILNS1_25lookback_scan_determinismE0ELb0ELb0ES3_PKS6_PS6_S6_ZZZN2at6native31launch_logcumsumexp_cuda_kernelERKNSD_10TensorBaseESH_lENKUlvE_clEvENKUlvE4_clEvEUlS6_S6_E_S6_EEDaPvRmT3_T4_T5_mT6_P12ihipStream_tbENKUlT_T0_E_clISt17integral_constantIbLb1EESX_IbLb0EEEEDaST_SU_EUlST_E_NS1_11comp_targetILNS1_3genE10ELNS1_11target_archE1201ELNS1_3gpuE5ELNS1_3repE0EEENS1_30default_config_static_selectorELNS0_4arch9wavefront6targetE1EEEvT1_,comdat
	.globl	_ZN7rocprim17ROCPRIM_400000_NS6detail17trampoline_kernelINS0_14default_configENS1_20scan_config_selectorIN3c108BFloat16EEEZZNS1_9scan_implILNS1_25lookback_scan_determinismE0ELb0ELb0ES3_PKS6_PS6_S6_ZZZN2at6native31launch_logcumsumexp_cuda_kernelERKNSD_10TensorBaseESH_lENKUlvE_clEvENKUlvE4_clEvEUlS6_S6_E_S6_EEDaPvRmT3_T4_T5_mT6_P12ihipStream_tbENKUlT_T0_E_clISt17integral_constantIbLb1EESX_IbLb0EEEEDaST_SU_EUlST_E_NS1_11comp_targetILNS1_3genE10ELNS1_11target_archE1201ELNS1_3gpuE5ELNS1_3repE0EEENS1_30default_config_static_selectorELNS0_4arch9wavefront6targetE1EEEvT1_ ; -- Begin function _ZN7rocprim17ROCPRIM_400000_NS6detail17trampoline_kernelINS0_14default_configENS1_20scan_config_selectorIN3c108BFloat16EEEZZNS1_9scan_implILNS1_25lookback_scan_determinismE0ELb0ELb0ES3_PKS6_PS6_S6_ZZZN2at6native31launch_logcumsumexp_cuda_kernelERKNSD_10TensorBaseESH_lENKUlvE_clEvENKUlvE4_clEvEUlS6_S6_E_S6_EEDaPvRmT3_T4_T5_mT6_P12ihipStream_tbENKUlT_T0_E_clISt17integral_constantIbLb1EESX_IbLb0EEEEDaST_SU_EUlST_E_NS1_11comp_targetILNS1_3genE10ELNS1_11target_archE1201ELNS1_3gpuE5ELNS1_3repE0EEENS1_30default_config_static_selectorELNS0_4arch9wavefront6targetE1EEEvT1_
	.p2align	8
	.type	_ZN7rocprim17ROCPRIM_400000_NS6detail17trampoline_kernelINS0_14default_configENS1_20scan_config_selectorIN3c108BFloat16EEEZZNS1_9scan_implILNS1_25lookback_scan_determinismE0ELb0ELb0ES3_PKS6_PS6_S6_ZZZN2at6native31launch_logcumsumexp_cuda_kernelERKNSD_10TensorBaseESH_lENKUlvE_clEvENKUlvE4_clEvEUlS6_S6_E_S6_EEDaPvRmT3_T4_T5_mT6_P12ihipStream_tbENKUlT_T0_E_clISt17integral_constantIbLb1EESX_IbLb0EEEEDaST_SU_EUlST_E_NS1_11comp_targetILNS1_3genE10ELNS1_11target_archE1201ELNS1_3gpuE5ELNS1_3repE0EEENS1_30default_config_static_selectorELNS0_4arch9wavefront6targetE1EEEvT1_,@function
_ZN7rocprim17ROCPRIM_400000_NS6detail17trampoline_kernelINS0_14default_configENS1_20scan_config_selectorIN3c108BFloat16EEEZZNS1_9scan_implILNS1_25lookback_scan_determinismE0ELb0ELb0ES3_PKS6_PS6_S6_ZZZN2at6native31launch_logcumsumexp_cuda_kernelERKNSD_10TensorBaseESH_lENKUlvE_clEvENKUlvE4_clEvEUlS6_S6_E_S6_EEDaPvRmT3_T4_T5_mT6_P12ihipStream_tbENKUlT_T0_E_clISt17integral_constantIbLb1EESX_IbLb0EEEEDaST_SU_EUlST_E_NS1_11comp_targetILNS1_3genE10ELNS1_11target_archE1201ELNS1_3gpuE5ELNS1_3repE0EEENS1_30default_config_static_selectorELNS0_4arch9wavefront6targetE1EEEvT1_: ; @_ZN7rocprim17ROCPRIM_400000_NS6detail17trampoline_kernelINS0_14default_configENS1_20scan_config_selectorIN3c108BFloat16EEEZZNS1_9scan_implILNS1_25lookback_scan_determinismE0ELb0ELb0ES3_PKS6_PS6_S6_ZZZN2at6native31launch_logcumsumexp_cuda_kernelERKNSD_10TensorBaseESH_lENKUlvE_clEvENKUlvE4_clEvEUlS6_S6_E_S6_EEDaPvRmT3_T4_T5_mT6_P12ihipStream_tbENKUlT_T0_E_clISt17integral_constantIbLb1EESX_IbLb0EEEEDaST_SU_EUlST_E_NS1_11comp_targetILNS1_3genE10ELNS1_11target_archE1201ELNS1_3gpuE5ELNS1_3repE0EEENS1_30default_config_static_selectorELNS0_4arch9wavefront6targetE1EEEvT1_
; %bb.0:
	.section	.rodata,"a",@progbits
	.p2align	6, 0x0
	.amdhsa_kernel _ZN7rocprim17ROCPRIM_400000_NS6detail17trampoline_kernelINS0_14default_configENS1_20scan_config_selectorIN3c108BFloat16EEEZZNS1_9scan_implILNS1_25lookback_scan_determinismE0ELb0ELb0ES3_PKS6_PS6_S6_ZZZN2at6native31launch_logcumsumexp_cuda_kernelERKNSD_10TensorBaseESH_lENKUlvE_clEvENKUlvE4_clEvEUlS6_S6_E_S6_EEDaPvRmT3_T4_T5_mT6_P12ihipStream_tbENKUlT_T0_E_clISt17integral_constantIbLb1EESX_IbLb0EEEEDaST_SU_EUlST_E_NS1_11comp_targetILNS1_3genE10ELNS1_11target_archE1201ELNS1_3gpuE5ELNS1_3repE0EEENS1_30default_config_static_selectorELNS0_4arch9wavefront6targetE1EEEvT1_
		.amdhsa_group_segment_fixed_size 0
		.amdhsa_private_segment_fixed_size 0
		.amdhsa_kernarg_size 96
		.amdhsa_user_sgpr_count 6
		.amdhsa_user_sgpr_private_segment_buffer 1
		.amdhsa_user_sgpr_dispatch_ptr 0
		.amdhsa_user_sgpr_queue_ptr 0
		.amdhsa_user_sgpr_kernarg_segment_ptr 1
		.amdhsa_user_sgpr_dispatch_id 0
		.amdhsa_user_sgpr_flat_scratch_init 0
		.amdhsa_user_sgpr_private_segment_size 0
		.amdhsa_uses_dynamic_stack 0
		.amdhsa_system_sgpr_private_segment_wavefront_offset 0
		.amdhsa_system_sgpr_workgroup_id_x 1
		.amdhsa_system_sgpr_workgroup_id_y 0
		.amdhsa_system_sgpr_workgroup_id_z 0
		.amdhsa_system_sgpr_workgroup_info 0
		.amdhsa_system_vgpr_workitem_id 0
		.amdhsa_next_free_vgpr 1
		.amdhsa_next_free_sgpr 0
		.amdhsa_reserve_vcc 0
		.amdhsa_reserve_flat_scratch 0
		.amdhsa_float_round_mode_32 0
		.amdhsa_float_round_mode_16_64 0
		.amdhsa_float_denorm_mode_32 3
		.amdhsa_float_denorm_mode_16_64 3
		.amdhsa_dx10_clamp 1
		.amdhsa_ieee_mode 1
		.amdhsa_fp16_overflow 0
		.amdhsa_exception_fp_ieee_invalid_op 0
		.amdhsa_exception_fp_denorm_src 0
		.amdhsa_exception_fp_ieee_div_zero 0
		.amdhsa_exception_fp_ieee_overflow 0
		.amdhsa_exception_fp_ieee_underflow 0
		.amdhsa_exception_fp_ieee_inexact 0
		.amdhsa_exception_int_div_zero 0
	.end_amdhsa_kernel
	.section	.text._ZN7rocprim17ROCPRIM_400000_NS6detail17trampoline_kernelINS0_14default_configENS1_20scan_config_selectorIN3c108BFloat16EEEZZNS1_9scan_implILNS1_25lookback_scan_determinismE0ELb0ELb0ES3_PKS6_PS6_S6_ZZZN2at6native31launch_logcumsumexp_cuda_kernelERKNSD_10TensorBaseESH_lENKUlvE_clEvENKUlvE4_clEvEUlS6_S6_E_S6_EEDaPvRmT3_T4_T5_mT6_P12ihipStream_tbENKUlT_T0_E_clISt17integral_constantIbLb1EESX_IbLb0EEEEDaST_SU_EUlST_E_NS1_11comp_targetILNS1_3genE10ELNS1_11target_archE1201ELNS1_3gpuE5ELNS1_3repE0EEENS1_30default_config_static_selectorELNS0_4arch9wavefront6targetE1EEEvT1_,"axG",@progbits,_ZN7rocprim17ROCPRIM_400000_NS6detail17trampoline_kernelINS0_14default_configENS1_20scan_config_selectorIN3c108BFloat16EEEZZNS1_9scan_implILNS1_25lookback_scan_determinismE0ELb0ELb0ES3_PKS6_PS6_S6_ZZZN2at6native31launch_logcumsumexp_cuda_kernelERKNSD_10TensorBaseESH_lENKUlvE_clEvENKUlvE4_clEvEUlS6_S6_E_S6_EEDaPvRmT3_T4_T5_mT6_P12ihipStream_tbENKUlT_T0_E_clISt17integral_constantIbLb1EESX_IbLb0EEEEDaST_SU_EUlST_E_NS1_11comp_targetILNS1_3genE10ELNS1_11target_archE1201ELNS1_3gpuE5ELNS1_3repE0EEENS1_30default_config_static_selectorELNS0_4arch9wavefront6targetE1EEEvT1_,comdat
.Lfunc_end489:
	.size	_ZN7rocprim17ROCPRIM_400000_NS6detail17trampoline_kernelINS0_14default_configENS1_20scan_config_selectorIN3c108BFloat16EEEZZNS1_9scan_implILNS1_25lookback_scan_determinismE0ELb0ELb0ES3_PKS6_PS6_S6_ZZZN2at6native31launch_logcumsumexp_cuda_kernelERKNSD_10TensorBaseESH_lENKUlvE_clEvENKUlvE4_clEvEUlS6_S6_E_S6_EEDaPvRmT3_T4_T5_mT6_P12ihipStream_tbENKUlT_T0_E_clISt17integral_constantIbLb1EESX_IbLb0EEEEDaST_SU_EUlST_E_NS1_11comp_targetILNS1_3genE10ELNS1_11target_archE1201ELNS1_3gpuE5ELNS1_3repE0EEENS1_30default_config_static_selectorELNS0_4arch9wavefront6targetE1EEEvT1_, .Lfunc_end489-_ZN7rocprim17ROCPRIM_400000_NS6detail17trampoline_kernelINS0_14default_configENS1_20scan_config_selectorIN3c108BFloat16EEEZZNS1_9scan_implILNS1_25lookback_scan_determinismE0ELb0ELb0ES3_PKS6_PS6_S6_ZZZN2at6native31launch_logcumsumexp_cuda_kernelERKNSD_10TensorBaseESH_lENKUlvE_clEvENKUlvE4_clEvEUlS6_S6_E_S6_EEDaPvRmT3_T4_T5_mT6_P12ihipStream_tbENKUlT_T0_E_clISt17integral_constantIbLb1EESX_IbLb0EEEEDaST_SU_EUlST_E_NS1_11comp_targetILNS1_3genE10ELNS1_11target_archE1201ELNS1_3gpuE5ELNS1_3repE0EEENS1_30default_config_static_selectorELNS0_4arch9wavefront6targetE1EEEvT1_
                                        ; -- End function
	.set _ZN7rocprim17ROCPRIM_400000_NS6detail17trampoline_kernelINS0_14default_configENS1_20scan_config_selectorIN3c108BFloat16EEEZZNS1_9scan_implILNS1_25lookback_scan_determinismE0ELb0ELb0ES3_PKS6_PS6_S6_ZZZN2at6native31launch_logcumsumexp_cuda_kernelERKNSD_10TensorBaseESH_lENKUlvE_clEvENKUlvE4_clEvEUlS6_S6_E_S6_EEDaPvRmT3_T4_T5_mT6_P12ihipStream_tbENKUlT_T0_E_clISt17integral_constantIbLb1EESX_IbLb0EEEEDaST_SU_EUlST_E_NS1_11comp_targetILNS1_3genE10ELNS1_11target_archE1201ELNS1_3gpuE5ELNS1_3repE0EEENS1_30default_config_static_selectorELNS0_4arch9wavefront6targetE1EEEvT1_.num_vgpr, 0
	.set _ZN7rocprim17ROCPRIM_400000_NS6detail17trampoline_kernelINS0_14default_configENS1_20scan_config_selectorIN3c108BFloat16EEEZZNS1_9scan_implILNS1_25lookback_scan_determinismE0ELb0ELb0ES3_PKS6_PS6_S6_ZZZN2at6native31launch_logcumsumexp_cuda_kernelERKNSD_10TensorBaseESH_lENKUlvE_clEvENKUlvE4_clEvEUlS6_S6_E_S6_EEDaPvRmT3_T4_T5_mT6_P12ihipStream_tbENKUlT_T0_E_clISt17integral_constantIbLb1EESX_IbLb0EEEEDaST_SU_EUlST_E_NS1_11comp_targetILNS1_3genE10ELNS1_11target_archE1201ELNS1_3gpuE5ELNS1_3repE0EEENS1_30default_config_static_selectorELNS0_4arch9wavefront6targetE1EEEvT1_.num_agpr, 0
	.set _ZN7rocprim17ROCPRIM_400000_NS6detail17trampoline_kernelINS0_14default_configENS1_20scan_config_selectorIN3c108BFloat16EEEZZNS1_9scan_implILNS1_25lookback_scan_determinismE0ELb0ELb0ES3_PKS6_PS6_S6_ZZZN2at6native31launch_logcumsumexp_cuda_kernelERKNSD_10TensorBaseESH_lENKUlvE_clEvENKUlvE4_clEvEUlS6_S6_E_S6_EEDaPvRmT3_T4_T5_mT6_P12ihipStream_tbENKUlT_T0_E_clISt17integral_constantIbLb1EESX_IbLb0EEEEDaST_SU_EUlST_E_NS1_11comp_targetILNS1_3genE10ELNS1_11target_archE1201ELNS1_3gpuE5ELNS1_3repE0EEENS1_30default_config_static_selectorELNS0_4arch9wavefront6targetE1EEEvT1_.numbered_sgpr, 0
	.set _ZN7rocprim17ROCPRIM_400000_NS6detail17trampoline_kernelINS0_14default_configENS1_20scan_config_selectorIN3c108BFloat16EEEZZNS1_9scan_implILNS1_25lookback_scan_determinismE0ELb0ELb0ES3_PKS6_PS6_S6_ZZZN2at6native31launch_logcumsumexp_cuda_kernelERKNSD_10TensorBaseESH_lENKUlvE_clEvENKUlvE4_clEvEUlS6_S6_E_S6_EEDaPvRmT3_T4_T5_mT6_P12ihipStream_tbENKUlT_T0_E_clISt17integral_constantIbLb1EESX_IbLb0EEEEDaST_SU_EUlST_E_NS1_11comp_targetILNS1_3genE10ELNS1_11target_archE1201ELNS1_3gpuE5ELNS1_3repE0EEENS1_30default_config_static_selectorELNS0_4arch9wavefront6targetE1EEEvT1_.num_named_barrier, 0
	.set _ZN7rocprim17ROCPRIM_400000_NS6detail17trampoline_kernelINS0_14default_configENS1_20scan_config_selectorIN3c108BFloat16EEEZZNS1_9scan_implILNS1_25lookback_scan_determinismE0ELb0ELb0ES3_PKS6_PS6_S6_ZZZN2at6native31launch_logcumsumexp_cuda_kernelERKNSD_10TensorBaseESH_lENKUlvE_clEvENKUlvE4_clEvEUlS6_S6_E_S6_EEDaPvRmT3_T4_T5_mT6_P12ihipStream_tbENKUlT_T0_E_clISt17integral_constantIbLb1EESX_IbLb0EEEEDaST_SU_EUlST_E_NS1_11comp_targetILNS1_3genE10ELNS1_11target_archE1201ELNS1_3gpuE5ELNS1_3repE0EEENS1_30default_config_static_selectorELNS0_4arch9wavefront6targetE1EEEvT1_.private_seg_size, 0
	.set _ZN7rocprim17ROCPRIM_400000_NS6detail17trampoline_kernelINS0_14default_configENS1_20scan_config_selectorIN3c108BFloat16EEEZZNS1_9scan_implILNS1_25lookback_scan_determinismE0ELb0ELb0ES3_PKS6_PS6_S6_ZZZN2at6native31launch_logcumsumexp_cuda_kernelERKNSD_10TensorBaseESH_lENKUlvE_clEvENKUlvE4_clEvEUlS6_S6_E_S6_EEDaPvRmT3_T4_T5_mT6_P12ihipStream_tbENKUlT_T0_E_clISt17integral_constantIbLb1EESX_IbLb0EEEEDaST_SU_EUlST_E_NS1_11comp_targetILNS1_3genE10ELNS1_11target_archE1201ELNS1_3gpuE5ELNS1_3repE0EEENS1_30default_config_static_selectorELNS0_4arch9wavefront6targetE1EEEvT1_.uses_vcc, 0
	.set _ZN7rocprim17ROCPRIM_400000_NS6detail17trampoline_kernelINS0_14default_configENS1_20scan_config_selectorIN3c108BFloat16EEEZZNS1_9scan_implILNS1_25lookback_scan_determinismE0ELb0ELb0ES3_PKS6_PS6_S6_ZZZN2at6native31launch_logcumsumexp_cuda_kernelERKNSD_10TensorBaseESH_lENKUlvE_clEvENKUlvE4_clEvEUlS6_S6_E_S6_EEDaPvRmT3_T4_T5_mT6_P12ihipStream_tbENKUlT_T0_E_clISt17integral_constantIbLb1EESX_IbLb0EEEEDaST_SU_EUlST_E_NS1_11comp_targetILNS1_3genE10ELNS1_11target_archE1201ELNS1_3gpuE5ELNS1_3repE0EEENS1_30default_config_static_selectorELNS0_4arch9wavefront6targetE1EEEvT1_.uses_flat_scratch, 0
	.set _ZN7rocprim17ROCPRIM_400000_NS6detail17trampoline_kernelINS0_14default_configENS1_20scan_config_selectorIN3c108BFloat16EEEZZNS1_9scan_implILNS1_25lookback_scan_determinismE0ELb0ELb0ES3_PKS6_PS6_S6_ZZZN2at6native31launch_logcumsumexp_cuda_kernelERKNSD_10TensorBaseESH_lENKUlvE_clEvENKUlvE4_clEvEUlS6_S6_E_S6_EEDaPvRmT3_T4_T5_mT6_P12ihipStream_tbENKUlT_T0_E_clISt17integral_constantIbLb1EESX_IbLb0EEEEDaST_SU_EUlST_E_NS1_11comp_targetILNS1_3genE10ELNS1_11target_archE1201ELNS1_3gpuE5ELNS1_3repE0EEENS1_30default_config_static_selectorELNS0_4arch9wavefront6targetE1EEEvT1_.has_dyn_sized_stack, 0
	.set _ZN7rocprim17ROCPRIM_400000_NS6detail17trampoline_kernelINS0_14default_configENS1_20scan_config_selectorIN3c108BFloat16EEEZZNS1_9scan_implILNS1_25lookback_scan_determinismE0ELb0ELb0ES3_PKS6_PS6_S6_ZZZN2at6native31launch_logcumsumexp_cuda_kernelERKNSD_10TensorBaseESH_lENKUlvE_clEvENKUlvE4_clEvEUlS6_S6_E_S6_EEDaPvRmT3_T4_T5_mT6_P12ihipStream_tbENKUlT_T0_E_clISt17integral_constantIbLb1EESX_IbLb0EEEEDaST_SU_EUlST_E_NS1_11comp_targetILNS1_3genE10ELNS1_11target_archE1201ELNS1_3gpuE5ELNS1_3repE0EEENS1_30default_config_static_selectorELNS0_4arch9wavefront6targetE1EEEvT1_.has_recursion, 0
	.set _ZN7rocprim17ROCPRIM_400000_NS6detail17trampoline_kernelINS0_14default_configENS1_20scan_config_selectorIN3c108BFloat16EEEZZNS1_9scan_implILNS1_25lookback_scan_determinismE0ELb0ELb0ES3_PKS6_PS6_S6_ZZZN2at6native31launch_logcumsumexp_cuda_kernelERKNSD_10TensorBaseESH_lENKUlvE_clEvENKUlvE4_clEvEUlS6_S6_E_S6_EEDaPvRmT3_T4_T5_mT6_P12ihipStream_tbENKUlT_T0_E_clISt17integral_constantIbLb1EESX_IbLb0EEEEDaST_SU_EUlST_E_NS1_11comp_targetILNS1_3genE10ELNS1_11target_archE1201ELNS1_3gpuE5ELNS1_3repE0EEENS1_30default_config_static_selectorELNS0_4arch9wavefront6targetE1EEEvT1_.has_indirect_call, 0
	.section	.AMDGPU.csdata,"",@progbits
; Kernel info:
; codeLenInByte = 0
; TotalNumSgprs: 4
; NumVgprs: 0
; ScratchSize: 0
; MemoryBound: 0
; FloatMode: 240
; IeeeMode: 1
; LDSByteSize: 0 bytes/workgroup (compile time only)
; SGPRBlocks: 0
; VGPRBlocks: 0
; NumSGPRsForWavesPerEU: 4
; NumVGPRsForWavesPerEU: 1
; Occupancy: 10
; WaveLimiterHint : 0
; COMPUTE_PGM_RSRC2:SCRATCH_EN: 0
; COMPUTE_PGM_RSRC2:USER_SGPR: 6
; COMPUTE_PGM_RSRC2:TRAP_HANDLER: 0
; COMPUTE_PGM_RSRC2:TGID_X_EN: 1
; COMPUTE_PGM_RSRC2:TGID_Y_EN: 0
; COMPUTE_PGM_RSRC2:TGID_Z_EN: 0
; COMPUTE_PGM_RSRC2:TIDIG_COMP_CNT: 0
	.section	.text._ZN7rocprim17ROCPRIM_400000_NS6detail17trampoline_kernelINS0_14default_configENS1_20scan_config_selectorIN3c108BFloat16EEEZZNS1_9scan_implILNS1_25lookback_scan_determinismE0ELb0ELb0ES3_PKS6_PS6_S6_ZZZN2at6native31launch_logcumsumexp_cuda_kernelERKNSD_10TensorBaseESH_lENKUlvE_clEvENKUlvE4_clEvEUlS6_S6_E_S6_EEDaPvRmT3_T4_T5_mT6_P12ihipStream_tbENKUlT_T0_E_clISt17integral_constantIbLb1EESX_IbLb0EEEEDaST_SU_EUlST_E_NS1_11comp_targetILNS1_3genE10ELNS1_11target_archE1200ELNS1_3gpuE4ELNS1_3repE0EEENS1_30default_config_static_selectorELNS0_4arch9wavefront6targetE1EEEvT1_,"axG",@progbits,_ZN7rocprim17ROCPRIM_400000_NS6detail17trampoline_kernelINS0_14default_configENS1_20scan_config_selectorIN3c108BFloat16EEEZZNS1_9scan_implILNS1_25lookback_scan_determinismE0ELb0ELb0ES3_PKS6_PS6_S6_ZZZN2at6native31launch_logcumsumexp_cuda_kernelERKNSD_10TensorBaseESH_lENKUlvE_clEvENKUlvE4_clEvEUlS6_S6_E_S6_EEDaPvRmT3_T4_T5_mT6_P12ihipStream_tbENKUlT_T0_E_clISt17integral_constantIbLb1EESX_IbLb0EEEEDaST_SU_EUlST_E_NS1_11comp_targetILNS1_3genE10ELNS1_11target_archE1200ELNS1_3gpuE4ELNS1_3repE0EEENS1_30default_config_static_selectorELNS0_4arch9wavefront6targetE1EEEvT1_,comdat
	.globl	_ZN7rocprim17ROCPRIM_400000_NS6detail17trampoline_kernelINS0_14default_configENS1_20scan_config_selectorIN3c108BFloat16EEEZZNS1_9scan_implILNS1_25lookback_scan_determinismE0ELb0ELb0ES3_PKS6_PS6_S6_ZZZN2at6native31launch_logcumsumexp_cuda_kernelERKNSD_10TensorBaseESH_lENKUlvE_clEvENKUlvE4_clEvEUlS6_S6_E_S6_EEDaPvRmT3_T4_T5_mT6_P12ihipStream_tbENKUlT_T0_E_clISt17integral_constantIbLb1EESX_IbLb0EEEEDaST_SU_EUlST_E_NS1_11comp_targetILNS1_3genE10ELNS1_11target_archE1200ELNS1_3gpuE4ELNS1_3repE0EEENS1_30default_config_static_selectorELNS0_4arch9wavefront6targetE1EEEvT1_ ; -- Begin function _ZN7rocprim17ROCPRIM_400000_NS6detail17trampoline_kernelINS0_14default_configENS1_20scan_config_selectorIN3c108BFloat16EEEZZNS1_9scan_implILNS1_25lookback_scan_determinismE0ELb0ELb0ES3_PKS6_PS6_S6_ZZZN2at6native31launch_logcumsumexp_cuda_kernelERKNSD_10TensorBaseESH_lENKUlvE_clEvENKUlvE4_clEvEUlS6_S6_E_S6_EEDaPvRmT3_T4_T5_mT6_P12ihipStream_tbENKUlT_T0_E_clISt17integral_constantIbLb1EESX_IbLb0EEEEDaST_SU_EUlST_E_NS1_11comp_targetILNS1_3genE10ELNS1_11target_archE1200ELNS1_3gpuE4ELNS1_3repE0EEENS1_30default_config_static_selectorELNS0_4arch9wavefront6targetE1EEEvT1_
	.p2align	8
	.type	_ZN7rocprim17ROCPRIM_400000_NS6detail17trampoline_kernelINS0_14default_configENS1_20scan_config_selectorIN3c108BFloat16EEEZZNS1_9scan_implILNS1_25lookback_scan_determinismE0ELb0ELb0ES3_PKS6_PS6_S6_ZZZN2at6native31launch_logcumsumexp_cuda_kernelERKNSD_10TensorBaseESH_lENKUlvE_clEvENKUlvE4_clEvEUlS6_S6_E_S6_EEDaPvRmT3_T4_T5_mT6_P12ihipStream_tbENKUlT_T0_E_clISt17integral_constantIbLb1EESX_IbLb0EEEEDaST_SU_EUlST_E_NS1_11comp_targetILNS1_3genE10ELNS1_11target_archE1200ELNS1_3gpuE4ELNS1_3repE0EEENS1_30default_config_static_selectorELNS0_4arch9wavefront6targetE1EEEvT1_,@function
_ZN7rocprim17ROCPRIM_400000_NS6detail17trampoline_kernelINS0_14default_configENS1_20scan_config_selectorIN3c108BFloat16EEEZZNS1_9scan_implILNS1_25lookback_scan_determinismE0ELb0ELb0ES3_PKS6_PS6_S6_ZZZN2at6native31launch_logcumsumexp_cuda_kernelERKNSD_10TensorBaseESH_lENKUlvE_clEvENKUlvE4_clEvEUlS6_S6_E_S6_EEDaPvRmT3_T4_T5_mT6_P12ihipStream_tbENKUlT_T0_E_clISt17integral_constantIbLb1EESX_IbLb0EEEEDaST_SU_EUlST_E_NS1_11comp_targetILNS1_3genE10ELNS1_11target_archE1200ELNS1_3gpuE4ELNS1_3repE0EEENS1_30default_config_static_selectorELNS0_4arch9wavefront6targetE1EEEvT1_: ; @_ZN7rocprim17ROCPRIM_400000_NS6detail17trampoline_kernelINS0_14default_configENS1_20scan_config_selectorIN3c108BFloat16EEEZZNS1_9scan_implILNS1_25lookback_scan_determinismE0ELb0ELb0ES3_PKS6_PS6_S6_ZZZN2at6native31launch_logcumsumexp_cuda_kernelERKNSD_10TensorBaseESH_lENKUlvE_clEvENKUlvE4_clEvEUlS6_S6_E_S6_EEDaPvRmT3_T4_T5_mT6_P12ihipStream_tbENKUlT_T0_E_clISt17integral_constantIbLb1EESX_IbLb0EEEEDaST_SU_EUlST_E_NS1_11comp_targetILNS1_3genE10ELNS1_11target_archE1200ELNS1_3gpuE4ELNS1_3repE0EEENS1_30default_config_static_selectorELNS0_4arch9wavefront6targetE1EEEvT1_
; %bb.0:
	.section	.rodata,"a",@progbits
	.p2align	6, 0x0
	.amdhsa_kernel _ZN7rocprim17ROCPRIM_400000_NS6detail17trampoline_kernelINS0_14default_configENS1_20scan_config_selectorIN3c108BFloat16EEEZZNS1_9scan_implILNS1_25lookback_scan_determinismE0ELb0ELb0ES3_PKS6_PS6_S6_ZZZN2at6native31launch_logcumsumexp_cuda_kernelERKNSD_10TensorBaseESH_lENKUlvE_clEvENKUlvE4_clEvEUlS6_S6_E_S6_EEDaPvRmT3_T4_T5_mT6_P12ihipStream_tbENKUlT_T0_E_clISt17integral_constantIbLb1EESX_IbLb0EEEEDaST_SU_EUlST_E_NS1_11comp_targetILNS1_3genE10ELNS1_11target_archE1200ELNS1_3gpuE4ELNS1_3repE0EEENS1_30default_config_static_selectorELNS0_4arch9wavefront6targetE1EEEvT1_
		.amdhsa_group_segment_fixed_size 0
		.amdhsa_private_segment_fixed_size 0
		.amdhsa_kernarg_size 96
		.amdhsa_user_sgpr_count 6
		.amdhsa_user_sgpr_private_segment_buffer 1
		.amdhsa_user_sgpr_dispatch_ptr 0
		.amdhsa_user_sgpr_queue_ptr 0
		.amdhsa_user_sgpr_kernarg_segment_ptr 1
		.amdhsa_user_sgpr_dispatch_id 0
		.amdhsa_user_sgpr_flat_scratch_init 0
		.amdhsa_user_sgpr_private_segment_size 0
		.amdhsa_uses_dynamic_stack 0
		.amdhsa_system_sgpr_private_segment_wavefront_offset 0
		.amdhsa_system_sgpr_workgroup_id_x 1
		.amdhsa_system_sgpr_workgroup_id_y 0
		.amdhsa_system_sgpr_workgroup_id_z 0
		.amdhsa_system_sgpr_workgroup_info 0
		.amdhsa_system_vgpr_workitem_id 0
		.amdhsa_next_free_vgpr 1
		.amdhsa_next_free_sgpr 0
		.amdhsa_reserve_vcc 0
		.amdhsa_reserve_flat_scratch 0
		.amdhsa_float_round_mode_32 0
		.amdhsa_float_round_mode_16_64 0
		.amdhsa_float_denorm_mode_32 3
		.amdhsa_float_denorm_mode_16_64 3
		.amdhsa_dx10_clamp 1
		.amdhsa_ieee_mode 1
		.amdhsa_fp16_overflow 0
		.amdhsa_exception_fp_ieee_invalid_op 0
		.amdhsa_exception_fp_denorm_src 0
		.amdhsa_exception_fp_ieee_div_zero 0
		.amdhsa_exception_fp_ieee_overflow 0
		.amdhsa_exception_fp_ieee_underflow 0
		.amdhsa_exception_fp_ieee_inexact 0
		.amdhsa_exception_int_div_zero 0
	.end_amdhsa_kernel
	.section	.text._ZN7rocprim17ROCPRIM_400000_NS6detail17trampoline_kernelINS0_14default_configENS1_20scan_config_selectorIN3c108BFloat16EEEZZNS1_9scan_implILNS1_25lookback_scan_determinismE0ELb0ELb0ES3_PKS6_PS6_S6_ZZZN2at6native31launch_logcumsumexp_cuda_kernelERKNSD_10TensorBaseESH_lENKUlvE_clEvENKUlvE4_clEvEUlS6_S6_E_S6_EEDaPvRmT3_T4_T5_mT6_P12ihipStream_tbENKUlT_T0_E_clISt17integral_constantIbLb1EESX_IbLb0EEEEDaST_SU_EUlST_E_NS1_11comp_targetILNS1_3genE10ELNS1_11target_archE1200ELNS1_3gpuE4ELNS1_3repE0EEENS1_30default_config_static_selectorELNS0_4arch9wavefront6targetE1EEEvT1_,"axG",@progbits,_ZN7rocprim17ROCPRIM_400000_NS6detail17trampoline_kernelINS0_14default_configENS1_20scan_config_selectorIN3c108BFloat16EEEZZNS1_9scan_implILNS1_25lookback_scan_determinismE0ELb0ELb0ES3_PKS6_PS6_S6_ZZZN2at6native31launch_logcumsumexp_cuda_kernelERKNSD_10TensorBaseESH_lENKUlvE_clEvENKUlvE4_clEvEUlS6_S6_E_S6_EEDaPvRmT3_T4_T5_mT6_P12ihipStream_tbENKUlT_T0_E_clISt17integral_constantIbLb1EESX_IbLb0EEEEDaST_SU_EUlST_E_NS1_11comp_targetILNS1_3genE10ELNS1_11target_archE1200ELNS1_3gpuE4ELNS1_3repE0EEENS1_30default_config_static_selectorELNS0_4arch9wavefront6targetE1EEEvT1_,comdat
.Lfunc_end490:
	.size	_ZN7rocprim17ROCPRIM_400000_NS6detail17trampoline_kernelINS0_14default_configENS1_20scan_config_selectorIN3c108BFloat16EEEZZNS1_9scan_implILNS1_25lookback_scan_determinismE0ELb0ELb0ES3_PKS6_PS6_S6_ZZZN2at6native31launch_logcumsumexp_cuda_kernelERKNSD_10TensorBaseESH_lENKUlvE_clEvENKUlvE4_clEvEUlS6_S6_E_S6_EEDaPvRmT3_T4_T5_mT6_P12ihipStream_tbENKUlT_T0_E_clISt17integral_constantIbLb1EESX_IbLb0EEEEDaST_SU_EUlST_E_NS1_11comp_targetILNS1_3genE10ELNS1_11target_archE1200ELNS1_3gpuE4ELNS1_3repE0EEENS1_30default_config_static_selectorELNS0_4arch9wavefront6targetE1EEEvT1_, .Lfunc_end490-_ZN7rocprim17ROCPRIM_400000_NS6detail17trampoline_kernelINS0_14default_configENS1_20scan_config_selectorIN3c108BFloat16EEEZZNS1_9scan_implILNS1_25lookback_scan_determinismE0ELb0ELb0ES3_PKS6_PS6_S6_ZZZN2at6native31launch_logcumsumexp_cuda_kernelERKNSD_10TensorBaseESH_lENKUlvE_clEvENKUlvE4_clEvEUlS6_S6_E_S6_EEDaPvRmT3_T4_T5_mT6_P12ihipStream_tbENKUlT_T0_E_clISt17integral_constantIbLb1EESX_IbLb0EEEEDaST_SU_EUlST_E_NS1_11comp_targetILNS1_3genE10ELNS1_11target_archE1200ELNS1_3gpuE4ELNS1_3repE0EEENS1_30default_config_static_selectorELNS0_4arch9wavefront6targetE1EEEvT1_
                                        ; -- End function
	.set _ZN7rocprim17ROCPRIM_400000_NS6detail17trampoline_kernelINS0_14default_configENS1_20scan_config_selectorIN3c108BFloat16EEEZZNS1_9scan_implILNS1_25lookback_scan_determinismE0ELb0ELb0ES3_PKS6_PS6_S6_ZZZN2at6native31launch_logcumsumexp_cuda_kernelERKNSD_10TensorBaseESH_lENKUlvE_clEvENKUlvE4_clEvEUlS6_S6_E_S6_EEDaPvRmT3_T4_T5_mT6_P12ihipStream_tbENKUlT_T0_E_clISt17integral_constantIbLb1EESX_IbLb0EEEEDaST_SU_EUlST_E_NS1_11comp_targetILNS1_3genE10ELNS1_11target_archE1200ELNS1_3gpuE4ELNS1_3repE0EEENS1_30default_config_static_selectorELNS0_4arch9wavefront6targetE1EEEvT1_.num_vgpr, 0
	.set _ZN7rocprim17ROCPRIM_400000_NS6detail17trampoline_kernelINS0_14default_configENS1_20scan_config_selectorIN3c108BFloat16EEEZZNS1_9scan_implILNS1_25lookback_scan_determinismE0ELb0ELb0ES3_PKS6_PS6_S6_ZZZN2at6native31launch_logcumsumexp_cuda_kernelERKNSD_10TensorBaseESH_lENKUlvE_clEvENKUlvE4_clEvEUlS6_S6_E_S6_EEDaPvRmT3_T4_T5_mT6_P12ihipStream_tbENKUlT_T0_E_clISt17integral_constantIbLb1EESX_IbLb0EEEEDaST_SU_EUlST_E_NS1_11comp_targetILNS1_3genE10ELNS1_11target_archE1200ELNS1_3gpuE4ELNS1_3repE0EEENS1_30default_config_static_selectorELNS0_4arch9wavefront6targetE1EEEvT1_.num_agpr, 0
	.set _ZN7rocprim17ROCPRIM_400000_NS6detail17trampoline_kernelINS0_14default_configENS1_20scan_config_selectorIN3c108BFloat16EEEZZNS1_9scan_implILNS1_25lookback_scan_determinismE0ELb0ELb0ES3_PKS6_PS6_S6_ZZZN2at6native31launch_logcumsumexp_cuda_kernelERKNSD_10TensorBaseESH_lENKUlvE_clEvENKUlvE4_clEvEUlS6_S6_E_S6_EEDaPvRmT3_T4_T5_mT6_P12ihipStream_tbENKUlT_T0_E_clISt17integral_constantIbLb1EESX_IbLb0EEEEDaST_SU_EUlST_E_NS1_11comp_targetILNS1_3genE10ELNS1_11target_archE1200ELNS1_3gpuE4ELNS1_3repE0EEENS1_30default_config_static_selectorELNS0_4arch9wavefront6targetE1EEEvT1_.numbered_sgpr, 0
	.set _ZN7rocprim17ROCPRIM_400000_NS6detail17trampoline_kernelINS0_14default_configENS1_20scan_config_selectorIN3c108BFloat16EEEZZNS1_9scan_implILNS1_25lookback_scan_determinismE0ELb0ELb0ES3_PKS6_PS6_S6_ZZZN2at6native31launch_logcumsumexp_cuda_kernelERKNSD_10TensorBaseESH_lENKUlvE_clEvENKUlvE4_clEvEUlS6_S6_E_S6_EEDaPvRmT3_T4_T5_mT6_P12ihipStream_tbENKUlT_T0_E_clISt17integral_constantIbLb1EESX_IbLb0EEEEDaST_SU_EUlST_E_NS1_11comp_targetILNS1_3genE10ELNS1_11target_archE1200ELNS1_3gpuE4ELNS1_3repE0EEENS1_30default_config_static_selectorELNS0_4arch9wavefront6targetE1EEEvT1_.num_named_barrier, 0
	.set _ZN7rocprim17ROCPRIM_400000_NS6detail17trampoline_kernelINS0_14default_configENS1_20scan_config_selectorIN3c108BFloat16EEEZZNS1_9scan_implILNS1_25lookback_scan_determinismE0ELb0ELb0ES3_PKS6_PS6_S6_ZZZN2at6native31launch_logcumsumexp_cuda_kernelERKNSD_10TensorBaseESH_lENKUlvE_clEvENKUlvE4_clEvEUlS6_S6_E_S6_EEDaPvRmT3_T4_T5_mT6_P12ihipStream_tbENKUlT_T0_E_clISt17integral_constantIbLb1EESX_IbLb0EEEEDaST_SU_EUlST_E_NS1_11comp_targetILNS1_3genE10ELNS1_11target_archE1200ELNS1_3gpuE4ELNS1_3repE0EEENS1_30default_config_static_selectorELNS0_4arch9wavefront6targetE1EEEvT1_.private_seg_size, 0
	.set _ZN7rocprim17ROCPRIM_400000_NS6detail17trampoline_kernelINS0_14default_configENS1_20scan_config_selectorIN3c108BFloat16EEEZZNS1_9scan_implILNS1_25lookback_scan_determinismE0ELb0ELb0ES3_PKS6_PS6_S6_ZZZN2at6native31launch_logcumsumexp_cuda_kernelERKNSD_10TensorBaseESH_lENKUlvE_clEvENKUlvE4_clEvEUlS6_S6_E_S6_EEDaPvRmT3_T4_T5_mT6_P12ihipStream_tbENKUlT_T0_E_clISt17integral_constantIbLb1EESX_IbLb0EEEEDaST_SU_EUlST_E_NS1_11comp_targetILNS1_3genE10ELNS1_11target_archE1200ELNS1_3gpuE4ELNS1_3repE0EEENS1_30default_config_static_selectorELNS0_4arch9wavefront6targetE1EEEvT1_.uses_vcc, 0
	.set _ZN7rocprim17ROCPRIM_400000_NS6detail17trampoline_kernelINS0_14default_configENS1_20scan_config_selectorIN3c108BFloat16EEEZZNS1_9scan_implILNS1_25lookback_scan_determinismE0ELb0ELb0ES3_PKS6_PS6_S6_ZZZN2at6native31launch_logcumsumexp_cuda_kernelERKNSD_10TensorBaseESH_lENKUlvE_clEvENKUlvE4_clEvEUlS6_S6_E_S6_EEDaPvRmT3_T4_T5_mT6_P12ihipStream_tbENKUlT_T0_E_clISt17integral_constantIbLb1EESX_IbLb0EEEEDaST_SU_EUlST_E_NS1_11comp_targetILNS1_3genE10ELNS1_11target_archE1200ELNS1_3gpuE4ELNS1_3repE0EEENS1_30default_config_static_selectorELNS0_4arch9wavefront6targetE1EEEvT1_.uses_flat_scratch, 0
	.set _ZN7rocprim17ROCPRIM_400000_NS6detail17trampoline_kernelINS0_14default_configENS1_20scan_config_selectorIN3c108BFloat16EEEZZNS1_9scan_implILNS1_25lookback_scan_determinismE0ELb0ELb0ES3_PKS6_PS6_S6_ZZZN2at6native31launch_logcumsumexp_cuda_kernelERKNSD_10TensorBaseESH_lENKUlvE_clEvENKUlvE4_clEvEUlS6_S6_E_S6_EEDaPvRmT3_T4_T5_mT6_P12ihipStream_tbENKUlT_T0_E_clISt17integral_constantIbLb1EESX_IbLb0EEEEDaST_SU_EUlST_E_NS1_11comp_targetILNS1_3genE10ELNS1_11target_archE1200ELNS1_3gpuE4ELNS1_3repE0EEENS1_30default_config_static_selectorELNS0_4arch9wavefront6targetE1EEEvT1_.has_dyn_sized_stack, 0
	.set _ZN7rocprim17ROCPRIM_400000_NS6detail17trampoline_kernelINS0_14default_configENS1_20scan_config_selectorIN3c108BFloat16EEEZZNS1_9scan_implILNS1_25lookback_scan_determinismE0ELb0ELb0ES3_PKS6_PS6_S6_ZZZN2at6native31launch_logcumsumexp_cuda_kernelERKNSD_10TensorBaseESH_lENKUlvE_clEvENKUlvE4_clEvEUlS6_S6_E_S6_EEDaPvRmT3_T4_T5_mT6_P12ihipStream_tbENKUlT_T0_E_clISt17integral_constantIbLb1EESX_IbLb0EEEEDaST_SU_EUlST_E_NS1_11comp_targetILNS1_3genE10ELNS1_11target_archE1200ELNS1_3gpuE4ELNS1_3repE0EEENS1_30default_config_static_selectorELNS0_4arch9wavefront6targetE1EEEvT1_.has_recursion, 0
	.set _ZN7rocprim17ROCPRIM_400000_NS6detail17trampoline_kernelINS0_14default_configENS1_20scan_config_selectorIN3c108BFloat16EEEZZNS1_9scan_implILNS1_25lookback_scan_determinismE0ELb0ELb0ES3_PKS6_PS6_S6_ZZZN2at6native31launch_logcumsumexp_cuda_kernelERKNSD_10TensorBaseESH_lENKUlvE_clEvENKUlvE4_clEvEUlS6_S6_E_S6_EEDaPvRmT3_T4_T5_mT6_P12ihipStream_tbENKUlT_T0_E_clISt17integral_constantIbLb1EESX_IbLb0EEEEDaST_SU_EUlST_E_NS1_11comp_targetILNS1_3genE10ELNS1_11target_archE1200ELNS1_3gpuE4ELNS1_3repE0EEENS1_30default_config_static_selectorELNS0_4arch9wavefront6targetE1EEEvT1_.has_indirect_call, 0
	.section	.AMDGPU.csdata,"",@progbits
; Kernel info:
; codeLenInByte = 0
; TotalNumSgprs: 4
; NumVgprs: 0
; ScratchSize: 0
; MemoryBound: 0
; FloatMode: 240
; IeeeMode: 1
; LDSByteSize: 0 bytes/workgroup (compile time only)
; SGPRBlocks: 0
; VGPRBlocks: 0
; NumSGPRsForWavesPerEU: 4
; NumVGPRsForWavesPerEU: 1
; Occupancy: 10
; WaveLimiterHint : 0
; COMPUTE_PGM_RSRC2:SCRATCH_EN: 0
; COMPUTE_PGM_RSRC2:USER_SGPR: 6
; COMPUTE_PGM_RSRC2:TRAP_HANDLER: 0
; COMPUTE_PGM_RSRC2:TGID_X_EN: 1
; COMPUTE_PGM_RSRC2:TGID_Y_EN: 0
; COMPUTE_PGM_RSRC2:TGID_Z_EN: 0
; COMPUTE_PGM_RSRC2:TIDIG_COMP_CNT: 0
	.section	.text._ZN7rocprim17ROCPRIM_400000_NS6detail17trampoline_kernelINS0_14default_configENS1_20scan_config_selectorIN3c108BFloat16EEEZZNS1_9scan_implILNS1_25lookback_scan_determinismE0ELb0ELb0ES3_PKS6_PS6_S6_ZZZN2at6native31launch_logcumsumexp_cuda_kernelERKNSD_10TensorBaseESH_lENKUlvE_clEvENKUlvE4_clEvEUlS6_S6_E_S6_EEDaPvRmT3_T4_T5_mT6_P12ihipStream_tbENKUlT_T0_E_clISt17integral_constantIbLb1EESX_IbLb0EEEEDaST_SU_EUlST_E_NS1_11comp_targetILNS1_3genE9ELNS1_11target_archE1100ELNS1_3gpuE3ELNS1_3repE0EEENS1_30default_config_static_selectorELNS0_4arch9wavefront6targetE1EEEvT1_,"axG",@progbits,_ZN7rocprim17ROCPRIM_400000_NS6detail17trampoline_kernelINS0_14default_configENS1_20scan_config_selectorIN3c108BFloat16EEEZZNS1_9scan_implILNS1_25lookback_scan_determinismE0ELb0ELb0ES3_PKS6_PS6_S6_ZZZN2at6native31launch_logcumsumexp_cuda_kernelERKNSD_10TensorBaseESH_lENKUlvE_clEvENKUlvE4_clEvEUlS6_S6_E_S6_EEDaPvRmT3_T4_T5_mT6_P12ihipStream_tbENKUlT_T0_E_clISt17integral_constantIbLb1EESX_IbLb0EEEEDaST_SU_EUlST_E_NS1_11comp_targetILNS1_3genE9ELNS1_11target_archE1100ELNS1_3gpuE3ELNS1_3repE0EEENS1_30default_config_static_selectorELNS0_4arch9wavefront6targetE1EEEvT1_,comdat
	.globl	_ZN7rocprim17ROCPRIM_400000_NS6detail17trampoline_kernelINS0_14default_configENS1_20scan_config_selectorIN3c108BFloat16EEEZZNS1_9scan_implILNS1_25lookback_scan_determinismE0ELb0ELb0ES3_PKS6_PS6_S6_ZZZN2at6native31launch_logcumsumexp_cuda_kernelERKNSD_10TensorBaseESH_lENKUlvE_clEvENKUlvE4_clEvEUlS6_S6_E_S6_EEDaPvRmT3_T4_T5_mT6_P12ihipStream_tbENKUlT_T0_E_clISt17integral_constantIbLb1EESX_IbLb0EEEEDaST_SU_EUlST_E_NS1_11comp_targetILNS1_3genE9ELNS1_11target_archE1100ELNS1_3gpuE3ELNS1_3repE0EEENS1_30default_config_static_selectorELNS0_4arch9wavefront6targetE1EEEvT1_ ; -- Begin function _ZN7rocprim17ROCPRIM_400000_NS6detail17trampoline_kernelINS0_14default_configENS1_20scan_config_selectorIN3c108BFloat16EEEZZNS1_9scan_implILNS1_25lookback_scan_determinismE0ELb0ELb0ES3_PKS6_PS6_S6_ZZZN2at6native31launch_logcumsumexp_cuda_kernelERKNSD_10TensorBaseESH_lENKUlvE_clEvENKUlvE4_clEvEUlS6_S6_E_S6_EEDaPvRmT3_T4_T5_mT6_P12ihipStream_tbENKUlT_T0_E_clISt17integral_constantIbLb1EESX_IbLb0EEEEDaST_SU_EUlST_E_NS1_11comp_targetILNS1_3genE9ELNS1_11target_archE1100ELNS1_3gpuE3ELNS1_3repE0EEENS1_30default_config_static_selectorELNS0_4arch9wavefront6targetE1EEEvT1_
	.p2align	8
	.type	_ZN7rocprim17ROCPRIM_400000_NS6detail17trampoline_kernelINS0_14default_configENS1_20scan_config_selectorIN3c108BFloat16EEEZZNS1_9scan_implILNS1_25lookback_scan_determinismE0ELb0ELb0ES3_PKS6_PS6_S6_ZZZN2at6native31launch_logcumsumexp_cuda_kernelERKNSD_10TensorBaseESH_lENKUlvE_clEvENKUlvE4_clEvEUlS6_S6_E_S6_EEDaPvRmT3_T4_T5_mT6_P12ihipStream_tbENKUlT_T0_E_clISt17integral_constantIbLb1EESX_IbLb0EEEEDaST_SU_EUlST_E_NS1_11comp_targetILNS1_3genE9ELNS1_11target_archE1100ELNS1_3gpuE3ELNS1_3repE0EEENS1_30default_config_static_selectorELNS0_4arch9wavefront6targetE1EEEvT1_,@function
_ZN7rocprim17ROCPRIM_400000_NS6detail17trampoline_kernelINS0_14default_configENS1_20scan_config_selectorIN3c108BFloat16EEEZZNS1_9scan_implILNS1_25lookback_scan_determinismE0ELb0ELb0ES3_PKS6_PS6_S6_ZZZN2at6native31launch_logcumsumexp_cuda_kernelERKNSD_10TensorBaseESH_lENKUlvE_clEvENKUlvE4_clEvEUlS6_S6_E_S6_EEDaPvRmT3_T4_T5_mT6_P12ihipStream_tbENKUlT_T0_E_clISt17integral_constantIbLb1EESX_IbLb0EEEEDaST_SU_EUlST_E_NS1_11comp_targetILNS1_3genE9ELNS1_11target_archE1100ELNS1_3gpuE3ELNS1_3repE0EEENS1_30default_config_static_selectorELNS0_4arch9wavefront6targetE1EEEvT1_: ; @_ZN7rocprim17ROCPRIM_400000_NS6detail17trampoline_kernelINS0_14default_configENS1_20scan_config_selectorIN3c108BFloat16EEEZZNS1_9scan_implILNS1_25lookback_scan_determinismE0ELb0ELb0ES3_PKS6_PS6_S6_ZZZN2at6native31launch_logcumsumexp_cuda_kernelERKNSD_10TensorBaseESH_lENKUlvE_clEvENKUlvE4_clEvEUlS6_S6_E_S6_EEDaPvRmT3_T4_T5_mT6_P12ihipStream_tbENKUlT_T0_E_clISt17integral_constantIbLb1EESX_IbLb0EEEEDaST_SU_EUlST_E_NS1_11comp_targetILNS1_3genE9ELNS1_11target_archE1100ELNS1_3gpuE3ELNS1_3repE0EEENS1_30default_config_static_selectorELNS0_4arch9wavefront6targetE1EEEvT1_
; %bb.0:
	.section	.rodata,"a",@progbits
	.p2align	6, 0x0
	.amdhsa_kernel _ZN7rocprim17ROCPRIM_400000_NS6detail17trampoline_kernelINS0_14default_configENS1_20scan_config_selectorIN3c108BFloat16EEEZZNS1_9scan_implILNS1_25lookback_scan_determinismE0ELb0ELb0ES3_PKS6_PS6_S6_ZZZN2at6native31launch_logcumsumexp_cuda_kernelERKNSD_10TensorBaseESH_lENKUlvE_clEvENKUlvE4_clEvEUlS6_S6_E_S6_EEDaPvRmT3_T4_T5_mT6_P12ihipStream_tbENKUlT_T0_E_clISt17integral_constantIbLb1EESX_IbLb0EEEEDaST_SU_EUlST_E_NS1_11comp_targetILNS1_3genE9ELNS1_11target_archE1100ELNS1_3gpuE3ELNS1_3repE0EEENS1_30default_config_static_selectorELNS0_4arch9wavefront6targetE1EEEvT1_
		.amdhsa_group_segment_fixed_size 0
		.amdhsa_private_segment_fixed_size 0
		.amdhsa_kernarg_size 96
		.amdhsa_user_sgpr_count 6
		.amdhsa_user_sgpr_private_segment_buffer 1
		.amdhsa_user_sgpr_dispatch_ptr 0
		.amdhsa_user_sgpr_queue_ptr 0
		.amdhsa_user_sgpr_kernarg_segment_ptr 1
		.amdhsa_user_sgpr_dispatch_id 0
		.amdhsa_user_sgpr_flat_scratch_init 0
		.amdhsa_user_sgpr_private_segment_size 0
		.amdhsa_uses_dynamic_stack 0
		.amdhsa_system_sgpr_private_segment_wavefront_offset 0
		.amdhsa_system_sgpr_workgroup_id_x 1
		.amdhsa_system_sgpr_workgroup_id_y 0
		.amdhsa_system_sgpr_workgroup_id_z 0
		.amdhsa_system_sgpr_workgroup_info 0
		.amdhsa_system_vgpr_workitem_id 0
		.amdhsa_next_free_vgpr 1
		.amdhsa_next_free_sgpr 0
		.amdhsa_reserve_vcc 0
		.amdhsa_reserve_flat_scratch 0
		.amdhsa_float_round_mode_32 0
		.amdhsa_float_round_mode_16_64 0
		.amdhsa_float_denorm_mode_32 3
		.amdhsa_float_denorm_mode_16_64 3
		.amdhsa_dx10_clamp 1
		.amdhsa_ieee_mode 1
		.amdhsa_fp16_overflow 0
		.amdhsa_exception_fp_ieee_invalid_op 0
		.amdhsa_exception_fp_denorm_src 0
		.amdhsa_exception_fp_ieee_div_zero 0
		.amdhsa_exception_fp_ieee_overflow 0
		.amdhsa_exception_fp_ieee_underflow 0
		.amdhsa_exception_fp_ieee_inexact 0
		.amdhsa_exception_int_div_zero 0
	.end_amdhsa_kernel
	.section	.text._ZN7rocprim17ROCPRIM_400000_NS6detail17trampoline_kernelINS0_14default_configENS1_20scan_config_selectorIN3c108BFloat16EEEZZNS1_9scan_implILNS1_25lookback_scan_determinismE0ELb0ELb0ES3_PKS6_PS6_S6_ZZZN2at6native31launch_logcumsumexp_cuda_kernelERKNSD_10TensorBaseESH_lENKUlvE_clEvENKUlvE4_clEvEUlS6_S6_E_S6_EEDaPvRmT3_T4_T5_mT6_P12ihipStream_tbENKUlT_T0_E_clISt17integral_constantIbLb1EESX_IbLb0EEEEDaST_SU_EUlST_E_NS1_11comp_targetILNS1_3genE9ELNS1_11target_archE1100ELNS1_3gpuE3ELNS1_3repE0EEENS1_30default_config_static_selectorELNS0_4arch9wavefront6targetE1EEEvT1_,"axG",@progbits,_ZN7rocprim17ROCPRIM_400000_NS6detail17trampoline_kernelINS0_14default_configENS1_20scan_config_selectorIN3c108BFloat16EEEZZNS1_9scan_implILNS1_25lookback_scan_determinismE0ELb0ELb0ES3_PKS6_PS6_S6_ZZZN2at6native31launch_logcumsumexp_cuda_kernelERKNSD_10TensorBaseESH_lENKUlvE_clEvENKUlvE4_clEvEUlS6_S6_E_S6_EEDaPvRmT3_T4_T5_mT6_P12ihipStream_tbENKUlT_T0_E_clISt17integral_constantIbLb1EESX_IbLb0EEEEDaST_SU_EUlST_E_NS1_11comp_targetILNS1_3genE9ELNS1_11target_archE1100ELNS1_3gpuE3ELNS1_3repE0EEENS1_30default_config_static_selectorELNS0_4arch9wavefront6targetE1EEEvT1_,comdat
.Lfunc_end491:
	.size	_ZN7rocprim17ROCPRIM_400000_NS6detail17trampoline_kernelINS0_14default_configENS1_20scan_config_selectorIN3c108BFloat16EEEZZNS1_9scan_implILNS1_25lookback_scan_determinismE0ELb0ELb0ES3_PKS6_PS6_S6_ZZZN2at6native31launch_logcumsumexp_cuda_kernelERKNSD_10TensorBaseESH_lENKUlvE_clEvENKUlvE4_clEvEUlS6_S6_E_S6_EEDaPvRmT3_T4_T5_mT6_P12ihipStream_tbENKUlT_T0_E_clISt17integral_constantIbLb1EESX_IbLb0EEEEDaST_SU_EUlST_E_NS1_11comp_targetILNS1_3genE9ELNS1_11target_archE1100ELNS1_3gpuE3ELNS1_3repE0EEENS1_30default_config_static_selectorELNS0_4arch9wavefront6targetE1EEEvT1_, .Lfunc_end491-_ZN7rocprim17ROCPRIM_400000_NS6detail17trampoline_kernelINS0_14default_configENS1_20scan_config_selectorIN3c108BFloat16EEEZZNS1_9scan_implILNS1_25lookback_scan_determinismE0ELb0ELb0ES3_PKS6_PS6_S6_ZZZN2at6native31launch_logcumsumexp_cuda_kernelERKNSD_10TensorBaseESH_lENKUlvE_clEvENKUlvE4_clEvEUlS6_S6_E_S6_EEDaPvRmT3_T4_T5_mT6_P12ihipStream_tbENKUlT_T0_E_clISt17integral_constantIbLb1EESX_IbLb0EEEEDaST_SU_EUlST_E_NS1_11comp_targetILNS1_3genE9ELNS1_11target_archE1100ELNS1_3gpuE3ELNS1_3repE0EEENS1_30default_config_static_selectorELNS0_4arch9wavefront6targetE1EEEvT1_
                                        ; -- End function
	.set _ZN7rocprim17ROCPRIM_400000_NS6detail17trampoline_kernelINS0_14default_configENS1_20scan_config_selectorIN3c108BFloat16EEEZZNS1_9scan_implILNS1_25lookback_scan_determinismE0ELb0ELb0ES3_PKS6_PS6_S6_ZZZN2at6native31launch_logcumsumexp_cuda_kernelERKNSD_10TensorBaseESH_lENKUlvE_clEvENKUlvE4_clEvEUlS6_S6_E_S6_EEDaPvRmT3_T4_T5_mT6_P12ihipStream_tbENKUlT_T0_E_clISt17integral_constantIbLb1EESX_IbLb0EEEEDaST_SU_EUlST_E_NS1_11comp_targetILNS1_3genE9ELNS1_11target_archE1100ELNS1_3gpuE3ELNS1_3repE0EEENS1_30default_config_static_selectorELNS0_4arch9wavefront6targetE1EEEvT1_.num_vgpr, 0
	.set _ZN7rocprim17ROCPRIM_400000_NS6detail17trampoline_kernelINS0_14default_configENS1_20scan_config_selectorIN3c108BFloat16EEEZZNS1_9scan_implILNS1_25lookback_scan_determinismE0ELb0ELb0ES3_PKS6_PS6_S6_ZZZN2at6native31launch_logcumsumexp_cuda_kernelERKNSD_10TensorBaseESH_lENKUlvE_clEvENKUlvE4_clEvEUlS6_S6_E_S6_EEDaPvRmT3_T4_T5_mT6_P12ihipStream_tbENKUlT_T0_E_clISt17integral_constantIbLb1EESX_IbLb0EEEEDaST_SU_EUlST_E_NS1_11comp_targetILNS1_3genE9ELNS1_11target_archE1100ELNS1_3gpuE3ELNS1_3repE0EEENS1_30default_config_static_selectorELNS0_4arch9wavefront6targetE1EEEvT1_.num_agpr, 0
	.set _ZN7rocprim17ROCPRIM_400000_NS6detail17trampoline_kernelINS0_14default_configENS1_20scan_config_selectorIN3c108BFloat16EEEZZNS1_9scan_implILNS1_25lookback_scan_determinismE0ELb0ELb0ES3_PKS6_PS6_S6_ZZZN2at6native31launch_logcumsumexp_cuda_kernelERKNSD_10TensorBaseESH_lENKUlvE_clEvENKUlvE4_clEvEUlS6_S6_E_S6_EEDaPvRmT3_T4_T5_mT6_P12ihipStream_tbENKUlT_T0_E_clISt17integral_constantIbLb1EESX_IbLb0EEEEDaST_SU_EUlST_E_NS1_11comp_targetILNS1_3genE9ELNS1_11target_archE1100ELNS1_3gpuE3ELNS1_3repE0EEENS1_30default_config_static_selectorELNS0_4arch9wavefront6targetE1EEEvT1_.numbered_sgpr, 0
	.set _ZN7rocprim17ROCPRIM_400000_NS6detail17trampoline_kernelINS0_14default_configENS1_20scan_config_selectorIN3c108BFloat16EEEZZNS1_9scan_implILNS1_25lookback_scan_determinismE0ELb0ELb0ES3_PKS6_PS6_S6_ZZZN2at6native31launch_logcumsumexp_cuda_kernelERKNSD_10TensorBaseESH_lENKUlvE_clEvENKUlvE4_clEvEUlS6_S6_E_S6_EEDaPvRmT3_T4_T5_mT6_P12ihipStream_tbENKUlT_T0_E_clISt17integral_constantIbLb1EESX_IbLb0EEEEDaST_SU_EUlST_E_NS1_11comp_targetILNS1_3genE9ELNS1_11target_archE1100ELNS1_3gpuE3ELNS1_3repE0EEENS1_30default_config_static_selectorELNS0_4arch9wavefront6targetE1EEEvT1_.num_named_barrier, 0
	.set _ZN7rocprim17ROCPRIM_400000_NS6detail17trampoline_kernelINS0_14default_configENS1_20scan_config_selectorIN3c108BFloat16EEEZZNS1_9scan_implILNS1_25lookback_scan_determinismE0ELb0ELb0ES3_PKS6_PS6_S6_ZZZN2at6native31launch_logcumsumexp_cuda_kernelERKNSD_10TensorBaseESH_lENKUlvE_clEvENKUlvE4_clEvEUlS6_S6_E_S6_EEDaPvRmT3_T4_T5_mT6_P12ihipStream_tbENKUlT_T0_E_clISt17integral_constantIbLb1EESX_IbLb0EEEEDaST_SU_EUlST_E_NS1_11comp_targetILNS1_3genE9ELNS1_11target_archE1100ELNS1_3gpuE3ELNS1_3repE0EEENS1_30default_config_static_selectorELNS0_4arch9wavefront6targetE1EEEvT1_.private_seg_size, 0
	.set _ZN7rocprim17ROCPRIM_400000_NS6detail17trampoline_kernelINS0_14default_configENS1_20scan_config_selectorIN3c108BFloat16EEEZZNS1_9scan_implILNS1_25lookback_scan_determinismE0ELb0ELb0ES3_PKS6_PS6_S6_ZZZN2at6native31launch_logcumsumexp_cuda_kernelERKNSD_10TensorBaseESH_lENKUlvE_clEvENKUlvE4_clEvEUlS6_S6_E_S6_EEDaPvRmT3_T4_T5_mT6_P12ihipStream_tbENKUlT_T0_E_clISt17integral_constantIbLb1EESX_IbLb0EEEEDaST_SU_EUlST_E_NS1_11comp_targetILNS1_3genE9ELNS1_11target_archE1100ELNS1_3gpuE3ELNS1_3repE0EEENS1_30default_config_static_selectorELNS0_4arch9wavefront6targetE1EEEvT1_.uses_vcc, 0
	.set _ZN7rocprim17ROCPRIM_400000_NS6detail17trampoline_kernelINS0_14default_configENS1_20scan_config_selectorIN3c108BFloat16EEEZZNS1_9scan_implILNS1_25lookback_scan_determinismE0ELb0ELb0ES3_PKS6_PS6_S6_ZZZN2at6native31launch_logcumsumexp_cuda_kernelERKNSD_10TensorBaseESH_lENKUlvE_clEvENKUlvE4_clEvEUlS6_S6_E_S6_EEDaPvRmT3_T4_T5_mT6_P12ihipStream_tbENKUlT_T0_E_clISt17integral_constantIbLb1EESX_IbLb0EEEEDaST_SU_EUlST_E_NS1_11comp_targetILNS1_3genE9ELNS1_11target_archE1100ELNS1_3gpuE3ELNS1_3repE0EEENS1_30default_config_static_selectorELNS0_4arch9wavefront6targetE1EEEvT1_.uses_flat_scratch, 0
	.set _ZN7rocprim17ROCPRIM_400000_NS6detail17trampoline_kernelINS0_14default_configENS1_20scan_config_selectorIN3c108BFloat16EEEZZNS1_9scan_implILNS1_25lookback_scan_determinismE0ELb0ELb0ES3_PKS6_PS6_S6_ZZZN2at6native31launch_logcumsumexp_cuda_kernelERKNSD_10TensorBaseESH_lENKUlvE_clEvENKUlvE4_clEvEUlS6_S6_E_S6_EEDaPvRmT3_T4_T5_mT6_P12ihipStream_tbENKUlT_T0_E_clISt17integral_constantIbLb1EESX_IbLb0EEEEDaST_SU_EUlST_E_NS1_11comp_targetILNS1_3genE9ELNS1_11target_archE1100ELNS1_3gpuE3ELNS1_3repE0EEENS1_30default_config_static_selectorELNS0_4arch9wavefront6targetE1EEEvT1_.has_dyn_sized_stack, 0
	.set _ZN7rocprim17ROCPRIM_400000_NS6detail17trampoline_kernelINS0_14default_configENS1_20scan_config_selectorIN3c108BFloat16EEEZZNS1_9scan_implILNS1_25lookback_scan_determinismE0ELb0ELb0ES3_PKS6_PS6_S6_ZZZN2at6native31launch_logcumsumexp_cuda_kernelERKNSD_10TensorBaseESH_lENKUlvE_clEvENKUlvE4_clEvEUlS6_S6_E_S6_EEDaPvRmT3_T4_T5_mT6_P12ihipStream_tbENKUlT_T0_E_clISt17integral_constantIbLb1EESX_IbLb0EEEEDaST_SU_EUlST_E_NS1_11comp_targetILNS1_3genE9ELNS1_11target_archE1100ELNS1_3gpuE3ELNS1_3repE0EEENS1_30default_config_static_selectorELNS0_4arch9wavefront6targetE1EEEvT1_.has_recursion, 0
	.set _ZN7rocprim17ROCPRIM_400000_NS6detail17trampoline_kernelINS0_14default_configENS1_20scan_config_selectorIN3c108BFloat16EEEZZNS1_9scan_implILNS1_25lookback_scan_determinismE0ELb0ELb0ES3_PKS6_PS6_S6_ZZZN2at6native31launch_logcumsumexp_cuda_kernelERKNSD_10TensorBaseESH_lENKUlvE_clEvENKUlvE4_clEvEUlS6_S6_E_S6_EEDaPvRmT3_T4_T5_mT6_P12ihipStream_tbENKUlT_T0_E_clISt17integral_constantIbLb1EESX_IbLb0EEEEDaST_SU_EUlST_E_NS1_11comp_targetILNS1_3genE9ELNS1_11target_archE1100ELNS1_3gpuE3ELNS1_3repE0EEENS1_30default_config_static_selectorELNS0_4arch9wavefront6targetE1EEEvT1_.has_indirect_call, 0
	.section	.AMDGPU.csdata,"",@progbits
; Kernel info:
; codeLenInByte = 0
; TotalNumSgprs: 4
; NumVgprs: 0
; ScratchSize: 0
; MemoryBound: 0
; FloatMode: 240
; IeeeMode: 1
; LDSByteSize: 0 bytes/workgroup (compile time only)
; SGPRBlocks: 0
; VGPRBlocks: 0
; NumSGPRsForWavesPerEU: 4
; NumVGPRsForWavesPerEU: 1
; Occupancy: 10
; WaveLimiterHint : 0
; COMPUTE_PGM_RSRC2:SCRATCH_EN: 0
; COMPUTE_PGM_RSRC2:USER_SGPR: 6
; COMPUTE_PGM_RSRC2:TRAP_HANDLER: 0
; COMPUTE_PGM_RSRC2:TGID_X_EN: 1
; COMPUTE_PGM_RSRC2:TGID_Y_EN: 0
; COMPUTE_PGM_RSRC2:TGID_Z_EN: 0
; COMPUTE_PGM_RSRC2:TIDIG_COMP_CNT: 0
	.section	.text._ZN7rocprim17ROCPRIM_400000_NS6detail17trampoline_kernelINS0_14default_configENS1_20scan_config_selectorIN3c108BFloat16EEEZZNS1_9scan_implILNS1_25lookback_scan_determinismE0ELb0ELb0ES3_PKS6_PS6_S6_ZZZN2at6native31launch_logcumsumexp_cuda_kernelERKNSD_10TensorBaseESH_lENKUlvE_clEvENKUlvE4_clEvEUlS6_S6_E_S6_EEDaPvRmT3_T4_T5_mT6_P12ihipStream_tbENKUlT_T0_E_clISt17integral_constantIbLb1EESX_IbLb0EEEEDaST_SU_EUlST_E_NS1_11comp_targetILNS1_3genE8ELNS1_11target_archE1030ELNS1_3gpuE2ELNS1_3repE0EEENS1_30default_config_static_selectorELNS0_4arch9wavefront6targetE1EEEvT1_,"axG",@progbits,_ZN7rocprim17ROCPRIM_400000_NS6detail17trampoline_kernelINS0_14default_configENS1_20scan_config_selectorIN3c108BFloat16EEEZZNS1_9scan_implILNS1_25lookback_scan_determinismE0ELb0ELb0ES3_PKS6_PS6_S6_ZZZN2at6native31launch_logcumsumexp_cuda_kernelERKNSD_10TensorBaseESH_lENKUlvE_clEvENKUlvE4_clEvEUlS6_S6_E_S6_EEDaPvRmT3_T4_T5_mT6_P12ihipStream_tbENKUlT_T0_E_clISt17integral_constantIbLb1EESX_IbLb0EEEEDaST_SU_EUlST_E_NS1_11comp_targetILNS1_3genE8ELNS1_11target_archE1030ELNS1_3gpuE2ELNS1_3repE0EEENS1_30default_config_static_selectorELNS0_4arch9wavefront6targetE1EEEvT1_,comdat
	.globl	_ZN7rocprim17ROCPRIM_400000_NS6detail17trampoline_kernelINS0_14default_configENS1_20scan_config_selectorIN3c108BFloat16EEEZZNS1_9scan_implILNS1_25lookback_scan_determinismE0ELb0ELb0ES3_PKS6_PS6_S6_ZZZN2at6native31launch_logcumsumexp_cuda_kernelERKNSD_10TensorBaseESH_lENKUlvE_clEvENKUlvE4_clEvEUlS6_S6_E_S6_EEDaPvRmT3_T4_T5_mT6_P12ihipStream_tbENKUlT_T0_E_clISt17integral_constantIbLb1EESX_IbLb0EEEEDaST_SU_EUlST_E_NS1_11comp_targetILNS1_3genE8ELNS1_11target_archE1030ELNS1_3gpuE2ELNS1_3repE0EEENS1_30default_config_static_selectorELNS0_4arch9wavefront6targetE1EEEvT1_ ; -- Begin function _ZN7rocprim17ROCPRIM_400000_NS6detail17trampoline_kernelINS0_14default_configENS1_20scan_config_selectorIN3c108BFloat16EEEZZNS1_9scan_implILNS1_25lookback_scan_determinismE0ELb0ELb0ES3_PKS6_PS6_S6_ZZZN2at6native31launch_logcumsumexp_cuda_kernelERKNSD_10TensorBaseESH_lENKUlvE_clEvENKUlvE4_clEvEUlS6_S6_E_S6_EEDaPvRmT3_T4_T5_mT6_P12ihipStream_tbENKUlT_T0_E_clISt17integral_constantIbLb1EESX_IbLb0EEEEDaST_SU_EUlST_E_NS1_11comp_targetILNS1_3genE8ELNS1_11target_archE1030ELNS1_3gpuE2ELNS1_3repE0EEENS1_30default_config_static_selectorELNS0_4arch9wavefront6targetE1EEEvT1_
	.p2align	8
	.type	_ZN7rocprim17ROCPRIM_400000_NS6detail17trampoline_kernelINS0_14default_configENS1_20scan_config_selectorIN3c108BFloat16EEEZZNS1_9scan_implILNS1_25lookback_scan_determinismE0ELb0ELb0ES3_PKS6_PS6_S6_ZZZN2at6native31launch_logcumsumexp_cuda_kernelERKNSD_10TensorBaseESH_lENKUlvE_clEvENKUlvE4_clEvEUlS6_S6_E_S6_EEDaPvRmT3_T4_T5_mT6_P12ihipStream_tbENKUlT_T0_E_clISt17integral_constantIbLb1EESX_IbLb0EEEEDaST_SU_EUlST_E_NS1_11comp_targetILNS1_3genE8ELNS1_11target_archE1030ELNS1_3gpuE2ELNS1_3repE0EEENS1_30default_config_static_selectorELNS0_4arch9wavefront6targetE1EEEvT1_,@function
_ZN7rocprim17ROCPRIM_400000_NS6detail17trampoline_kernelINS0_14default_configENS1_20scan_config_selectorIN3c108BFloat16EEEZZNS1_9scan_implILNS1_25lookback_scan_determinismE0ELb0ELb0ES3_PKS6_PS6_S6_ZZZN2at6native31launch_logcumsumexp_cuda_kernelERKNSD_10TensorBaseESH_lENKUlvE_clEvENKUlvE4_clEvEUlS6_S6_E_S6_EEDaPvRmT3_T4_T5_mT6_P12ihipStream_tbENKUlT_T0_E_clISt17integral_constantIbLb1EESX_IbLb0EEEEDaST_SU_EUlST_E_NS1_11comp_targetILNS1_3genE8ELNS1_11target_archE1030ELNS1_3gpuE2ELNS1_3repE0EEENS1_30default_config_static_selectorELNS0_4arch9wavefront6targetE1EEEvT1_: ; @_ZN7rocprim17ROCPRIM_400000_NS6detail17trampoline_kernelINS0_14default_configENS1_20scan_config_selectorIN3c108BFloat16EEEZZNS1_9scan_implILNS1_25lookback_scan_determinismE0ELb0ELb0ES3_PKS6_PS6_S6_ZZZN2at6native31launch_logcumsumexp_cuda_kernelERKNSD_10TensorBaseESH_lENKUlvE_clEvENKUlvE4_clEvEUlS6_S6_E_S6_EEDaPvRmT3_T4_T5_mT6_P12ihipStream_tbENKUlT_T0_E_clISt17integral_constantIbLb1EESX_IbLb0EEEEDaST_SU_EUlST_E_NS1_11comp_targetILNS1_3genE8ELNS1_11target_archE1030ELNS1_3gpuE2ELNS1_3repE0EEENS1_30default_config_static_selectorELNS0_4arch9wavefront6targetE1EEEvT1_
; %bb.0:
	.section	.rodata,"a",@progbits
	.p2align	6, 0x0
	.amdhsa_kernel _ZN7rocprim17ROCPRIM_400000_NS6detail17trampoline_kernelINS0_14default_configENS1_20scan_config_selectorIN3c108BFloat16EEEZZNS1_9scan_implILNS1_25lookback_scan_determinismE0ELb0ELb0ES3_PKS6_PS6_S6_ZZZN2at6native31launch_logcumsumexp_cuda_kernelERKNSD_10TensorBaseESH_lENKUlvE_clEvENKUlvE4_clEvEUlS6_S6_E_S6_EEDaPvRmT3_T4_T5_mT6_P12ihipStream_tbENKUlT_T0_E_clISt17integral_constantIbLb1EESX_IbLb0EEEEDaST_SU_EUlST_E_NS1_11comp_targetILNS1_3genE8ELNS1_11target_archE1030ELNS1_3gpuE2ELNS1_3repE0EEENS1_30default_config_static_selectorELNS0_4arch9wavefront6targetE1EEEvT1_
		.amdhsa_group_segment_fixed_size 0
		.amdhsa_private_segment_fixed_size 0
		.amdhsa_kernarg_size 96
		.amdhsa_user_sgpr_count 6
		.amdhsa_user_sgpr_private_segment_buffer 1
		.amdhsa_user_sgpr_dispatch_ptr 0
		.amdhsa_user_sgpr_queue_ptr 0
		.amdhsa_user_sgpr_kernarg_segment_ptr 1
		.amdhsa_user_sgpr_dispatch_id 0
		.amdhsa_user_sgpr_flat_scratch_init 0
		.amdhsa_user_sgpr_private_segment_size 0
		.amdhsa_uses_dynamic_stack 0
		.amdhsa_system_sgpr_private_segment_wavefront_offset 0
		.amdhsa_system_sgpr_workgroup_id_x 1
		.amdhsa_system_sgpr_workgroup_id_y 0
		.amdhsa_system_sgpr_workgroup_id_z 0
		.amdhsa_system_sgpr_workgroup_info 0
		.amdhsa_system_vgpr_workitem_id 0
		.amdhsa_next_free_vgpr 1
		.amdhsa_next_free_sgpr 0
		.amdhsa_reserve_vcc 0
		.amdhsa_reserve_flat_scratch 0
		.amdhsa_float_round_mode_32 0
		.amdhsa_float_round_mode_16_64 0
		.amdhsa_float_denorm_mode_32 3
		.amdhsa_float_denorm_mode_16_64 3
		.amdhsa_dx10_clamp 1
		.amdhsa_ieee_mode 1
		.amdhsa_fp16_overflow 0
		.amdhsa_exception_fp_ieee_invalid_op 0
		.amdhsa_exception_fp_denorm_src 0
		.amdhsa_exception_fp_ieee_div_zero 0
		.amdhsa_exception_fp_ieee_overflow 0
		.amdhsa_exception_fp_ieee_underflow 0
		.amdhsa_exception_fp_ieee_inexact 0
		.amdhsa_exception_int_div_zero 0
	.end_amdhsa_kernel
	.section	.text._ZN7rocprim17ROCPRIM_400000_NS6detail17trampoline_kernelINS0_14default_configENS1_20scan_config_selectorIN3c108BFloat16EEEZZNS1_9scan_implILNS1_25lookback_scan_determinismE0ELb0ELb0ES3_PKS6_PS6_S6_ZZZN2at6native31launch_logcumsumexp_cuda_kernelERKNSD_10TensorBaseESH_lENKUlvE_clEvENKUlvE4_clEvEUlS6_S6_E_S6_EEDaPvRmT3_T4_T5_mT6_P12ihipStream_tbENKUlT_T0_E_clISt17integral_constantIbLb1EESX_IbLb0EEEEDaST_SU_EUlST_E_NS1_11comp_targetILNS1_3genE8ELNS1_11target_archE1030ELNS1_3gpuE2ELNS1_3repE0EEENS1_30default_config_static_selectorELNS0_4arch9wavefront6targetE1EEEvT1_,"axG",@progbits,_ZN7rocprim17ROCPRIM_400000_NS6detail17trampoline_kernelINS0_14default_configENS1_20scan_config_selectorIN3c108BFloat16EEEZZNS1_9scan_implILNS1_25lookback_scan_determinismE0ELb0ELb0ES3_PKS6_PS6_S6_ZZZN2at6native31launch_logcumsumexp_cuda_kernelERKNSD_10TensorBaseESH_lENKUlvE_clEvENKUlvE4_clEvEUlS6_S6_E_S6_EEDaPvRmT3_T4_T5_mT6_P12ihipStream_tbENKUlT_T0_E_clISt17integral_constantIbLb1EESX_IbLb0EEEEDaST_SU_EUlST_E_NS1_11comp_targetILNS1_3genE8ELNS1_11target_archE1030ELNS1_3gpuE2ELNS1_3repE0EEENS1_30default_config_static_selectorELNS0_4arch9wavefront6targetE1EEEvT1_,comdat
.Lfunc_end492:
	.size	_ZN7rocprim17ROCPRIM_400000_NS6detail17trampoline_kernelINS0_14default_configENS1_20scan_config_selectorIN3c108BFloat16EEEZZNS1_9scan_implILNS1_25lookback_scan_determinismE0ELb0ELb0ES3_PKS6_PS6_S6_ZZZN2at6native31launch_logcumsumexp_cuda_kernelERKNSD_10TensorBaseESH_lENKUlvE_clEvENKUlvE4_clEvEUlS6_S6_E_S6_EEDaPvRmT3_T4_T5_mT6_P12ihipStream_tbENKUlT_T0_E_clISt17integral_constantIbLb1EESX_IbLb0EEEEDaST_SU_EUlST_E_NS1_11comp_targetILNS1_3genE8ELNS1_11target_archE1030ELNS1_3gpuE2ELNS1_3repE0EEENS1_30default_config_static_selectorELNS0_4arch9wavefront6targetE1EEEvT1_, .Lfunc_end492-_ZN7rocprim17ROCPRIM_400000_NS6detail17trampoline_kernelINS0_14default_configENS1_20scan_config_selectorIN3c108BFloat16EEEZZNS1_9scan_implILNS1_25lookback_scan_determinismE0ELb0ELb0ES3_PKS6_PS6_S6_ZZZN2at6native31launch_logcumsumexp_cuda_kernelERKNSD_10TensorBaseESH_lENKUlvE_clEvENKUlvE4_clEvEUlS6_S6_E_S6_EEDaPvRmT3_T4_T5_mT6_P12ihipStream_tbENKUlT_T0_E_clISt17integral_constantIbLb1EESX_IbLb0EEEEDaST_SU_EUlST_E_NS1_11comp_targetILNS1_3genE8ELNS1_11target_archE1030ELNS1_3gpuE2ELNS1_3repE0EEENS1_30default_config_static_selectorELNS0_4arch9wavefront6targetE1EEEvT1_
                                        ; -- End function
	.set _ZN7rocprim17ROCPRIM_400000_NS6detail17trampoline_kernelINS0_14default_configENS1_20scan_config_selectorIN3c108BFloat16EEEZZNS1_9scan_implILNS1_25lookback_scan_determinismE0ELb0ELb0ES3_PKS6_PS6_S6_ZZZN2at6native31launch_logcumsumexp_cuda_kernelERKNSD_10TensorBaseESH_lENKUlvE_clEvENKUlvE4_clEvEUlS6_S6_E_S6_EEDaPvRmT3_T4_T5_mT6_P12ihipStream_tbENKUlT_T0_E_clISt17integral_constantIbLb1EESX_IbLb0EEEEDaST_SU_EUlST_E_NS1_11comp_targetILNS1_3genE8ELNS1_11target_archE1030ELNS1_3gpuE2ELNS1_3repE0EEENS1_30default_config_static_selectorELNS0_4arch9wavefront6targetE1EEEvT1_.num_vgpr, 0
	.set _ZN7rocprim17ROCPRIM_400000_NS6detail17trampoline_kernelINS0_14default_configENS1_20scan_config_selectorIN3c108BFloat16EEEZZNS1_9scan_implILNS1_25lookback_scan_determinismE0ELb0ELb0ES3_PKS6_PS6_S6_ZZZN2at6native31launch_logcumsumexp_cuda_kernelERKNSD_10TensorBaseESH_lENKUlvE_clEvENKUlvE4_clEvEUlS6_S6_E_S6_EEDaPvRmT3_T4_T5_mT6_P12ihipStream_tbENKUlT_T0_E_clISt17integral_constantIbLb1EESX_IbLb0EEEEDaST_SU_EUlST_E_NS1_11comp_targetILNS1_3genE8ELNS1_11target_archE1030ELNS1_3gpuE2ELNS1_3repE0EEENS1_30default_config_static_selectorELNS0_4arch9wavefront6targetE1EEEvT1_.num_agpr, 0
	.set _ZN7rocprim17ROCPRIM_400000_NS6detail17trampoline_kernelINS0_14default_configENS1_20scan_config_selectorIN3c108BFloat16EEEZZNS1_9scan_implILNS1_25lookback_scan_determinismE0ELb0ELb0ES3_PKS6_PS6_S6_ZZZN2at6native31launch_logcumsumexp_cuda_kernelERKNSD_10TensorBaseESH_lENKUlvE_clEvENKUlvE4_clEvEUlS6_S6_E_S6_EEDaPvRmT3_T4_T5_mT6_P12ihipStream_tbENKUlT_T0_E_clISt17integral_constantIbLb1EESX_IbLb0EEEEDaST_SU_EUlST_E_NS1_11comp_targetILNS1_3genE8ELNS1_11target_archE1030ELNS1_3gpuE2ELNS1_3repE0EEENS1_30default_config_static_selectorELNS0_4arch9wavefront6targetE1EEEvT1_.numbered_sgpr, 0
	.set _ZN7rocprim17ROCPRIM_400000_NS6detail17trampoline_kernelINS0_14default_configENS1_20scan_config_selectorIN3c108BFloat16EEEZZNS1_9scan_implILNS1_25lookback_scan_determinismE0ELb0ELb0ES3_PKS6_PS6_S6_ZZZN2at6native31launch_logcumsumexp_cuda_kernelERKNSD_10TensorBaseESH_lENKUlvE_clEvENKUlvE4_clEvEUlS6_S6_E_S6_EEDaPvRmT3_T4_T5_mT6_P12ihipStream_tbENKUlT_T0_E_clISt17integral_constantIbLb1EESX_IbLb0EEEEDaST_SU_EUlST_E_NS1_11comp_targetILNS1_3genE8ELNS1_11target_archE1030ELNS1_3gpuE2ELNS1_3repE0EEENS1_30default_config_static_selectorELNS0_4arch9wavefront6targetE1EEEvT1_.num_named_barrier, 0
	.set _ZN7rocprim17ROCPRIM_400000_NS6detail17trampoline_kernelINS0_14default_configENS1_20scan_config_selectorIN3c108BFloat16EEEZZNS1_9scan_implILNS1_25lookback_scan_determinismE0ELb0ELb0ES3_PKS6_PS6_S6_ZZZN2at6native31launch_logcumsumexp_cuda_kernelERKNSD_10TensorBaseESH_lENKUlvE_clEvENKUlvE4_clEvEUlS6_S6_E_S6_EEDaPvRmT3_T4_T5_mT6_P12ihipStream_tbENKUlT_T0_E_clISt17integral_constantIbLb1EESX_IbLb0EEEEDaST_SU_EUlST_E_NS1_11comp_targetILNS1_3genE8ELNS1_11target_archE1030ELNS1_3gpuE2ELNS1_3repE0EEENS1_30default_config_static_selectorELNS0_4arch9wavefront6targetE1EEEvT1_.private_seg_size, 0
	.set _ZN7rocprim17ROCPRIM_400000_NS6detail17trampoline_kernelINS0_14default_configENS1_20scan_config_selectorIN3c108BFloat16EEEZZNS1_9scan_implILNS1_25lookback_scan_determinismE0ELb0ELb0ES3_PKS6_PS6_S6_ZZZN2at6native31launch_logcumsumexp_cuda_kernelERKNSD_10TensorBaseESH_lENKUlvE_clEvENKUlvE4_clEvEUlS6_S6_E_S6_EEDaPvRmT3_T4_T5_mT6_P12ihipStream_tbENKUlT_T0_E_clISt17integral_constantIbLb1EESX_IbLb0EEEEDaST_SU_EUlST_E_NS1_11comp_targetILNS1_3genE8ELNS1_11target_archE1030ELNS1_3gpuE2ELNS1_3repE0EEENS1_30default_config_static_selectorELNS0_4arch9wavefront6targetE1EEEvT1_.uses_vcc, 0
	.set _ZN7rocprim17ROCPRIM_400000_NS6detail17trampoline_kernelINS0_14default_configENS1_20scan_config_selectorIN3c108BFloat16EEEZZNS1_9scan_implILNS1_25lookback_scan_determinismE0ELb0ELb0ES3_PKS6_PS6_S6_ZZZN2at6native31launch_logcumsumexp_cuda_kernelERKNSD_10TensorBaseESH_lENKUlvE_clEvENKUlvE4_clEvEUlS6_S6_E_S6_EEDaPvRmT3_T4_T5_mT6_P12ihipStream_tbENKUlT_T0_E_clISt17integral_constantIbLb1EESX_IbLb0EEEEDaST_SU_EUlST_E_NS1_11comp_targetILNS1_3genE8ELNS1_11target_archE1030ELNS1_3gpuE2ELNS1_3repE0EEENS1_30default_config_static_selectorELNS0_4arch9wavefront6targetE1EEEvT1_.uses_flat_scratch, 0
	.set _ZN7rocprim17ROCPRIM_400000_NS6detail17trampoline_kernelINS0_14default_configENS1_20scan_config_selectorIN3c108BFloat16EEEZZNS1_9scan_implILNS1_25lookback_scan_determinismE0ELb0ELb0ES3_PKS6_PS6_S6_ZZZN2at6native31launch_logcumsumexp_cuda_kernelERKNSD_10TensorBaseESH_lENKUlvE_clEvENKUlvE4_clEvEUlS6_S6_E_S6_EEDaPvRmT3_T4_T5_mT6_P12ihipStream_tbENKUlT_T0_E_clISt17integral_constantIbLb1EESX_IbLb0EEEEDaST_SU_EUlST_E_NS1_11comp_targetILNS1_3genE8ELNS1_11target_archE1030ELNS1_3gpuE2ELNS1_3repE0EEENS1_30default_config_static_selectorELNS0_4arch9wavefront6targetE1EEEvT1_.has_dyn_sized_stack, 0
	.set _ZN7rocprim17ROCPRIM_400000_NS6detail17trampoline_kernelINS0_14default_configENS1_20scan_config_selectorIN3c108BFloat16EEEZZNS1_9scan_implILNS1_25lookback_scan_determinismE0ELb0ELb0ES3_PKS6_PS6_S6_ZZZN2at6native31launch_logcumsumexp_cuda_kernelERKNSD_10TensorBaseESH_lENKUlvE_clEvENKUlvE4_clEvEUlS6_S6_E_S6_EEDaPvRmT3_T4_T5_mT6_P12ihipStream_tbENKUlT_T0_E_clISt17integral_constantIbLb1EESX_IbLb0EEEEDaST_SU_EUlST_E_NS1_11comp_targetILNS1_3genE8ELNS1_11target_archE1030ELNS1_3gpuE2ELNS1_3repE0EEENS1_30default_config_static_selectorELNS0_4arch9wavefront6targetE1EEEvT1_.has_recursion, 0
	.set _ZN7rocprim17ROCPRIM_400000_NS6detail17trampoline_kernelINS0_14default_configENS1_20scan_config_selectorIN3c108BFloat16EEEZZNS1_9scan_implILNS1_25lookback_scan_determinismE0ELb0ELb0ES3_PKS6_PS6_S6_ZZZN2at6native31launch_logcumsumexp_cuda_kernelERKNSD_10TensorBaseESH_lENKUlvE_clEvENKUlvE4_clEvEUlS6_S6_E_S6_EEDaPvRmT3_T4_T5_mT6_P12ihipStream_tbENKUlT_T0_E_clISt17integral_constantIbLb1EESX_IbLb0EEEEDaST_SU_EUlST_E_NS1_11comp_targetILNS1_3genE8ELNS1_11target_archE1030ELNS1_3gpuE2ELNS1_3repE0EEENS1_30default_config_static_selectorELNS0_4arch9wavefront6targetE1EEEvT1_.has_indirect_call, 0
	.section	.AMDGPU.csdata,"",@progbits
; Kernel info:
; codeLenInByte = 0
; TotalNumSgprs: 4
; NumVgprs: 0
; ScratchSize: 0
; MemoryBound: 0
; FloatMode: 240
; IeeeMode: 1
; LDSByteSize: 0 bytes/workgroup (compile time only)
; SGPRBlocks: 0
; VGPRBlocks: 0
; NumSGPRsForWavesPerEU: 4
; NumVGPRsForWavesPerEU: 1
; Occupancy: 10
; WaveLimiterHint : 0
; COMPUTE_PGM_RSRC2:SCRATCH_EN: 0
; COMPUTE_PGM_RSRC2:USER_SGPR: 6
; COMPUTE_PGM_RSRC2:TRAP_HANDLER: 0
; COMPUTE_PGM_RSRC2:TGID_X_EN: 1
; COMPUTE_PGM_RSRC2:TGID_Y_EN: 0
; COMPUTE_PGM_RSRC2:TGID_Z_EN: 0
; COMPUTE_PGM_RSRC2:TIDIG_COMP_CNT: 0
	.section	.text._ZN7rocprim17ROCPRIM_400000_NS6detail17trampoline_kernelINS0_14default_configENS1_20scan_config_selectorIN3c108BFloat16EEEZZNS1_9scan_implILNS1_25lookback_scan_determinismE0ELb0ELb0ES3_PKS6_PS6_S6_ZZZN2at6native31launch_logcumsumexp_cuda_kernelERKNSD_10TensorBaseESH_lENKUlvE_clEvENKUlvE4_clEvEUlS6_S6_E_S6_EEDaPvRmT3_T4_T5_mT6_P12ihipStream_tbENKUlT_T0_E_clISt17integral_constantIbLb1EESX_IbLb0EEEEDaST_SU_EUlST_E0_NS1_11comp_targetILNS1_3genE0ELNS1_11target_archE4294967295ELNS1_3gpuE0ELNS1_3repE0EEENS1_30default_config_static_selectorELNS0_4arch9wavefront6targetE1EEEvT1_,"axG",@progbits,_ZN7rocprim17ROCPRIM_400000_NS6detail17trampoline_kernelINS0_14default_configENS1_20scan_config_selectorIN3c108BFloat16EEEZZNS1_9scan_implILNS1_25lookback_scan_determinismE0ELb0ELb0ES3_PKS6_PS6_S6_ZZZN2at6native31launch_logcumsumexp_cuda_kernelERKNSD_10TensorBaseESH_lENKUlvE_clEvENKUlvE4_clEvEUlS6_S6_E_S6_EEDaPvRmT3_T4_T5_mT6_P12ihipStream_tbENKUlT_T0_E_clISt17integral_constantIbLb1EESX_IbLb0EEEEDaST_SU_EUlST_E0_NS1_11comp_targetILNS1_3genE0ELNS1_11target_archE4294967295ELNS1_3gpuE0ELNS1_3repE0EEENS1_30default_config_static_selectorELNS0_4arch9wavefront6targetE1EEEvT1_,comdat
	.globl	_ZN7rocprim17ROCPRIM_400000_NS6detail17trampoline_kernelINS0_14default_configENS1_20scan_config_selectorIN3c108BFloat16EEEZZNS1_9scan_implILNS1_25lookback_scan_determinismE0ELb0ELb0ES3_PKS6_PS6_S6_ZZZN2at6native31launch_logcumsumexp_cuda_kernelERKNSD_10TensorBaseESH_lENKUlvE_clEvENKUlvE4_clEvEUlS6_S6_E_S6_EEDaPvRmT3_T4_T5_mT6_P12ihipStream_tbENKUlT_T0_E_clISt17integral_constantIbLb1EESX_IbLb0EEEEDaST_SU_EUlST_E0_NS1_11comp_targetILNS1_3genE0ELNS1_11target_archE4294967295ELNS1_3gpuE0ELNS1_3repE0EEENS1_30default_config_static_selectorELNS0_4arch9wavefront6targetE1EEEvT1_ ; -- Begin function _ZN7rocprim17ROCPRIM_400000_NS6detail17trampoline_kernelINS0_14default_configENS1_20scan_config_selectorIN3c108BFloat16EEEZZNS1_9scan_implILNS1_25lookback_scan_determinismE0ELb0ELb0ES3_PKS6_PS6_S6_ZZZN2at6native31launch_logcumsumexp_cuda_kernelERKNSD_10TensorBaseESH_lENKUlvE_clEvENKUlvE4_clEvEUlS6_S6_E_S6_EEDaPvRmT3_T4_T5_mT6_P12ihipStream_tbENKUlT_T0_E_clISt17integral_constantIbLb1EESX_IbLb0EEEEDaST_SU_EUlST_E0_NS1_11comp_targetILNS1_3genE0ELNS1_11target_archE4294967295ELNS1_3gpuE0ELNS1_3repE0EEENS1_30default_config_static_selectorELNS0_4arch9wavefront6targetE1EEEvT1_
	.p2align	8
	.type	_ZN7rocprim17ROCPRIM_400000_NS6detail17trampoline_kernelINS0_14default_configENS1_20scan_config_selectorIN3c108BFloat16EEEZZNS1_9scan_implILNS1_25lookback_scan_determinismE0ELb0ELb0ES3_PKS6_PS6_S6_ZZZN2at6native31launch_logcumsumexp_cuda_kernelERKNSD_10TensorBaseESH_lENKUlvE_clEvENKUlvE4_clEvEUlS6_S6_E_S6_EEDaPvRmT3_T4_T5_mT6_P12ihipStream_tbENKUlT_T0_E_clISt17integral_constantIbLb1EESX_IbLb0EEEEDaST_SU_EUlST_E0_NS1_11comp_targetILNS1_3genE0ELNS1_11target_archE4294967295ELNS1_3gpuE0ELNS1_3repE0EEENS1_30default_config_static_selectorELNS0_4arch9wavefront6targetE1EEEvT1_,@function
_ZN7rocprim17ROCPRIM_400000_NS6detail17trampoline_kernelINS0_14default_configENS1_20scan_config_selectorIN3c108BFloat16EEEZZNS1_9scan_implILNS1_25lookback_scan_determinismE0ELb0ELb0ES3_PKS6_PS6_S6_ZZZN2at6native31launch_logcumsumexp_cuda_kernelERKNSD_10TensorBaseESH_lENKUlvE_clEvENKUlvE4_clEvEUlS6_S6_E_S6_EEDaPvRmT3_T4_T5_mT6_P12ihipStream_tbENKUlT_T0_E_clISt17integral_constantIbLb1EESX_IbLb0EEEEDaST_SU_EUlST_E0_NS1_11comp_targetILNS1_3genE0ELNS1_11target_archE4294967295ELNS1_3gpuE0ELNS1_3repE0EEENS1_30default_config_static_selectorELNS0_4arch9wavefront6targetE1EEEvT1_: ; @_ZN7rocprim17ROCPRIM_400000_NS6detail17trampoline_kernelINS0_14default_configENS1_20scan_config_selectorIN3c108BFloat16EEEZZNS1_9scan_implILNS1_25lookback_scan_determinismE0ELb0ELb0ES3_PKS6_PS6_S6_ZZZN2at6native31launch_logcumsumexp_cuda_kernelERKNSD_10TensorBaseESH_lENKUlvE_clEvENKUlvE4_clEvEUlS6_S6_E_S6_EEDaPvRmT3_T4_T5_mT6_P12ihipStream_tbENKUlT_T0_E_clISt17integral_constantIbLb1EESX_IbLb0EEEEDaST_SU_EUlST_E0_NS1_11comp_targetILNS1_3genE0ELNS1_11target_archE4294967295ELNS1_3gpuE0ELNS1_3repE0EEENS1_30default_config_static_selectorELNS0_4arch9wavefront6targetE1EEEvT1_
; %bb.0:
	.section	.rodata,"a",@progbits
	.p2align	6, 0x0
	.amdhsa_kernel _ZN7rocprim17ROCPRIM_400000_NS6detail17trampoline_kernelINS0_14default_configENS1_20scan_config_selectorIN3c108BFloat16EEEZZNS1_9scan_implILNS1_25lookback_scan_determinismE0ELb0ELb0ES3_PKS6_PS6_S6_ZZZN2at6native31launch_logcumsumexp_cuda_kernelERKNSD_10TensorBaseESH_lENKUlvE_clEvENKUlvE4_clEvEUlS6_S6_E_S6_EEDaPvRmT3_T4_T5_mT6_P12ihipStream_tbENKUlT_T0_E_clISt17integral_constantIbLb1EESX_IbLb0EEEEDaST_SU_EUlST_E0_NS1_11comp_targetILNS1_3genE0ELNS1_11target_archE4294967295ELNS1_3gpuE0ELNS1_3repE0EEENS1_30default_config_static_selectorELNS0_4arch9wavefront6targetE1EEEvT1_
		.amdhsa_group_segment_fixed_size 0
		.amdhsa_private_segment_fixed_size 0
		.amdhsa_kernarg_size 32
		.amdhsa_user_sgpr_count 6
		.amdhsa_user_sgpr_private_segment_buffer 1
		.amdhsa_user_sgpr_dispatch_ptr 0
		.amdhsa_user_sgpr_queue_ptr 0
		.amdhsa_user_sgpr_kernarg_segment_ptr 1
		.amdhsa_user_sgpr_dispatch_id 0
		.amdhsa_user_sgpr_flat_scratch_init 0
		.amdhsa_user_sgpr_private_segment_size 0
		.amdhsa_uses_dynamic_stack 0
		.amdhsa_system_sgpr_private_segment_wavefront_offset 0
		.amdhsa_system_sgpr_workgroup_id_x 1
		.amdhsa_system_sgpr_workgroup_id_y 0
		.amdhsa_system_sgpr_workgroup_id_z 0
		.amdhsa_system_sgpr_workgroup_info 0
		.amdhsa_system_vgpr_workitem_id 0
		.amdhsa_next_free_vgpr 1
		.amdhsa_next_free_sgpr 0
		.amdhsa_reserve_vcc 0
		.amdhsa_reserve_flat_scratch 0
		.amdhsa_float_round_mode_32 0
		.amdhsa_float_round_mode_16_64 0
		.amdhsa_float_denorm_mode_32 3
		.amdhsa_float_denorm_mode_16_64 3
		.amdhsa_dx10_clamp 1
		.amdhsa_ieee_mode 1
		.amdhsa_fp16_overflow 0
		.amdhsa_exception_fp_ieee_invalid_op 0
		.amdhsa_exception_fp_denorm_src 0
		.amdhsa_exception_fp_ieee_div_zero 0
		.amdhsa_exception_fp_ieee_overflow 0
		.amdhsa_exception_fp_ieee_underflow 0
		.amdhsa_exception_fp_ieee_inexact 0
		.amdhsa_exception_int_div_zero 0
	.end_amdhsa_kernel
	.section	.text._ZN7rocprim17ROCPRIM_400000_NS6detail17trampoline_kernelINS0_14default_configENS1_20scan_config_selectorIN3c108BFloat16EEEZZNS1_9scan_implILNS1_25lookback_scan_determinismE0ELb0ELb0ES3_PKS6_PS6_S6_ZZZN2at6native31launch_logcumsumexp_cuda_kernelERKNSD_10TensorBaseESH_lENKUlvE_clEvENKUlvE4_clEvEUlS6_S6_E_S6_EEDaPvRmT3_T4_T5_mT6_P12ihipStream_tbENKUlT_T0_E_clISt17integral_constantIbLb1EESX_IbLb0EEEEDaST_SU_EUlST_E0_NS1_11comp_targetILNS1_3genE0ELNS1_11target_archE4294967295ELNS1_3gpuE0ELNS1_3repE0EEENS1_30default_config_static_selectorELNS0_4arch9wavefront6targetE1EEEvT1_,"axG",@progbits,_ZN7rocprim17ROCPRIM_400000_NS6detail17trampoline_kernelINS0_14default_configENS1_20scan_config_selectorIN3c108BFloat16EEEZZNS1_9scan_implILNS1_25lookback_scan_determinismE0ELb0ELb0ES3_PKS6_PS6_S6_ZZZN2at6native31launch_logcumsumexp_cuda_kernelERKNSD_10TensorBaseESH_lENKUlvE_clEvENKUlvE4_clEvEUlS6_S6_E_S6_EEDaPvRmT3_T4_T5_mT6_P12ihipStream_tbENKUlT_T0_E_clISt17integral_constantIbLb1EESX_IbLb0EEEEDaST_SU_EUlST_E0_NS1_11comp_targetILNS1_3genE0ELNS1_11target_archE4294967295ELNS1_3gpuE0ELNS1_3repE0EEENS1_30default_config_static_selectorELNS0_4arch9wavefront6targetE1EEEvT1_,comdat
.Lfunc_end493:
	.size	_ZN7rocprim17ROCPRIM_400000_NS6detail17trampoline_kernelINS0_14default_configENS1_20scan_config_selectorIN3c108BFloat16EEEZZNS1_9scan_implILNS1_25lookback_scan_determinismE0ELb0ELb0ES3_PKS6_PS6_S6_ZZZN2at6native31launch_logcumsumexp_cuda_kernelERKNSD_10TensorBaseESH_lENKUlvE_clEvENKUlvE4_clEvEUlS6_S6_E_S6_EEDaPvRmT3_T4_T5_mT6_P12ihipStream_tbENKUlT_T0_E_clISt17integral_constantIbLb1EESX_IbLb0EEEEDaST_SU_EUlST_E0_NS1_11comp_targetILNS1_3genE0ELNS1_11target_archE4294967295ELNS1_3gpuE0ELNS1_3repE0EEENS1_30default_config_static_selectorELNS0_4arch9wavefront6targetE1EEEvT1_, .Lfunc_end493-_ZN7rocprim17ROCPRIM_400000_NS6detail17trampoline_kernelINS0_14default_configENS1_20scan_config_selectorIN3c108BFloat16EEEZZNS1_9scan_implILNS1_25lookback_scan_determinismE0ELb0ELb0ES3_PKS6_PS6_S6_ZZZN2at6native31launch_logcumsumexp_cuda_kernelERKNSD_10TensorBaseESH_lENKUlvE_clEvENKUlvE4_clEvEUlS6_S6_E_S6_EEDaPvRmT3_T4_T5_mT6_P12ihipStream_tbENKUlT_T0_E_clISt17integral_constantIbLb1EESX_IbLb0EEEEDaST_SU_EUlST_E0_NS1_11comp_targetILNS1_3genE0ELNS1_11target_archE4294967295ELNS1_3gpuE0ELNS1_3repE0EEENS1_30default_config_static_selectorELNS0_4arch9wavefront6targetE1EEEvT1_
                                        ; -- End function
	.set _ZN7rocprim17ROCPRIM_400000_NS6detail17trampoline_kernelINS0_14default_configENS1_20scan_config_selectorIN3c108BFloat16EEEZZNS1_9scan_implILNS1_25lookback_scan_determinismE0ELb0ELb0ES3_PKS6_PS6_S6_ZZZN2at6native31launch_logcumsumexp_cuda_kernelERKNSD_10TensorBaseESH_lENKUlvE_clEvENKUlvE4_clEvEUlS6_S6_E_S6_EEDaPvRmT3_T4_T5_mT6_P12ihipStream_tbENKUlT_T0_E_clISt17integral_constantIbLb1EESX_IbLb0EEEEDaST_SU_EUlST_E0_NS1_11comp_targetILNS1_3genE0ELNS1_11target_archE4294967295ELNS1_3gpuE0ELNS1_3repE0EEENS1_30default_config_static_selectorELNS0_4arch9wavefront6targetE1EEEvT1_.num_vgpr, 0
	.set _ZN7rocprim17ROCPRIM_400000_NS6detail17trampoline_kernelINS0_14default_configENS1_20scan_config_selectorIN3c108BFloat16EEEZZNS1_9scan_implILNS1_25lookback_scan_determinismE0ELb0ELb0ES3_PKS6_PS6_S6_ZZZN2at6native31launch_logcumsumexp_cuda_kernelERKNSD_10TensorBaseESH_lENKUlvE_clEvENKUlvE4_clEvEUlS6_S6_E_S6_EEDaPvRmT3_T4_T5_mT6_P12ihipStream_tbENKUlT_T0_E_clISt17integral_constantIbLb1EESX_IbLb0EEEEDaST_SU_EUlST_E0_NS1_11comp_targetILNS1_3genE0ELNS1_11target_archE4294967295ELNS1_3gpuE0ELNS1_3repE0EEENS1_30default_config_static_selectorELNS0_4arch9wavefront6targetE1EEEvT1_.num_agpr, 0
	.set _ZN7rocprim17ROCPRIM_400000_NS6detail17trampoline_kernelINS0_14default_configENS1_20scan_config_selectorIN3c108BFloat16EEEZZNS1_9scan_implILNS1_25lookback_scan_determinismE0ELb0ELb0ES3_PKS6_PS6_S6_ZZZN2at6native31launch_logcumsumexp_cuda_kernelERKNSD_10TensorBaseESH_lENKUlvE_clEvENKUlvE4_clEvEUlS6_S6_E_S6_EEDaPvRmT3_T4_T5_mT6_P12ihipStream_tbENKUlT_T0_E_clISt17integral_constantIbLb1EESX_IbLb0EEEEDaST_SU_EUlST_E0_NS1_11comp_targetILNS1_3genE0ELNS1_11target_archE4294967295ELNS1_3gpuE0ELNS1_3repE0EEENS1_30default_config_static_selectorELNS0_4arch9wavefront6targetE1EEEvT1_.numbered_sgpr, 0
	.set _ZN7rocprim17ROCPRIM_400000_NS6detail17trampoline_kernelINS0_14default_configENS1_20scan_config_selectorIN3c108BFloat16EEEZZNS1_9scan_implILNS1_25lookback_scan_determinismE0ELb0ELb0ES3_PKS6_PS6_S6_ZZZN2at6native31launch_logcumsumexp_cuda_kernelERKNSD_10TensorBaseESH_lENKUlvE_clEvENKUlvE4_clEvEUlS6_S6_E_S6_EEDaPvRmT3_T4_T5_mT6_P12ihipStream_tbENKUlT_T0_E_clISt17integral_constantIbLb1EESX_IbLb0EEEEDaST_SU_EUlST_E0_NS1_11comp_targetILNS1_3genE0ELNS1_11target_archE4294967295ELNS1_3gpuE0ELNS1_3repE0EEENS1_30default_config_static_selectorELNS0_4arch9wavefront6targetE1EEEvT1_.num_named_barrier, 0
	.set _ZN7rocprim17ROCPRIM_400000_NS6detail17trampoline_kernelINS0_14default_configENS1_20scan_config_selectorIN3c108BFloat16EEEZZNS1_9scan_implILNS1_25lookback_scan_determinismE0ELb0ELb0ES3_PKS6_PS6_S6_ZZZN2at6native31launch_logcumsumexp_cuda_kernelERKNSD_10TensorBaseESH_lENKUlvE_clEvENKUlvE4_clEvEUlS6_S6_E_S6_EEDaPvRmT3_T4_T5_mT6_P12ihipStream_tbENKUlT_T0_E_clISt17integral_constantIbLb1EESX_IbLb0EEEEDaST_SU_EUlST_E0_NS1_11comp_targetILNS1_3genE0ELNS1_11target_archE4294967295ELNS1_3gpuE0ELNS1_3repE0EEENS1_30default_config_static_selectorELNS0_4arch9wavefront6targetE1EEEvT1_.private_seg_size, 0
	.set _ZN7rocprim17ROCPRIM_400000_NS6detail17trampoline_kernelINS0_14default_configENS1_20scan_config_selectorIN3c108BFloat16EEEZZNS1_9scan_implILNS1_25lookback_scan_determinismE0ELb0ELb0ES3_PKS6_PS6_S6_ZZZN2at6native31launch_logcumsumexp_cuda_kernelERKNSD_10TensorBaseESH_lENKUlvE_clEvENKUlvE4_clEvEUlS6_S6_E_S6_EEDaPvRmT3_T4_T5_mT6_P12ihipStream_tbENKUlT_T0_E_clISt17integral_constantIbLb1EESX_IbLb0EEEEDaST_SU_EUlST_E0_NS1_11comp_targetILNS1_3genE0ELNS1_11target_archE4294967295ELNS1_3gpuE0ELNS1_3repE0EEENS1_30default_config_static_selectorELNS0_4arch9wavefront6targetE1EEEvT1_.uses_vcc, 0
	.set _ZN7rocprim17ROCPRIM_400000_NS6detail17trampoline_kernelINS0_14default_configENS1_20scan_config_selectorIN3c108BFloat16EEEZZNS1_9scan_implILNS1_25lookback_scan_determinismE0ELb0ELb0ES3_PKS6_PS6_S6_ZZZN2at6native31launch_logcumsumexp_cuda_kernelERKNSD_10TensorBaseESH_lENKUlvE_clEvENKUlvE4_clEvEUlS6_S6_E_S6_EEDaPvRmT3_T4_T5_mT6_P12ihipStream_tbENKUlT_T0_E_clISt17integral_constantIbLb1EESX_IbLb0EEEEDaST_SU_EUlST_E0_NS1_11comp_targetILNS1_3genE0ELNS1_11target_archE4294967295ELNS1_3gpuE0ELNS1_3repE0EEENS1_30default_config_static_selectorELNS0_4arch9wavefront6targetE1EEEvT1_.uses_flat_scratch, 0
	.set _ZN7rocprim17ROCPRIM_400000_NS6detail17trampoline_kernelINS0_14default_configENS1_20scan_config_selectorIN3c108BFloat16EEEZZNS1_9scan_implILNS1_25lookback_scan_determinismE0ELb0ELb0ES3_PKS6_PS6_S6_ZZZN2at6native31launch_logcumsumexp_cuda_kernelERKNSD_10TensorBaseESH_lENKUlvE_clEvENKUlvE4_clEvEUlS6_S6_E_S6_EEDaPvRmT3_T4_T5_mT6_P12ihipStream_tbENKUlT_T0_E_clISt17integral_constantIbLb1EESX_IbLb0EEEEDaST_SU_EUlST_E0_NS1_11comp_targetILNS1_3genE0ELNS1_11target_archE4294967295ELNS1_3gpuE0ELNS1_3repE0EEENS1_30default_config_static_selectorELNS0_4arch9wavefront6targetE1EEEvT1_.has_dyn_sized_stack, 0
	.set _ZN7rocprim17ROCPRIM_400000_NS6detail17trampoline_kernelINS0_14default_configENS1_20scan_config_selectorIN3c108BFloat16EEEZZNS1_9scan_implILNS1_25lookback_scan_determinismE0ELb0ELb0ES3_PKS6_PS6_S6_ZZZN2at6native31launch_logcumsumexp_cuda_kernelERKNSD_10TensorBaseESH_lENKUlvE_clEvENKUlvE4_clEvEUlS6_S6_E_S6_EEDaPvRmT3_T4_T5_mT6_P12ihipStream_tbENKUlT_T0_E_clISt17integral_constantIbLb1EESX_IbLb0EEEEDaST_SU_EUlST_E0_NS1_11comp_targetILNS1_3genE0ELNS1_11target_archE4294967295ELNS1_3gpuE0ELNS1_3repE0EEENS1_30default_config_static_selectorELNS0_4arch9wavefront6targetE1EEEvT1_.has_recursion, 0
	.set _ZN7rocprim17ROCPRIM_400000_NS6detail17trampoline_kernelINS0_14default_configENS1_20scan_config_selectorIN3c108BFloat16EEEZZNS1_9scan_implILNS1_25lookback_scan_determinismE0ELb0ELb0ES3_PKS6_PS6_S6_ZZZN2at6native31launch_logcumsumexp_cuda_kernelERKNSD_10TensorBaseESH_lENKUlvE_clEvENKUlvE4_clEvEUlS6_S6_E_S6_EEDaPvRmT3_T4_T5_mT6_P12ihipStream_tbENKUlT_T0_E_clISt17integral_constantIbLb1EESX_IbLb0EEEEDaST_SU_EUlST_E0_NS1_11comp_targetILNS1_3genE0ELNS1_11target_archE4294967295ELNS1_3gpuE0ELNS1_3repE0EEENS1_30default_config_static_selectorELNS0_4arch9wavefront6targetE1EEEvT1_.has_indirect_call, 0
	.section	.AMDGPU.csdata,"",@progbits
; Kernel info:
; codeLenInByte = 0
; TotalNumSgprs: 4
; NumVgprs: 0
; ScratchSize: 0
; MemoryBound: 0
; FloatMode: 240
; IeeeMode: 1
; LDSByteSize: 0 bytes/workgroup (compile time only)
; SGPRBlocks: 0
; VGPRBlocks: 0
; NumSGPRsForWavesPerEU: 4
; NumVGPRsForWavesPerEU: 1
; Occupancy: 10
; WaveLimiterHint : 0
; COMPUTE_PGM_RSRC2:SCRATCH_EN: 0
; COMPUTE_PGM_RSRC2:USER_SGPR: 6
; COMPUTE_PGM_RSRC2:TRAP_HANDLER: 0
; COMPUTE_PGM_RSRC2:TGID_X_EN: 1
; COMPUTE_PGM_RSRC2:TGID_Y_EN: 0
; COMPUTE_PGM_RSRC2:TGID_Z_EN: 0
; COMPUTE_PGM_RSRC2:TIDIG_COMP_CNT: 0
	.section	.text._ZN7rocprim17ROCPRIM_400000_NS6detail17trampoline_kernelINS0_14default_configENS1_20scan_config_selectorIN3c108BFloat16EEEZZNS1_9scan_implILNS1_25lookback_scan_determinismE0ELb0ELb0ES3_PKS6_PS6_S6_ZZZN2at6native31launch_logcumsumexp_cuda_kernelERKNSD_10TensorBaseESH_lENKUlvE_clEvENKUlvE4_clEvEUlS6_S6_E_S6_EEDaPvRmT3_T4_T5_mT6_P12ihipStream_tbENKUlT_T0_E_clISt17integral_constantIbLb1EESX_IbLb0EEEEDaST_SU_EUlST_E0_NS1_11comp_targetILNS1_3genE5ELNS1_11target_archE942ELNS1_3gpuE9ELNS1_3repE0EEENS1_30default_config_static_selectorELNS0_4arch9wavefront6targetE1EEEvT1_,"axG",@progbits,_ZN7rocprim17ROCPRIM_400000_NS6detail17trampoline_kernelINS0_14default_configENS1_20scan_config_selectorIN3c108BFloat16EEEZZNS1_9scan_implILNS1_25lookback_scan_determinismE0ELb0ELb0ES3_PKS6_PS6_S6_ZZZN2at6native31launch_logcumsumexp_cuda_kernelERKNSD_10TensorBaseESH_lENKUlvE_clEvENKUlvE4_clEvEUlS6_S6_E_S6_EEDaPvRmT3_T4_T5_mT6_P12ihipStream_tbENKUlT_T0_E_clISt17integral_constantIbLb1EESX_IbLb0EEEEDaST_SU_EUlST_E0_NS1_11comp_targetILNS1_3genE5ELNS1_11target_archE942ELNS1_3gpuE9ELNS1_3repE0EEENS1_30default_config_static_selectorELNS0_4arch9wavefront6targetE1EEEvT1_,comdat
	.globl	_ZN7rocprim17ROCPRIM_400000_NS6detail17trampoline_kernelINS0_14default_configENS1_20scan_config_selectorIN3c108BFloat16EEEZZNS1_9scan_implILNS1_25lookback_scan_determinismE0ELb0ELb0ES3_PKS6_PS6_S6_ZZZN2at6native31launch_logcumsumexp_cuda_kernelERKNSD_10TensorBaseESH_lENKUlvE_clEvENKUlvE4_clEvEUlS6_S6_E_S6_EEDaPvRmT3_T4_T5_mT6_P12ihipStream_tbENKUlT_T0_E_clISt17integral_constantIbLb1EESX_IbLb0EEEEDaST_SU_EUlST_E0_NS1_11comp_targetILNS1_3genE5ELNS1_11target_archE942ELNS1_3gpuE9ELNS1_3repE0EEENS1_30default_config_static_selectorELNS0_4arch9wavefront6targetE1EEEvT1_ ; -- Begin function _ZN7rocprim17ROCPRIM_400000_NS6detail17trampoline_kernelINS0_14default_configENS1_20scan_config_selectorIN3c108BFloat16EEEZZNS1_9scan_implILNS1_25lookback_scan_determinismE0ELb0ELb0ES3_PKS6_PS6_S6_ZZZN2at6native31launch_logcumsumexp_cuda_kernelERKNSD_10TensorBaseESH_lENKUlvE_clEvENKUlvE4_clEvEUlS6_S6_E_S6_EEDaPvRmT3_T4_T5_mT6_P12ihipStream_tbENKUlT_T0_E_clISt17integral_constantIbLb1EESX_IbLb0EEEEDaST_SU_EUlST_E0_NS1_11comp_targetILNS1_3genE5ELNS1_11target_archE942ELNS1_3gpuE9ELNS1_3repE0EEENS1_30default_config_static_selectorELNS0_4arch9wavefront6targetE1EEEvT1_
	.p2align	8
	.type	_ZN7rocprim17ROCPRIM_400000_NS6detail17trampoline_kernelINS0_14default_configENS1_20scan_config_selectorIN3c108BFloat16EEEZZNS1_9scan_implILNS1_25lookback_scan_determinismE0ELb0ELb0ES3_PKS6_PS6_S6_ZZZN2at6native31launch_logcumsumexp_cuda_kernelERKNSD_10TensorBaseESH_lENKUlvE_clEvENKUlvE4_clEvEUlS6_S6_E_S6_EEDaPvRmT3_T4_T5_mT6_P12ihipStream_tbENKUlT_T0_E_clISt17integral_constantIbLb1EESX_IbLb0EEEEDaST_SU_EUlST_E0_NS1_11comp_targetILNS1_3genE5ELNS1_11target_archE942ELNS1_3gpuE9ELNS1_3repE0EEENS1_30default_config_static_selectorELNS0_4arch9wavefront6targetE1EEEvT1_,@function
_ZN7rocprim17ROCPRIM_400000_NS6detail17trampoline_kernelINS0_14default_configENS1_20scan_config_selectorIN3c108BFloat16EEEZZNS1_9scan_implILNS1_25lookback_scan_determinismE0ELb0ELb0ES3_PKS6_PS6_S6_ZZZN2at6native31launch_logcumsumexp_cuda_kernelERKNSD_10TensorBaseESH_lENKUlvE_clEvENKUlvE4_clEvEUlS6_S6_E_S6_EEDaPvRmT3_T4_T5_mT6_P12ihipStream_tbENKUlT_T0_E_clISt17integral_constantIbLb1EESX_IbLb0EEEEDaST_SU_EUlST_E0_NS1_11comp_targetILNS1_3genE5ELNS1_11target_archE942ELNS1_3gpuE9ELNS1_3repE0EEENS1_30default_config_static_selectorELNS0_4arch9wavefront6targetE1EEEvT1_: ; @_ZN7rocprim17ROCPRIM_400000_NS6detail17trampoline_kernelINS0_14default_configENS1_20scan_config_selectorIN3c108BFloat16EEEZZNS1_9scan_implILNS1_25lookback_scan_determinismE0ELb0ELb0ES3_PKS6_PS6_S6_ZZZN2at6native31launch_logcumsumexp_cuda_kernelERKNSD_10TensorBaseESH_lENKUlvE_clEvENKUlvE4_clEvEUlS6_S6_E_S6_EEDaPvRmT3_T4_T5_mT6_P12ihipStream_tbENKUlT_T0_E_clISt17integral_constantIbLb1EESX_IbLb0EEEEDaST_SU_EUlST_E0_NS1_11comp_targetILNS1_3genE5ELNS1_11target_archE942ELNS1_3gpuE9ELNS1_3repE0EEENS1_30default_config_static_selectorELNS0_4arch9wavefront6targetE1EEEvT1_
; %bb.0:
	.section	.rodata,"a",@progbits
	.p2align	6, 0x0
	.amdhsa_kernel _ZN7rocprim17ROCPRIM_400000_NS6detail17trampoline_kernelINS0_14default_configENS1_20scan_config_selectorIN3c108BFloat16EEEZZNS1_9scan_implILNS1_25lookback_scan_determinismE0ELb0ELb0ES3_PKS6_PS6_S6_ZZZN2at6native31launch_logcumsumexp_cuda_kernelERKNSD_10TensorBaseESH_lENKUlvE_clEvENKUlvE4_clEvEUlS6_S6_E_S6_EEDaPvRmT3_T4_T5_mT6_P12ihipStream_tbENKUlT_T0_E_clISt17integral_constantIbLb1EESX_IbLb0EEEEDaST_SU_EUlST_E0_NS1_11comp_targetILNS1_3genE5ELNS1_11target_archE942ELNS1_3gpuE9ELNS1_3repE0EEENS1_30default_config_static_selectorELNS0_4arch9wavefront6targetE1EEEvT1_
		.amdhsa_group_segment_fixed_size 0
		.amdhsa_private_segment_fixed_size 0
		.amdhsa_kernarg_size 32
		.amdhsa_user_sgpr_count 6
		.amdhsa_user_sgpr_private_segment_buffer 1
		.amdhsa_user_sgpr_dispatch_ptr 0
		.amdhsa_user_sgpr_queue_ptr 0
		.amdhsa_user_sgpr_kernarg_segment_ptr 1
		.amdhsa_user_sgpr_dispatch_id 0
		.amdhsa_user_sgpr_flat_scratch_init 0
		.amdhsa_user_sgpr_private_segment_size 0
		.amdhsa_uses_dynamic_stack 0
		.amdhsa_system_sgpr_private_segment_wavefront_offset 0
		.amdhsa_system_sgpr_workgroup_id_x 1
		.amdhsa_system_sgpr_workgroup_id_y 0
		.amdhsa_system_sgpr_workgroup_id_z 0
		.amdhsa_system_sgpr_workgroup_info 0
		.amdhsa_system_vgpr_workitem_id 0
		.amdhsa_next_free_vgpr 1
		.amdhsa_next_free_sgpr 0
		.amdhsa_reserve_vcc 0
		.amdhsa_reserve_flat_scratch 0
		.amdhsa_float_round_mode_32 0
		.amdhsa_float_round_mode_16_64 0
		.amdhsa_float_denorm_mode_32 3
		.amdhsa_float_denorm_mode_16_64 3
		.amdhsa_dx10_clamp 1
		.amdhsa_ieee_mode 1
		.amdhsa_fp16_overflow 0
		.amdhsa_exception_fp_ieee_invalid_op 0
		.amdhsa_exception_fp_denorm_src 0
		.amdhsa_exception_fp_ieee_div_zero 0
		.amdhsa_exception_fp_ieee_overflow 0
		.amdhsa_exception_fp_ieee_underflow 0
		.amdhsa_exception_fp_ieee_inexact 0
		.amdhsa_exception_int_div_zero 0
	.end_amdhsa_kernel
	.section	.text._ZN7rocprim17ROCPRIM_400000_NS6detail17trampoline_kernelINS0_14default_configENS1_20scan_config_selectorIN3c108BFloat16EEEZZNS1_9scan_implILNS1_25lookback_scan_determinismE0ELb0ELb0ES3_PKS6_PS6_S6_ZZZN2at6native31launch_logcumsumexp_cuda_kernelERKNSD_10TensorBaseESH_lENKUlvE_clEvENKUlvE4_clEvEUlS6_S6_E_S6_EEDaPvRmT3_T4_T5_mT6_P12ihipStream_tbENKUlT_T0_E_clISt17integral_constantIbLb1EESX_IbLb0EEEEDaST_SU_EUlST_E0_NS1_11comp_targetILNS1_3genE5ELNS1_11target_archE942ELNS1_3gpuE9ELNS1_3repE0EEENS1_30default_config_static_selectorELNS0_4arch9wavefront6targetE1EEEvT1_,"axG",@progbits,_ZN7rocprim17ROCPRIM_400000_NS6detail17trampoline_kernelINS0_14default_configENS1_20scan_config_selectorIN3c108BFloat16EEEZZNS1_9scan_implILNS1_25lookback_scan_determinismE0ELb0ELb0ES3_PKS6_PS6_S6_ZZZN2at6native31launch_logcumsumexp_cuda_kernelERKNSD_10TensorBaseESH_lENKUlvE_clEvENKUlvE4_clEvEUlS6_S6_E_S6_EEDaPvRmT3_T4_T5_mT6_P12ihipStream_tbENKUlT_T0_E_clISt17integral_constantIbLb1EESX_IbLb0EEEEDaST_SU_EUlST_E0_NS1_11comp_targetILNS1_3genE5ELNS1_11target_archE942ELNS1_3gpuE9ELNS1_3repE0EEENS1_30default_config_static_selectorELNS0_4arch9wavefront6targetE1EEEvT1_,comdat
.Lfunc_end494:
	.size	_ZN7rocprim17ROCPRIM_400000_NS6detail17trampoline_kernelINS0_14default_configENS1_20scan_config_selectorIN3c108BFloat16EEEZZNS1_9scan_implILNS1_25lookback_scan_determinismE0ELb0ELb0ES3_PKS6_PS6_S6_ZZZN2at6native31launch_logcumsumexp_cuda_kernelERKNSD_10TensorBaseESH_lENKUlvE_clEvENKUlvE4_clEvEUlS6_S6_E_S6_EEDaPvRmT3_T4_T5_mT6_P12ihipStream_tbENKUlT_T0_E_clISt17integral_constantIbLb1EESX_IbLb0EEEEDaST_SU_EUlST_E0_NS1_11comp_targetILNS1_3genE5ELNS1_11target_archE942ELNS1_3gpuE9ELNS1_3repE0EEENS1_30default_config_static_selectorELNS0_4arch9wavefront6targetE1EEEvT1_, .Lfunc_end494-_ZN7rocprim17ROCPRIM_400000_NS6detail17trampoline_kernelINS0_14default_configENS1_20scan_config_selectorIN3c108BFloat16EEEZZNS1_9scan_implILNS1_25lookback_scan_determinismE0ELb0ELb0ES3_PKS6_PS6_S6_ZZZN2at6native31launch_logcumsumexp_cuda_kernelERKNSD_10TensorBaseESH_lENKUlvE_clEvENKUlvE4_clEvEUlS6_S6_E_S6_EEDaPvRmT3_T4_T5_mT6_P12ihipStream_tbENKUlT_T0_E_clISt17integral_constantIbLb1EESX_IbLb0EEEEDaST_SU_EUlST_E0_NS1_11comp_targetILNS1_3genE5ELNS1_11target_archE942ELNS1_3gpuE9ELNS1_3repE0EEENS1_30default_config_static_selectorELNS0_4arch9wavefront6targetE1EEEvT1_
                                        ; -- End function
	.set _ZN7rocprim17ROCPRIM_400000_NS6detail17trampoline_kernelINS0_14default_configENS1_20scan_config_selectorIN3c108BFloat16EEEZZNS1_9scan_implILNS1_25lookback_scan_determinismE0ELb0ELb0ES3_PKS6_PS6_S6_ZZZN2at6native31launch_logcumsumexp_cuda_kernelERKNSD_10TensorBaseESH_lENKUlvE_clEvENKUlvE4_clEvEUlS6_S6_E_S6_EEDaPvRmT3_T4_T5_mT6_P12ihipStream_tbENKUlT_T0_E_clISt17integral_constantIbLb1EESX_IbLb0EEEEDaST_SU_EUlST_E0_NS1_11comp_targetILNS1_3genE5ELNS1_11target_archE942ELNS1_3gpuE9ELNS1_3repE0EEENS1_30default_config_static_selectorELNS0_4arch9wavefront6targetE1EEEvT1_.num_vgpr, 0
	.set _ZN7rocprim17ROCPRIM_400000_NS6detail17trampoline_kernelINS0_14default_configENS1_20scan_config_selectorIN3c108BFloat16EEEZZNS1_9scan_implILNS1_25lookback_scan_determinismE0ELb0ELb0ES3_PKS6_PS6_S6_ZZZN2at6native31launch_logcumsumexp_cuda_kernelERKNSD_10TensorBaseESH_lENKUlvE_clEvENKUlvE4_clEvEUlS6_S6_E_S6_EEDaPvRmT3_T4_T5_mT6_P12ihipStream_tbENKUlT_T0_E_clISt17integral_constantIbLb1EESX_IbLb0EEEEDaST_SU_EUlST_E0_NS1_11comp_targetILNS1_3genE5ELNS1_11target_archE942ELNS1_3gpuE9ELNS1_3repE0EEENS1_30default_config_static_selectorELNS0_4arch9wavefront6targetE1EEEvT1_.num_agpr, 0
	.set _ZN7rocprim17ROCPRIM_400000_NS6detail17trampoline_kernelINS0_14default_configENS1_20scan_config_selectorIN3c108BFloat16EEEZZNS1_9scan_implILNS1_25lookback_scan_determinismE0ELb0ELb0ES3_PKS6_PS6_S6_ZZZN2at6native31launch_logcumsumexp_cuda_kernelERKNSD_10TensorBaseESH_lENKUlvE_clEvENKUlvE4_clEvEUlS6_S6_E_S6_EEDaPvRmT3_T4_T5_mT6_P12ihipStream_tbENKUlT_T0_E_clISt17integral_constantIbLb1EESX_IbLb0EEEEDaST_SU_EUlST_E0_NS1_11comp_targetILNS1_3genE5ELNS1_11target_archE942ELNS1_3gpuE9ELNS1_3repE0EEENS1_30default_config_static_selectorELNS0_4arch9wavefront6targetE1EEEvT1_.numbered_sgpr, 0
	.set _ZN7rocprim17ROCPRIM_400000_NS6detail17trampoline_kernelINS0_14default_configENS1_20scan_config_selectorIN3c108BFloat16EEEZZNS1_9scan_implILNS1_25lookback_scan_determinismE0ELb0ELb0ES3_PKS6_PS6_S6_ZZZN2at6native31launch_logcumsumexp_cuda_kernelERKNSD_10TensorBaseESH_lENKUlvE_clEvENKUlvE4_clEvEUlS6_S6_E_S6_EEDaPvRmT3_T4_T5_mT6_P12ihipStream_tbENKUlT_T0_E_clISt17integral_constantIbLb1EESX_IbLb0EEEEDaST_SU_EUlST_E0_NS1_11comp_targetILNS1_3genE5ELNS1_11target_archE942ELNS1_3gpuE9ELNS1_3repE0EEENS1_30default_config_static_selectorELNS0_4arch9wavefront6targetE1EEEvT1_.num_named_barrier, 0
	.set _ZN7rocprim17ROCPRIM_400000_NS6detail17trampoline_kernelINS0_14default_configENS1_20scan_config_selectorIN3c108BFloat16EEEZZNS1_9scan_implILNS1_25lookback_scan_determinismE0ELb0ELb0ES3_PKS6_PS6_S6_ZZZN2at6native31launch_logcumsumexp_cuda_kernelERKNSD_10TensorBaseESH_lENKUlvE_clEvENKUlvE4_clEvEUlS6_S6_E_S6_EEDaPvRmT3_T4_T5_mT6_P12ihipStream_tbENKUlT_T0_E_clISt17integral_constantIbLb1EESX_IbLb0EEEEDaST_SU_EUlST_E0_NS1_11comp_targetILNS1_3genE5ELNS1_11target_archE942ELNS1_3gpuE9ELNS1_3repE0EEENS1_30default_config_static_selectorELNS0_4arch9wavefront6targetE1EEEvT1_.private_seg_size, 0
	.set _ZN7rocprim17ROCPRIM_400000_NS6detail17trampoline_kernelINS0_14default_configENS1_20scan_config_selectorIN3c108BFloat16EEEZZNS1_9scan_implILNS1_25lookback_scan_determinismE0ELb0ELb0ES3_PKS6_PS6_S6_ZZZN2at6native31launch_logcumsumexp_cuda_kernelERKNSD_10TensorBaseESH_lENKUlvE_clEvENKUlvE4_clEvEUlS6_S6_E_S6_EEDaPvRmT3_T4_T5_mT6_P12ihipStream_tbENKUlT_T0_E_clISt17integral_constantIbLb1EESX_IbLb0EEEEDaST_SU_EUlST_E0_NS1_11comp_targetILNS1_3genE5ELNS1_11target_archE942ELNS1_3gpuE9ELNS1_3repE0EEENS1_30default_config_static_selectorELNS0_4arch9wavefront6targetE1EEEvT1_.uses_vcc, 0
	.set _ZN7rocprim17ROCPRIM_400000_NS6detail17trampoline_kernelINS0_14default_configENS1_20scan_config_selectorIN3c108BFloat16EEEZZNS1_9scan_implILNS1_25lookback_scan_determinismE0ELb0ELb0ES3_PKS6_PS6_S6_ZZZN2at6native31launch_logcumsumexp_cuda_kernelERKNSD_10TensorBaseESH_lENKUlvE_clEvENKUlvE4_clEvEUlS6_S6_E_S6_EEDaPvRmT3_T4_T5_mT6_P12ihipStream_tbENKUlT_T0_E_clISt17integral_constantIbLb1EESX_IbLb0EEEEDaST_SU_EUlST_E0_NS1_11comp_targetILNS1_3genE5ELNS1_11target_archE942ELNS1_3gpuE9ELNS1_3repE0EEENS1_30default_config_static_selectorELNS0_4arch9wavefront6targetE1EEEvT1_.uses_flat_scratch, 0
	.set _ZN7rocprim17ROCPRIM_400000_NS6detail17trampoline_kernelINS0_14default_configENS1_20scan_config_selectorIN3c108BFloat16EEEZZNS1_9scan_implILNS1_25lookback_scan_determinismE0ELb0ELb0ES3_PKS6_PS6_S6_ZZZN2at6native31launch_logcumsumexp_cuda_kernelERKNSD_10TensorBaseESH_lENKUlvE_clEvENKUlvE4_clEvEUlS6_S6_E_S6_EEDaPvRmT3_T4_T5_mT6_P12ihipStream_tbENKUlT_T0_E_clISt17integral_constantIbLb1EESX_IbLb0EEEEDaST_SU_EUlST_E0_NS1_11comp_targetILNS1_3genE5ELNS1_11target_archE942ELNS1_3gpuE9ELNS1_3repE0EEENS1_30default_config_static_selectorELNS0_4arch9wavefront6targetE1EEEvT1_.has_dyn_sized_stack, 0
	.set _ZN7rocprim17ROCPRIM_400000_NS6detail17trampoline_kernelINS0_14default_configENS1_20scan_config_selectorIN3c108BFloat16EEEZZNS1_9scan_implILNS1_25lookback_scan_determinismE0ELb0ELb0ES3_PKS6_PS6_S6_ZZZN2at6native31launch_logcumsumexp_cuda_kernelERKNSD_10TensorBaseESH_lENKUlvE_clEvENKUlvE4_clEvEUlS6_S6_E_S6_EEDaPvRmT3_T4_T5_mT6_P12ihipStream_tbENKUlT_T0_E_clISt17integral_constantIbLb1EESX_IbLb0EEEEDaST_SU_EUlST_E0_NS1_11comp_targetILNS1_3genE5ELNS1_11target_archE942ELNS1_3gpuE9ELNS1_3repE0EEENS1_30default_config_static_selectorELNS0_4arch9wavefront6targetE1EEEvT1_.has_recursion, 0
	.set _ZN7rocprim17ROCPRIM_400000_NS6detail17trampoline_kernelINS0_14default_configENS1_20scan_config_selectorIN3c108BFloat16EEEZZNS1_9scan_implILNS1_25lookback_scan_determinismE0ELb0ELb0ES3_PKS6_PS6_S6_ZZZN2at6native31launch_logcumsumexp_cuda_kernelERKNSD_10TensorBaseESH_lENKUlvE_clEvENKUlvE4_clEvEUlS6_S6_E_S6_EEDaPvRmT3_T4_T5_mT6_P12ihipStream_tbENKUlT_T0_E_clISt17integral_constantIbLb1EESX_IbLb0EEEEDaST_SU_EUlST_E0_NS1_11comp_targetILNS1_3genE5ELNS1_11target_archE942ELNS1_3gpuE9ELNS1_3repE0EEENS1_30default_config_static_selectorELNS0_4arch9wavefront6targetE1EEEvT1_.has_indirect_call, 0
	.section	.AMDGPU.csdata,"",@progbits
; Kernel info:
; codeLenInByte = 0
; TotalNumSgprs: 4
; NumVgprs: 0
; ScratchSize: 0
; MemoryBound: 0
; FloatMode: 240
; IeeeMode: 1
; LDSByteSize: 0 bytes/workgroup (compile time only)
; SGPRBlocks: 0
; VGPRBlocks: 0
; NumSGPRsForWavesPerEU: 4
; NumVGPRsForWavesPerEU: 1
; Occupancy: 10
; WaveLimiterHint : 0
; COMPUTE_PGM_RSRC2:SCRATCH_EN: 0
; COMPUTE_PGM_RSRC2:USER_SGPR: 6
; COMPUTE_PGM_RSRC2:TRAP_HANDLER: 0
; COMPUTE_PGM_RSRC2:TGID_X_EN: 1
; COMPUTE_PGM_RSRC2:TGID_Y_EN: 0
; COMPUTE_PGM_RSRC2:TGID_Z_EN: 0
; COMPUTE_PGM_RSRC2:TIDIG_COMP_CNT: 0
	.section	.text._ZN7rocprim17ROCPRIM_400000_NS6detail17trampoline_kernelINS0_14default_configENS1_20scan_config_selectorIN3c108BFloat16EEEZZNS1_9scan_implILNS1_25lookback_scan_determinismE0ELb0ELb0ES3_PKS6_PS6_S6_ZZZN2at6native31launch_logcumsumexp_cuda_kernelERKNSD_10TensorBaseESH_lENKUlvE_clEvENKUlvE4_clEvEUlS6_S6_E_S6_EEDaPvRmT3_T4_T5_mT6_P12ihipStream_tbENKUlT_T0_E_clISt17integral_constantIbLb1EESX_IbLb0EEEEDaST_SU_EUlST_E0_NS1_11comp_targetILNS1_3genE4ELNS1_11target_archE910ELNS1_3gpuE8ELNS1_3repE0EEENS1_30default_config_static_selectorELNS0_4arch9wavefront6targetE1EEEvT1_,"axG",@progbits,_ZN7rocprim17ROCPRIM_400000_NS6detail17trampoline_kernelINS0_14default_configENS1_20scan_config_selectorIN3c108BFloat16EEEZZNS1_9scan_implILNS1_25lookback_scan_determinismE0ELb0ELb0ES3_PKS6_PS6_S6_ZZZN2at6native31launch_logcumsumexp_cuda_kernelERKNSD_10TensorBaseESH_lENKUlvE_clEvENKUlvE4_clEvEUlS6_S6_E_S6_EEDaPvRmT3_T4_T5_mT6_P12ihipStream_tbENKUlT_T0_E_clISt17integral_constantIbLb1EESX_IbLb0EEEEDaST_SU_EUlST_E0_NS1_11comp_targetILNS1_3genE4ELNS1_11target_archE910ELNS1_3gpuE8ELNS1_3repE0EEENS1_30default_config_static_selectorELNS0_4arch9wavefront6targetE1EEEvT1_,comdat
	.globl	_ZN7rocprim17ROCPRIM_400000_NS6detail17trampoline_kernelINS0_14default_configENS1_20scan_config_selectorIN3c108BFloat16EEEZZNS1_9scan_implILNS1_25lookback_scan_determinismE0ELb0ELb0ES3_PKS6_PS6_S6_ZZZN2at6native31launch_logcumsumexp_cuda_kernelERKNSD_10TensorBaseESH_lENKUlvE_clEvENKUlvE4_clEvEUlS6_S6_E_S6_EEDaPvRmT3_T4_T5_mT6_P12ihipStream_tbENKUlT_T0_E_clISt17integral_constantIbLb1EESX_IbLb0EEEEDaST_SU_EUlST_E0_NS1_11comp_targetILNS1_3genE4ELNS1_11target_archE910ELNS1_3gpuE8ELNS1_3repE0EEENS1_30default_config_static_selectorELNS0_4arch9wavefront6targetE1EEEvT1_ ; -- Begin function _ZN7rocprim17ROCPRIM_400000_NS6detail17trampoline_kernelINS0_14default_configENS1_20scan_config_selectorIN3c108BFloat16EEEZZNS1_9scan_implILNS1_25lookback_scan_determinismE0ELb0ELb0ES3_PKS6_PS6_S6_ZZZN2at6native31launch_logcumsumexp_cuda_kernelERKNSD_10TensorBaseESH_lENKUlvE_clEvENKUlvE4_clEvEUlS6_S6_E_S6_EEDaPvRmT3_T4_T5_mT6_P12ihipStream_tbENKUlT_T0_E_clISt17integral_constantIbLb1EESX_IbLb0EEEEDaST_SU_EUlST_E0_NS1_11comp_targetILNS1_3genE4ELNS1_11target_archE910ELNS1_3gpuE8ELNS1_3repE0EEENS1_30default_config_static_selectorELNS0_4arch9wavefront6targetE1EEEvT1_
	.p2align	8
	.type	_ZN7rocprim17ROCPRIM_400000_NS6detail17trampoline_kernelINS0_14default_configENS1_20scan_config_selectorIN3c108BFloat16EEEZZNS1_9scan_implILNS1_25lookback_scan_determinismE0ELb0ELb0ES3_PKS6_PS6_S6_ZZZN2at6native31launch_logcumsumexp_cuda_kernelERKNSD_10TensorBaseESH_lENKUlvE_clEvENKUlvE4_clEvEUlS6_S6_E_S6_EEDaPvRmT3_T4_T5_mT6_P12ihipStream_tbENKUlT_T0_E_clISt17integral_constantIbLb1EESX_IbLb0EEEEDaST_SU_EUlST_E0_NS1_11comp_targetILNS1_3genE4ELNS1_11target_archE910ELNS1_3gpuE8ELNS1_3repE0EEENS1_30default_config_static_selectorELNS0_4arch9wavefront6targetE1EEEvT1_,@function
_ZN7rocprim17ROCPRIM_400000_NS6detail17trampoline_kernelINS0_14default_configENS1_20scan_config_selectorIN3c108BFloat16EEEZZNS1_9scan_implILNS1_25lookback_scan_determinismE0ELb0ELb0ES3_PKS6_PS6_S6_ZZZN2at6native31launch_logcumsumexp_cuda_kernelERKNSD_10TensorBaseESH_lENKUlvE_clEvENKUlvE4_clEvEUlS6_S6_E_S6_EEDaPvRmT3_T4_T5_mT6_P12ihipStream_tbENKUlT_T0_E_clISt17integral_constantIbLb1EESX_IbLb0EEEEDaST_SU_EUlST_E0_NS1_11comp_targetILNS1_3genE4ELNS1_11target_archE910ELNS1_3gpuE8ELNS1_3repE0EEENS1_30default_config_static_selectorELNS0_4arch9wavefront6targetE1EEEvT1_: ; @_ZN7rocprim17ROCPRIM_400000_NS6detail17trampoline_kernelINS0_14default_configENS1_20scan_config_selectorIN3c108BFloat16EEEZZNS1_9scan_implILNS1_25lookback_scan_determinismE0ELb0ELb0ES3_PKS6_PS6_S6_ZZZN2at6native31launch_logcumsumexp_cuda_kernelERKNSD_10TensorBaseESH_lENKUlvE_clEvENKUlvE4_clEvEUlS6_S6_E_S6_EEDaPvRmT3_T4_T5_mT6_P12ihipStream_tbENKUlT_T0_E_clISt17integral_constantIbLb1EESX_IbLb0EEEEDaST_SU_EUlST_E0_NS1_11comp_targetILNS1_3genE4ELNS1_11target_archE910ELNS1_3gpuE8ELNS1_3repE0EEENS1_30default_config_static_selectorELNS0_4arch9wavefront6targetE1EEEvT1_
; %bb.0:
	.section	.rodata,"a",@progbits
	.p2align	6, 0x0
	.amdhsa_kernel _ZN7rocprim17ROCPRIM_400000_NS6detail17trampoline_kernelINS0_14default_configENS1_20scan_config_selectorIN3c108BFloat16EEEZZNS1_9scan_implILNS1_25lookback_scan_determinismE0ELb0ELb0ES3_PKS6_PS6_S6_ZZZN2at6native31launch_logcumsumexp_cuda_kernelERKNSD_10TensorBaseESH_lENKUlvE_clEvENKUlvE4_clEvEUlS6_S6_E_S6_EEDaPvRmT3_T4_T5_mT6_P12ihipStream_tbENKUlT_T0_E_clISt17integral_constantIbLb1EESX_IbLb0EEEEDaST_SU_EUlST_E0_NS1_11comp_targetILNS1_3genE4ELNS1_11target_archE910ELNS1_3gpuE8ELNS1_3repE0EEENS1_30default_config_static_selectorELNS0_4arch9wavefront6targetE1EEEvT1_
		.amdhsa_group_segment_fixed_size 0
		.amdhsa_private_segment_fixed_size 0
		.amdhsa_kernarg_size 32
		.amdhsa_user_sgpr_count 6
		.amdhsa_user_sgpr_private_segment_buffer 1
		.amdhsa_user_sgpr_dispatch_ptr 0
		.amdhsa_user_sgpr_queue_ptr 0
		.amdhsa_user_sgpr_kernarg_segment_ptr 1
		.amdhsa_user_sgpr_dispatch_id 0
		.amdhsa_user_sgpr_flat_scratch_init 0
		.amdhsa_user_sgpr_private_segment_size 0
		.amdhsa_uses_dynamic_stack 0
		.amdhsa_system_sgpr_private_segment_wavefront_offset 0
		.amdhsa_system_sgpr_workgroup_id_x 1
		.amdhsa_system_sgpr_workgroup_id_y 0
		.amdhsa_system_sgpr_workgroup_id_z 0
		.amdhsa_system_sgpr_workgroup_info 0
		.amdhsa_system_vgpr_workitem_id 0
		.amdhsa_next_free_vgpr 1
		.amdhsa_next_free_sgpr 0
		.amdhsa_reserve_vcc 0
		.amdhsa_reserve_flat_scratch 0
		.amdhsa_float_round_mode_32 0
		.amdhsa_float_round_mode_16_64 0
		.amdhsa_float_denorm_mode_32 3
		.amdhsa_float_denorm_mode_16_64 3
		.amdhsa_dx10_clamp 1
		.amdhsa_ieee_mode 1
		.amdhsa_fp16_overflow 0
		.amdhsa_exception_fp_ieee_invalid_op 0
		.amdhsa_exception_fp_denorm_src 0
		.amdhsa_exception_fp_ieee_div_zero 0
		.amdhsa_exception_fp_ieee_overflow 0
		.amdhsa_exception_fp_ieee_underflow 0
		.amdhsa_exception_fp_ieee_inexact 0
		.amdhsa_exception_int_div_zero 0
	.end_amdhsa_kernel
	.section	.text._ZN7rocprim17ROCPRIM_400000_NS6detail17trampoline_kernelINS0_14default_configENS1_20scan_config_selectorIN3c108BFloat16EEEZZNS1_9scan_implILNS1_25lookback_scan_determinismE0ELb0ELb0ES3_PKS6_PS6_S6_ZZZN2at6native31launch_logcumsumexp_cuda_kernelERKNSD_10TensorBaseESH_lENKUlvE_clEvENKUlvE4_clEvEUlS6_S6_E_S6_EEDaPvRmT3_T4_T5_mT6_P12ihipStream_tbENKUlT_T0_E_clISt17integral_constantIbLb1EESX_IbLb0EEEEDaST_SU_EUlST_E0_NS1_11comp_targetILNS1_3genE4ELNS1_11target_archE910ELNS1_3gpuE8ELNS1_3repE0EEENS1_30default_config_static_selectorELNS0_4arch9wavefront6targetE1EEEvT1_,"axG",@progbits,_ZN7rocprim17ROCPRIM_400000_NS6detail17trampoline_kernelINS0_14default_configENS1_20scan_config_selectorIN3c108BFloat16EEEZZNS1_9scan_implILNS1_25lookback_scan_determinismE0ELb0ELb0ES3_PKS6_PS6_S6_ZZZN2at6native31launch_logcumsumexp_cuda_kernelERKNSD_10TensorBaseESH_lENKUlvE_clEvENKUlvE4_clEvEUlS6_S6_E_S6_EEDaPvRmT3_T4_T5_mT6_P12ihipStream_tbENKUlT_T0_E_clISt17integral_constantIbLb1EESX_IbLb0EEEEDaST_SU_EUlST_E0_NS1_11comp_targetILNS1_3genE4ELNS1_11target_archE910ELNS1_3gpuE8ELNS1_3repE0EEENS1_30default_config_static_selectorELNS0_4arch9wavefront6targetE1EEEvT1_,comdat
.Lfunc_end495:
	.size	_ZN7rocprim17ROCPRIM_400000_NS6detail17trampoline_kernelINS0_14default_configENS1_20scan_config_selectorIN3c108BFloat16EEEZZNS1_9scan_implILNS1_25lookback_scan_determinismE0ELb0ELb0ES3_PKS6_PS6_S6_ZZZN2at6native31launch_logcumsumexp_cuda_kernelERKNSD_10TensorBaseESH_lENKUlvE_clEvENKUlvE4_clEvEUlS6_S6_E_S6_EEDaPvRmT3_T4_T5_mT6_P12ihipStream_tbENKUlT_T0_E_clISt17integral_constantIbLb1EESX_IbLb0EEEEDaST_SU_EUlST_E0_NS1_11comp_targetILNS1_3genE4ELNS1_11target_archE910ELNS1_3gpuE8ELNS1_3repE0EEENS1_30default_config_static_selectorELNS0_4arch9wavefront6targetE1EEEvT1_, .Lfunc_end495-_ZN7rocprim17ROCPRIM_400000_NS6detail17trampoline_kernelINS0_14default_configENS1_20scan_config_selectorIN3c108BFloat16EEEZZNS1_9scan_implILNS1_25lookback_scan_determinismE0ELb0ELb0ES3_PKS6_PS6_S6_ZZZN2at6native31launch_logcumsumexp_cuda_kernelERKNSD_10TensorBaseESH_lENKUlvE_clEvENKUlvE4_clEvEUlS6_S6_E_S6_EEDaPvRmT3_T4_T5_mT6_P12ihipStream_tbENKUlT_T0_E_clISt17integral_constantIbLb1EESX_IbLb0EEEEDaST_SU_EUlST_E0_NS1_11comp_targetILNS1_3genE4ELNS1_11target_archE910ELNS1_3gpuE8ELNS1_3repE0EEENS1_30default_config_static_selectorELNS0_4arch9wavefront6targetE1EEEvT1_
                                        ; -- End function
	.set _ZN7rocprim17ROCPRIM_400000_NS6detail17trampoline_kernelINS0_14default_configENS1_20scan_config_selectorIN3c108BFloat16EEEZZNS1_9scan_implILNS1_25lookback_scan_determinismE0ELb0ELb0ES3_PKS6_PS6_S6_ZZZN2at6native31launch_logcumsumexp_cuda_kernelERKNSD_10TensorBaseESH_lENKUlvE_clEvENKUlvE4_clEvEUlS6_S6_E_S6_EEDaPvRmT3_T4_T5_mT6_P12ihipStream_tbENKUlT_T0_E_clISt17integral_constantIbLb1EESX_IbLb0EEEEDaST_SU_EUlST_E0_NS1_11comp_targetILNS1_3genE4ELNS1_11target_archE910ELNS1_3gpuE8ELNS1_3repE0EEENS1_30default_config_static_selectorELNS0_4arch9wavefront6targetE1EEEvT1_.num_vgpr, 0
	.set _ZN7rocprim17ROCPRIM_400000_NS6detail17trampoline_kernelINS0_14default_configENS1_20scan_config_selectorIN3c108BFloat16EEEZZNS1_9scan_implILNS1_25lookback_scan_determinismE0ELb0ELb0ES3_PKS6_PS6_S6_ZZZN2at6native31launch_logcumsumexp_cuda_kernelERKNSD_10TensorBaseESH_lENKUlvE_clEvENKUlvE4_clEvEUlS6_S6_E_S6_EEDaPvRmT3_T4_T5_mT6_P12ihipStream_tbENKUlT_T0_E_clISt17integral_constantIbLb1EESX_IbLb0EEEEDaST_SU_EUlST_E0_NS1_11comp_targetILNS1_3genE4ELNS1_11target_archE910ELNS1_3gpuE8ELNS1_3repE0EEENS1_30default_config_static_selectorELNS0_4arch9wavefront6targetE1EEEvT1_.num_agpr, 0
	.set _ZN7rocprim17ROCPRIM_400000_NS6detail17trampoline_kernelINS0_14default_configENS1_20scan_config_selectorIN3c108BFloat16EEEZZNS1_9scan_implILNS1_25lookback_scan_determinismE0ELb0ELb0ES3_PKS6_PS6_S6_ZZZN2at6native31launch_logcumsumexp_cuda_kernelERKNSD_10TensorBaseESH_lENKUlvE_clEvENKUlvE4_clEvEUlS6_S6_E_S6_EEDaPvRmT3_T4_T5_mT6_P12ihipStream_tbENKUlT_T0_E_clISt17integral_constantIbLb1EESX_IbLb0EEEEDaST_SU_EUlST_E0_NS1_11comp_targetILNS1_3genE4ELNS1_11target_archE910ELNS1_3gpuE8ELNS1_3repE0EEENS1_30default_config_static_selectorELNS0_4arch9wavefront6targetE1EEEvT1_.numbered_sgpr, 0
	.set _ZN7rocprim17ROCPRIM_400000_NS6detail17trampoline_kernelINS0_14default_configENS1_20scan_config_selectorIN3c108BFloat16EEEZZNS1_9scan_implILNS1_25lookback_scan_determinismE0ELb0ELb0ES3_PKS6_PS6_S6_ZZZN2at6native31launch_logcumsumexp_cuda_kernelERKNSD_10TensorBaseESH_lENKUlvE_clEvENKUlvE4_clEvEUlS6_S6_E_S6_EEDaPvRmT3_T4_T5_mT6_P12ihipStream_tbENKUlT_T0_E_clISt17integral_constantIbLb1EESX_IbLb0EEEEDaST_SU_EUlST_E0_NS1_11comp_targetILNS1_3genE4ELNS1_11target_archE910ELNS1_3gpuE8ELNS1_3repE0EEENS1_30default_config_static_selectorELNS0_4arch9wavefront6targetE1EEEvT1_.num_named_barrier, 0
	.set _ZN7rocprim17ROCPRIM_400000_NS6detail17trampoline_kernelINS0_14default_configENS1_20scan_config_selectorIN3c108BFloat16EEEZZNS1_9scan_implILNS1_25lookback_scan_determinismE0ELb0ELb0ES3_PKS6_PS6_S6_ZZZN2at6native31launch_logcumsumexp_cuda_kernelERKNSD_10TensorBaseESH_lENKUlvE_clEvENKUlvE4_clEvEUlS6_S6_E_S6_EEDaPvRmT3_T4_T5_mT6_P12ihipStream_tbENKUlT_T0_E_clISt17integral_constantIbLb1EESX_IbLb0EEEEDaST_SU_EUlST_E0_NS1_11comp_targetILNS1_3genE4ELNS1_11target_archE910ELNS1_3gpuE8ELNS1_3repE0EEENS1_30default_config_static_selectorELNS0_4arch9wavefront6targetE1EEEvT1_.private_seg_size, 0
	.set _ZN7rocprim17ROCPRIM_400000_NS6detail17trampoline_kernelINS0_14default_configENS1_20scan_config_selectorIN3c108BFloat16EEEZZNS1_9scan_implILNS1_25lookback_scan_determinismE0ELb0ELb0ES3_PKS6_PS6_S6_ZZZN2at6native31launch_logcumsumexp_cuda_kernelERKNSD_10TensorBaseESH_lENKUlvE_clEvENKUlvE4_clEvEUlS6_S6_E_S6_EEDaPvRmT3_T4_T5_mT6_P12ihipStream_tbENKUlT_T0_E_clISt17integral_constantIbLb1EESX_IbLb0EEEEDaST_SU_EUlST_E0_NS1_11comp_targetILNS1_3genE4ELNS1_11target_archE910ELNS1_3gpuE8ELNS1_3repE0EEENS1_30default_config_static_selectorELNS0_4arch9wavefront6targetE1EEEvT1_.uses_vcc, 0
	.set _ZN7rocprim17ROCPRIM_400000_NS6detail17trampoline_kernelINS0_14default_configENS1_20scan_config_selectorIN3c108BFloat16EEEZZNS1_9scan_implILNS1_25lookback_scan_determinismE0ELb0ELb0ES3_PKS6_PS6_S6_ZZZN2at6native31launch_logcumsumexp_cuda_kernelERKNSD_10TensorBaseESH_lENKUlvE_clEvENKUlvE4_clEvEUlS6_S6_E_S6_EEDaPvRmT3_T4_T5_mT6_P12ihipStream_tbENKUlT_T0_E_clISt17integral_constantIbLb1EESX_IbLb0EEEEDaST_SU_EUlST_E0_NS1_11comp_targetILNS1_3genE4ELNS1_11target_archE910ELNS1_3gpuE8ELNS1_3repE0EEENS1_30default_config_static_selectorELNS0_4arch9wavefront6targetE1EEEvT1_.uses_flat_scratch, 0
	.set _ZN7rocprim17ROCPRIM_400000_NS6detail17trampoline_kernelINS0_14default_configENS1_20scan_config_selectorIN3c108BFloat16EEEZZNS1_9scan_implILNS1_25lookback_scan_determinismE0ELb0ELb0ES3_PKS6_PS6_S6_ZZZN2at6native31launch_logcumsumexp_cuda_kernelERKNSD_10TensorBaseESH_lENKUlvE_clEvENKUlvE4_clEvEUlS6_S6_E_S6_EEDaPvRmT3_T4_T5_mT6_P12ihipStream_tbENKUlT_T0_E_clISt17integral_constantIbLb1EESX_IbLb0EEEEDaST_SU_EUlST_E0_NS1_11comp_targetILNS1_3genE4ELNS1_11target_archE910ELNS1_3gpuE8ELNS1_3repE0EEENS1_30default_config_static_selectorELNS0_4arch9wavefront6targetE1EEEvT1_.has_dyn_sized_stack, 0
	.set _ZN7rocprim17ROCPRIM_400000_NS6detail17trampoline_kernelINS0_14default_configENS1_20scan_config_selectorIN3c108BFloat16EEEZZNS1_9scan_implILNS1_25lookback_scan_determinismE0ELb0ELb0ES3_PKS6_PS6_S6_ZZZN2at6native31launch_logcumsumexp_cuda_kernelERKNSD_10TensorBaseESH_lENKUlvE_clEvENKUlvE4_clEvEUlS6_S6_E_S6_EEDaPvRmT3_T4_T5_mT6_P12ihipStream_tbENKUlT_T0_E_clISt17integral_constantIbLb1EESX_IbLb0EEEEDaST_SU_EUlST_E0_NS1_11comp_targetILNS1_3genE4ELNS1_11target_archE910ELNS1_3gpuE8ELNS1_3repE0EEENS1_30default_config_static_selectorELNS0_4arch9wavefront6targetE1EEEvT1_.has_recursion, 0
	.set _ZN7rocprim17ROCPRIM_400000_NS6detail17trampoline_kernelINS0_14default_configENS1_20scan_config_selectorIN3c108BFloat16EEEZZNS1_9scan_implILNS1_25lookback_scan_determinismE0ELb0ELb0ES3_PKS6_PS6_S6_ZZZN2at6native31launch_logcumsumexp_cuda_kernelERKNSD_10TensorBaseESH_lENKUlvE_clEvENKUlvE4_clEvEUlS6_S6_E_S6_EEDaPvRmT3_T4_T5_mT6_P12ihipStream_tbENKUlT_T0_E_clISt17integral_constantIbLb1EESX_IbLb0EEEEDaST_SU_EUlST_E0_NS1_11comp_targetILNS1_3genE4ELNS1_11target_archE910ELNS1_3gpuE8ELNS1_3repE0EEENS1_30default_config_static_selectorELNS0_4arch9wavefront6targetE1EEEvT1_.has_indirect_call, 0
	.section	.AMDGPU.csdata,"",@progbits
; Kernel info:
; codeLenInByte = 0
; TotalNumSgprs: 4
; NumVgprs: 0
; ScratchSize: 0
; MemoryBound: 0
; FloatMode: 240
; IeeeMode: 1
; LDSByteSize: 0 bytes/workgroup (compile time only)
; SGPRBlocks: 0
; VGPRBlocks: 0
; NumSGPRsForWavesPerEU: 4
; NumVGPRsForWavesPerEU: 1
; Occupancy: 10
; WaveLimiterHint : 0
; COMPUTE_PGM_RSRC2:SCRATCH_EN: 0
; COMPUTE_PGM_RSRC2:USER_SGPR: 6
; COMPUTE_PGM_RSRC2:TRAP_HANDLER: 0
; COMPUTE_PGM_RSRC2:TGID_X_EN: 1
; COMPUTE_PGM_RSRC2:TGID_Y_EN: 0
; COMPUTE_PGM_RSRC2:TGID_Z_EN: 0
; COMPUTE_PGM_RSRC2:TIDIG_COMP_CNT: 0
	.section	.text._ZN7rocprim17ROCPRIM_400000_NS6detail17trampoline_kernelINS0_14default_configENS1_20scan_config_selectorIN3c108BFloat16EEEZZNS1_9scan_implILNS1_25lookback_scan_determinismE0ELb0ELb0ES3_PKS6_PS6_S6_ZZZN2at6native31launch_logcumsumexp_cuda_kernelERKNSD_10TensorBaseESH_lENKUlvE_clEvENKUlvE4_clEvEUlS6_S6_E_S6_EEDaPvRmT3_T4_T5_mT6_P12ihipStream_tbENKUlT_T0_E_clISt17integral_constantIbLb1EESX_IbLb0EEEEDaST_SU_EUlST_E0_NS1_11comp_targetILNS1_3genE3ELNS1_11target_archE908ELNS1_3gpuE7ELNS1_3repE0EEENS1_30default_config_static_selectorELNS0_4arch9wavefront6targetE1EEEvT1_,"axG",@progbits,_ZN7rocprim17ROCPRIM_400000_NS6detail17trampoline_kernelINS0_14default_configENS1_20scan_config_selectorIN3c108BFloat16EEEZZNS1_9scan_implILNS1_25lookback_scan_determinismE0ELb0ELb0ES3_PKS6_PS6_S6_ZZZN2at6native31launch_logcumsumexp_cuda_kernelERKNSD_10TensorBaseESH_lENKUlvE_clEvENKUlvE4_clEvEUlS6_S6_E_S6_EEDaPvRmT3_T4_T5_mT6_P12ihipStream_tbENKUlT_T0_E_clISt17integral_constantIbLb1EESX_IbLb0EEEEDaST_SU_EUlST_E0_NS1_11comp_targetILNS1_3genE3ELNS1_11target_archE908ELNS1_3gpuE7ELNS1_3repE0EEENS1_30default_config_static_selectorELNS0_4arch9wavefront6targetE1EEEvT1_,comdat
	.globl	_ZN7rocprim17ROCPRIM_400000_NS6detail17trampoline_kernelINS0_14default_configENS1_20scan_config_selectorIN3c108BFloat16EEEZZNS1_9scan_implILNS1_25lookback_scan_determinismE0ELb0ELb0ES3_PKS6_PS6_S6_ZZZN2at6native31launch_logcumsumexp_cuda_kernelERKNSD_10TensorBaseESH_lENKUlvE_clEvENKUlvE4_clEvEUlS6_S6_E_S6_EEDaPvRmT3_T4_T5_mT6_P12ihipStream_tbENKUlT_T0_E_clISt17integral_constantIbLb1EESX_IbLb0EEEEDaST_SU_EUlST_E0_NS1_11comp_targetILNS1_3genE3ELNS1_11target_archE908ELNS1_3gpuE7ELNS1_3repE0EEENS1_30default_config_static_selectorELNS0_4arch9wavefront6targetE1EEEvT1_ ; -- Begin function _ZN7rocprim17ROCPRIM_400000_NS6detail17trampoline_kernelINS0_14default_configENS1_20scan_config_selectorIN3c108BFloat16EEEZZNS1_9scan_implILNS1_25lookback_scan_determinismE0ELb0ELb0ES3_PKS6_PS6_S6_ZZZN2at6native31launch_logcumsumexp_cuda_kernelERKNSD_10TensorBaseESH_lENKUlvE_clEvENKUlvE4_clEvEUlS6_S6_E_S6_EEDaPvRmT3_T4_T5_mT6_P12ihipStream_tbENKUlT_T0_E_clISt17integral_constantIbLb1EESX_IbLb0EEEEDaST_SU_EUlST_E0_NS1_11comp_targetILNS1_3genE3ELNS1_11target_archE908ELNS1_3gpuE7ELNS1_3repE0EEENS1_30default_config_static_selectorELNS0_4arch9wavefront6targetE1EEEvT1_
	.p2align	8
	.type	_ZN7rocprim17ROCPRIM_400000_NS6detail17trampoline_kernelINS0_14default_configENS1_20scan_config_selectorIN3c108BFloat16EEEZZNS1_9scan_implILNS1_25lookback_scan_determinismE0ELb0ELb0ES3_PKS6_PS6_S6_ZZZN2at6native31launch_logcumsumexp_cuda_kernelERKNSD_10TensorBaseESH_lENKUlvE_clEvENKUlvE4_clEvEUlS6_S6_E_S6_EEDaPvRmT3_T4_T5_mT6_P12ihipStream_tbENKUlT_T0_E_clISt17integral_constantIbLb1EESX_IbLb0EEEEDaST_SU_EUlST_E0_NS1_11comp_targetILNS1_3genE3ELNS1_11target_archE908ELNS1_3gpuE7ELNS1_3repE0EEENS1_30default_config_static_selectorELNS0_4arch9wavefront6targetE1EEEvT1_,@function
_ZN7rocprim17ROCPRIM_400000_NS6detail17trampoline_kernelINS0_14default_configENS1_20scan_config_selectorIN3c108BFloat16EEEZZNS1_9scan_implILNS1_25lookback_scan_determinismE0ELb0ELb0ES3_PKS6_PS6_S6_ZZZN2at6native31launch_logcumsumexp_cuda_kernelERKNSD_10TensorBaseESH_lENKUlvE_clEvENKUlvE4_clEvEUlS6_S6_E_S6_EEDaPvRmT3_T4_T5_mT6_P12ihipStream_tbENKUlT_T0_E_clISt17integral_constantIbLb1EESX_IbLb0EEEEDaST_SU_EUlST_E0_NS1_11comp_targetILNS1_3genE3ELNS1_11target_archE908ELNS1_3gpuE7ELNS1_3repE0EEENS1_30default_config_static_selectorELNS0_4arch9wavefront6targetE1EEEvT1_: ; @_ZN7rocprim17ROCPRIM_400000_NS6detail17trampoline_kernelINS0_14default_configENS1_20scan_config_selectorIN3c108BFloat16EEEZZNS1_9scan_implILNS1_25lookback_scan_determinismE0ELb0ELb0ES3_PKS6_PS6_S6_ZZZN2at6native31launch_logcumsumexp_cuda_kernelERKNSD_10TensorBaseESH_lENKUlvE_clEvENKUlvE4_clEvEUlS6_S6_E_S6_EEDaPvRmT3_T4_T5_mT6_P12ihipStream_tbENKUlT_T0_E_clISt17integral_constantIbLb1EESX_IbLb0EEEEDaST_SU_EUlST_E0_NS1_11comp_targetILNS1_3genE3ELNS1_11target_archE908ELNS1_3gpuE7ELNS1_3repE0EEENS1_30default_config_static_selectorELNS0_4arch9wavefront6targetE1EEEvT1_
; %bb.0:
	.section	.rodata,"a",@progbits
	.p2align	6, 0x0
	.amdhsa_kernel _ZN7rocprim17ROCPRIM_400000_NS6detail17trampoline_kernelINS0_14default_configENS1_20scan_config_selectorIN3c108BFloat16EEEZZNS1_9scan_implILNS1_25lookback_scan_determinismE0ELb0ELb0ES3_PKS6_PS6_S6_ZZZN2at6native31launch_logcumsumexp_cuda_kernelERKNSD_10TensorBaseESH_lENKUlvE_clEvENKUlvE4_clEvEUlS6_S6_E_S6_EEDaPvRmT3_T4_T5_mT6_P12ihipStream_tbENKUlT_T0_E_clISt17integral_constantIbLb1EESX_IbLb0EEEEDaST_SU_EUlST_E0_NS1_11comp_targetILNS1_3genE3ELNS1_11target_archE908ELNS1_3gpuE7ELNS1_3repE0EEENS1_30default_config_static_selectorELNS0_4arch9wavefront6targetE1EEEvT1_
		.amdhsa_group_segment_fixed_size 0
		.amdhsa_private_segment_fixed_size 0
		.amdhsa_kernarg_size 32
		.amdhsa_user_sgpr_count 6
		.amdhsa_user_sgpr_private_segment_buffer 1
		.amdhsa_user_sgpr_dispatch_ptr 0
		.amdhsa_user_sgpr_queue_ptr 0
		.amdhsa_user_sgpr_kernarg_segment_ptr 1
		.amdhsa_user_sgpr_dispatch_id 0
		.amdhsa_user_sgpr_flat_scratch_init 0
		.amdhsa_user_sgpr_private_segment_size 0
		.amdhsa_uses_dynamic_stack 0
		.amdhsa_system_sgpr_private_segment_wavefront_offset 0
		.amdhsa_system_sgpr_workgroup_id_x 1
		.amdhsa_system_sgpr_workgroup_id_y 0
		.amdhsa_system_sgpr_workgroup_id_z 0
		.amdhsa_system_sgpr_workgroup_info 0
		.amdhsa_system_vgpr_workitem_id 0
		.amdhsa_next_free_vgpr 1
		.amdhsa_next_free_sgpr 0
		.amdhsa_reserve_vcc 0
		.amdhsa_reserve_flat_scratch 0
		.amdhsa_float_round_mode_32 0
		.amdhsa_float_round_mode_16_64 0
		.amdhsa_float_denorm_mode_32 3
		.amdhsa_float_denorm_mode_16_64 3
		.amdhsa_dx10_clamp 1
		.amdhsa_ieee_mode 1
		.amdhsa_fp16_overflow 0
		.amdhsa_exception_fp_ieee_invalid_op 0
		.amdhsa_exception_fp_denorm_src 0
		.amdhsa_exception_fp_ieee_div_zero 0
		.amdhsa_exception_fp_ieee_overflow 0
		.amdhsa_exception_fp_ieee_underflow 0
		.amdhsa_exception_fp_ieee_inexact 0
		.amdhsa_exception_int_div_zero 0
	.end_amdhsa_kernel
	.section	.text._ZN7rocprim17ROCPRIM_400000_NS6detail17trampoline_kernelINS0_14default_configENS1_20scan_config_selectorIN3c108BFloat16EEEZZNS1_9scan_implILNS1_25lookback_scan_determinismE0ELb0ELb0ES3_PKS6_PS6_S6_ZZZN2at6native31launch_logcumsumexp_cuda_kernelERKNSD_10TensorBaseESH_lENKUlvE_clEvENKUlvE4_clEvEUlS6_S6_E_S6_EEDaPvRmT3_T4_T5_mT6_P12ihipStream_tbENKUlT_T0_E_clISt17integral_constantIbLb1EESX_IbLb0EEEEDaST_SU_EUlST_E0_NS1_11comp_targetILNS1_3genE3ELNS1_11target_archE908ELNS1_3gpuE7ELNS1_3repE0EEENS1_30default_config_static_selectorELNS0_4arch9wavefront6targetE1EEEvT1_,"axG",@progbits,_ZN7rocprim17ROCPRIM_400000_NS6detail17trampoline_kernelINS0_14default_configENS1_20scan_config_selectorIN3c108BFloat16EEEZZNS1_9scan_implILNS1_25lookback_scan_determinismE0ELb0ELb0ES3_PKS6_PS6_S6_ZZZN2at6native31launch_logcumsumexp_cuda_kernelERKNSD_10TensorBaseESH_lENKUlvE_clEvENKUlvE4_clEvEUlS6_S6_E_S6_EEDaPvRmT3_T4_T5_mT6_P12ihipStream_tbENKUlT_T0_E_clISt17integral_constantIbLb1EESX_IbLb0EEEEDaST_SU_EUlST_E0_NS1_11comp_targetILNS1_3genE3ELNS1_11target_archE908ELNS1_3gpuE7ELNS1_3repE0EEENS1_30default_config_static_selectorELNS0_4arch9wavefront6targetE1EEEvT1_,comdat
.Lfunc_end496:
	.size	_ZN7rocprim17ROCPRIM_400000_NS6detail17trampoline_kernelINS0_14default_configENS1_20scan_config_selectorIN3c108BFloat16EEEZZNS1_9scan_implILNS1_25lookback_scan_determinismE0ELb0ELb0ES3_PKS6_PS6_S6_ZZZN2at6native31launch_logcumsumexp_cuda_kernelERKNSD_10TensorBaseESH_lENKUlvE_clEvENKUlvE4_clEvEUlS6_S6_E_S6_EEDaPvRmT3_T4_T5_mT6_P12ihipStream_tbENKUlT_T0_E_clISt17integral_constantIbLb1EESX_IbLb0EEEEDaST_SU_EUlST_E0_NS1_11comp_targetILNS1_3genE3ELNS1_11target_archE908ELNS1_3gpuE7ELNS1_3repE0EEENS1_30default_config_static_selectorELNS0_4arch9wavefront6targetE1EEEvT1_, .Lfunc_end496-_ZN7rocprim17ROCPRIM_400000_NS6detail17trampoline_kernelINS0_14default_configENS1_20scan_config_selectorIN3c108BFloat16EEEZZNS1_9scan_implILNS1_25lookback_scan_determinismE0ELb0ELb0ES3_PKS6_PS6_S6_ZZZN2at6native31launch_logcumsumexp_cuda_kernelERKNSD_10TensorBaseESH_lENKUlvE_clEvENKUlvE4_clEvEUlS6_S6_E_S6_EEDaPvRmT3_T4_T5_mT6_P12ihipStream_tbENKUlT_T0_E_clISt17integral_constantIbLb1EESX_IbLb0EEEEDaST_SU_EUlST_E0_NS1_11comp_targetILNS1_3genE3ELNS1_11target_archE908ELNS1_3gpuE7ELNS1_3repE0EEENS1_30default_config_static_selectorELNS0_4arch9wavefront6targetE1EEEvT1_
                                        ; -- End function
	.set _ZN7rocprim17ROCPRIM_400000_NS6detail17trampoline_kernelINS0_14default_configENS1_20scan_config_selectorIN3c108BFloat16EEEZZNS1_9scan_implILNS1_25lookback_scan_determinismE0ELb0ELb0ES3_PKS6_PS6_S6_ZZZN2at6native31launch_logcumsumexp_cuda_kernelERKNSD_10TensorBaseESH_lENKUlvE_clEvENKUlvE4_clEvEUlS6_S6_E_S6_EEDaPvRmT3_T4_T5_mT6_P12ihipStream_tbENKUlT_T0_E_clISt17integral_constantIbLb1EESX_IbLb0EEEEDaST_SU_EUlST_E0_NS1_11comp_targetILNS1_3genE3ELNS1_11target_archE908ELNS1_3gpuE7ELNS1_3repE0EEENS1_30default_config_static_selectorELNS0_4arch9wavefront6targetE1EEEvT1_.num_vgpr, 0
	.set _ZN7rocprim17ROCPRIM_400000_NS6detail17trampoline_kernelINS0_14default_configENS1_20scan_config_selectorIN3c108BFloat16EEEZZNS1_9scan_implILNS1_25lookback_scan_determinismE0ELb0ELb0ES3_PKS6_PS6_S6_ZZZN2at6native31launch_logcumsumexp_cuda_kernelERKNSD_10TensorBaseESH_lENKUlvE_clEvENKUlvE4_clEvEUlS6_S6_E_S6_EEDaPvRmT3_T4_T5_mT6_P12ihipStream_tbENKUlT_T0_E_clISt17integral_constantIbLb1EESX_IbLb0EEEEDaST_SU_EUlST_E0_NS1_11comp_targetILNS1_3genE3ELNS1_11target_archE908ELNS1_3gpuE7ELNS1_3repE0EEENS1_30default_config_static_selectorELNS0_4arch9wavefront6targetE1EEEvT1_.num_agpr, 0
	.set _ZN7rocprim17ROCPRIM_400000_NS6detail17trampoline_kernelINS0_14default_configENS1_20scan_config_selectorIN3c108BFloat16EEEZZNS1_9scan_implILNS1_25lookback_scan_determinismE0ELb0ELb0ES3_PKS6_PS6_S6_ZZZN2at6native31launch_logcumsumexp_cuda_kernelERKNSD_10TensorBaseESH_lENKUlvE_clEvENKUlvE4_clEvEUlS6_S6_E_S6_EEDaPvRmT3_T4_T5_mT6_P12ihipStream_tbENKUlT_T0_E_clISt17integral_constantIbLb1EESX_IbLb0EEEEDaST_SU_EUlST_E0_NS1_11comp_targetILNS1_3genE3ELNS1_11target_archE908ELNS1_3gpuE7ELNS1_3repE0EEENS1_30default_config_static_selectorELNS0_4arch9wavefront6targetE1EEEvT1_.numbered_sgpr, 0
	.set _ZN7rocprim17ROCPRIM_400000_NS6detail17trampoline_kernelINS0_14default_configENS1_20scan_config_selectorIN3c108BFloat16EEEZZNS1_9scan_implILNS1_25lookback_scan_determinismE0ELb0ELb0ES3_PKS6_PS6_S6_ZZZN2at6native31launch_logcumsumexp_cuda_kernelERKNSD_10TensorBaseESH_lENKUlvE_clEvENKUlvE4_clEvEUlS6_S6_E_S6_EEDaPvRmT3_T4_T5_mT6_P12ihipStream_tbENKUlT_T0_E_clISt17integral_constantIbLb1EESX_IbLb0EEEEDaST_SU_EUlST_E0_NS1_11comp_targetILNS1_3genE3ELNS1_11target_archE908ELNS1_3gpuE7ELNS1_3repE0EEENS1_30default_config_static_selectorELNS0_4arch9wavefront6targetE1EEEvT1_.num_named_barrier, 0
	.set _ZN7rocprim17ROCPRIM_400000_NS6detail17trampoline_kernelINS0_14default_configENS1_20scan_config_selectorIN3c108BFloat16EEEZZNS1_9scan_implILNS1_25lookback_scan_determinismE0ELb0ELb0ES3_PKS6_PS6_S6_ZZZN2at6native31launch_logcumsumexp_cuda_kernelERKNSD_10TensorBaseESH_lENKUlvE_clEvENKUlvE4_clEvEUlS6_S6_E_S6_EEDaPvRmT3_T4_T5_mT6_P12ihipStream_tbENKUlT_T0_E_clISt17integral_constantIbLb1EESX_IbLb0EEEEDaST_SU_EUlST_E0_NS1_11comp_targetILNS1_3genE3ELNS1_11target_archE908ELNS1_3gpuE7ELNS1_3repE0EEENS1_30default_config_static_selectorELNS0_4arch9wavefront6targetE1EEEvT1_.private_seg_size, 0
	.set _ZN7rocprim17ROCPRIM_400000_NS6detail17trampoline_kernelINS0_14default_configENS1_20scan_config_selectorIN3c108BFloat16EEEZZNS1_9scan_implILNS1_25lookback_scan_determinismE0ELb0ELb0ES3_PKS6_PS6_S6_ZZZN2at6native31launch_logcumsumexp_cuda_kernelERKNSD_10TensorBaseESH_lENKUlvE_clEvENKUlvE4_clEvEUlS6_S6_E_S6_EEDaPvRmT3_T4_T5_mT6_P12ihipStream_tbENKUlT_T0_E_clISt17integral_constantIbLb1EESX_IbLb0EEEEDaST_SU_EUlST_E0_NS1_11comp_targetILNS1_3genE3ELNS1_11target_archE908ELNS1_3gpuE7ELNS1_3repE0EEENS1_30default_config_static_selectorELNS0_4arch9wavefront6targetE1EEEvT1_.uses_vcc, 0
	.set _ZN7rocprim17ROCPRIM_400000_NS6detail17trampoline_kernelINS0_14default_configENS1_20scan_config_selectorIN3c108BFloat16EEEZZNS1_9scan_implILNS1_25lookback_scan_determinismE0ELb0ELb0ES3_PKS6_PS6_S6_ZZZN2at6native31launch_logcumsumexp_cuda_kernelERKNSD_10TensorBaseESH_lENKUlvE_clEvENKUlvE4_clEvEUlS6_S6_E_S6_EEDaPvRmT3_T4_T5_mT6_P12ihipStream_tbENKUlT_T0_E_clISt17integral_constantIbLb1EESX_IbLb0EEEEDaST_SU_EUlST_E0_NS1_11comp_targetILNS1_3genE3ELNS1_11target_archE908ELNS1_3gpuE7ELNS1_3repE0EEENS1_30default_config_static_selectorELNS0_4arch9wavefront6targetE1EEEvT1_.uses_flat_scratch, 0
	.set _ZN7rocprim17ROCPRIM_400000_NS6detail17trampoline_kernelINS0_14default_configENS1_20scan_config_selectorIN3c108BFloat16EEEZZNS1_9scan_implILNS1_25lookback_scan_determinismE0ELb0ELb0ES3_PKS6_PS6_S6_ZZZN2at6native31launch_logcumsumexp_cuda_kernelERKNSD_10TensorBaseESH_lENKUlvE_clEvENKUlvE4_clEvEUlS6_S6_E_S6_EEDaPvRmT3_T4_T5_mT6_P12ihipStream_tbENKUlT_T0_E_clISt17integral_constantIbLb1EESX_IbLb0EEEEDaST_SU_EUlST_E0_NS1_11comp_targetILNS1_3genE3ELNS1_11target_archE908ELNS1_3gpuE7ELNS1_3repE0EEENS1_30default_config_static_selectorELNS0_4arch9wavefront6targetE1EEEvT1_.has_dyn_sized_stack, 0
	.set _ZN7rocprim17ROCPRIM_400000_NS6detail17trampoline_kernelINS0_14default_configENS1_20scan_config_selectorIN3c108BFloat16EEEZZNS1_9scan_implILNS1_25lookback_scan_determinismE0ELb0ELb0ES3_PKS6_PS6_S6_ZZZN2at6native31launch_logcumsumexp_cuda_kernelERKNSD_10TensorBaseESH_lENKUlvE_clEvENKUlvE4_clEvEUlS6_S6_E_S6_EEDaPvRmT3_T4_T5_mT6_P12ihipStream_tbENKUlT_T0_E_clISt17integral_constantIbLb1EESX_IbLb0EEEEDaST_SU_EUlST_E0_NS1_11comp_targetILNS1_3genE3ELNS1_11target_archE908ELNS1_3gpuE7ELNS1_3repE0EEENS1_30default_config_static_selectorELNS0_4arch9wavefront6targetE1EEEvT1_.has_recursion, 0
	.set _ZN7rocprim17ROCPRIM_400000_NS6detail17trampoline_kernelINS0_14default_configENS1_20scan_config_selectorIN3c108BFloat16EEEZZNS1_9scan_implILNS1_25lookback_scan_determinismE0ELb0ELb0ES3_PKS6_PS6_S6_ZZZN2at6native31launch_logcumsumexp_cuda_kernelERKNSD_10TensorBaseESH_lENKUlvE_clEvENKUlvE4_clEvEUlS6_S6_E_S6_EEDaPvRmT3_T4_T5_mT6_P12ihipStream_tbENKUlT_T0_E_clISt17integral_constantIbLb1EESX_IbLb0EEEEDaST_SU_EUlST_E0_NS1_11comp_targetILNS1_3genE3ELNS1_11target_archE908ELNS1_3gpuE7ELNS1_3repE0EEENS1_30default_config_static_selectorELNS0_4arch9wavefront6targetE1EEEvT1_.has_indirect_call, 0
	.section	.AMDGPU.csdata,"",@progbits
; Kernel info:
; codeLenInByte = 0
; TotalNumSgprs: 4
; NumVgprs: 0
; ScratchSize: 0
; MemoryBound: 0
; FloatMode: 240
; IeeeMode: 1
; LDSByteSize: 0 bytes/workgroup (compile time only)
; SGPRBlocks: 0
; VGPRBlocks: 0
; NumSGPRsForWavesPerEU: 4
; NumVGPRsForWavesPerEU: 1
; Occupancy: 10
; WaveLimiterHint : 0
; COMPUTE_PGM_RSRC2:SCRATCH_EN: 0
; COMPUTE_PGM_RSRC2:USER_SGPR: 6
; COMPUTE_PGM_RSRC2:TRAP_HANDLER: 0
; COMPUTE_PGM_RSRC2:TGID_X_EN: 1
; COMPUTE_PGM_RSRC2:TGID_Y_EN: 0
; COMPUTE_PGM_RSRC2:TGID_Z_EN: 0
; COMPUTE_PGM_RSRC2:TIDIG_COMP_CNT: 0
	.section	.text._ZN7rocprim17ROCPRIM_400000_NS6detail17trampoline_kernelINS0_14default_configENS1_20scan_config_selectorIN3c108BFloat16EEEZZNS1_9scan_implILNS1_25lookback_scan_determinismE0ELb0ELb0ES3_PKS6_PS6_S6_ZZZN2at6native31launch_logcumsumexp_cuda_kernelERKNSD_10TensorBaseESH_lENKUlvE_clEvENKUlvE4_clEvEUlS6_S6_E_S6_EEDaPvRmT3_T4_T5_mT6_P12ihipStream_tbENKUlT_T0_E_clISt17integral_constantIbLb1EESX_IbLb0EEEEDaST_SU_EUlST_E0_NS1_11comp_targetILNS1_3genE2ELNS1_11target_archE906ELNS1_3gpuE6ELNS1_3repE0EEENS1_30default_config_static_selectorELNS0_4arch9wavefront6targetE1EEEvT1_,"axG",@progbits,_ZN7rocprim17ROCPRIM_400000_NS6detail17trampoline_kernelINS0_14default_configENS1_20scan_config_selectorIN3c108BFloat16EEEZZNS1_9scan_implILNS1_25lookback_scan_determinismE0ELb0ELb0ES3_PKS6_PS6_S6_ZZZN2at6native31launch_logcumsumexp_cuda_kernelERKNSD_10TensorBaseESH_lENKUlvE_clEvENKUlvE4_clEvEUlS6_S6_E_S6_EEDaPvRmT3_T4_T5_mT6_P12ihipStream_tbENKUlT_T0_E_clISt17integral_constantIbLb1EESX_IbLb0EEEEDaST_SU_EUlST_E0_NS1_11comp_targetILNS1_3genE2ELNS1_11target_archE906ELNS1_3gpuE6ELNS1_3repE0EEENS1_30default_config_static_selectorELNS0_4arch9wavefront6targetE1EEEvT1_,comdat
	.globl	_ZN7rocprim17ROCPRIM_400000_NS6detail17trampoline_kernelINS0_14default_configENS1_20scan_config_selectorIN3c108BFloat16EEEZZNS1_9scan_implILNS1_25lookback_scan_determinismE0ELb0ELb0ES3_PKS6_PS6_S6_ZZZN2at6native31launch_logcumsumexp_cuda_kernelERKNSD_10TensorBaseESH_lENKUlvE_clEvENKUlvE4_clEvEUlS6_S6_E_S6_EEDaPvRmT3_T4_T5_mT6_P12ihipStream_tbENKUlT_T0_E_clISt17integral_constantIbLb1EESX_IbLb0EEEEDaST_SU_EUlST_E0_NS1_11comp_targetILNS1_3genE2ELNS1_11target_archE906ELNS1_3gpuE6ELNS1_3repE0EEENS1_30default_config_static_selectorELNS0_4arch9wavefront6targetE1EEEvT1_ ; -- Begin function _ZN7rocprim17ROCPRIM_400000_NS6detail17trampoline_kernelINS0_14default_configENS1_20scan_config_selectorIN3c108BFloat16EEEZZNS1_9scan_implILNS1_25lookback_scan_determinismE0ELb0ELb0ES3_PKS6_PS6_S6_ZZZN2at6native31launch_logcumsumexp_cuda_kernelERKNSD_10TensorBaseESH_lENKUlvE_clEvENKUlvE4_clEvEUlS6_S6_E_S6_EEDaPvRmT3_T4_T5_mT6_P12ihipStream_tbENKUlT_T0_E_clISt17integral_constantIbLb1EESX_IbLb0EEEEDaST_SU_EUlST_E0_NS1_11comp_targetILNS1_3genE2ELNS1_11target_archE906ELNS1_3gpuE6ELNS1_3repE0EEENS1_30default_config_static_selectorELNS0_4arch9wavefront6targetE1EEEvT1_
	.p2align	8
	.type	_ZN7rocprim17ROCPRIM_400000_NS6detail17trampoline_kernelINS0_14default_configENS1_20scan_config_selectorIN3c108BFloat16EEEZZNS1_9scan_implILNS1_25lookback_scan_determinismE0ELb0ELb0ES3_PKS6_PS6_S6_ZZZN2at6native31launch_logcumsumexp_cuda_kernelERKNSD_10TensorBaseESH_lENKUlvE_clEvENKUlvE4_clEvEUlS6_S6_E_S6_EEDaPvRmT3_T4_T5_mT6_P12ihipStream_tbENKUlT_T0_E_clISt17integral_constantIbLb1EESX_IbLb0EEEEDaST_SU_EUlST_E0_NS1_11comp_targetILNS1_3genE2ELNS1_11target_archE906ELNS1_3gpuE6ELNS1_3repE0EEENS1_30default_config_static_selectorELNS0_4arch9wavefront6targetE1EEEvT1_,@function
_ZN7rocprim17ROCPRIM_400000_NS6detail17trampoline_kernelINS0_14default_configENS1_20scan_config_selectorIN3c108BFloat16EEEZZNS1_9scan_implILNS1_25lookback_scan_determinismE0ELb0ELb0ES3_PKS6_PS6_S6_ZZZN2at6native31launch_logcumsumexp_cuda_kernelERKNSD_10TensorBaseESH_lENKUlvE_clEvENKUlvE4_clEvEUlS6_S6_E_S6_EEDaPvRmT3_T4_T5_mT6_P12ihipStream_tbENKUlT_T0_E_clISt17integral_constantIbLb1EESX_IbLb0EEEEDaST_SU_EUlST_E0_NS1_11comp_targetILNS1_3genE2ELNS1_11target_archE906ELNS1_3gpuE6ELNS1_3repE0EEENS1_30default_config_static_selectorELNS0_4arch9wavefront6targetE1EEEvT1_: ; @_ZN7rocprim17ROCPRIM_400000_NS6detail17trampoline_kernelINS0_14default_configENS1_20scan_config_selectorIN3c108BFloat16EEEZZNS1_9scan_implILNS1_25lookback_scan_determinismE0ELb0ELb0ES3_PKS6_PS6_S6_ZZZN2at6native31launch_logcumsumexp_cuda_kernelERKNSD_10TensorBaseESH_lENKUlvE_clEvENKUlvE4_clEvEUlS6_S6_E_S6_EEDaPvRmT3_T4_T5_mT6_P12ihipStream_tbENKUlT_T0_E_clISt17integral_constantIbLb1EESX_IbLb0EEEEDaST_SU_EUlST_E0_NS1_11comp_targetILNS1_3genE2ELNS1_11target_archE906ELNS1_3gpuE6ELNS1_3repE0EEENS1_30default_config_static_selectorELNS0_4arch9wavefront6targetE1EEEvT1_
; %bb.0:
	s_load_dwordx4 s[0:3], s[4:5], 0x0
	v_mov_b32_e32 v1, 0
	v_lshlrev_b32_e32 v13, 1, v0
	s_waitcnt lgkmcnt(0)
	global_load_ushort v1, v1, s[0:1]
	v_cmp_gt_u32_e64 s[8:9], s2, v0
	s_waitcnt vmcnt(0)
	v_mov_b32_e32 v2, v1
	s_mov_b64 s[6:7], exec
                                        ; implicit-def: $vgpr73 : SGPR spill to VGPR lane
	v_writelane_b32 v73, s8, 0
	v_writelane_b32 v73, s9, 1
	s_and_b64 s[8:9], s[6:7], s[8:9]
	s_mov_b64 exec, s[8:9]
	s_cbranch_execz .LBB497_2
; %bb.1:
	global_load_ushort v2, v13, s[0:1]
.LBB497_2:
	s_or_b64 exec, exec, s[6:7]
	v_or_b32_e32 v3, 0x100, v0
	v_cmp_gt_u32_e64 s[8:9], s2, v3
	v_mov_b32_e32 v3, v1
	s_mov_b64 s[6:7], exec
	v_writelane_b32 v73, s8, 2
	v_writelane_b32 v73, s9, 3
	s_and_b64 s[8:9], s[6:7], s[8:9]
	s_mov_b64 exec, s[8:9]
	s_cbranch_execz .LBB497_4
; %bb.3:
	global_load_ushort v3, v13, s[0:1] offset:512
.LBB497_4:
	s_or_b64 exec, exec, s[6:7]
	v_or_b32_e32 v4, 0x200, v0
	v_cmp_gt_u32_e64 s[8:9], s2, v4
	v_mov_b32_e32 v4, v1
	s_mov_b64 s[6:7], exec
	v_writelane_b32 v73, s8, 4
	v_writelane_b32 v73, s9, 5
	s_and_b64 s[8:9], s[6:7], s[8:9]
	s_mov_b64 exec, s[8:9]
	s_cbranch_execz .LBB497_6
; %bb.5:
	global_load_ushort v4, v13, s[0:1] offset:1024
.LBB497_6:
	s_or_b64 exec, exec, s[6:7]
	v_or_b32_e32 v5, 0x300, v0
	v_cmp_gt_u32_e64 s[8:9], s2, v5
	v_mov_b32_e32 v5, v1
	s_mov_b64 s[6:7], exec
	v_writelane_b32 v73, s8, 6
	v_writelane_b32 v73, s9, 7
	s_and_b64 s[8:9], s[6:7], s[8:9]
	s_mov_b64 exec, s[8:9]
	s_cbranch_execz .LBB497_8
; %bb.7:
	global_load_ushort v5, v13, s[0:1] offset:1536
.LBB497_8:
	s_or_b64 exec, exec, s[6:7]
	v_or_b32_e32 v6, 0x400, v0
	v_cmp_gt_u32_e64 s[8:9], s2, v6
	v_mov_b32_e32 v6, v1
	s_mov_b64 s[6:7], exec
	v_writelane_b32 v73, s8, 8
	v_writelane_b32 v73, s9, 9
	s_and_b64 s[8:9], s[6:7], s[8:9]
	s_mov_b64 exec, s[8:9]
	s_cbranch_execz .LBB497_10
; %bb.9:
	global_load_ushort v6, v13, s[0:1] offset:2048
.LBB497_10:
	s_or_b64 exec, exec, s[6:7]
	v_or_b32_e32 v7, 0x500, v0
	v_cmp_gt_u32_e64 s[8:9], s2, v7
	v_mov_b32_e32 v7, v1
	s_mov_b64 s[6:7], exec
	v_writelane_b32 v73, s8, 10
	v_writelane_b32 v73, s9, 11
	s_and_b64 s[8:9], s[6:7], s[8:9]
	s_mov_b64 exec, s[8:9]
	s_cbranch_execz .LBB497_12
; %bb.11:
	global_load_ushort v7, v13, s[0:1] offset:2560
.LBB497_12:
	s_or_b64 exec, exec, s[6:7]
	v_or_b32_e32 v8, 0x600, v0
	v_cmp_gt_u32_e64 s[8:9], s2, v8
	v_mov_b32_e32 v8, v1
	s_mov_b64 s[6:7], exec
	v_writelane_b32 v73, s8, 12
	v_writelane_b32 v73, s9, 13
	s_and_b64 s[8:9], s[6:7], s[8:9]
	s_mov_b64 exec, s[8:9]
	s_cbranch_execz .LBB497_14
; %bb.13:
	global_load_ushort v8, v13, s[0:1] offset:3072
.LBB497_14:
	s_or_b64 exec, exec, s[6:7]
	v_or_b32_e32 v9, 0x700, v0
	v_cmp_gt_u32_e64 s[14:15], s2, v9
	v_mov_b32_e32 v9, v1
	s_and_saveexec_b64 s[6:7], s[14:15]
	s_cbranch_execz .LBB497_16
; %bb.15:
	global_load_ushort v9, v13, s[0:1] offset:3584
.LBB497_16:
	s_or_b64 exec, exec, s[6:7]
	v_or_b32_e32 v11, 0x800, v0
	v_cmp_gt_u32_e64 s[16:17], s2, v11
	v_mov_b32_e32 v10, v1
	s_and_saveexec_b64 s[6:7], s[16:17]
	s_cbranch_execz .LBB497_18
; %bb.17:
	v_lshlrev_b32_e32 v10, 1, v11
	global_load_ushort v10, v10, s[0:1]
.LBB497_18:
	s_or_b64 exec, exec, s[6:7]
	v_or_b32_e32 v12, 0x900, v0
	v_cmp_gt_u32_e64 s[18:19], s2, v12
	v_mov_b32_e32 v11, v1
	s_and_saveexec_b64 s[6:7], s[18:19]
	s_cbranch_execz .LBB497_20
; %bb.19:
	v_lshlrev_b32_e32 v11, 1, v12
	global_load_ushort v11, v11, s[0:1]
.LBB497_20:
	;; [unrolled: 10-line block ×15, first 2 shown]
	s_or_b64 exec, exec, s[6:7]
	v_or_b32_e32 v26, 0x1700, v0
	v_cmp_gt_u32_e64 s[48:49], s2, v26
	s_and_saveexec_b64 s[2:3], s[48:49]
	s_cbranch_execz .LBB497_48
; %bb.47:
	v_lshlrev_b32_e32 v1, 1, v26
	global_load_ushort v1, v1, s[0:1]
.LBB497_48:
	s_or_b64 exec, exec, s[2:3]
	s_waitcnt vmcnt(0)
	ds_write_b16 v13, v2
	ds_write_b16 v13, v3 offset:512
	ds_write_b16 v13, v4 offset:1024
	ds_write_b16 v13, v5 offset:1536
	ds_write_b16 v13, v6 offset:2048
	ds_write_b16 v13, v7 offset:2560
	ds_write_b16 v13, v8 offset:3072
	ds_write_b16 v13, v9 offset:3584
	ds_write_b16 v13, v10 offset:4096
	ds_write_b16 v13, v11 offset:4608
	ds_write_b16 v13, v12 offset:5120
	ds_write_b16 v13, v14 offset:5632
	ds_write_b16 v13, v15 offset:6144
	ds_write_b16 v13, v16 offset:6656
	ds_write_b16 v13, v17 offset:7168
	ds_write_b16 v13, v18 offset:7680
	ds_write_b16 v13, v19 offset:8192
	ds_write_b16 v13, v20 offset:8704
	ds_write_b16 v13, v21 offset:9216
	ds_write_b16 v13, v22 offset:9728
	ds_write_b16 v13, v23 offset:10240
	ds_write_b16 v13, v24 offset:10752
	ds_write_b16 v13, v25 offset:11264
	ds_write_b16 v13, v1 offset:11776
	v_mad_u32_u24 v5, v0, 46, v13
	s_waitcnt lgkmcnt(0)
	s_barrier
	ds_read_b128 v[1:4], v5
	ds_read_b128 v[9:12], v5 offset:16
	ds_read_b128 v[5:8], v5 offset:32
	s_movk_i32 s6, 0x1f8
	s_waitcnt lgkmcnt(0)
	v_lshlrev_b32_e32 v49, 16, v1
	v_and_b32_e32 v14, 0xffff0000, v1
	v_max_f32_e32 v22, v14, v14
	v_max_f32_e32 v50, v49, v49
	v_min_f32_e32 v51, v50, v22
	v_cmp_u_f32_e64 s[0:1], v49, v49
	v_cndmask_b32_e64 v15, v51, v49, s[0:1]
	v_cmp_u_f32_e64 s[50:51], v14, v14
	v_max_f32_e32 v52, v50, v22
	v_cndmask_b32_e64 v17, v15, v14, s[50:51]
	v_cndmask_b32_e64 v15, v52, v49, s[0:1]
	;; [unrolled: 1-line block ×3, first 2 shown]
	v_cmp_neq_f32_e32 vcc, v17, v15
	v_cmp_class_f32_e64 s[2:3], v17, s6
	s_or_b64 s[8:9], vcc, s[2:3]
	v_mov_b32_e32 v16, v49
	s_barrier
	s_and_saveexec_b64 s[2:3], s[8:9]
	s_cbranch_execz .LBB497_50
; %bb.49:
	v_sub_f32_e32 v16, v17, v15
	s_mov_b32 s7, 0x3fb8aa3b
	v_mul_f32_e32 v17, 0x3fb8aa3b, v16
	v_fma_f32 v18, v16, s7, -v17
	v_rndne_f32_e32 v19, v17
	v_fmac_f32_e32 v18, 0x32a5705f, v16
	v_sub_f32_e32 v17, v17, v19
	v_add_f32_e32 v17, v17, v18
	v_exp_f32_e32 v17, v17
	v_cvt_i32_f32_e32 v18, v19
	s_mov_b32 s7, 0xc2ce8ed0
	v_cmp_ngt_f32_e32 vcc, s7, v16
	s_mov_b32 s7, 0x42b17218
	v_ldexp_f32 v17, v17, v18
	v_cndmask_b32_e32 v17, 0, v17, vcc
	v_mov_b32_e32 v18, 0x7f800000
	v_cmp_nlt_f32_e32 vcc, s7, v16
	v_cndmask_b32_e32 v19, v18, v17, vcc
	v_add_f32_e32 v20, 1.0, v19
	v_cvt_f64_f32_e32 v[16:17], v20
	v_add_f32_e32 v21, -1.0, v20
	v_sub_f32_e32 v23, v21, v20
	v_sub_f32_e32 v21, v19, v21
	v_frexp_exp_i32_f64_e32 v16, v[16:17]
	v_add_f32_e32 v17, 1.0, v23
	v_add_f32_e32 v17, v21, v17
	v_frexp_mant_f32_e32 v21, v20
	s_mov_b32 s8, 0x3f2aaaab
	v_cmp_gt_f32_e32 vcc, s8, v21
	s_mov_b32 s8, 0x3f317218
	s_mov_b32 s7, 0x7f800000
	v_subbrev_co_u32_e32 v16, vcc, 0, v16, vcc
	v_sub_u32_e32 v21, 0, v16
	v_ldexp_f32 v20, v20, v21
	v_ldexp_f32 v17, v17, v21
	v_add_f32_e32 v21, -1.0, v20
	v_add_f32_e32 v25, 1.0, v20
	v_add_f32_e32 v23, 1.0, v21
	v_add_f32_e32 v26, -1.0, v25
	v_sub_f32_e32 v23, v20, v23
	v_sub_f32_e32 v20, v20, v26
	v_add_f32_e32 v23, v17, v23
	v_add_f32_e32 v17, v17, v20
	;; [unrolled: 1-line block ×3, first 2 shown]
	v_rcp_f32_e32 v26, v20
	v_add_f32_e32 v24, v21, v23
	v_sub_f32_e32 v21, v21, v24
	v_add_f32_e32 v21, v23, v21
	v_sub_f32_e32 v23, v25, v20
	v_add_f32_e32 v17, v17, v23
	v_mul_f32_e32 v23, v24, v26
	v_mul_f32_e32 v25, v20, v23
	v_fma_f32 v27, v23, v20, -v25
	v_fmac_f32_e32 v27, v23, v17
	v_add_f32_e32 v28, v25, v27
	v_sub_f32_e32 v29, v24, v28
	v_sub_f32_e32 v24, v24, v29
	;; [unrolled: 1-line block ×4, first 2 shown]
	v_add_f32_e32 v21, v21, v24
	v_sub_f32_e32 v24, v25, v27
	v_add_f32_e32 v21, v24, v21
	v_add_f32_e32 v24, v29, v21
	v_mul_f32_e32 v25, v26, v24
	v_mul_f32_e32 v27, v20, v25
	v_fma_f32 v20, v25, v20, -v27
	v_fmac_f32_e32 v20, v25, v17
	v_sub_f32_e32 v17, v29, v24
	v_add_f32_e32 v17, v21, v17
	v_add_f32_e32 v21, v27, v20
	v_sub_f32_e32 v28, v24, v21
	v_sub_f32_e32 v24, v24, v28
	v_sub_f32_e32 v27, v21, v27
	v_sub_f32_e32 v21, v24, v21
	v_add_f32_e32 v17, v17, v21
	v_sub_f32_e32 v20, v27, v20
	v_add_f32_e32 v17, v20, v17
	v_add_f32_e32 v20, v23, v25
	;; [unrolled: 1-line block ×3, first 2 shown]
	v_sub_f32_e32 v21, v20, v23
	v_mul_f32_e32 v17, v26, v17
	v_sub_f32_e32 v21, v25, v21
	v_add_f32_e32 v17, v21, v17
	v_cvt_f32_i32_e32 v16, v16
	v_add_f32_e32 v21, v20, v17
	v_mul_f32_e32 v23, v21, v21
	v_mov_b32_e32 v24, 0x3ecc95a3
	v_fmac_f32_e32 v24, 0x3e9b6dac, v23
	v_mov_b32_e32 v25, 0x3f2aaada
	v_fmac_f32_e32 v25, v23, v24
	v_mul_f32_e32 v24, 0x3f317218, v16
	v_fma_f32 v26, v16, s8, -v24
	v_fmac_f32_e32 v26, 0xb102e308, v16
	v_sub_f32_e32 v16, v21, v20
	v_sub_f32_e32 v16, v17, v16
	v_add_f32_e32 v17, v24, v26
	v_sub_f32_e32 v20, v17, v24
	v_ldexp_f32 v24, v21, 1
	v_mul_f32_e32 v21, v21, v23
	v_mul_f32_e32 v21, v21, v25
	v_add_f32_e32 v23, v24, v21
	v_sub_f32_e32 v24, v23, v24
	v_ldexp_f32 v16, v16, 1
	v_sub_f32_e32 v21, v21, v24
	v_add_f32_e32 v16, v16, v21
	v_add_f32_e32 v21, v23, v16
	v_sub_f32_e32 v23, v21, v23
	v_sub_f32_e32 v16, v16, v23
	v_add_f32_e32 v23, v17, v21
	v_sub_f32_e32 v24, v23, v17
	v_sub_f32_e32 v25, v23, v24
	;; [unrolled: 1-line block ×5, first 2 shown]
	v_add_f32_e32 v17, v21, v17
	v_add_f32_e32 v21, v20, v16
	v_sub_f32_e32 v24, v21, v20
	v_sub_f32_e32 v25, v21, v24
	;; [unrolled: 1-line block ×4, first 2 shown]
	v_add_f32_e32 v17, v21, v17
	v_add_f32_e32 v16, v16, v20
	;; [unrolled: 1-line block ×3, first 2 shown]
	v_sub_f32_e32 v21, v20, v23
	v_sub_f32_e32 v17, v17, v21
	v_add_f32_e32 v16, v16, v17
	v_add_f32_e32 v16, v20, v16
	v_cmp_neq_f32_e32 vcc, s7, v19
	s_mov_b32 s7, 0x33800000
	v_cndmask_b32_e32 v16, v18, v16, vcc
	v_cmp_lt_f32_e64 vcc, |v19|, s7
	v_cndmask_b32_e32 v16, v16, v19, vcc
	v_add_f32_e32 v16, v15, v16
.LBB497_50:
	s_or_b64 exec, exec, s[2:3]
	v_bfe_u32 v15, v16, 16, 1
	s_movk_i32 s7, 0x7fff
	v_add3_u32 v15, v16, v15, s7
	v_and_b32_e32 v15, 0xffff0000, v15
	v_mov_b32_e32 v17, 0x7fc00000
	v_cmp_o_f32_e32 vcc, v16, v16
	v_cndmask_b32_e32 v19, v17, v15, vcc
	v_lshlrev_b32_e32 v15, 16, v2
	v_max_f32_e32 v18, v19, v19
	v_max_f32_e32 v16, v15, v15
	v_min_f32_e32 v20, v18, v16
	v_cmp_u_f32_e32 vcc, v19, v19
	v_max_f32_e32 v18, v18, v16
	v_cndmask_b32_e32 v20, v20, v19, vcc
	v_cmp_u_f32_e64 s[52:53], v15, v15
	v_cndmask_b32_e32 v18, v18, v19, vcc
	v_cndmask_b32_e64 v20, v20, v15, s[52:53]
	v_cndmask_b32_e64 v18, v18, v15, s[52:53]
	v_cmp_neq_f32_e32 vcc, v20, v18
	v_cmp_class_f32_e64 s[2:3], v20, s6
	s_or_b64 s[8:9], vcc, s[2:3]
	s_and_saveexec_b64 s[2:3], s[8:9]
	s_cbranch_execz .LBB497_52
; %bb.51:
	v_sub_f32_e32 v19, v20, v18
	s_mov_b32 s6, 0x3fb8aa3b
	v_mul_f32_e32 v20, 0x3fb8aa3b, v19
	v_fma_f32 v21, v19, s6, -v20
	v_rndne_f32_e32 v23, v20
	v_fmac_f32_e32 v21, 0x32a5705f, v19
	v_sub_f32_e32 v20, v20, v23
	v_add_f32_e32 v20, v20, v21
	v_exp_f32_e32 v20, v20
	v_cvt_i32_f32_e32 v21, v23
	s_mov_b32 s6, 0xc2ce8ed0
	v_cmp_ngt_f32_e32 vcc, s6, v19
	s_mov_b32 s6, 0x42b17218
	v_ldexp_f32 v20, v20, v21
	v_cndmask_b32_e32 v20, 0, v20, vcc
	v_mov_b32_e32 v21, 0x7f800000
	v_cmp_nlt_f32_e32 vcc, s6, v19
	v_cndmask_b32_e32 v23, v21, v20, vcc
	v_add_f32_e32 v24, 1.0, v23
	v_cvt_f64_f32_e32 v[19:20], v24
	v_add_f32_e32 v25, -1.0, v24
	v_sub_f32_e32 v26, v25, v24
	v_sub_f32_e32 v25, v23, v25
	v_frexp_exp_i32_f64_e32 v19, v[19:20]
	v_add_f32_e32 v20, 1.0, v26
	v_add_f32_e32 v20, v25, v20
	v_frexp_mant_f32_e32 v25, v24
	s_mov_b32 s8, 0x3f2aaaab
	v_cmp_gt_f32_e32 vcc, s8, v25
	s_mov_b32 s8, 0x3f317218
	s_mov_b32 s6, 0x7f800000
	v_subbrev_co_u32_e32 v19, vcc, 0, v19, vcc
	v_sub_u32_e32 v25, 0, v19
	v_ldexp_f32 v24, v24, v25
	v_ldexp_f32 v20, v20, v25
	v_add_f32_e32 v25, -1.0, v24
	v_add_f32_e32 v28, 1.0, v24
	v_add_f32_e32 v26, 1.0, v25
	v_add_f32_e32 v29, -1.0, v28
	v_sub_f32_e32 v26, v24, v26
	v_sub_f32_e32 v24, v24, v29
	v_add_f32_e32 v26, v20, v26
	v_add_f32_e32 v20, v20, v24
	;; [unrolled: 1-line block ×3, first 2 shown]
	v_rcp_f32_e32 v29, v24
	v_add_f32_e32 v27, v25, v26
	v_sub_f32_e32 v25, v25, v27
	v_add_f32_e32 v25, v26, v25
	v_sub_f32_e32 v26, v28, v24
	v_add_f32_e32 v20, v20, v26
	v_mul_f32_e32 v26, v27, v29
	v_mul_f32_e32 v28, v24, v26
	v_fma_f32 v30, v26, v24, -v28
	v_fmac_f32_e32 v30, v26, v20
	v_add_f32_e32 v31, v28, v30
	v_sub_f32_e32 v32, v27, v31
	v_sub_f32_e32 v27, v27, v32
	;; [unrolled: 1-line block ×4, first 2 shown]
	v_add_f32_e32 v25, v25, v27
	v_sub_f32_e32 v27, v28, v30
	v_add_f32_e32 v25, v27, v25
	v_add_f32_e32 v27, v32, v25
	v_mul_f32_e32 v28, v29, v27
	v_mul_f32_e32 v30, v24, v28
	v_fma_f32 v24, v28, v24, -v30
	v_fmac_f32_e32 v24, v28, v20
	v_sub_f32_e32 v20, v32, v27
	v_add_f32_e32 v20, v25, v20
	v_add_f32_e32 v25, v30, v24
	v_sub_f32_e32 v31, v27, v25
	v_sub_f32_e32 v27, v27, v31
	;; [unrolled: 1-line block ×4, first 2 shown]
	v_add_f32_e32 v20, v20, v25
	v_sub_f32_e32 v24, v30, v24
	v_add_f32_e32 v20, v24, v20
	v_add_f32_e32 v24, v26, v28
	;; [unrolled: 1-line block ×3, first 2 shown]
	v_sub_f32_e32 v25, v24, v26
	v_mul_f32_e32 v20, v29, v20
	v_sub_f32_e32 v25, v28, v25
	v_add_f32_e32 v20, v25, v20
	v_cvt_f32_i32_e32 v19, v19
	v_add_f32_e32 v25, v24, v20
	v_mul_f32_e32 v26, v25, v25
	v_mov_b32_e32 v27, 0x3ecc95a3
	v_fmac_f32_e32 v27, 0x3e9b6dac, v26
	v_mov_b32_e32 v28, 0x3f2aaada
	v_fmac_f32_e32 v28, v26, v27
	v_mul_f32_e32 v27, 0x3f317218, v19
	v_fma_f32 v29, v19, s8, -v27
	v_fmac_f32_e32 v29, 0xb102e308, v19
	v_sub_f32_e32 v19, v25, v24
	v_sub_f32_e32 v19, v20, v19
	v_add_f32_e32 v20, v27, v29
	v_sub_f32_e32 v24, v20, v27
	v_ldexp_f32 v27, v25, 1
	v_mul_f32_e32 v25, v25, v26
	v_mul_f32_e32 v25, v25, v28
	v_add_f32_e32 v26, v27, v25
	v_sub_f32_e32 v27, v26, v27
	v_ldexp_f32 v19, v19, 1
	v_sub_f32_e32 v25, v25, v27
	v_add_f32_e32 v19, v19, v25
	v_add_f32_e32 v25, v26, v19
	v_sub_f32_e32 v26, v25, v26
	v_sub_f32_e32 v19, v19, v26
	v_add_f32_e32 v26, v20, v25
	v_sub_f32_e32 v27, v26, v20
	v_sub_f32_e32 v28, v26, v27
	;; [unrolled: 1-line block ×5, first 2 shown]
	v_add_f32_e32 v20, v25, v20
	v_add_f32_e32 v25, v24, v19
	v_sub_f32_e32 v27, v25, v24
	v_sub_f32_e32 v28, v25, v27
	v_sub_f32_e32 v24, v24, v28
	v_sub_f32_e32 v19, v19, v27
	v_add_f32_e32 v20, v25, v20
	v_add_f32_e32 v19, v19, v24
	;; [unrolled: 1-line block ×3, first 2 shown]
	v_sub_f32_e32 v25, v24, v26
	v_sub_f32_e32 v20, v20, v25
	v_add_f32_e32 v19, v19, v20
	v_add_f32_e32 v19, v24, v19
	v_cmp_neq_f32_e32 vcc, s6, v23
	s_mov_b32 s6, 0x33800000
	v_cndmask_b32_e32 v19, v21, v19, vcc
	v_cmp_lt_f32_e64 vcc, |v23|, s6
	v_cndmask_b32_e32 v19, v19, v23, vcc
	v_add_f32_e32 v19, v18, v19
.LBB497_52:
	s_or_b64 exec, exec, s[2:3]
	v_bfe_u32 v18, v19, 16, 1
	v_add3_u32 v18, v19, v18, s7
	v_and_b32_e32 v18, 0xffff0000, v18
	v_cmp_o_f32_e32 vcc, v19, v19
	v_cndmask_b32_e32 v19, v17, v18, vcc
	v_and_b32_e32 v2, 0xffff0000, v2
	v_max_f32_e32 v17, v19, v19
	v_max_f32_e32 v18, v2, v2
	v_min_f32_e32 v20, v17, v18
	v_cmp_u_f32_e32 vcc, v19, v19
	v_max_f32_e32 v17, v17, v18
	v_cndmask_b32_e32 v20, v20, v19, vcc
	v_cmp_u_f32_e64 s[54:55], v2, v2
	v_cndmask_b32_e32 v17, v17, v19, vcc
	v_cndmask_b32_e64 v20, v20, v2, s[54:55]
	v_cndmask_b32_e64 v17, v17, v2, s[54:55]
	s_movk_i32 s6, 0x1f8
	v_cmp_neq_f32_e32 vcc, v20, v17
	v_cmp_class_f32_e64 s[2:3], v20, s6
	s_or_b64 s[8:9], vcc, s[2:3]
	s_and_saveexec_b64 s[2:3], s[8:9]
	s_cbranch_execz .LBB497_54
; %bb.53:
	v_sub_f32_e32 v19, v20, v17
	s_mov_b32 s7, 0x3fb8aa3b
	v_mul_f32_e32 v20, 0x3fb8aa3b, v19
	v_fma_f32 v21, v19, s7, -v20
	v_rndne_f32_e32 v23, v20
	v_fmac_f32_e32 v21, 0x32a5705f, v19
	v_sub_f32_e32 v20, v20, v23
	v_add_f32_e32 v20, v20, v21
	v_exp_f32_e32 v20, v20
	v_cvt_i32_f32_e32 v21, v23
	s_mov_b32 s7, 0xc2ce8ed0
	v_cmp_ngt_f32_e32 vcc, s7, v19
	s_mov_b32 s7, 0x42b17218
	v_ldexp_f32 v20, v20, v21
	v_cndmask_b32_e32 v20, 0, v20, vcc
	v_mov_b32_e32 v21, 0x7f800000
	v_cmp_nlt_f32_e32 vcc, s7, v19
	v_cndmask_b32_e32 v23, v21, v20, vcc
	v_add_f32_e32 v24, 1.0, v23
	v_cvt_f64_f32_e32 v[19:20], v24
	v_add_f32_e32 v25, -1.0, v24
	v_sub_f32_e32 v26, v25, v24
	v_sub_f32_e32 v25, v23, v25
	v_frexp_exp_i32_f64_e32 v19, v[19:20]
	v_add_f32_e32 v20, 1.0, v26
	v_add_f32_e32 v20, v25, v20
	v_frexp_mant_f32_e32 v25, v24
	s_mov_b32 s8, 0x3f2aaaab
	v_cmp_gt_f32_e32 vcc, s8, v25
	s_mov_b32 s8, 0x3f317218
	s_mov_b32 s7, 0x7f800000
	v_subbrev_co_u32_e32 v19, vcc, 0, v19, vcc
	v_sub_u32_e32 v25, 0, v19
	v_ldexp_f32 v24, v24, v25
	v_ldexp_f32 v20, v20, v25
	v_add_f32_e32 v25, -1.0, v24
	v_add_f32_e32 v28, 1.0, v24
	v_add_f32_e32 v26, 1.0, v25
	v_add_f32_e32 v29, -1.0, v28
	v_sub_f32_e32 v26, v24, v26
	v_sub_f32_e32 v24, v24, v29
	v_add_f32_e32 v26, v20, v26
	v_add_f32_e32 v20, v20, v24
	;; [unrolled: 1-line block ×3, first 2 shown]
	v_rcp_f32_e32 v29, v24
	v_add_f32_e32 v27, v25, v26
	v_sub_f32_e32 v25, v25, v27
	v_add_f32_e32 v25, v26, v25
	v_sub_f32_e32 v26, v28, v24
	v_add_f32_e32 v20, v20, v26
	v_mul_f32_e32 v26, v27, v29
	v_mul_f32_e32 v28, v24, v26
	v_fma_f32 v30, v26, v24, -v28
	v_fmac_f32_e32 v30, v26, v20
	v_add_f32_e32 v31, v28, v30
	v_sub_f32_e32 v32, v27, v31
	v_sub_f32_e32 v27, v27, v32
	;; [unrolled: 1-line block ×4, first 2 shown]
	v_add_f32_e32 v25, v25, v27
	v_sub_f32_e32 v27, v28, v30
	v_add_f32_e32 v25, v27, v25
	v_add_f32_e32 v27, v32, v25
	v_mul_f32_e32 v28, v29, v27
	v_mul_f32_e32 v30, v24, v28
	v_fma_f32 v24, v28, v24, -v30
	v_fmac_f32_e32 v24, v28, v20
	v_sub_f32_e32 v20, v32, v27
	v_add_f32_e32 v20, v25, v20
	v_add_f32_e32 v25, v30, v24
	v_sub_f32_e32 v31, v27, v25
	v_sub_f32_e32 v27, v27, v31
	;; [unrolled: 1-line block ×4, first 2 shown]
	v_add_f32_e32 v20, v20, v25
	v_sub_f32_e32 v24, v30, v24
	v_add_f32_e32 v20, v24, v20
	v_add_f32_e32 v24, v26, v28
	;; [unrolled: 1-line block ×3, first 2 shown]
	v_sub_f32_e32 v25, v24, v26
	v_mul_f32_e32 v20, v29, v20
	v_sub_f32_e32 v25, v28, v25
	v_add_f32_e32 v20, v25, v20
	v_cvt_f32_i32_e32 v19, v19
	v_add_f32_e32 v25, v24, v20
	v_mul_f32_e32 v26, v25, v25
	v_mov_b32_e32 v27, 0x3ecc95a3
	v_fmac_f32_e32 v27, 0x3e9b6dac, v26
	v_mov_b32_e32 v28, 0x3f2aaada
	v_fmac_f32_e32 v28, v26, v27
	v_mul_f32_e32 v27, 0x3f317218, v19
	v_fma_f32 v29, v19, s8, -v27
	v_fmac_f32_e32 v29, 0xb102e308, v19
	v_sub_f32_e32 v19, v25, v24
	v_sub_f32_e32 v19, v20, v19
	v_add_f32_e32 v20, v27, v29
	v_sub_f32_e32 v24, v20, v27
	v_ldexp_f32 v27, v25, 1
	v_mul_f32_e32 v25, v25, v26
	v_mul_f32_e32 v25, v25, v28
	v_add_f32_e32 v26, v27, v25
	v_sub_f32_e32 v27, v26, v27
	v_ldexp_f32 v19, v19, 1
	v_sub_f32_e32 v25, v25, v27
	v_add_f32_e32 v19, v19, v25
	v_add_f32_e32 v25, v26, v19
	v_sub_f32_e32 v26, v25, v26
	v_sub_f32_e32 v19, v19, v26
	v_add_f32_e32 v26, v20, v25
	v_sub_f32_e32 v27, v26, v20
	v_sub_f32_e32 v28, v26, v27
	;; [unrolled: 1-line block ×5, first 2 shown]
	v_add_f32_e32 v20, v25, v20
	v_add_f32_e32 v25, v24, v19
	v_sub_f32_e32 v27, v25, v24
	v_sub_f32_e32 v28, v25, v27
	v_sub_f32_e32 v24, v24, v28
	v_sub_f32_e32 v19, v19, v27
	v_add_f32_e32 v20, v25, v20
	v_add_f32_e32 v19, v19, v24
	;; [unrolled: 1-line block ×3, first 2 shown]
	v_sub_f32_e32 v25, v24, v26
	v_sub_f32_e32 v20, v20, v25
	v_add_f32_e32 v19, v19, v20
	v_add_f32_e32 v19, v24, v19
	v_cmp_neq_f32_e32 vcc, s7, v23
	s_mov_b32 s7, 0x33800000
	v_cndmask_b32_e32 v19, v21, v19, vcc
	v_cmp_lt_f32_e64 vcc, |v23|, s7
	v_cndmask_b32_e32 v19, v19, v23, vcc
	v_add_f32_e32 v19, v17, v19
.LBB497_54:
	s_or_b64 exec, exec, s[2:3]
	v_bfe_u32 v17, v19, 16, 1
	s_movk_i32 s7, 0x7fff
	v_add3_u32 v17, v19, v17, s7
	v_and_b32_e32 v17, 0xffff0000, v17
	v_mov_b32_e32 v20, 0x7fc00000
	v_cmp_o_f32_e32 vcc, v19, v19
	v_cndmask_b32_e32 v23, v20, v17, vcc
	v_lshlrev_b32_e32 v17, 16, v3
	v_max_f32_e32 v21, v23, v23
	v_max_f32_e32 v19, v17, v17
	v_min_f32_e32 v24, v21, v19
	v_cmp_u_f32_e32 vcc, v23, v23
	v_max_f32_e32 v21, v21, v19
	v_cndmask_b32_e32 v24, v24, v23, vcc
	v_cmp_u_f32_e64 s[56:57], v17, v17
	v_cndmask_b32_e32 v21, v21, v23, vcc
	v_cndmask_b32_e64 v24, v24, v17, s[56:57]
	v_cndmask_b32_e64 v21, v21, v17, s[56:57]
	v_cmp_neq_f32_e32 vcc, v24, v21
	v_cmp_class_f32_e64 s[2:3], v24, s6
	s_or_b64 s[8:9], vcc, s[2:3]
	s_and_saveexec_b64 s[2:3], s[8:9]
	s_cbranch_execz .LBB497_56
; %bb.55:
	v_sub_f32_e32 v23, v24, v21
	s_mov_b32 s6, 0x3fb8aa3b
	v_mul_f32_e32 v24, 0x3fb8aa3b, v23
	v_fma_f32 v25, v23, s6, -v24
	v_rndne_f32_e32 v26, v24
	v_fmac_f32_e32 v25, 0x32a5705f, v23
	v_sub_f32_e32 v24, v24, v26
	v_add_f32_e32 v24, v24, v25
	v_exp_f32_e32 v24, v24
	v_cvt_i32_f32_e32 v25, v26
	s_mov_b32 s6, 0xc2ce8ed0
	v_cmp_ngt_f32_e32 vcc, s6, v23
	s_mov_b32 s6, 0x42b17218
	v_ldexp_f32 v24, v24, v25
	v_cndmask_b32_e32 v24, 0, v24, vcc
	v_mov_b32_e32 v25, 0x7f800000
	v_cmp_nlt_f32_e32 vcc, s6, v23
	v_cndmask_b32_e32 v26, v25, v24, vcc
	v_add_f32_e32 v27, 1.0, v26
	v_cvt_f64_f32_e32 v[23:24], v27
	v_add_f32_e32 v28, -1.0, v27
	v_sub_f32_e32 v29, v28, v27
	v_sub_f32_e32 v28, v26, v28
	v_frexp_exp_i32_f64_e32 v23, v[23:24]
	v_add_f32_e32 v24, 1.0, v29
	v_add_f32_e32 v24, v28, v24
	v_frexp_mant_f32_e32 v28, v27
	s_mov_b32 s8, 0x3f2aaaab
	v_cmp_gt_f32_e32 vcc, s8, v28
	s_mov_b32 s8, 0x3f317218
	s_mov_b32 s6, 0x7f800000
	v_subbrev_co_u32_e32 v23, vcc, 0, v23, vcc
	v_sub_u32_e32 v28, 0, v23
	v_ldexp_f32 v27, v27, v28
	v_ldexp_f32 v24, v24, v28
	v_add_f32_e32 v28, -1.0, v27
	v_add_f32_e32 v31, 1.0, v27
	v_add_f32_e32 v29, 1.0, v28
	v_add_f32_e32 v32, -1.0, v31
	v_sub_f32_e32 v29, v27, v29
	v_sub_f32_e32 v27, v27, v32
	v_add_f32_e32 v29, v24, v29
	v_add_f32_e32 v24, v24, v27
	;; [unrolled: 1-line block ×3, first 2 shown]
	v_rcp_f32_e32 v32, v27
	v_add_f32_e32 v30, v28, v29
	v_sub_f32_e32 v28, v28, v30
	v_add_f32_e32 v28, v29, v28
	v_sub_f32_e32 v29, v31, v27
	v_add_f32_e32 v24, v24, v29
	v_mul_f32_e32 v29, v30, v32
	v_mul_f32_e32 v31, v27, v29
	v_fma_f32 v33, v29, v27, -v31
	v_fmac_f32_e32 v33, v29, v24
	v_add_f32_e32 v34, v31, v33
	v_sub_f32_e32 v35, v30, v34
	v_sub_f32_e32 v30, v30, v35
	;; [unrolled: 1-line block ×4, first 2 shown]
	v_add_f32_e32 v28, v28, v30
	v_sub_f32_e32 v30, v31, v33
	v_add_f32_e32 v28, v30, v28
	v_add_f32_e32 v30, v35, v28
	v_mul_f32_e32 v31, v32, v30
	v_mul_f32_e32 v33, v27, v31
	v_fma_f32 v27, v31, v27, -v33
	v_fmac_f32_e32 v27, v31, v24
	v_sub_f32_e32 v24, v35, v30
	v_add_f32_e32 v24, v28, v24
	v_add_f32_e32 v28, v33, v27
	v_sub_f32_e32 v34, v30, v28
	v_sub_f32_e32 v30, v30, v34
	;; [unrolled: 1-line block ×4, first 2 shown]
	v_add_f32_e32 v24, v24, v28
	v_sub_f32_e32 v27, v33, v27
	v_add_f32_e32 v24, v27, v24
	v_add_f32_e32 v27, v29, v31
	v_add_f32_e32 v24, v34, v24
	v_sub_f32_e32 v28, v27, v29
	v_mul_f32_e32 v24, v32, v24
	v_sub_f32_e32 v28, v31, v28
	v_add_f32_e32 v24, v28, v24
	v_cvt_f32_i32_e32 v23, v23
	v_add_f32_e32 v28, v27, v24
	v_mul_f32_e32 v29, v28, v28
	v_mov_b32_e32 v30, 0x3ecc95a3
	v_fmac_f32_e32 v30, 0x3e9b6dac, v29
	v_mov_b32_e32 v31, 0x3f2aaada
	v_fmac_f32_e32 v31, v29, v30
	v_mul_f32_e32 v30, 0x3f317218, v23
	v_fma_f32 v32, v23, s8, -v30
	v_fmac_f32_e32 v32, 0xb102e308, v23
	v_sub_f32_e32 v23, v28, v27
	v_sub_f32_e32 v23, v24, v23
	v_add_f32_e32 v24, v30, v32
	v_sub_f32_e32 v27, v24, v30
	v_ldexp_f32 v30, v28, 1
	v_mul_f32_e32 v28, v28, v29
	v_mul_f32_e32 v28, v28, v31
	v_add_f32_e32 v29, v30, v28
	v_sub_f32_e32 v30, v29, v30
	v_ldexp_f32 v23, v23, 1
	v_sub_f32_e32 v28, v28, v30
	v_add_f32_e32 v23, v23, v28
	v_add_f32_e32 v28, v29, v23
	v_sub_f32_e32 v29, v28, v29
	v_sub_f32_e32 v23, v23, v29
	v_add_f32_e32 v29, v24, v28
	v_sub_f32_e32 v30, v29, v24
	v_sub_f32_e32 v31, v29, v30
	;; [unrolled: 1-line block ×5, first 2 shown]
	v_add_f32_e32 v24, v28, v24
	v_add_f32_e32 v28, v27, v23
	v_sub_f32_e32 v30, v28, v27
	v_sub_f32_e32 v31, v28, v30
	;; [unrolled: 1-line block ×4, first 2 shown]
	v_add_f32_e32 v24, v28, v24
	v_add_f32_e32 v23, v23, v27
	;; [unrolled: 1-line block ×3, first 2 shown]
	v_sub_f32_e32 v28, v27, v29
	v_sub_f32_e32 v24, v24, v28
	v_add_f32_e32 v23, v23, v24
	v_add_f32_e32 v23, v27, v23
	v_cmp_neq_f32_e32 vcc, s6, v26
	s_mov_b32 s6, 0x33800000
	v_cndmask_b32_e32 v23, v25, v23, vcc
	v_cmp_lt_f32_e64 vcc, |v26|, s6
	v_cndmask_b32_e32 v23, v23, v26, vcc
	v_add_f32_e32 v23, v21, v23
.LBB497_56:
	s_or_b64 exec, exec, s[2:3]
	v_bfe_u32 v21, v23, 16, 1
	v_add3_u32 v21, v23, v21, s7
	v_and_b32_e32 v21, 0xffff0000, v21
	v_cmp_o_f32_e32 vcc, v23, v23
	v_cndmask_b32_e32 v23, v20, v21, vcc
	v_and_b32_e32 v3, 0xffff0000, v3
	v_max_f32_e32 v20, v23, v23
	v_max_f32_e32 v21, v3, v3
	v_min_f32_e32 v24, v20, v21
	v_cmp_u_f32_e32 vcc, v23, v23
	v_max_f32_e32 v20, v20, v21
	v_cndmask_b32_e32 v24, v24, v23, vcc
	v_cmp_u_f32_e64 s[58:59], v3, v3
	v_cndmask_b32_e32 v20, v20, v23, vcc
	v_cndmask_b32_e64 v24, v24, v3, s[58:59]
	v_cndmask_b32_e64 v20, v20, v3, s[58:59]
	s_movk_i32 s6, 0x1f8
	v_cmp_neq_f32_e32 vcc, v24, v20
	v_cmp_class_f32_e64 s[2:3], v24, s6
	s_or_b64 s[8:9], vcc, s[2:3]
	s_and_saveexec_b64 s[2:3], s[8:9]
	s_cbranch_execz .LBB497_58
; %bb.57:
	v_sub_f32_e32 v23, v24, v20
	s_mov_b32 s7, 0x3fb8aa3b
	v_mul_f32_e32 v24, 0x3fb8aa3b, v23
	v_fma_f32 v25, v23, s7, -v24
	v_rndne_f32_e32 v26, v24
	v_fmac_f32_e32 v25, 0x32a5705f, v23
	v_sub_f32_e32 v24, v24, v26
	v_add_f32_e32 v24, v24, v25
	v_exp_f32_e32 v24, v24
	v_cvt_i32_f32_e32 v25, v26
	s_mov_b32 s7, 0xc2ce8ed0
	v_cmp_ngt_f32_e32 vcc, s7, v23
	s_mov_b32 s7, 0x42b17218
	v_ldexp_f32 v24, v24, v25
	v_cndmask_b32_e32 v24, 0, v24, vcc
	v_mov_b32_e32 v25, 0x7f800000
	v_cmp_nlt_f32_e32 vcc, s7, v23
	v_cndmask_b32_e32 v26, v25, v24, vcc
	v_add_f32_e32 v27, 1.0, v26
	v_cvt_f64_f32_e32 v[23:24], v27
	v_add_f32_e32 v28, -1.0, v27
	v_sub_f32_e32 v29, v28, v27
	v_sub_f32_e32 v28, v26, v28
	v_frexp_exp_i32_f64_e32 v23, v[23:24]
	v_add_f32_e32 v24, 1.0, v29
	v_add_f32_e32 v24, v28, v24
	v_frexp_mant_f32_e32 v28, v27
	s_mov_b32 s8, 0x3f2aaaab
	v_cmp_gt_f32_e32 vcc, s8, v28
	s_mov_b32 s8, 0x3f317218
	s_mov_b32 s7, 0x7f800000
	v_subbrev_co_u32_e32 v23, vcc, 0, v23, vcc
	v_sub_u32_e32 v28, 0, v23
	v_ldexp_f32 v27, v27, v28
	v_ldexp_f32 v24, v24, v28
	v_add_f32_e32 v28, -1.0, v27
	v_add_f32_e32 v31, 1.0, v27
	v_add_f32_e32 v29, 1.0, v28
	v_add_f32_e32 v32, -1.0, v31
	v_sub_f32_e32 v29, v27, v29
	v_sub_f32_e32 v27, v27, v32
	v_add_f32_e32 v29, v24, v29
	v_add_f32_e32 v24, v24, v27
	;; [unrolled: 1-line block ×3, first 2 shown]
	v_rcp_f32_e32 v32, v27
	v_add_f32_e32 v30, v28, v29
	v_sub_f32_e32 v28, v28, v30
	v_add_f32_e32 v28, v29, v28
	v_sub_f32_e32 v29, v31, v27
	v_add_f32_e32 v24, v24, v29
	v_mul_f32_e32 v29, v30, v32
	v_mul_f32_e32 v31, v27, v29
	v_fma_f32 v33, v29, v27, -v31
	v_fmac_f32_e32 v33, v29, v24
	v_add_f32_e32 v34, v31, v33
	v_sub_f32_e32 v35, v30, v34
	v_sub_f32_e32 v30, v30, v35
	;; [unrolled: 1-line block ×4, first 2 shown]
	v_add_f32_e32 v28, v28, v30
	v_sub_f32_e32 v30, v31, v33
	v_add_f32_e32 v28, v30, v28
	v_add_f32_e32 v30, v35, v28
	v_mul_f32_e32 v31, v32, v30
	v_mul_f32_e32 v33, v27, v31
	v_fma_f32 v27, v31, v27, -v33
	v_fmac_f32_e32 v27, v31, v24
	v_sub_f32_e32 v24, v35, v30
	v_add_f32_e32 v24, v28, v24
	v_add_f32_e32 v28, v33, v27
	v_sub_f32_e32 v34, v30, v28
	v_sub_f32_e32 v30, v30, v34
	;; [unrolled: 1-line block ×4, first 2 shown]
	v_add_f32_e32 v24, v24, v28
	v_sub_f32_e32 v27, v33, v27
	v_add_f32_e32 v24, v27, v24
	v_add_f32_e32 v27, v29, v31
	;; [unrolled: 1-line block ×3, first 2 shown]
	v_sub_f32_e32 v28, v27, v29
	v_mul_f32_e32 v24, v32, v24
	v_sub_f32_e32 v28, v31, v28
	v_add_f32_e32 v24, v28, v24
	v_cvt_f32_i32_e32 v23, v23
	v_add_f32_e32 v28, v27, v24
	v_mul_f32_e32 v29, v28, v28
	v_mov_b32_e32 v30, 0x3ecc95a3
	v_fmac_f32_e32 v30, 0x3e9b6dac, v29
	v_mov_b32_e32 v31, 0x3f2aaada
	v_fmac_f32_e32 v31, v29, v30
	v_mul_f32_e32 v30, 0x3f317218, v23
	v_fma_f32 v32, v23, s8, -v30
	v_fmac_f32_e32 v32, 0xb102e308, v23
	v_sub_f32_e32 v23, v28, v27
	v_sub_f32_e32 v23, v24, v23
	v_add_f32_e32 v24, v30, v32
	v_sub_f32_e32 v27, v24, v30
	v_ldexp_f32 v30, v28, 1
	v_mul_f32_e32 v28, v28, v29
	v_mul_f32_e32 v28, v28, v31
	v_add_f32_e32 v29, v30, v28
	v_sub_f32_e32 v30, v29, v30
	v_ldexp_f32 v23, v23, 1
	v_sub_f32_e32 v28, v28, v30
	v_add_f32_e32 v23, v23, v28
	v_add_f32_e32 v28, v29, v23
	v_sub_f32_e32 v29, v28, v29
	v_sub_f32_e32 v23, v23, v29
	v_add_f32_e32 v29, v24, v28
	v_sub_f32_e32 v30, v29, v24
	v_sub_f32_e32 v31, v29, v30
	;; [unrolled: 1-line block ×5, first 2 shown]
	v_add_f32_e32 v24, v28, v24
	v_add_f32_e32 v28, v27, v23
	v_sub_f32_e32 v30, v28, v27
	v_sub_f32_e32 v31, v28, v30
	;; [unrolled: 1-line block ×4, first 2 shown]
	v_add_f32_e32 v24, v28, v24
	v_add_f32_e32 v23, v23, v27
	;; [unrolled: 1-line block ×3, first 2 shown]
	v_sub_f32_e32 v28, v27, v29
	v_sub_f32_e32 v24, v24, v28
	v_add_f32_e32 v23, v23, v24
	v_add_f32_e32 v23, v27, v23
	v_cmp_neq_f32_e32 vcc, s7, v26
	s_mov_b32 s7, 0x33800000
	v_cndmask_b32_e32 v23, v25, v23, vcc
	v_cmp_lt_f32_e64 vcc, |v26|, s7
	v_cndmask_b32_e32 v23, v23, v26, vcc
	v_add_f32_e32 v23, v20, v23
.LBB497_58:
	s_or_b64 exec, exec, s[2:3]
	v_bfe_u32 v20, v23, 16, 1
	s_movk_i32 s7, 0x7fff
	v_add3_u32 v20, v23, v20, s7
	v_and_b32_e32 v20, 0xffff0000, v20
	v_mov_b32_e32 v24, 0x7fc00000
	v_cmp_o_f32_e32 vcc, v23, v23
	v_cndmask_b32_e32 v26, v24, v20, vcc
	v_lshlrev_b32_e32 v20, 16, v4
	v_max_f32_e32 v25, v26, v26
	v_max_f32_e32 v23, v20, v20
	v_min_f32_e32 v27, v25, v23
	v_cmp_u_f32_e32 vcc, v26, v26
	v_max_f32_e32 v25, v25, v23
	v_cndmask_b32_e32 v27, v27, v26, vcc
	v_cmp_u_f32_e64 s[60:61], v20, v20
	v_cndmask_b32_e32 v25, v25, v26, vcc
	v_cndmask_b32_e64 v27, v27, v20, s[60:61]
	v_cndmask_b32_e64 v25, v25, v20, s[60:61]
	v_cmp_neq_f32_e32 vcc, v27, v25
	v_cmp_class_f32_e64 s[2:3], v27, s6
	s_or_b64 s[8:9], vcc, s[2:3]
	s_and_saveexec_b64 s[2:3], s[8:9]
	s_cbranch_execz .LBB497_60
; %bb.59:
	v_sub_f32_e32 v26, v27, v25
	s_mov_b32 s6, 0x3fb8aa3b
	v_mul_f32_e32 v27, 0x3fb8aa3b, v26
	v_fma_f32 v28, v26, s6, -v27
	v_rndne_f32_e32 v29, v27
	v_fmac_f32_e32 v28, 0x32a5705f, v26
	v_sub_f32_e32 v27, v27, v29
	v_add_f32_e32 v27, v27, v28
	v_exp_f32_e32 v27, v27
	v_cvt_i32_f32_e32 v28, v29
	s_mov_b32 s6, 0xc2ce8ed0
	v_cmp_ngt_f32_e32 vcc, s6, v26
	s_mov_b32 s6, 0x42b17218
	v_ldexp_f32 v27, v27, v28
	v_cndmask_b32_e32 v27, 0, v27, vcc
	v_mov_b32_e32 v28, 0x7f800000
	v_cmp_nlt_f32_e32 vcc, s6, v26
	v_cndmask_b32_e32 v29, v28, v27, vcc
	v_add_f32_e32 v30, 1.0, v29
	v_cvt_f64_f32_e32 v[26:27], v30
	v_add_f32_e32 v31, -1.0, v30
	v_sub_f32_e32 v32, v31, v30
	v_sub_f32_e32 v31, v29, v31
	v_frexp_exp_i32_f64_e32 v26, v[26:27]
	v_add_f32_e32 v27, 1.0, v32
	v_add_f32_e32 v27, v31, v27
	v_frexp_mant_f32_e32 v31, v30
	s_mov_b32 s8, 0x3f2aaaab
	v_cmp_gt_f32_e32 vcc, s8, v31
	s_mov_b32 s8, 0x3f317218
	s_mov_b32 s6, 0x7f800000
	v_subbrev_co_u32_e32 v26, vcc, 0, v26, vcc
	v_sub_u32_e32 v31, 0, v26
	v_ldexp_f32 v30, v30, v31
	v_ldexp_f32 v27, v27, v31
	v_add_f32_e32 v31, -1.0, v30
	v_add_f32_e32 v34, 1.0, v30
	v_add_f32_e32 v32, 1.0, v31
	v_add_f32_e32 v35, -1.0, v34
	v_sub_f32_e32 v32, v30, v32
	v_sub_f32_e32 v30, v30, v35
	v_add_f32_e32 v32, v27, v32
	v_add_f32_e32 v27, v27, v30
	;; [unrolled: 1-line block ×3, first 2 shown]
	v_rcp_f32_e32 v35, v30
	v_add_f32_e32 v33, v31, v32
	v_sub_f32_e32 v31, v31, v33
	v_add_f32_e32 v31, v32, v31
	v_sub_f32_e32 v32, v34, v30
	v_add_f32_e32 v27, v27, v32
	v_mul_f32_e32 v32, v33, v35
	v_mul_f32_e32 v34, v30, v32
	v_fma_f32 v36, v32, v30, -v34
	v_fmac_f32_e32 v36, v32, v27
	v_add_f32_e32 v37, v34, v36
	v_sub_f32_e32 v38, v33, v37
	v_sub_f32_e32 v33, v33, v38
	;; [unrolled: 1-line block ×4, first 2 shown]
	v_add_f32_e32 v31, v31, v33
	v_sub_f32_e32 v33, v34, v36
	v_add_f32_e32 v31, v33, v31
	v_add_f32_e32 v33, v38, v31
	v_mul_f32_e32 v34, v35, v33
	v_mul_f32_e32 v36, v30, v34
	v_fma_f32 v30, v34, v30, -v36
	v_fmac_f32_e32 v30, v34, v27
	v_sub_f32_e32 v27, v38, v33
	v_add_f32_e32 v27, v31, v27
	v_add_f32_e32 v31, v36, v30
	v_sub_f32_e32 v37, v33, v31
	v_sub_f32_e32 v33, v33, v37
	;; [unrolled: 1-line block ×4, first 2 shown]
	v_add_f32_e32 v27, v27, v31
	v_sub_f32_e32 v30, v36, v30
	v_add_f32_e32 v27, v30, v27
	v_add_f32_e32 v30, v32, v34
	;; [unrolled: 1-line block ×3, first 2 shown]
	v_sub_f32_e32 v31, v30, v32
	v_mul_f32_e32 v27, v35, v27
	v_sub_f32_e32 v31, v34, v31
	v_add_f32_e32 v27, v31, v27
	v_cvt_f32_i32_e32 v26, v26
	v_add_f32_e32 v31, v30, v27
	v_mul_f32_e32 v32, v31, v31
	v_mov_b32_e32 v33, 0x3ecc95a3
	v_fmac_f32_e32 v33, 0x3e9b6dac, v32
	v_mov_b32_e32 v34, 0x3f2aaada
	v_fmac_f32_e32 v34, v32, v33
	v_mul_f32_e32 v33, 0x3f317218, v26
	v_fma_f32 v35, v26, s8, -v33
	v_fmac_f32_e32 v35, 0xb102e308, v26
	v_sub_f32_e32 v26, v31, v30
	v_sub_f32_e32 v26, v27, v26
	v_add_f32_e32 v27, v33, v35
	v_sub_f32_e32 v30, v27, v33
	v_ldexp_f32 v33, v31, 1
	v_mul_f32_e32 v31, v31, v32
	v_mul_f32_e32 v31, v31, v34
	v_add_f32_e32 v32, v33, v31
	v_sub_f32_e32 v33, v32, v33
	v_ldexp_f32 v26, v26, 1
	v_sub_f32_e32 v31, v31, v33
	v_add_f32_e32 v26, v26, v31
	v_add_f32_e32 v31, v32, v26
	v_sub_f32_e32 v32, v31, v32
	v_sub_f32_e32 v26, v26, v32
	v_add_f32_e32 v32, v27, v31
	v_sub_f32_e32 v33, v32, v27
	v_sub_f32_e32 v34, v32, v33
	v_sub_f32_e32 v30, v35, v30
	v_sub_f32_e32 v27, v27, v34
	v_sub_f32_e32 v31, v31, v33
	v_add_f32_e32 v27, v31, v27
	v_add_f32_e32 v31, v30, v26
	v_sub_f32_e32 v33, v31, v30
	v_sub_f32_e32 v34, v31, v33
	;; [unrolled: 1-line block ×4, first 2 shown]
	v_add_f32_e32 v27, v31, v27
	v_add_f32_e32 v26, v26, v30
	;; [unrolled: 1-line block ×3, first 2 shown]
	v_sub_f32_e32 v31, v30, v32
	v_sub_f32_e32 v27, v27, v31
	v_add_f32_e32 v26, v26, v27
	v_add_f32_e32 v26, v30, v26
	v_cmp_neq_f32_e32 vcc, s6, v29
	s_mov_b32 s6, 0x33800000
	v_cndmask_b32_e32 v26, v28, v26, vcc
	v_cmp_lt_f32_e64 vcc, |v29|, s6
	v_cndmask_b32_e32 v26, v26, v29, vcc
	v_add_f32_e32 v26, v25, v26
.LBB497_60:
	s_or_b64 exec, exec, s[2:3]
	v_bfe_u32 v25, v26, 16, 1
	v_add3_u32 v25, v26, v25, s7
	v_and_b32_e32 v25, 0xffff0000, v25
	v_cmp_o_f32_e32 vcc, v26, v26
	v_cndmask_b32_e32 v26, v24, v25, vcc
	v_and_b32_e32 v4, 0xffff0000, v4
	v_max_f32_e32 v24, v26, v26
	v_max_f32_e32 v25, v4, v4
	v_min_f32_e32 v27, v24, v25
	v_cmp_u_f32_e32 vcc, v26, v26
	v_max_f32_e32 v24, v24, v25
	v_cndmask_b32_e32 v27, v27, v26, vcc
	v_cmp_u_f32_e64 s[62:63], v4, v4
	v_cndmask_b32_e32 v24, v24, v26, vcc
	v_cndmask_b32_e64 v27, v27, v4, s[62:63]
	v_cndmask_b32_e64 v24, v24, v4, s[62:63]
	s_movk_i32 s6, 0x1f8
	v_cmp_neq_f32_e32 vcc, v27, v24
	v_cmp_class_f32_e64 s[2:3], v27, s6
	s_or_b64 s[8:9], vcc, s[2:3]
	s_and_saveexec_b64 s[2:3], s[8:9]
	s_cbranch_execz .LBB497_62
; %bb.61:
	v_sub_f32_e32 v26, v27, v24
	s_mov_b32 s7, 0x3fb8aa3b
	v_mul_f32_e32 v27, 0x3fb8aa3b, v26
	v_fma_f32 v28, v26, s7, -v27
	v_rndne_f32_e32 v29, v27
	v_fmac_f32_e32 v28, 0x32a5705f, v26
	v_sub_f32_e32 v27, v27, v29
	v_add_f32_e32 v27, v27, v28
	v_exp_f32_e32 v27, v27
	v_cvt_i32_f32_e32 v28, v29
	s_mov_b32 s7, 0xc2ce8ed0
	v_cmp_ngt_f32_e32 vcc, s7, v26
	s_mov_b32 s7, 0x42b17218
	v_ldexp_f32 v27, v27, v28
	v_cndmask_b32_e32 v27, 0, v27, vcc
	v_mov_b32_e32 v28, 0x7f800000
	v_cmp_nlt_f32_e32 vcc, s7, v26
	v_cndmask_b32_e32 v29, v28, v27, vcc
	v_add_f32_e32 v30, 1.0, v29
	v_cvt_f64_f32_e32 v[26:27], v30
	v_add_f32_e32 v31, -1.0, v30
	v_sub_f32_e32 v32, v31, v30
	v_sub_f32_e32 v31, v29, v31
	v_frexp_exp_i32_f64_e32 v26, v[26:27]
	v_add_f32_e32 v27, 1.0, v32
	v_add_f32_e32 v27, v31, v27
	v_frexp_mant_f32_e32 v31, v30
	s_mov_b32 s8, 0x3f2aaaab
	v_cmp_gt_f32_e32 vcc, s8, v31
	s_mov_b32 s8, 0x3f317218
	s_mov_b32 s7, 0x7f800000
	v_subbrev_co_u32_e32 v26, vcc, 0, v26, vcc
	v_sub_u32_e32 v31, 0, v26
	v_ldexp_f32 v30, v30, v31
	v_ldexp_f32 v27, v27, v31
	v_add_f32_e32 v31, -1.0, v30
	v_add_f32_e32 v34, 1.0, v30
	v_add_f32_e32 v32, 1.0, v31
	v_add_f32_e32 v35, -1.0, v34
	v_sub_f32_e32 v32, v30, v32
	v_sub_f32_e32 v30, v30, v35
	v_add_f32_e32 v32, v27, v32
	v_add_f32_e32 v27, v27, v30
	;; [unrolled: 1-line block ×3, first 2 shown]
	v_rcp_f32_e32 v35, v30
	v_add_f32_e32 v33, v31, v32
	v_sub_f32_e32 v31, v31, v33
	v_add_f32_e32 v31, v32, v31
	v_sub_f32_e32 v32, v34, v30
	v_add_f32_e32 v27, v27, v32
	v_mul_f32_e32 v32, v33, v35
	v_mul_f32_e32 v34, v30, v32
	v_fma_f32 v36, v32, v30, -v34
	v_fmac_f32_e32 v36, v32, v27
	v_add_f32_e32 v37, v34, v36
	v_sub_f32_e32 v38, v33, v37
	v_sub_f32_e32 v33, v33, v38
	;; [unrolled: 1-line block ×4, first 2 shown]
	v_add_f32_e32 v31, v31, v33
	v_sub_f32_e32 v33, v34, v36
	v_add_f32_e32 v31, v33, v31
	v_add_f32_e32 v33, v38, v31
	v_mul_f32_e32 v34, v35, v33
	v_mul_f32_e32 v36, v30, v34
	v_fma_f32 v30, v34, v30, -v36
	v_fmac_f32_e32 v30, v34, v27
	v_sub_f32_e32 v27, v38, v33
	v_add_f32_e32 v27, v31, v27
	v_add_f32_e32 v31, v36, v30
	v_sub_f32_e32 v37, v33, v31
	v_sub_f32_e32 v33, v33, v37
	;; [unrolled: 1-line block ×4, first 2 shown]
	v_add_f32_e32 v27, v27, v31
	v_sub_f32_e32 v30, v36, v30
	v_add_f32_e32 v27, v30, v27
	v_add_f32_e32 v30, v32, v34
	;; [unrolled: 1-line block ×3, first 2 shown]
	v_sub_f32_e32 v31, v30, v32
	v_mul_f32_e32 v27, v35, v27
	v_sub_f32_e32 v31, v34, v31
	v_add_f32_e32 v27, v31, v27
	v_cvt_f32_i32_e32 v26, v26
	v_add_f32_e32 v31, v30, v27
	v_mul_f32_e32 v32, v31, v31
	v_mov_b32_e32 v33, 0x3ecc95a3
	v_fmac_f32_e32 v33, 0x3e9b6dac, v32
	v_mov_b32_e32 v34, 0x3f2aaada
	v_fmac_f32_e32 v34, v32, v33
	v_mul_f32_e32 v33, 0x3f317218, v26
	v_fma_f32 v35, v26, s8, -v33
	v_fmac_f32_e32 v35, 0xb102e308, v26
	v_sub_f32_e32 v26, v31, v30
	v_sub_f32_e32 v26, v27, v26
	v_add_f32_e32 v27, v33, v35
	v_sub_f32_e32 v30, v27, v33
	v_ldexp_f32 v33, v31, 1
	v_mul_f32_e32 v31, v31, v32
	v_mul_f32_e32 v31, v31, v34
	v_add_f32_e32 v32, v33, v31
	v_sub_f32_e32 v33, v32, v33
	v_ldexp_f32 v26, v26, 1
	v_sub_f32_e32 v31, v31, v33
	v_add_f32_e32 v26, v26, v31
	v_add_f32_e32 v31, v32, v26
	v_sub_f32_e32 v32, v31, v32
	v_sub_f32_e32 v26, v26, v32
	v_add_f32_e32 v32, v27, v31
	v_sub_f32_e32 v33, v32, v27
	v_sub_f32_e32 v34, v32, v33
	;; [unrolled: 1-line block ×5, first 2 shown]
	v_add_f32_e32 v27, v31, v27
	v_add_f32_e32 v31, v30, v26
	v_sub_f32_e32 v33, v31, v30
	v_sub_f32_e32 v34, v31, v33
	;; [unrolled: 1-line block ×4, first 2 shown]
	v_add_f32_e32 v27, v31, v27
	v_add_f32_e32 v26, v26, v30
	;; [unrolled: 1-line block ×3, first 2 shown]
	v_sub_f32_e32 v31, v30, v32
	v_sub_f32_e32 v27, v27, v31
	v_add_f32_e32 v26, v26, v27
	v_add_f32_e32 v26, v30, v26
	v_cmp_neq_f32_e32 vcc, s7, v29
	s_mov_b32 s7, 0x33800000
	v_cndmask_b32_e32 v26, v28, v26, vcc
	v_cmp_lt_f32_e64 vcc, |v29|, s7
	v_cndmask_b32_e32 v26, v26, v29, vcc
	v_add_f32_e32 v26, v24, v26
.LBB497_62:
	s_or_b64 exec, exec, s[2:3]
	v_bfe_u32 v24, v26, 16, 1
	s_movk_i32 s7, 0x7fff
	v_add3_u32 v24, v26, v24, s7
	v_and_b32_e32 v24, 0xffff0000, v24
	v_mov_b32_e32 v27, 0x7fc00000
	v_cmp_o_f32_e32 vcc, v26, v26
	v_cndmask_b32_e32 v29, v27, v24, vcc
	v_lshlrev_b32_e32 v24, 16, v9
	v_max_f32_e32 v28, v29, v29
	v_max_f32_e32 v26, v24, v24
	v_min_f32_e32 v30, v28, v26
	v_cmp_u_f32_e32 vcc, v29, v29
	v_max_f32_e32 v28, v28, v26
	v_cndmask_b32_e32 v30, v30, v29, vcc
	v_cmp_u_f32_e64 s[64:65], v24, v24
	v_cndmask_b32_e32 v28, v28, v29, vcc
	v_cndmask_b32_e64 v30, v30, v24, s[64:65]
	v_cndmask_b32_e64 v28, v28, v24, s[64:65]
	v_cmp_neq_f32_e32 vcc, v30, v28
	v_cmp_class_f32_e64 s[2:3], v30, s6
	s_or_b64 s[8:9], vcc, s[2:3]
	s_and_saveexec_b64 s[2:3], s[8:9]
	s_cbranch_execz .LBB497_64
; %bb.63:
	v_sub_f32_e32 v29, v30, v28
	s_mov_b32 s6, 0x3fb8aa3b
	v_mul_f32_e32 v30, 0x3fb8aa3b, v29
	v_fma_f32 v31, v29, s6, -v30
	v_rndne_f32_e32 v32, v30
	v_fmac_f32_e32 v31, 0x32a5705f, v29
	v_sub_f32_e32 v30, v30, v32
	v_add_f32_e32 v30, v30, v31
	v_exp_f32_e32 v30, v30
	v_cvt_i32_f32_e32 v31, v32
	s_mov_b32 s6, 0xc2ce8ed0
	v_cmp_ngt_f32_e32 vcc, s6, v29
	s_mov_b32 s6, 0x42b17218
	v_ldexp_f32 v30, v30, v31
	v_cndmask_b32_e32 v30, 0, v30, vcc
	v_mov_b32_e32 v31, 0x7f800000
	v_cmp_nlt_f32_e32 vcc, s6, v29
	v_cndmask_b32_e32 v32, v31, v30, vcc
	v_add_f32_e32 v33, 1.0, v32
	v_cvt_f64_f32_e32 v[29:30], v33
	v_add_f32_e32 v34, -1.0, v33
	v_sub_f32_e32 v35, v34, v33
	v_sub_f32_e32 v34, v32, v34
	v_frexp_exp_i32_f64_e32 v29, v[29:30]
	v_add_f32_e32 v30, 1.0, v35
	v_add_f32_e32 v30, v34, v30
	v_frexp_mant_f32_e32 v34, v33
	s_mov_b32 s8, 0x3f2aaaab
	v_cmp_gt_f32_e32 vcc, s8, v34
	s_mov_b32 s8, 0x3f317218
	s_mov_b32 s6, 0x7f800000
	v_subbrev_co_u32_e32 v29, vcc, 0, v29, vcc
	v_sub_u32_e32 v34, 0, v29
	v_ldexp_f32 v33, v33, v34
	v_ldexp_f32 v30, v30, v34
	v_add_f32_e32 v34, -1.0, v33
	v_add_f32_e32 v37, 1.0, v33
	v_add_f32_e32 v35, 1.0, v34
	v_add_f32_e32 v38, -1.0, v37
	v_sub_f32_e32 v35, v33, v35
	v_sub_f32_e32 v33, v33, v38
	v_add_f32_e32 v35, v30, v35
	v_add_f32_e32 v30, v30, v33
	;; [unrolled: 1-line block ×3, first 2 shown]
	v_rcp_f32_e32 v38, v33
	v_add_f32_e32 v36, v34, v35
	v_sub_f32_e32 v34, v34, v36
	v_add_f32_e32 v34, v35, v34
	v_sub_f32_e32 v35, v37, v33
	v_add_f32_e32 v30, v30, v35
	v_mul_f32_e32 v35, v36, v38
	v_mul_f32_e32 v37, v33, v35
	v_fma_f32 v39, v35, v33, -v37
	v_fmac_f32_e32 v39, v35, v30
	v_add_f32_e32 v40, v37, v39
	v_sub_f32_e32 v41, v36, v40
	v_sub_f32_e32 v36, v36, v41
	;; [unrolled: 1-line block ×4, first 2 shown]
	v_add_f32_e32 v34, v34, v36
	v_sub_f32_e32 v36, v37, v39
	v_add_f32_e32 v34, v36, v34
	v_add_f32_e32 v36, v41, v34
	v_mul_f32_e32 v37, v38, v36
	v_mul_f32_e32 v39, v33, v37
	v_fma_f32 v33, v37, v33, -v39
	v_fmac_f32_e32 v33, v37, v30
	v_sub_f32_e32 v30, v41, v36
	v_add_f32_e32 v30, v34, v30
	v_add_f32_e32 v34, v39, v33
	v_sub_f32_e32 v40, v36, v34
	v_sub_f32_e32 v36, v36, v40
	;; [unrolled: 1-line block ×4, first 2 shown]
	v_add_f32_e32 v30, v30, v34
	v_sub_f32_e32 v33, v39, v33
	v_add_f32_e32 v30, v33, v30
	v_add_f32_e32 v33, v35, v37
	;; [unrolled: 1-line block ×3, first 2 shown]
	v_sub_f32_e32 v34, v33, v35
	v_mul_f32_e32 v30, v38, v30
	v_sub_f32_e32 v34, v37, v34
	v_add_f32_e32 v30, v34, v30
	v_cvt_f32_i32_e32 v29, v29
	v_add_f32_e32 v34, v33, v30
	v_mul_f32_e32 v35, v34, v34
	v_mov_b32_e32 v36, 0x3ecc95a3
	v_fmac_f32_e32 v36, 0x3e9b6dac, v35
	v_mov_b32_e32 v37, 0x3f2aaada
	v_fmac_f32_e32 v37, v35, v36
	v_mul_f32_e32 v36, 0x3f317218, v29
	v_fma_f32 v38, v29, s8, -v36
	v_fmac_f32_e32 v38, 0xb102e308, v29
	v_sub_f32_e32 v29, v34, v33
	v_sub_f32_e32 v29, v30, v29
	v_add_f32_e32 v30, v36, v38
	v_sub_f32_e32 v33, v30, v36
	v_ldexp_f32 v36, v34, 1
	v_mul_f32_e32 v34, v34, v35
	v_mul_f32_e32 v34, v34, v37
	v_add_f32_e32 v35, v36, v34
	v_sub_f32_e32 v36, v35, v36
	v_ldexp_f32 v29, v29, 1
	v_sub_f32_e32 v34, v34, v36
	v_add_f32_e32 v29, v29, v34
	v_add_f32_e32 v34, v35, v29
	v_sub_f32_e32 v35, v34, v35
	v_sub_f32_e32 v29, v29, v35
	v_add_f32_e32 v35, v30, v34
	v_sub_f32_e32 v36, v35, v30
	v_sub_f32_e32 v37, v35, v36
	;; [unrolled: 1-line block ×5, first 2 shown]
	v_add_f32_e32 v30, v34, v30
	v_add_f32_e32 v34, v33, v29
	v_sub_f32_e32 v36, v34, v33
	v_sub_f32_e32 v37, v34, v36
	;; [unrolled: 1-line block ×4, first 2 shown]
	v_add_f32_e32 v30, v34, v30
	v_add_f32_e32 v29, v29, v33
	;; [unrolled: 1-line block ×3, first 2 shown]
	v_sub_f32_e32 v34, v33, v35
	v_sub_f32_e32 v30, v30, v34
	v_add_f32_e32 v29, v29, v30
	v_add_f32_e32 v29, v33, v29
	v_cmp_neq_f32_e32 vcc, s6, v32
	s_mov_b32 s6, 0x33800000
	v_cndmask_b32_e32 v29, v31, v29, vcc
	v_cmp_lt_f32_e64 vcc, |v32|, s6
	v_cndmask_b32_e32 v29, v29, v32, vcc
	v_add_f32_e32 v29, v28, v29
.LBB497_64:
	s_or_b64 exec, exec, s[2:3]
	v_bfe_u32 v28, v29, 16, 1
	v_add3_u32 v28, v29, v28, s7
	v_and_b32_e32 v28, 0xffff0000, v28
	v_cmp_o_f32_e32 vcc, v29, v29
	v_cndmask_b32_e32 v29, v27, v28, vcc
	v_and_b32_e32 v9, 0xffff0000, v9
	v_max_f32_e32 v27, v29, v29
	v_max_f32_e32 v28, v9, v9
	v_min_f32_e32 v30, v27, v28
	v_cmp_u_f32_e32 vcc, v29, v29
	v_max_f32_e32 v27, v27, v28
	v_cndmask_b32_e32 v30, v30, v29, vcc
	v_cmp_u_f32_e64 s[66:67], v9, v9
	v_cndmask_b32_e32 v27, v27, v29, vcc
	v_cndmask_b32_e64 v30, v30, v9, s[66:67]
	v_cndmask_b32_e64 v27, v27, v9, s[66:67]
	s_movk_i32 s6, 0x1f8
	v_cmp_neq_f32_e32 vcc, v30, v27
	v_cmp_class_f32_e64 s[2:3], v30, s6
	s_or_b64 s[8:9], vcc, s[2:3]
	s_and_saveexec_b64 s[2:3], s[8:9]
	s_cbranch_execz .LBB497_66
; %bb.65:
	v_sub_f32_e32 v29, v30, v27
	s_mov_b32 s7, 0x3fb8aa3b
	v_mul_f32_e32 v30, 0x3fb8aa3b, v29
	v_fma_f32 v31, v29, s7, -v30
	v_rndne_f32_e32 v32, v30
	v_fmac_f32_e32 v31, 0x32a5705f, v29
	v_sub_f32_e32 v30, v30, v32
	v_add_f32_e32 v30, v30, v31
	v_exp_f32_e32 v30, v30
	v_cvt_i32_f32_e32 v31, v32
	s_mov_b32 s7, 0xc2ce8ed0
	v_cmp_ngt_f32_e32 vcc, s7, v29
	s_mov_b32 s7, 0x42b17218
	v_ldexp_f32 v30, v30, v31
	v_cndmask_b32_e32 v30, 0, v30, vcc
	v_mov_b32_e32 v31, 0x7f800000
	v_cmp_nlt_f32_e32 vcc, s7, v29
	v_cndmask_b32_e32 v32, v31, v30, vcc
	v_add_f32_e32 v33, 1.0, v32
	v_cvt_f64_f32_e32 v[29:30], v33
	v_add_f32_e32 v34, -1.0, v33
	v_sub_f32_e32 v35, v34, v33
	v_sub_f32_e32 v34, v32, v34
	v_frexp_exp_i32_f64_e32 v29, v[29:30]
	v_add_f32_e32 v30, 1.0, v35
	v_add_f32_e32 v30, v34, v30
	v_frexp_mant_f32_e32 v34, v33
	s_mov_b32 s8, 0x3f2aaaab
	v_cmp_gt_f32_e32 vcc, s8, v34
	s_mov_b32 s8, 0x3f317218
	s_mov_b32 s7, 0x7f800000
	v_subbrev_co_u32_e32 v29, vcc, 0, v29, vcc
	v_sub_u32_e32 v34, 0, v29
	v_ldexp_f32 v33, v33, v34
	v_ldexp_f32 v30, v30, v34
	v_add_f32_e32 v34, -1.0, v33
	v_add_f32_e32 v37, 1.0, v33
	v_add_f32_e32 v35, 1.0, v34
	v_add_f32_e32 v38, -1.0, v37
	v_sub_f32_e32 v35, v33, v35
	v_sub_f32_e32 v33, v33, v38
	v_add_f32_e32 v35, v30, v35
	v_add_f32_e32 v30, v30, v33
	;; [unrolled: 1-line block ×3, first 2 shown]
	v_rcp_f32_e32 v38, v33
	v_add_f32_e32 v36, v34, v35
	v_sub_f32_e32 v34, v34, v36
	v_add_f32_e32 v34, v35, v34
	v_sub_f32_e32 v35, v37, v33
	v_add_f32_e32 v30, v30, v35
	v_mul_f32_e32 v35, v36, v38
	v_mul_f32_e32 v37, v33, v35
	v_fma_f32 v39, v35, v33, -v37
	v_fmac_f32_e32 v39, v35, v30
	v_add_f32_e32 v40, v37, v39
	v_sub_f32_e32 v41, v36, v40
	v_sub_f32_e32 v36, v36, v41
	;; [unrolled: 1-line block ×4, first 2 shown]
	v_add_f32_e32 v34, v34, v36
	v_sub_f32_e32 v36, v37, v39
	v_add_f32_e32 v34, v36, v34
	v_add_f32_e32 v36, v41, v34
	v_mul_f32_e32 v37, v38, v36
	v_mul_f32_e32 v39, v33, v37
	v_fma_f32 v33, v37, v33, -v39
	v_fmac_f32_e32 v33, v37, v30
	v_sub_f32_e32 v30, v41, v36
	v_add_f32_e32 v30, v34, v30
	v_add_f32_e32 v34, v39, v33
	v_sub_f32_e32 v40, v36, v34
	v_sub_f32_e32 v36, v36, v40
	;; [unrolled: 1-line block ×4, first 2 shown]
	v_add_f32_e32 v30, v30, v34
	v_sub_f32_e32 v33, v39, v33
	v_add_f32_e32 v30, v33, v30
	v_add_f32_e32 v33, v35, v37
	;; [unrolled: 1-line block ×3, first 2 shown]
	v_sub_f32_e32 v34, v33, v35
	v_mul_f32_e32 v30, v38, v30
	v_sub_f32_e32 v34, v37, v34
	v_add_f32_e32 v30, v34, v30
	v_cvt_f32_i32_e32 v29, v29
	v_add_f32_e32 v34, v33, v30
	v_mul_f32_e32 v35, v34, v34
	v_mov_b32_e32 v36, 0x3ecc95a3
	v_fmac_f32_e32 v36, 0x3e9b6dac, v35
	v_mov_b32_e32 v37, 0x3f2aaada
	v_fmac_f32_e32 v37, v35, v36
	v_mul_f32_e32 v36, 0x3f317218, v29
	v_fma_f32 v38, v29, s8, -v36
	v_fmac_f32_e32 v38, 0xb102e308, v29
	v_sub_f32_e32 v29, v34, v33
	v_sub_f32_e32 v29, v30, v29
	v_add_f32_e32 v30, v36, v38
	v_sub_f32_e32 v33, v30, v36
	v_ldexp_f32 v36, v34, 1
	v_mul_f32_e32 v34, v34, v35
	v_mul_f32_e32 v34, v34, v37
	v_add_f32_e32 v35, v36, v34
	v_sub_f32_e32 v36, v35, v36
	v_ldexp_f32 v29, v29, 1
	v_sub_f32_e32 v34, v34, v36
	v_add_f32_e32 v29, v29, v34
	v_add_f32_e32 v34, v35, v29
	v_sub_f32_e32 v35, v34, v35
	v_sub_f32_e32 v29, v29, v35
	v_add_f32_e32 v35, v30, v34
	v_sub_f32_e32 v36, v35, v30
	v_sub_f32_e32 v37, v35, v36
	;; [unrolled: 1-line block ×5, first 2 shown]
	v_add_f32_e32 v30, v34, v30
	v_add_f32_e32 v34, v33, v29
	v_sub_f32_e32 v36, v34, v33
	v_sub_f32_e32 v37, v34, v36
	;; [unrolled: 1-line block ×4, first 2 shown]
	v_add_f32_e32 v30, v34, v30
	v_add_f32_e32 v29, v29, v33
	;; [unrolled: 1-line block ×3, first 2 shown]
	v_sub_f32_e32 v34, v33, v35
	v_sub_f32_e32 v30, v30, v34
	v_add_f32_e32 v29, v29, v30
	v_add_f32_e32 v29, v33, v29
	v_cmp_neq_f32_e32 vcc, s7, v32
	s_mov_b32 s7, 0x33800000
	v_cndmask_b32_e32 v29, v31, v29, vcc
	v_cmp_lt_f32_e64 vcc, |v32|, s7
	v_cndmask_b32_e32 v29, v29, v32, vcc
	v_add_f32_e32 v29, v27, v29
.LBB497_66:
	s_or_b64 exec, exec, s[2:3]
	v_bfe_u32 v27, v29, 16, 1
	s_movk_i32 s7, 0x7fff
	v_add3_u32 v27, v29, v27, s7
	v_and_b32_e32 v27, 0xffff0000, v27
	v_mov_b32_e32 v30, 0x7fc00000
	v_cmp_o_f32_e32 vcc, v29, v29
	v_cndmask_b32_e32 v32, v30, v27, vcc
	v_lshlrev_b32_e32 v27, 16, v10
	v_max_f32_e32 v31, v32, v32
	v_max_f32_e32 v29, v27, v27
	v_min_f32_e32 v33, v31, v29
	v_cmp_u_f32_e32 vcc, v32, v32
	v_max_f32_e32 v31, v31, v29
	v_cndmask_b32_e32 v33, v33, v32, vcc
	v_cmp_u_f32_e64 s[68:69], v27, v27
	v_cndmask_b32_e32 v31, v31, v32, vcc
	v_cndmask_b32_e64 v33, v33, v27, s[68:69]
	v_cndmask_b32_e64 v31, v31, v27, s[68:69]
	v_cmp_neq_f32_e32 vcc, v33, v31
	v_cmp_class_f32_e64 s[2:3], v33, s6
	s_or_b64 s[8:9], vcc, s[2:3]
	s_and_saveexec_b64 s[2:3], s[8:9]
	s_cbranch_execz .LBB497_68
; %bb.67:
	v_sub_f32_e32 v32, v33, v31
	s_mov_b32 s6, 0x3fb8aa3b
	v_mul_f32_e32 v33, 0x3fb8aa3b, v32
	v_fma_f32 v34, v32, s6, -v33
	v_rndne_f32_e32 v35, v33
	v_fmac_f32_e32 v34, 0x32a5705f, v32
	v_sub_f32_e32 v33, v33, v35
	v_add_f32_e32 v33, v33, v34
	v_exp_f32_e32 v33, v33
	v_cvt_i32_f32_e32 v34, v35
	s_mov_b32 s6, 0xc2ce8ed0
	v_cmp_ngt_f32_e32 vcc, s6, v32
	s_mov_b32 s6, 0x42b17218
	v_ldexp_f32 v33, v33, v34
	v_cndmask_b32_e32 v33, 0, v33, vcc
	v_mov_b32_e32 v34, 0x7f800000
	v_cmp_nlt_f32_e32 vcc, s6, v32
	v_cndmask_b32_e32 v35, v34, v33, vcc
	v_add_f32_e32 v36, 1.0, v35
	v_cvt_f64_f32_e32 v[32:33], v36
	v_add_f32_e32 v37, -1.0, v36
	v_sub_f32_e32 v38, v37, v36
	v_sub_f32_e32 v37, v35, v37
	v_frexp_exp_i32_f64_e32 v32, v[32:33]
	v_add_f32_e32 v33, 1.0, v38
	v_add_f32_e32 v33, v37, v33
	v_frexp_mant_f32_e32 v37, v36
	s_mov_b32 s8, 0x3f2aaaab
	v_cmp_gt_f32_e32 vcc, s8, v37
	s_mov_b32 s8, 0x3f317218
	s_mov_b32 s6, 0x7f800000
	v_subbrev_co_u32_e32 v32, vcc, 0, v32, vcc
	v_sub_u32_e32 v37, 0, v32
	v_ldexp_f32 v36, v36, v37
	v_ldexp_f32 v33, v33, v37
	v_add_f32_e32 v37, -1.0, v36
	v_add_f32_e32 v40, 1.0, v36
	v_add_f32_e32 v38, 1.0, v37
	v_add_f32_e32 v41, -1.0, v40
	v_sub_f32_e32 v38, v36, v38
	v_sub_f32_e32 v36, v36, v41
	v_add_f32_e32 v38, v33, v38
	v_add_f32_e32 v33, v33, v36
	;; [unrolled: 1-line block ×3, first 2 shown]
	v_rcp_f32_e32 v41, v36
	v_add_f32_e32 v39, v37, v38
	v_sub_f32_e32 v37, v37, v39
	v_add_f32_e32 v37, v38, v37
	v_sub_f32_e32 v38, v40, v36
	v_add_f32_e32 v33, v33, v38
	v_mul_f32_e32 v38, v39, v41
	v_mul_f32_e32 v40, v36, v38
	v_fma_f32 v42, v38, v36, -v40
	v_fmac_f32_e32 v42, v38, v33
	v_add_f32_e32 v43, v40, v42
	v_sub_f32_e32 v44, v39, v43
	v_sub_f32_e32 v39, v39, v44
	v_sub_f32_e32 v40, v43, v40
	v_sub_f32_e32 v39, v39, v43
	v_add_f32_e32 v37, v37, v39
	v_sub_f32_e32 v39, v40, v42
	v_add_f32_e32 v37, v39, v37
	v_add_f32_e32 v39, v44, v37
	v_mul_f32_e32 v40, v41, v39
	v_mul_f32_e32 v42, v36, v40
	v_fma_f32 v36, v40, v36, -v42
	v_fmac_f32_e32 v36, v40, v33
	v_sub_f32_e32 v33, v44, v39
	v_add_f32_e32 v33, v37, v33
	v_add_f32_e32 v37, v42, v36
	v_sub_f32_e32 v43, v39, v37
	v_sub_f32_e32 v39, v39, v43
	v_sub_f32_e32 v42, v37, v42
	v_sub_f32_e32 v37, v39, v37
	v_add_f32_e32 v33, v33, v37
	v_sub_f32_e32 v36, v42, v36
	v_add_f32_e32 v33, v36, v33
	v_add_f32_e32 v36, v38, v40
	;; [unrolled: 1-line block ×3, first 2 shown]
	v_sub_f32_e32 v37, v36, v38
	v_mul_f32_e32 v33, v41, v33
	v_sub_f32_e32 v37, v40, v37
	v_add_f32_e32 v33, v37, v33
	v_cvt_f32_i32_e32 v32, v32
	v_add_f32_e32 v37, v36, v33
	v_mul_f32_e32 v38, v37, v37
	v_mov_b32_e32 v39, 0x3ecc95a3
	v_fmac_f32_e32 v39, 0x3e9b6dac, v38
	v_mov_b32_e32 v40, 0x3f2aaada
	v_fmac_f32_e32 v40, v38, v39
	v_mul_f32_e32 v39, 0x3f317218, v32
	v_fma_f32 v41, v32, s8, -v39
	v_fmac_f32_e32 v41, 0xb102e308, v32
	v_sub_f32_e32 v32, v37, v36
	v_sub_f32_e32 v32, v33, v32
	v_add_f32_e32 v33, v39, v41
	v_sub_f32_e32 v36, v33, v39
	v_ldexp_f32 v39, v37, 1
	v_mul_f32_e32 v37, v37, v38
	v_mul_f32_e32 v37, v37, v40
	v_add_f32_e32 v38, v39, v37
	v_sub_f32_e32 v39, v38, v39
	v_ldexp_f32 v32, v32, 1
	v_sub_f32_e32 v37, v37, v39
	v_add_f32_e32 v32, v32, v37
	v_add_f32_e32 v37, v38, v32
	v_sub_f32_e32 v38, v37, v38
	v_sub_f32_e32 v32, v32, v38
	v_add_f32_e32 v38, v33, v37
	v_sub_f32_e32 v39, v38, v33
	v_sub_f32_e32 v40, v38, v39
	;; [unrolled: 1-line block ×5, first 2 shown]
	v_add_f32_e32 v33, v37, v33
	v_add_f32_e32 v37, v36, v32
	v_sub_f32_e32 v39, v37, v36
	v_sub_f32_e32 v40, v37, v39
	;; [unrolled: 1-line block ×4, first 2 shown]
	v_add_f32_e32 v33, v37, v33
	v_add_f32_e32 v32, v32, v36
	v_add_f32_e32 v36, v38, v33
	v_sub_f32_e32 v37, v36, v38
	v_sub_f32_e32 v33, v33, v37
	v_add_f32_e32 v32, v32, v33
	v_add_f32_e32 v32, v36, v32
	v_cmp_neq_f32_e32 vcc, s6, v35
	s_mov_b32 s6, 0x33800000
	v_cndmask_b32_e32 v32, v34, v32, vcc
	v_cmp_lt_f32_e64 vcc, |v35|, s6
	v_cndmask_b32_e32 v32, v32, v35, vcc
	v_add_f32_e32 v32, v31, v32
.LBB497_68:
	s_or_b64 exec, exec, s[2:3]
	v_bfe_u32 v31, v32, 16, 1
	v_add3_u32 v31, v32, v31, s7
	v_and_b32_e32 v31, 0xffff0000, v31
	v_cmp_o_f32_e32 vcc, v32, v32
	v_cndmask_b32_e32 v32, v30, v31, vcc
	v_and_b32_e32 v10, 0xffff0000, v10
	v_max_f32_e32 v30, v32, v32
	v_max_f32_e32 v31, v10, v10
	v_min_f32_e32 v33, v30, v31
	v_cmp_u_f32_e32 vcc, v32, v32
	v_max_f32_e32 v30, v30, v31
	v_cndmask_b32_e32 v33, v33, v32, vcc
	v_cmp_u_f32_e64 s[70:71], v10, v10
	v_cndmask_b32_e32 v30, v30, v32, vcc
	v_cndmask_b32_e64 v33, v33, v10, s[70:71]
	v_cndmask_b32_e64 v30, v30, v10, s[70:71]
	s_movk_i32 s6, 0x1f8
	v_cmp_neq_f32_e32 vcc, v33, v30
	v_cmp_class_f32_e64 s[2:3], v33, s6
	s_or_b64 s[8:9], vcc, s[2:3]
	s_and_saveexec_b64 s[2:3], s[8:9]
	s_cbranch_execz .LBB497_70
; %bb.69:
	v_sub_f32_e32 v32, v33, v30
	s_mov_b32 s7, 0x3fb8aa3b
	v_mul_f32_e32 v33, 0x3fb8aa3b, v32
	v_fma_f32 v34, v32, s7, -v33
	v_rndne_f32_e32 v35, v33
	v_fmac_f32_e32 v34, 0x32a5705f, v32
	v_sub_f32_e32 v33, v33, v35
	v_add_f32_e32 v33, v33, v34
	v_exp_f32_e32 v33, v33
	v_cvt_i32_f32_e32 v34, v35
	s_mov_b32 s7, 0xc2ce8ed0
	v_cmp_ngt_f32_e32 vcc, s7, v32
	s_mov_b32 s7, 0x42b17218
	v_ldexp_f32 v33, v33, v34
	v_cndmask_b32_e32 v33, 0, v33, vcc
	v_mov_b32_e32 v34, 0x7f800000
	v_cmp_nlt_f32_e32 vcc, s7, v32
	v_cndmask_b32_e32 v35, v34, v33, vcc
	v_add_f32_e32 v36, 1.0, v35
	v_cvt_f64_f32_e32 v[32:33], v36
	v_add_f32_e32 v37, -1.0, v36
	v_sub_f32_e32 v38, v37, v36
	v_sub_f32_e32 v37, v35, v37
	v_frexp_exp_i32_f64_e32 v32, v[32:33]
	v_add_f32_e32 v33, 1.0, v38
	v_add_f32_e32 v33, v37, v33
	v_frexp_mant_f32_e32 v37, v36
	s_mov_b32 s8, 0x3f2aaaab
	v_cmp_gt_f32_e32 vcc, s8, v37
	s_mov_b32 s8, 0x3f317218
	s_mov_b32 s7, 0x7f800000
	v_subbrev_co_u32_e32 v32, vcc, 0, v32, vcc
	v_sub_u32_e32 v37, 0, v32
	v_ldexp_f32 v36, v36, v37
	v_ldexp_f32 v33, v33, v37
	v_add_f32_e32 v37, -1.0, v36
	v_add_f32_e32 v40, 1.0, v36
	v_add_f32_e32 v38, 1.0, v37
	v_add_f32_e32 v41, -1.0, v40
	v_sub_f32_e32 v38, v36, v38
	v_sub_f32_e32 v36, v36, v41
	v_add_f32_e32 v38, v33, v38
	v_add_f32_e32 v33, v33, v36
	;; [unrolled: 1-line block ×3, first 2 shown]
	v_rcp_f32_e32 v41, v36
	v_add_f32_e32 v39, v37, v38
	v_sub_f32_e32 v37, v37, v39
	v_add_f32_e32 v37, v38, v37
	v_sub_f32_e32 v38, v40, v36
	v_add_f32_e32 v33, v33, v38
	v_mul_f32_e32 v38, v39, v41
	v_mul_f32_e32 v40, v36, v38
	v_fma_f32 v42, v38, v36, -v40
	v_fmac_f32_e32 v42, v38, v33
	v_add_f32_e32 v43, v40, v42
	v_sub_f32_e32 v44, v39, v43
	v_sub_f32_e32 v39, v39, v44
	;; [unrolled: 1-line block ×4, first 2 shown]
	v_add_f32_e32 v37, v37, v39
	v_sub_f32_e32 v39, v40, v42
	v_add_f32_e32 v37, v39, v37
	v_add_f32_e32 v39, v44, v37
	v_mul_f32_e32 v40, v41, v39
	v_mul_f32_e32 v42, v36, v40
	v_fma_f32 v36, v40, v36, -v42
	v_fmac_f32_e32 v36, v40, v33
	v_sub_f32_e32 v33, v44, v39
	v_add_f32_e32 v33, v37, v33
	v_add_f32_e32 v37, v42, v36
	v_sub_f32_e32 v43, v39, v37
	v_sub_f32_e32 v39, v39, v43
	;; [unrolled: 1-line block ×4, first 2 shown]
	v_add_f32_e32 v33, v33, v37
	v_sub_f32_e32 v36, v42, v36
	v_add_f32_e32 v33, v36, v33
	v_add_f32_e32 v36, v38, v40
	;; [unrolled: 1-line block ×3, first 2 shown]
	v_sub_f32_e32 v37, v36, v38
	v_mul_f32_e32 v33, v41, v33
	v_sub_f32_e32 v37, v40, v37
	v_add_f32_e32 v33, v37, v33
	v_cvt_f32_i32_e32 v32, v32
	v_add_f32_e32 v37, v36, v33
	v_mul_f32_e32 v38, v37, v37
	v_mov_b32_e32 v39, 0x3ecc95a3
	v_fmac_f32_e32 v39, 0x3e9b6dac, v38
	v_mov_b32_e32 v40, 0x3f2aaada
	v_fmac_f32_e32 v40, v38, v39
	v_mul_f32_e32 v39, 0x3f317218, v32
	v_fma_f32 v41, v32, s8, -v39
	v_fmac_f32_e32 v41, 0xb102e308, v32
	v_sub_f32_e32 v32, v37, v36
	v_sub_f32_e32 v32, v33, v32
	v_add_f32_e32 v33, v39, v41
	v_sub_f32_e32 v36, v33, v39
	v_ldexp_f32 v39, v37, 1
	v_mul_f32_e32 v37, v37, v38
	v_mul_f32_e32 v37, v37, v40
	v_add_f32_e32 v38, v39, v37
	v_sub_f32_e32 v39, v38, v39
	v_ldexp_f32 v32, v32, 1
	v_sub_f32_e32 v37, v37, v39
	v_add_f32_e32 v32, v32, v37
	v_add_f32_e32 v37, v38, v32
	v_sub_f32_e32 v38, v37, v38
	v_sub_f32_e32 v32, v32, v38
	v_add_f32_e32 v38, v33, v37
	v_sub_f32_e32 v39, v38, v33
	v_sub_f32_e32 v40, v38, v39
	;; [unrolled: 1-line block ×5, first 2 shown]
	v_add_f32_e32 v33, v37, v33
	v_add_f32_e32 v37, v36, v32
	v_sub_f32_e32 v39, v37, v36
	v_sub_f32_e32 v40, v37, v39
	;; [unrolled: 1-line block ×4, first 2 shown]
	v_add_f32_e32 v33, v37, v33
	v_add_f32_e32 v32, v32, v36
	;; [unrolled: 1-line block ×3, first 2 shown]
	v_sub_f32_e32 v37, v36, v38
	v_sub_f32_e32 v33, v33, v37
	v_add_f32_e32 v32, v32, v33
	v_add_f32_e32 v32, v36, v32
	v_cmp_neq_f32_e32 vcc, s7, v35
	s_mov_b32 s7, 0x33800000
	v_cndmask_b32_e32 v32, v34, v32, vcc
	v_cmp_lt_f32_e64 vcc, |v35|, s7
	v_cndmask_b32_e32 v32, v32, v35, vcc
	v_add_f32_e32 v32, v30, v32
.LBB497_70:
	s_or_b64 exec, exec, s[2:3]
	v_bfe_u32 v30, v32, 16, 1
	s_movk_i32 s7, 0x7fff
	v_add3_u32 v30, v32, v30, s7
	v_and_b32_e32 v30, 0xffff0000, v30
	v_mov_b32_e32 v33, 0x7fc00000
	v_cmp_o_f32_e32 vcc, v32, v32
	v_cndmask_b32_e32 v35, v33, v30, vcc
	v_lshlrev_b32_e32 v30, 16, v11
	v_max_f32_e32 v34, v35, v35
	v_max_f32_e32 v32, v30, v30
	v_min_f32_e32 v36, v34, v32
	v_cmp_u_f32_e32 vcc, v35, v35
	v_max_f32_e32 v34, v34, v32
	v_cndmask_b32_e32 v36, v36, v35, vcc
	v_cmp_u_f32_e64 s[72:73], v30, v30
	v_cndmask_b32_e32 v34, v34, v35, vcc
	v_cndmask_b32_e64 v36, v36, v30, s[72:73]
	v_cndmask_b32_e64 v34, v34, v30, s[72:73]
	v_cmp_neq_f32_e32 vcc, v36, v34
	v_cmp_class_f32_e64 s[2:3], v36, s6
	s_or_b64 s[8:9], vcc, s[2:3]
	s_and_saveexec_b64 s[2:3], s[8:9]
	s_cbranch_execz .LBB497_72
; %bb.71:
	v_sub_f32_e32 v35, v36, v34
	s_mov_b32 s6, 0x3fb8aa3b
	v_mul_f32_e32 v36, 0x3fb8aa3b, v35
	v_fma_f32 v37, v35, s6, -v36
	v_rndne_f32_e32 v38, v36
	v_fmac_f32_e32 v37, 0x32a5705f, v35
	v_sub_f32_e32 v36, v36, v38
	v_add_f32_e32 v36, v36, v37
	v_exp_f32_e32 v36, v36
	v_cvt_i32_f32_e32 v37, v38
	s_mov_b32 s6, 0xc2ce8ed0
	v_cmp_ngt_f32_e32 vcc, s6, v35
	s_mov_b32 s6, 0x42b17218
	v_ldexp_f32 v36, v36, v37
	v_cndmask_b32_e32 v36, 0, v36, vcc
	v_mov_b32_e32 v37, 0x7f800000
	v_cmp_nlt_f32_e32 vcc, s6, v35
	v_cndmask_b32_e32 v38, v37, v36, vcc
	v_add_f32_e32 v39, 1.0, v38
	v_cvt_f64_f32_e32 v[35:36], v39
	v_add_f32_e32 v40, -1.0, v39
	v_sub_f32_e32 v41, v40, v39
	v_sub_f32_e32 v40, v38, v40
	v_frexp_exp_i32_f64_e32 v35, v[35:36]
	v_add_f32_e32 v36, 1.0, v41
	v_add_f32_e32 v36, v40, v36
	v_frexp_mant_f32_e32 v40, v39
	s_mov_b32 s8, 0x3f2aaaab
	v_cmp_gt_f32_e32 vcc, s8, v40
	s_mov_b32 s8, 0x3f317218
	s_mov_b32 s6, 0x7f800000
	v_subbrev_co_u32_e32 v35, vcc, 0, v35, vcc
	v_sub_u32_e32 v40, 0, v35
	v_ldexp_f32 v39, v39, v40
	v_ldexp_f32 v36, v36, v40
	v_add_f32_e32 v40, -1.0, v39
	v_add_f32_e32 v43, 1.0, v39
	v_add_f32_e32 v41, 1.0, v40
	v_add_f32_e32 v44, -1.0, v43
	v_sub_f32_e32 v41, v39, v41
	v_sub_f32_e32 v39, v39, v44
	v_add_f32_e32 v41, v36, v41
	v_add_f32_e32 v36, v36, v39
	;; [unrolled: 1-line block ×3, first 2 shown]
	v_rcp_f32_e32 v44, v39
	v_add_f32_e32 v42, v40, v41
	v_sub_f32_e32 v40, v40, v42
	v_add_f32_e32 v40, v41, v40
	v_sub_f32_e32 v41, v43, v39
	v_add_f32_e32 v36, v36, v41
	v_mul_f32_e32 v41, v42, v44
	v_mul_f32_e32 v43, v39, v41
	v_fma_f32 v45, v41, v39, -v43
	v_fmac_f32_e32 v45, v41, v36
	v_add_f32_e32 v46, v43, v45
	v_sub_f32_e32 v47, v42, v46
	v_sub_f32_e32 v42, v42, v47
	;; [unrolled: 1-line block ×4, first 2 shown]
	v_add_f32_e32 v40, v40, v42
	v_sub_f32_e32 v42, v43, v45
	v_add_f32_e32 v40, v42, v40
	v_add_f32_e32 v42, v47, v40
	v_mul_f32_e32 v43, v44, v42
	v_mul_f32_e32 v45, v39, v43
	v_fma_f32 v39, v43, v39, -v45
	v_fmac_f32_e32 v39, v43, v36
	v_sub_f32_e32 v36, v47, v42
	v_add_f32_e32 v36, v40, v36
	v_add_f32_e32 v40, v45, v39
	v_sub_f32_e32 v46, v42, v40
	v_sub_f32_e32 v42, v42, v46
	;; [unrolled: 1-line block ×4, first 2 shown]
	v_add_f32_e32 v36, v36, v40
	v_sub_f32_e32 v39, v45, v39
	v_add_f32_e32 v36, v39, v36
	v_add_f32_e32 v39, v41, v43
	;; [unrolled: 1-line block ×3, first 2 shown]
	v_sub_f32_e32 v40, v39, v41
	v_mul_f32_e32 v36, v44, v36
	v_sub_f32_e32 v40, v43, v40
	v_add_f32_e32 v36, v40, v36
	v_cvt_f32_i32_e32 v35, v35
	v_add_f32_e32 v40, v39, v36
	v_mul_f32_e32 v41, v40, v40
	v_mov_b32_e32 v42, 0x3ecc95a3
	v_fmac_f32_e32 v42, 0x3e9b6dac, v41
	v_mov_b32_e32 v43, 0x3f2aaada
	v_fmac_f32_e32 v43, v41, v42
	v_mul_f32_e32 v42, 0x3f317218, v35
	v_fma_f32 v44, v35, s8, -v42
	v_fmac_f32_e32 v44, 0xb102e308, v35
	v_sub_f32_e32 v35, v40, v39
	v_sub_f32_e32 v35, v36, v35
	v_add_f32_e32 v36, v42, v44
	v_sub_f32_e32 v39, v36, v42
	v_ldexp_f32 v42, v40, 1
	v_mul_f32_e32 v40, v40, v41
	v_mul_f32_e32 v40, v40, v43
	v_add_f32_e32 v41, v42, v40
	v_sub_f32_e32 v42, v41, v42
	v_ldexp_f32 v35, v35, 1
	v_sub_f32_e32 v40, v40, v42
	v_add_f32_e32 v35, v35, v40
	v_add_f32_e32 v40, v41, v35
	v_sub_f32_e32 v41, v40, v41
	v_sub_f32_e32 v35, v35, v41
	v_add_f32_e32 v41, v36, v40
	v_sub_f32_e32 v42, v41, v36
	v_sub_f32_e32 v43, v41, v42
	;; [unrolled: 1-line block ×5, first 2 shown]
	v_add_f32_e32 v36, v40, v36
	v_add_f32_e32 v40, v39, v35
	v_sub_f32_e32 v42, v40, v39
	v_sub_f32_e32 v43, v40, v42
	;; [unrolled: 1-line block ×4, first 2 shown]
	v_add_f32_e32 v36, v40, v36
	v_add_f32_e32 v35, v35, v39
	;; [unrolled: 1-line block ×3, first 2 shown]
	v_sub_f32_e32 v40, v39, v41
	v_sub_f32_e32 v36, v36, v40
	v_add_f32_e32 v35, v35, v36
	v_add_f32_e32 v35, v39, v35
	v_cmp_neq_f32_e32 vcc, s6, v38
	s_mov_b32 s6, 0x33800000
	v_cndmask_b32_e32 v35, v37, v35, vcc
	v_cmp_lt_f32_e64 vcc, |v38|, s6
	v_cndmask_b32_e32 v35, v35, v38, vcc
	v_add_f32_e32 v35, v34, v35
.LBB497_72:
	s_or_b64 exec, exec, s[2:3]
	v_bfe_u32 v34, v35, 16, 1
	v_add3_u32 v34, v35, v34, s7
	v_and_b32_e32 v34, 0xffff0000, v34
	v_cmp_o_f32_e32 vcc, v35, v35
	v_cndmask_b32_e32 v35, v33, v34, vcc
	v_and_b32_e32 v11, 0xffff0000, v11
	v_max_f32_e32 v33, v35, v35
	v_max_f32_e32 v34, v11, v11
	v_min_f32_e32 v36, v33, v34
	v_cmp_u_f32_e32 vcc, v35, v35
	v_max_f32_e32 v33, v33, v34
	v_cndmask_b32_e32 v36, v36, v35, vcc
	v_cmp_u_f32_e64 s[74:75], v11, v11
	v_cndmask_b32_e32 v33, v33, v35, vcc
	v_cndmask_b32_e64 v36, v36, v11, s[74:75]
	v_cndmask_b32_e64 v33, v33, v11, s[74:75]
	s_movk_i32 s6, 0x1f8
	v_cmp_neq_f32_e32 vcc, v36, v33
	v_cmp_class_f32_e64 s[2:3], v36, s6
	s_or_b64 s[8:9], vcc, s[2:3]
	s_and_saveexec_b64 s[2:3], s[8:9]
	s_cbranch_execz .LBB497_74
; %bb.73:
	v_sub_f32_e32 v35, v36, v33
	s_mov_b32 s7, 0x3fb8aa3b
	v_mul_f32_e32 v36, 0x3fb8aa3b, v35
	v_fma_f32 v37, v35, s7, -v36
	v_rndne_f32_e32 v38, v36
	v_fmac_f32_e32 v37, 0x32a5705f, v35
	v_sub_f32_e32 v36, v36, v38
	v_add_f32_e32 v36, v36, v37
	v_exp_f32_e32 v36, v36
	v_cvt_i32_f32_e32 v37, v38
	s_mov_b32 s7, 0xc2ce8ed0
	v_cmp_ngt_f32_e32 vcc, s7, v35
	s_mov_b32 s7, 0x42b17218
	v_ldexp_f32 v36, v36, v37
	v_cndmask_b32_e32 v36, 0, v36, vcc
	v_mov_b32_e32 v37, 0x7f800000
	v_cmp_nlt_f32_e32 vcc, s7, v35
	v_cndmask_b32_e32 v38, v37, v36, vcc
	v_add_f32_e32 v39, 1.0, v38
	v_cvt_f64_f32_e32 v[35:36], v39
	v_add_f32_e32 v40, -1.0, v39
	v_sub_f32_e32 v41, v40, v39
	v_sub_f32_e32 v40, v38, v40
	v_frexp_exp_i32_f64_e32 v35, v[35:36]
	v_add_f32_e32 v36, 1.0, v41
	v_add_f32_e32 v36, v40, v36
	v_frexp_mant_f32_e32 v40, v39
	s_mov_b32 s8, 0x3f2aaaab
	v_cmp_gt_f32_e32 vcc, s8, v40
	s_mov_b32 s8, 0x3f317218
	s_mov_b32 s7, 0x7f800000
	v_subbrev_co_u32_e32 v35, vcc, 0, v35, vcc
	v_sub_u32_e32 v40, 0, v35
	v_ldexp_f32 v39, v39, v40
	v_ldexp_f32 v36, v36, v40
	v_add_f32_e32 v40, -1.0, v39
	v_add_f32_e32 v43, 1.0, v39
	v_add_f32_e32 v41, 1.0, v40
	v_add_f32_e32 v44, -1.0, v43
	v_sub_f32_e32 v41, v39, v41
	v_sub_f32_e32 v39, v39, v44
	v_add_f32_e32 v41, v36, v41
	v_add_f32_e32 v36, v36, v39
	;; [unrolled: 1-line block ×3, first 2 shown]
	v_rcp_f32_e32 v44, v39
	v_add_f32_e32 v42, v40, v41
	v_sub_f32_e32 v40, v40, v42
	v_add_f32_e32 v40, v41, v40
	v_sub_f32_e32 v41, v43, v39
	v_add_f32_e32 v36, v36, v41
	v_mul_f32_e32 v41, v42, v44
	v_mul_f32_e32 v43, v39, v41
	v_fma_f32 v45, v41, v39, -v43
	v_fmac_f32_e32 v45, v41, v36
	v_add_f32_e32 v46, v43, v45
	v_sub_f32_e32 v47, v42, v46
	v_sub_f32_e32 v42, v42, v47
	;; [unrolled: 1-line block ×4, first 2 shown]
	v_add_f32_e32 v40, v40, v42
	v_sub_f32_e32 v42, v43, v45
	v_add_f32_e32 v40, v42, v40
	v_add_f32_e32 v42, v47, v40
	v_mul_f32_e32 v43, v44, v42
	v_mul_f32_e32 v45, v39, v43
	v_fma_f32 v39, v43, v39, -v45
	v_fmac_f32_e32 v39, v43, v36
	v_sub_f32_e32 v36, v47, v42
	v_add_f32_e32 v36, v40, v36
	v_add_f32_e32 v40, v45, v39
	v_sub_f32_e32 v46, v42, v40
	v_sub_f32_e32 v42, v42, v46
	;; [unrolled: 1-line block ×4, first 2 shown]
	v_add_f32_e32 v36, v36, v40
	v_sub_f32_e32 v39, v45, v39
	v_add_f32_e32 v36, v39, v36
	v_add_f32_e32 v39, v41, v43
	;; [unrolled: 1-line block ×3, first 2 shown]
	v_sub_f32_e32 v40, v39, v41
	v_mul_f32_e32 v36, v44, v36
	v_sub_f32_e32 v40, v43, v40
	v_add_f32_e32 v36, v40, v36
	v_cvt_f32_i32_e32 v35, v35
	v_add_f32_e32 v40, v39, v36
	v_mul_f32_e32 v41, v40, v40
	v_mov_b32_e32 v42, 0x3ecc95a3
	v_fmac_f32_e32 v42, 0x3e9b6dac, v41
	v_mov_b32_e32 v43, 0x3f2aaada
	v_fmac_f32_e32 v43, v41, v42
	v_mul_f32_e32 v42, 0x3f317218, v35
	v_fma_f32 v44, v35, s8, -v42
	v_fmac_f32_e32 v44, 0xb102e308, v35
	v_sub_f32_e32 v35, v40, v39
	v_sub_f32_e32 v35, v36, v35
	v_add_f32_e32 v36, v42, v44
	v_sub_f32_e32 v39, v36, v42
	v_ldexp_f32 v42, v40, 1
	v_mul_f32_e32 v40, v40, v41
	v_mul_f32_e32 v40, v40, v43
	v_add_f32_e32 v41, v42, v40
	v_sub_f32_e32 v42, v41, v42
	v_ldexp_f32 v35, v35, 1
	v_sub_f32_e32 v40, v40, v42
	v_add_f32_e32 v35, v35, v40
	v_add_f32_e32 v40, v41, v35
	v_sub_f32_e32 v41, v40, v41
	v_sub_f32_e32 v35, v35, v41
	v_add_f32_e32 v41, v36, v40
	v_sub_f32_e32 v42, v41, v36
	v_sub_f32_e32 v43, v41, v42
	;; [unrolled: 1-line block ×5, first 2 shown]
	v_add_f32_e32 v36, v40, v36
	v_add_f32_e32 v40, v39, v35
	v_sub_f32_e32 v42, v40, v39
	v_sub_f32_e32 v43, v40, v42
	;; [unrolled: 1-line block ×4, first 2 shown]
	v_add_f32_e32 v36, v40, v36
	v_add_f32_e32 v35, v35, v39
	;; [unrolled: 1-line block ×3, first 2 shown]
	v_sub_f32_e32 v40, v39, v41
	v_sub_f32_e32 v36, v36, v40
	v_add_f32_e32 v35, v35, v36
	v_add_f32_e32 v35, v39, v35
	v_cmp_neq_f32_e32 vcc, s7, v38
	s_mov_b32 s7, 0x33800000
	v_cndmask_b32_e32 v35, v37, v35, vcc
	v_cmp_lt_f32_e64 vcc, |v38|, s7
	v_cndmask_b32_e32 v35, v35, v38, vcc
	v_add_f32_e32 v35, v33, v35
.LBB497_74:
	s_or_b64 exec, exec, s[2:3]
	v_bfe_u32 v33, v35, 16, 1
	s_movk_i32 s7, 0x7fff
	v_add3_u32 v33, v35, v33, s7
	v_and_b32_e32 v33, 0xffff0000, v33
	v_mov_b32_e32 v36, 0x7fc00000
	v_cmp_o_f32_e32 vcc, v35, v35
	v_cndmask_b32_e32 v38, v36, v33, vcc
	v_lshlrev_b32_e32 v33, 16, v12
	v_max_f32_e32 v37, v38, v38
	v_max_f32_e32 v35, v33, v33
	v_min_f32_e32 v39, v37, v35
	v_cmp_u_f32_e32 vcc, v38, v38
	v_max_f32_e32 v37, v37, v35
	v_cndmask_b32_e32 v39, v39, v38, vcc
	v_cmp_u_f32_e64 s[76:77], v33, v33
	v_cndmask_b32_e32 v37, v37, v38, vcc
	v_cndmask_b32_e64 v39, v39, v33, s[76:77]
	v_cndmask_b32_e64 v37, v37, v33, s[76:77]
	v_cmp_neq_f32_e32 vcc, v39, v37
	v_cmp_class_f32_e64 s[2:3], v39, s6
	s_or_b64 s[8:9], vcc, s[2:3]
	s_and_saveexec_b64 s[2:3], s[8:9]
	s_cbranch_execz .LBB497_76
; %bb.75:
	v_sub_f32_e32 v38, v39, v37
	s_mov_b32 s6, 0x3fb8aa3b
	v_mul_f32_e32 v39, 0x3fb8aa3b, v38
	v_fma_f32 v40, v38, s6, -v39
	v_rndne_f32_e32 v41, v39
	v_fmac_f32_e32 v40, 0x32a5705f, v38
	v_sub_f32_e32 v39, v39, v41
	v_add_f32_e32 v39, v39, v40
	v_exp_f32_e32 v39, v39
	v_cvt_i32_f32_e32 v40, v41
	s_mov_b32 s6, 0xc2ce8ed0
	v_cmp_ngt_f32_e32 vcc, s6, v38
	s_mov_b32 s6, 0x42b17218
	v_ldexp_f32 v39, v39, v40
	v_cndmask_b32_e32 v39, 0, v39, vcc
	v_mov_b32_e32 v40, 0x7f800000
	v_cmp_nlt_f32_e32 vcc, s6, v38
	v_cndmask_b32_e32 v41, v40, v39, vcc
	v_add_f32_e32 v42, 1.0, v41
	v_cvt_f64_f32_e32 v[38:39], v42
	v_add_f32_e32 v43, -1.0, v42
	v_sub_f32_e32 v44, v43, v42
	v_sub_f32_e32 v43, v41, v43
	v_frexp_exp_i32_f64_e32 v38, v[38:39]
	v_add_f32_e32 v39, 1.0, v44
	v_add_f32_e32 v39, v43, v39
	v_frexp_mant_f32_e32 v43, v42
	s_mov_b32 s8, 0x3f2aaaab
	v_cmp_gt_f32_e32 vcc, s8, v43
	s_mov_b32 s8, 0x3f317218
	s_mov_b32 s6, 0x7f800000
	v_subbrev_co_u32_e32 v38, vcc, 0, v38, vcc
	v_sub_u32_e32 v43, 0, v38
	v_ldexp_f32 v42, v42, v43
	v_ldexp_f32 v39, v39, v43
	v_add_f32_e32 v43, -1.0, v42
	v_add_f32_e32 v46, 1.0, v42
	v_add_f32_e32 v44, 1.0, v43
	v_add_f32_e32 v47, -1.0, v46
	v_sub_f32_e32 v44, v42, v44
	v_sub_f32_e32 v42, v42, v47
	v_add_f32_e32 v44, v39, v44
	v_add_f32_e32 v39, v39, v42
	;; [unrolled: 1-line block ×3, first 2 shown]
	v_rcp_f32_e32 v47, v42
	v_add_f32_e32 v45, v43, v44
	v_sub_f32_e32 v43, v43, v45
	v_add_f32_e32 v43, v44, v43
	v_sub_f32_e32 v44, v46, v42
	v_add_f32_e32 v39, v39, v44
	v_mul_f32_e32 v44, v45, v47
	v_mul_f32_e32 v46, v42, v44
	v_fma_f32 v48, v44, v42, -v46
	v_fmac_f32_e32 v48, v44, v39
	v_add_f32_e32 v53, v46, v48
	v_sub_f32_e32 v54, v45, v53
	v_sub_f32_e32 v45, v45, v54
	;; [unrolled: 1-line block ×4, first 2 shown]
	v_add_f32_e32 v43, v43, v45
	v_sub_f32_e32 v45, v46, v48
	v_add_f32_e32 v43, v45, v43
	v_add_f32_e32 v45, v54, v43
	v_mul_f32_e32 v46, v47, v45
	v_mul_f32_e32 v48, v42, v46
	v_fma_f32 v42, v46, v42, -v48
	v_fmac_f32_e32 v42, v46, v39
	v_sub_f32_e32 v39, v54, v45
	v_add_f32_e32 v39, v43, v39
	v_add_f32_e32 v43, v48, v42
	v_sub_f32_e32 v53, v45, v43
	v_sub_f32_e32 v45, v45, v53
	;; [unrolled: 1-line block ×4, first 2 shown]
	v_add_f32_e32 v39, v39, v43
	v_sub_f32_e32 v42, v48, v42
	v_add_f32_e32 v39, v42, v39
	v_add_f32_e32 v42, v44, v46
	;; [unrolled: 1-line block ×3, first 2 shown]
	v_sub_f32_e32 v43, v42, v44
	v_mul_f32_e32 v39, v47, v39
	v_sub_f32_e32 v43, v46, v43
	v_add_f32_e32 v39, v43, v39
	v_cvt_f32_i32_e32 v38, v38
	v_add_f32_e32 v43, v42, v39
	v_mul_f32_e32 v44, v43, v43
	v_mov_b32_e32 v45, 0x3ecc95a3
	v_fmac_f32_e32 v45, 0x3e9b6dac, v44
	v_mov_b32_e32 v46, 0x3f2aaada
	v_fmac_f32_e32 v46, v44, v45
	v_mul_f32_e32 v45, 0x3f317218, v38
	v_fma_f32 v47, v38, s8, -v45
	v_fmac_f32_e32 v47, 0xb102e308, v38
	v_sub_f32_e32 v38, v43, v42
	v_sub_f32_e32 v38, v39, v38
	v_add_f32_e32 v39, v45, v47
	v_sub_f32_e32 v42, v39, v45
	v_ldexp_f32 v45, v43, 1
	v_mul_f32_e32 v43, v43, v44
	v_mul_f32_e32 v43, v43, v46
	v_add_f32_e32 v44, v45, v43
	v_sub_f32_e32 v45, v44, v45
	v_ldexp_f32 v38, v38, 1
	v_sub_f32_e32 v43, v43, v45
	v_add_f32_e32 v38, v38, v43
	v_add_f32_e32 v43, v44, v38
	v_sub_f32_e32 v44, v43, v44
	v_sub_f32_e32 v38, v38, v44
	v_add_f32_e32 v44, v39, v43
	v_sub_f32_e32 v45, v44, v39
	v_sub_f32_e32 v46, v44, v45
	;; [unrolled: 1-line block ×5, first 2 shown]
	v_add_f32_e32 v39, v43, v39
	v_add_f32_e32 v43, v42, v38
	v_sub_f32_e32 v45, v43, v42
	v_sub_f32_e32 v46, v43, v45
	;; [unrolled: 1-line block ×4, first 2 shown]
	v_add_f32_e32 v39, v43, v39
	v_add_f32_e32 v38, v38, v42
	;; [unrolled: 1-line block ×3, first 2 shown]
	v_sub_f32_e32 v43, v42, v44
	v_sub_f32_e32 v39, v39, v43
	v_add_f32_e32 v38, v38, v39
	v_add_f32_e32 v38, v42, v38
	v_cmp_neq_f32_e32 vcc, s6, v41
	s_mov_b32 s6, 0x33800000
	v_cndmask_b32_e32 v38, v40, v38, vcc
	v_cmp_lt_f32_e64 vcc, |v41|, s6
	v_cndmask_b32_e32 v38, v38, v41, vcc
	v_add_f32_e32 v38, v37, v38
.LBB497_76:
	s_or_b64 exec, exec, s[2:3]
	v_bfe_u32 v37, v38, 16, 1
	v_add3_u32 v37, v38, v37, s7
	v_and_b32_e32 v37, 0xffff0000, v37
	v_cmp_o_f32_e32 vcc, v38, v38
	v_cndmask_b32_e32 v38, v36, v37, vcc
	v_and_b32_e32 v12, 0xffff0000, v12
	v_max_f32_e32 v36, v38, v38
	v_max_f32_e32 v37, v12, v12
	v_min_f32_e32 v39, v36, v37
	v_cmp_u_f32_e32 vcc, v38, v38
	v_max_f32_e32 v36, v36, v37
	v_cndmask_b32_e32 v39, v39, v38, vcc
	v_cmp_u_f32_e64 s[78:79], v12, v12
	v_cndmask_b32_e32 v36, v36, v38, vcc
	v_cndmask_b32_e64 v39, v39, v12, s[78:79]
	v_cndmask_b32_e64 v36, v36, v12, s[78:79]
	s_movk_i32 s6, 0x1f8
	v_cmp_neq_f32_e32 vcc, v39, v36
	v_cmp_class_f32_e64 s[2:3], v39, s6
	s_or_b64 s[8:9], vcc, s[2:3]
	s_and_saveexec_b64 s[2:3], s[8:9]
	s_cbranch_execz .LBB497_78
; %bb.77:
	v_sub_f32_e32 v38, v39, v36
	s_mov_b32 s7, 0x3fb8aa3b
	v_mul_f32_e32 v39, 0x3fb8aa3b, v38
	v_fma_f32 v40, v38, s7, -v39
	v_rndne_f32_e32 v41, v39
	v_fmac_f32_e32 v40, 0x32a5705f, v38
	v_sub_f32_e32 v39, v39, v41
	v_add_f32_e32 v39, v39, v40
	v_exp_f32_e32 v39, v39
	v_cvt_i32_f32_e32 v40, v41
	s_mov_b32 s7, 0xc2ce8ed0
	v_cmp_ngt_f32_e32 vcc, s7, v38
	s_mov_b32 s7, 0x42b17218
	v_ldexp_f32 v39, v39, v40
	v_cndmask_b32_e32 v39, 0, v39, vcc
	v_mov_b32_e32 v40, 0x7f800000
	v_cmp_nlt_f32_e32 vcc, s7, v38
	v_cndmask_b32_e32 v41, v40, v39, vcc
	v_add_f32_e32 v42, 1.0, v41
	v_cvt_f64_f32_e32 v[38:39], v42
	v_add_f32_e32 v43, -1.0, v42
	v_sub_f32_e32 v44, v43, v42
	v_sub_f32_e32 v43, v41, v43
	v_frexp_exp_i32_f64_e32 v38, v[38:39]
	v_add_f32_e32 v39, 1.0, v44
	v_add_f32_e32 v39, v43, v39
	v_frexp_mant_f32_e32 v43, v42
	s_mov_b32 s8, 0x3f2aaaab
	v_cmp_gt_f32_e32 vcc, s8, v43
	s_mov_b32 s8, 0x3f317218
	s_mov_b32 s7, 0x7f800000
	v_subbrev_co_u32_e32 v38, vcc, 0, v38, vcc
	v_sub_u32_e32 v43, 0, v38
	v_ldexp_f32 v42, v42, v43
	v_ldexp_f32 v39, v39, v43
	v_add_f32_e32 v43, -1.0, v42
	v_add_f32_e32 v46, 1.0, v42
	v_add_f32_e32 v44, 1.0, v43
	v_add_f32_e32 v47, -1.0, v46
	v_sub_f32_e32 v44, v42, v44
	v_sub_f32_e32 v42, v42, v47
	v_add_f32_e32 v44, v39, v44
	v_add_f32_e32 v39, v39, v42
	v_add_f32_e32 v42, v46, v39
	v_rcp_f32_e32 v47, v42
	v_add_f32_e32 v45, v43, v44
	v_sub_f32_e32 v43, v43, v45
	v_add_f32_e32 v43, v44, v43
	v_sub_f32_e32 v44, v46, v42
	v_add_f32_e32 v39, v39, v44
	v_mul_f32_e32 v44, v45, v47
	v_mul_f32_e32 v46, v42, v44
	v_fma_f32 v48, v44, v42, -v46
	v_fmac_f32_e32 v48, v44, v39
	v_add_f32_e32 v53, v46, v48
	v_sub_f32_e32 v54, v45, v53
	v_sub_f32_e32 v45, v45, v54
	;; [unrolled: 1-line block ×4, first 2 shown]
	v_add_f32_e32 v43, v43, v45
	v_sub_f32_e32 v45, v46, v48
	v_add_f32_e32 v43, v45, v43
	v_add_f32_e32 v45, v54, v43
	v_mul_f32_e32 v46, v47, v45
	v_mul_f32_e32 v48, v42, v46
	v_fma_f32 v42, v46, v42, -v48
	v_fmac_f32_e32 v42, v46, v39
	v_sub_f32_e32 v39, v54, v45
	v_add_f32_e32 v39, v43, v39
	v_add_f32_e32 v43, v48, v42
	v_sub_f32_e32 v53, v45, v43
	v_sub_f32_e32 v45, v45, v53
	;; [unrolled: 1-line block ×4, first 2 shown]
	v_add_f32_e32 v39, v39, v43
	v_sub_f32_e32 v42, v48, v42
	v_add_f32_e32 v39, v42, v39
	v_add_f32_e32 v42, v44, v46
	;; [unrolled: 1-line block ×3, first 2 shown]
	v_sub_f32_e32 v43, v42, v44
	v_mul_f32_e32 v39, v47, v39
	v_sub_f32_e32 v43, v46, v43
	v_add_f32_e32 v39, v43, v39
	v_cvt_f32_i32_e32 v38, v38
	v_add_f32_e32 v43, v42, v39
	v_mul_f32_e32 v44, v43, v43
	v_mov_b32_e32 v45, 0x3ecc95a3
	v_fmac_f32_e32 v45, 0x3e9b6dac, v44
	v_mov_b32_e32 v46, 0x3f2aaada
	v_fmac_f32_e32 v46, v44, v45
	v_mul_f32_e32 v45, 0x3f317218, v38
	v_fma_f32 v47, v38, s8, -v45
	v_fmac_f32_e32 v47, 0xb102e308, v38
	v_sub_f32_e32 v38, v43, v42
	v_sub_f32_e32 v38, v39, v38
	v_add_f32_e32 v39, v45, v47
	v_sub_f32_e32 v42, v39, v45
	v_ldexp_f32 v45, v43, 1
	v_mul_f32_e32 v43, v43, v44
	v_mul_f32_e32 v43, v43, v46
	v_add_f32_e32 v44, v45, v43
	v_sub_f32_e32 v45, v44, v45
	v_ldexp_f32 v38, v38, 1
	v_sub_f32_e32 v43, v43, v45
	v_add_f32_e32 v38, v38, v43
	v_add_f32_e32 v43, v44, v38
	v_sub_f32_e32 v44, v43, v44
	v_sub_f32_e32 v38, v38, v44
	v_add_f32_e32 v44, v39, v43
	v_sub_f32_e32 v45, v44, v39
	v_sub_f32_e32 v46, v44, v45
	;; [unrolled: 1-line block ×5, first 2 shown]
	v_add_f32_e32 v39, v43, v39
	v_add_f32_e32 v43, v42, v38
	v_sub_f32_e32 v45, v43, v42
	v_sub_f32_e32 v46, v43, v45
	;; [unrolled: 1-line block ×4, first 2 shown]
	v_add_f32_e32 v39, v43, v39
	v_add_f32_e32 v38, v38, v42
	;; [unrolled: 1-line block ×3, first 2 shown]
	v_sub_f32_e32 v43, v42, v44
	v_sub_f32_e32 v39, v39, v43
	v_add_f32_e32 v38, v38, v39
	v_add_f32_e32 v38, v42, v38
	v_cmp_neq_f32_e32 vcc, s7, v41
	s_mov_b32 s7, 0x33800000
	v_cndmask_b32_e32 v38, v40, v38, vcc
	v_cmp_lt_f32_e64 vcc, |v41|, s7
	v_cndmask_b32_e32 v38, v38, v41, vcc
	v_add_f32_e32 v38, v36, v38
.LBB497_78:
	s_or_b64 exec, exec, s[2:3]
	v_bfe_u32 v36, v38, 16, 1
	s_movk_i32 s7, 0x7fff
	v_add3_u32 v36, v38, v36, s7
	v_and_b32_e32 v36, 0xffff0000, v36
	v_mov_b32_e32 v39, 0x7fc00000
	v_cmp_o_f32_e32 vcc, v38, v38
	v_cndmask_b32_e32 v41, v39, v36, vcc
	v_lshlrev_b32_e32 v36, 16, v5
	v_max_f32_e32 v40, v41, v41
	v_max_f32_e32 v38, v36, v36
	v_min_f32_e32 v42, v40, v38
	v_cmp_u_f32_e32 vcc, v41, v41
	v_max_f32_e32 v40, v40, v38
	v_cndmask_b32_e32 v42, v42, v41, vcc
	v_cmp_u_f32_e64 s[80:81], v36, v36
	v_cndmask_b32_e32 v40, v40, v41, vcc
	v_cndmask_b32_e64 v42, v42, v36, s[80:81]
	v_cndmask_b32_e64 v40, v40, v36, s[80:81]
	v_cmp_neq_f32_e32 vcc, v42, v40
	v_cmp_class_f32_e64 s[2:3], v42, s6
	s_or_b64 s[8:9], vcc, s[2:3]
	s_and_saveexec_b64 s[2:3], s[8:9]
	s_cbranch_execz .LBB497_80
; %bb.79:
	v_sub_f32_e32 v41, v42, v40
	s_mov_b32 s6, 0x3fb8aa3b
	v_mul_f32_e32 v42, 0x3fb8aa3b, v41
	v_fma_f32 v43, v41, s6, -v42
	v_rndne_f32_e32 v44, v42
	v_fmac_f32_e32 v43, 0x32a5705f, v41
	v_sub_f32_e32 v42, v42, v44
	v_add_f32_e32 v42, v42, v43
	v_exp_f32_e32 v42, v42
	v_cvt_i32_f32_e32 v43, v44
	s_mov_b32 s6, 0xc2ce8ed0
	v_cmp_ngt_f32_e32 vcc, s6, v41
	s_mov_b32 s6, 0x42b17218
	v_ldexp_f32 v42, v42, v43
	v_cndmask_b32_e32 v42, 0, v42, vcc
	v_mov_b32_e32 v43, 0x7f800000
	v_cmp_nlt_f32_e32 vcc, s6, v41
	v_cndmask_b32_e32 v44, v43, v42, vcc
	v_add_f32_e32 v45, 1.0, v44
	v_cvt_f64_f32_e32 v[41:42], v45
	v_add_f32_e32 v46, -1.0, v45
	v_sub_f32_e32 v47, v46, v45
	v_sub_f32_e32 v46, v44, v46
	v_frexp_exp_i32_f64_e32 v41, v[41:42]
	v_add_f32_e32 v42, 1.0, v47
	v_add_f32_e32 v42, v46, v42
	v_frexp_mant_f32_e32 v46, v45
	s_mov_b32 s8, 0x3f2aaaab
	v_cmp_gt_f32_e32 vcc, s8, v46
	s_mov_b32 s8, 0x3f317218
	s_mov_b32 s6, 0x7f800000
	v_subbrev_co_u32_e32 v41, vcc, 0, v41, vcc
	v_sub_u32_e32 v46, 0, v41
	v_ldexp_f32 v45, v45, v46
	v_ldexp_f32 v42, v42, v46
	v_add_f32_e32 v46, -1.0, v45
	v_add_f32_e32 v53, 1.0, v45
	v_add_f32_e32 v47, 1.0, v46
	v_add_f32_e32 v54, -1.0, v53
	v_sub_f32_e32 v47, v45, v47
	v_sub_f32_e32 v45, v45, v54
	v_add_f32_e32 v47, v42, v47
	v_add_f32_e32 v42, v42, v45
	;; [unrolled: 1-line block ×3, first 2 shown]
	v_rcp_f32_e32 v54, v45
	v_add_f32_e32 v48, v46, v47
	v_sub_f32_e32 v46, v46, v48
	v_add_f32_e32 v46, v47, v46
	v_sub_f32_e32 v47, v53, v45
	v_add_f32_e32 v42, v42, v47
	v_mul_f32_e32 v47, v48, v54
	v_mul_f32_e32 v53, v45, v47
	v_fma_f32 v55, v47, v45, -v53
	v_fmac_f32_e32 v55, v47, v42
	v_add_f32_e32 v56, v53, v55
	v_sub_f32_e32 v57, v48, v56
	v_sub_f32_e32 v48, v48, v57
	v_sub_f32_e32 v53, v56, v53
	v_sub_f32_e32 v48, v48, v56
	v_add_f32_e32 v46, v46, v48
	v_sub_f32_e32 v48, v53, v55
	v_add_f32_e32 v46, v48, v46
	v_add_f32_e32 v48, v57, v46
	v_mul_f32_e32 v53, v54, v48
	v_mul_f32_e32 v55, v45, v53
	v_fma_f32 v45, v53, v45, -v55
	v_fmac_f32_e32 v45, v53, v42
	v_sub_f32_e32 v42, v57, v48
	v_add_f32_e32 v42, v46, v42
	v_add_f32_e32 v46, v55, v45
	v_sub_f32_e32 v56, v48, v46
	v_sub_f32_e32 v48, v48, v56
	;; [unrolled: 1-line block ×4, first 2 shown]
	v_add_f32_e32 v42, v42, v46
	v_sub_f32_e32 v45, v55, v45
	v_add_f32_e32 v42, v45, v42
	v_add_f32_e32 v45, v47, v53
	;; [unrolled: 1-line block ×3, first 2 shown]
	v_sub_f32_e32 v46, v45, v47
	v_mul_f32_e32 v42, v54, v42
	v_sub_f32_e32 v46, v53, v46
	v_add_f32_e32 v42, v46, v42
	v_cvt_f32_i32_e32 v41, v41
	v_add_f32_e32 v46, v45, v42
	v_mul_f32_e32 v47, v46, v46
	v_mov_b32_e32 v48, 0x3ecc95a3
	v_fmac_f32_e32 v48, 0x3e9b6dac, v47
	v_mov_b32_e32 v53, 0x3f2aaada
	v_fmac_f32_e32 v53, v47, v48
	v_mul_f32_e32 v48, 0x3f317218, v41
	v_fma_f32 v54, v41, s8, -v48
	v_fmac_f32_e32 v54, 0xb102e308, v41
	v_sub_f32_e32 v41, v46, v45
	v_sub_f32_e32 v41, v42, v41
	v_add_f32_e32 v42, v48, v54
	v_sub_f32_e32 v45, v42, v48
	v_ldexp_f32 v48, v46, 1
	v_mul_f32_e32 v46, v46, v47
	v_mul_f32_e32 v46, v46, v53
	v_add_f32_e32 v47, v48, v46
	v_sub_f32_e32 v48, v47, v48
	v_ldexp_f32 v41, v41, 1
	v_sub_f32_e32 v46, v46, v48
	v_add_f32_e32 v41, v41, v46
	v_add_f32_e32 v46, v47, v41
	v_sub_f32_e32 v47, v46, v47
	v_sub_f32_e32 v41, v41, v47
	v_add_f32_e32 v47, v42, v46
	v_sub_f32_e32 v48, v47, v42
	v_sub_f32_e32 v53, v47, v48
	;; [unrolled: 1-line block ×5, first 2 shown]
	v_add_f32_e32 v42, v46, v42
	v_add_f32_e32 v46, v45, v41
	v_sub_f32_e32 v48, v46, v45
	v_sub_f32_e32 v53, v46, v48
	v_sub_f32_e32 v45, v45, v53
	v_sub_f32_e32 v41, v41, v48
	v_add_f32_e32 v42, v46, v42
	v_add_f32_e32 v41, v41, v45
	;; [unrolled: 1-line block ×3, first 2 shown]
	v_sub_f32_e32 v46, v45, v47
	v_sub_f32_e32 v42, v42, v46
	v_add_f32_e32 v41, v41, v42
	v_add_f32_e32 v41, v45, v41
	v_cmp_neq_f32_e32 vcc, s6, v44
	s_mov_b32 s6, 0x33800000
	v_cndmask_b32_e32 v41, v43, v41, vcc
	v_cmp_lt_f32_e64 vcc, |v44|, s6
	v_cndmask_b32_e32 v41, v41, v44, vcc
	v_add_f32_e32 v41, v40, v41
.LBB497_80:
	s_or_b64 exec, exec, s[2:3]
	v_bfe_u32 v40, v41, 16, 1
	v_add3_u32 v40, v41, v40, s7
	v_and_b32_e32 v40, 0xffff0000, v40
	v_cmp_o_f32_e32 vcc, v41, v41
	v_cndmask_b32_e32 v41, v39, v40, vcc
	v_and_b32_e32 v5, 0xffff0000, v5
	v_max_f32_e32 v39, v41, v41
	v_max_f32_e32 v40, v5, v5
	v_min_f32_e32 v42, v39, v40
	v_cmp_u_f32_e32 vcc, v41, v41
	v_max_f32_e32 v39, v39, v40
	v_cndmask_b32_e32 v42, v42, v41, vcc
	v_cmp_u_f32_e64 s[82:83], v5, v5
	v_cndmask_b32_e32 v39, v39, v41, vcc
	v_cndmask_b32_e64 v42, v42, v5, s[82:83]
	v_cndmask_b32_e64 v39, v39, v5, s[82:83]
	s_movk_i32 s6, 0x1f8
	v_cmp_neq_f32_e32 vcc, v42, v39
	v_cmp_class_f32_e64 s[2:3], v42, s6
	s_or_b64 s[8:9], vcc, s[2:3]
	s_and_saveexec_b64 s[2:3], s[8:9]
	s_cbranch_execz .LBB497_82
; %bb.81:
	v_sub_f32_e32 v41, v42, v39
	s_mov_b32 s7, 0x3fb8aa3b
	v_mul_f32_e32 v42, 0x3fb8aa3b, v41
	v_fma_f32 v43, v41, s7, -v42
	v_rndne_f32_e32 v44, v42
	v_fmac_f32_e32 v43, 0x32a5705f, v41
	v_sub_f32_e32 v42, v42, v44
	v_add_f32_e32 v42, v42, v43
	v_exp_f32_e32 v42, v42
	v_cvt_i32_f32_e32 v43, v44
	s_mov_b32 s7, 0xc2ce8ed0
	v_cmp_ngt_f32_e32 vcc, s7, v41
	s_mov_b32 s7, 0x42b17218
	v_ldexp_f32 v42, v42, v43
	v_cndmask_b32_e32 v42, 0, v42, vcc
	v_mov_b32_e32 v43, 0x7f800000
	v_cmp_nlt_f32_e32 vcc, s7, v41
	v_cndmask_b32_e32 v44, v43, v42, vcc
	v_add_f32_e32 v45, 1.0, v44
	v_cvt_f64_f32_e32 v[41:42], v45
	v_add_f32_e32 v46, -1.0, v45
	v_sub_f32_e32 v47, v46, v45
	v_sub_f32_e32 v46, v44, v46
	v_frexp_exp_i32_f64_e32 v41, v[41:42]
	v_add_f32_e32 v42, 1.0, v47
	v_add_f32_e32 v42, v46, v42
	v_frexp_mant_f32_e32 v46, v45
	s_mov_b32 s8, 0x3f2aaaab
	v_cmp_gt_f32_e32 vcc, s8, v46
	s_mov_b32 s8, 0x3f317218
	s_mov_b32 s7, 0x7f800000
	v_subbrev_co_u32_e32 v41, vcc, 0, v41, vcc
	v_sub_u32_e32 v46, 0, v41
	v_ldexp_f32 v45, v45, v46
	v_ldexp_f32 v42, v42, v46
	v_add_f32_e32 v46, -1.0, v45
	v_add_f32_e32 v53, 1.0, v45
	v_add_f32_e32 v47, 1.0, v46
	v_add_f32_e32 v54, -1.0, v53
	v_sub_f32_e32 v47, v45, v47
	v_sub_f32_e32 v45, v45, v54
	v_add_f32_e32 v47, v42, v47
	v_add_f32_e32 v42, v42, v45
	;; [unrolled: 1-line block ×3, first 2 shown]
	v_rcp_f32_e32 v54, v45
	v_add_f32_e32 v48, v46, v47
	v_sub_f32_e32 v46, v46, v48
	v_add_f32_e32 v46, v47, v46
	v_sub_f32_e32 v47, v53, v45
	v_add_f32_e32 v42, v42, v47
	v_mul_f32_e32 v47, v48, v54
	v_mul_f32_e32 v53, v45, v47
	v_fma_f32 v55, v47, v45, -v53
	v_fmac_f32_e32 v55, v47, v42
	v_add_f32_e32 v56, v53, v55
	v_sub_f32_e32 v57, v48, v56
	v_sub_f32_e32 v48, v48, v57
	v_sub_f32_e32 v53, v56, v53
	v_sub_f32_e32 v48, v48, v56
	v_add_f32_e32 v46, v46, v48
	v_sub_f32_e32 v48, v53, v55
	v_add_f32_e32 v46, v48, v46
	v_add_f32_e32 v48, v57, v46
	v_mul_f32_e32 v53, v54, v48
	v_mul_f32_e32 v55, v45, v53
	v_fma_f32 v45, v53, v45, -v55
	v_fmac_f32_e32 v45, v53, v42
	v_sub_f32_e32 v42, v57, v48
	v_add_f32_e32 v42, v46, v42
	v_add_f32_e32 v46, v55, v45
	v_sub_f32_e32 v56, v48, v46
	v_sub_f32_e32 v48, v48, v56
	;; [unrolled: 1-line block ×4, first 2 shown]
	v_add_f32_e32 v42, v42, v46
	v_sub_f32_e32 v45, v55, v45
	v_add_f32_e32 v42, v45, v42
	v_add_f32_e32 v45, v47, v53
	;; [unrolled: 1-line block ×3, first 2 shown]
	v_sub_f32_e32 v46, v45, v47
	v_mul_f32_e32 v42, v54, v42
	v_sub_f32_e32 v46, v53, v46
	v_add_f32_e32 v42, v46, v42
	v_cvt_f32_i32_e32 v41, v41
	v_add_f32_e32 v46, v45, v42
	v_mul_f32_e32 v47, v46, v46
	v_mov_b32_e32 v48, 0x3ecc95a3
	v_fmac_f32_e32 v48, 0x3e9b6dac, v47
	v_mov_b32_e32 v53, 0x3f2aaada
	v_fmac_f32_e32 v53, v47, v48
	v_mul_f32_e32 v48, 0x3f317218, v41
	v_fma_f32 v54, v41, s8, -v48
	v_fmac_f32_e32 v54, 0xb102e308, v41
	v_sub_f32_e32 v41, v46, v45
	v_sub_f32_e32 v41, v42, v41
	v_add_f32_e32 v42, v48, v54
	v_sub_f32_e32 v45, v42, v48
	v_ldexp_f32 v48, v46, 1
	v_mul_f32_e32 v46, v46, v47
	v_mul_f32_e32 v46, v46, v53
	v_add_f32_e32 v47, v48, v46
	v_sub_f32_e32 v48, v47, v48
	v_ldexp_f32 v41, v41, 1
	v_sub_f32_e32 v46, v46, v48
	v_add_f32_e32 v41, v41, v46
	v_add_f32_e32 v46, v47, v41
	v_sub_f32_e32 v47, v46, v47
	v_sub_f32_e32 v41, v41, v47
	v_add_f32_e32 v47, v42, v46
	v_sub_f32_e32 v48, v47, v42
	v_sub_f32_e32 v53, v47, v48
	;; [unrolled: 1-line block ×5, first 2 shown]
	v_add_f32_e32 v42, v46, v42
	v_add_f32_e32 v46, v45, v41
	v_sub_f32_e32 v48, v46, v45
	v_sub_f32_e32 v53, v46, v48
	;; [unrolled: 1-line block ×4, first 2 shown]
	v_add_f32_e32 v42, v46, v42
	v_add_f32_e32 v41, v41, v45
	;; [unrolled: 1-line block ×3, first 2 shown]
	v_sub_f32_e32 v46, v45, v47
	v_sub_f32_e32 v42, v42, v46
	v_add_f32_e32 v41, v41, v42
	v_add_f32_e32 v41, v45, v41
	v_cmp_neq_f32_e32 vcc, s7, v44
	s_mov_b32 s7, 0x33800000
	v_cndmask_b32_e32 v41, v43, v41, vcc
	v_cmp_lt_f32_e64 vcc, |v44|, s7
	v_cndmask_b32_e32 v41, v41, v44, vcc
	v_add_f32_e32 v41, v39, v41
.LBB497_82:
	s_or_b64 exec, exec, s[2:3]
	v_bfe_u32 v39, v41, 16, 1
	s_movk_i32 s7, 0x7fff
	v_add3_u32 v39, v41, v39, s7
	v_and_b32_e32 v39, 0xffff0000, v39
	v_mov_b32_e32 v42, 0x7fc00000
	v_cmp_o_f32_e32 vcc, v41, v41
	v_cndmask_b32_e32 v44, v42, v39, vcc
	v_lshlrev_b32_e32 v39, 16, v6
	v_max_f32_e32 v43, v44, v44
	v_max_f32_e32 v41, v39, v39
	v_min_f32_e32 v45, v43, v41
	v_cmp_u_f32_e32 vcc, v44, v44
	v_max_f32_e32 v43, v43, v41
	v_cndmask_b32_e32 v45, v45, v44, vcc
	v_cmp_u_f32_e64 s[84:85], v39, v39
	v_cndmask_b32_e32 v43, v43, v44, vcc
	v_cndmask_b32_e64 v45, v45, v39, s[84:85]
	v_cndmask_b32_e64 v43, v43, v39, s[84:85]
	v_cmp_neq_f32_e32 vcc, v45, v43
	v_cmp_class_f32_e64 s[2:3], v45, s6
	s_or_b64 s[8:9], vcc, s[2:3]
	s_and_saveexec_b64 s[2:3], s[8:9]
	s_cbranch_execz .LBB497_84
; %bb.83:
	v_sub_f32_e32 v44, v45, v43
	s_mov_b32 s6, 0x3fb8aa3b
	v_mul_f32_e32 v45, 0x3fb8aa3b, v44
	v_fma_f32 v46, v44, s6, -v45
	v_rndne_f32_e32 v47, v45
	v_fmac_f32_e32 v46, 0x32a5705f, v44
	v_sub_f32_e32 v45, v45, v47
	v_add_f32_e32 v45, v45, v46
	v_exp_f32_e32 v45, v45
	v_cvt_i32_f32_e32 v46, v47
	s_mov_b32 s6, 0xc2ce8ed0
	v_cmp_ngt_f32_e32 vcc, s6, v44
	s_mov_b32 s6, 0x42b17218
	v_ldexp_f32 v45, v45, v46
	v_cndmask_b32_e32 v45, 0, v45, vcc
	v_mov_b32_e32 v46, 0x7f800000
	v_cmp_nlt_f32_e32 vcc, s6, v44
	v_cndmask_b32_e32 v47, v46, v45, vcc
	v_add_f32_e32 v48, 1.0, v47
	v_cvt_f64_f32_e32 v[44:45], v48
	v_add_f32_e32 v53, -1.0, v48
	v_sub_f32_e32 v54, v53, v48
	v_sub_f32_e32 v53, v47, v53
	v_frexp_exp_i32_f64_e32 v44, v[44:45]
	v_add_f32_e32 v45, 1.0, v54
	v_add_f32_e32 v45, v53, v45
	v_frexp_mant_f32_e32 v53, v48
	s_mov_b32 s8, 0x3f2aaaab
	v_cmp_gt_f32_e32 vcc, s8, v53
	s_mov_b32 s8, 0x3f317218
	s_mov_b32 s6, 0x7f800000
	v_subbrev_co_u32_e32 v44, vcc, 0, v44, vcc
	v_sub_u32_e32 v53, 0, v44
	v_ldexp_f32 v48, v48, v53
	v_ldexp_f32 v45, v45, v53
	v_add_f32_e32 v53, -1.0, v48
	v_add_f32_e32 v56, 1.0, v48
	v_add_f32_e32 v54, 1.0, v53
	v_add_f32_e32 v57, -1.0, v56
	v_sub_f32_e32 v54, v48, v54
	v_sub_f32_e32 v48, v48, v57
	v_add_f32_e32 v54, v45, v54
	v_add_f32_e32 v45, v45, v48
	;; [unrolled: 1-line block ×3, first 2 shown]
	v_rcp_f32_e32 v57, v48
	v_add_f32_e32 v55, v53, v54
	v_sub_f32_e32 v53, v53, v55
	v_add_f32_e32 v53, v54, v53
	v_sub_f32_e32 v54, v56, v48
	v_add_f32_e32 v45, v45, v54
	v_mul_f32_e32 v54, v55, v57
	v_mul_f32_e32 v56, v48, v54
	v_fma_f32 v58, v54, v48, -v56
	v_fmac_f32_e32 v58, v54, v45
	v_add_f32_e32 v59, v56, v58
	v_sub_f32_e32 v60, v55, v59
	v_sub_f32_e32 v55, v55, v60
	;; [unrolled: 1-line block ×4, first 2 shown]
	v_add_f32_e32 v53, v53, v55
	v_sub_f32_e32 v55, v56, v58
	v_add_f32_e32 v53, v55, v53
	v_add_f32_e32 v55, v60, v53
	v_mul_f32_e32 v56, v57, v55
	v_mul_f32_e32 v58, v48, v56
	v_fma_f32 v48, v56, v48, -v58
	v_fmac_f32_e32 v48, v56, v45
	v_sub_f32_e32 v45, v60, v55
	v_add_f32_e32 v45, v53, v45
	v_add_f32_e32 v53, v58, v48
	v_sub_f32_e32 v59, v55, v53
	v_sub_f32_e32 v55, v55, v59
	;; [unrolled: 1-line block ×4, first 2 shown]
	v_add_f32_e32 v45, v45, v53
	v_sub_f32_e32 v48, v58, v48
	v_add_f32_e32 v45, v48, v45
	v_add_f32_e32 v48, v54, v56
	;; [unrolled: 1-line block ×3, first 2 shown]
	v_sub_f32_e32 v53, v48, v54
	v_mul_f32_e32 v45, v57, v45
	v_sub_f32_e32 v53, v56, v53
	v_add_f32_e32 v45, v53, v45
	v_cvt_f32_i32_e32 v44, v44
	v_add_f32_e32 v53, v48, v45
	v_mul_f32_e32 v54, v53, v53
	v_mov_b32_e32 v55, 0x3ecc95a3
	v_fmac_f32_e32 v55, 0x3e9b6dac, v54
	v_mov_b32_e32 v56, 0x3f2aaada
	v_fmac_f32_e32 v56, v54, v55
	v_mul_f32_e32 v55, 0x3f317218, v44
	v_fma_f32 v57, v44, s8, -v55
	v_fmac_f32_e32 v57, 0xb102e308, v44
	v_sub_f32_e32 v44, v53, v48
	v_sub_f32_e32 v44, v45, v44
	v_add_f32_e32 v45, v55, v57
	v_sub_f32_e32 v48, v45, v55
	v_ldexp_f32 v55, v53, 1
	v_mul_f32_e32 v53, v53, v54
	v_mul_f32_e32 v53, v53, v56
	v_add_f32_e32 v54, v55, v53
	v_sub_f32_e32 v55, v54, v55
	v_ldexp_f32 v44, v44, 1
	v_sub_f32_e32 v53, v53, v55
	v_add_f32_e32 v44, v44, v53
	v_add_f32_e32 v53, v54, v44
	v_sub_f32_e32 v54, v53, v54
	v_sub_f32_e32 v44, v44, v54
	v_add_f32_e32 v54, v45, v53
	v_sub_f32_e32 v55, v54, v45
	v_sub_f32_e32 v56, v54, v55
	;; [unrolled: 1-line block ×5, first 2 shown]
	v_add_f32_e32 v45, v53, v45
	v_add_f32_e32 v53, v48, v44
	v_sub_f32_e32 v55, v53, v48
	v_sub_f32_e32 v56, v53, v55
	;; [unrolled: 1-line block ×4, first 2 shown]
	v_add_f32_e32 v45, v53, v45
	v_add_f32_e32 v44, v44, v48
	;; [unrolled: 1-line block ×3, first 2 shown]
	v_sub_f32_e32 v53, v48, v54
	v_sub_f32_e32 v45, v45, v53
	v_add_f32_e32 v44, v44, v45
	v_add_f32_e32 v44, v48, v44
	v_cmp_neq_f32_e32 vcc, s6, v47
	s_mov_b32 s6, 0x33800000
	v_cndmask_b32_e32 v44, v46, v44, vcc
	v_cmp_lt_f32_e64 vcc, |v47|, s6
	v_cndmask_b32_e32 v44, v44, v47, vcc
	v_add_f32_e32 v44, v43, v44
.LBB497_84:
	s_or_b64 exec, exec, s[2:3]
	v_bfe_u32 v43, v44, 16, 1
	v_add3_u32 v43, v44, v43, s7
	v_and_b32_e32 v43, 0xffff0000, v43
	v_cmp_o_f32_e32 vcc, v44, v44
	v_cndmask_b32_e32 v44, v42, v43, vcc
	v_and_b32_e32 v6, 0xffff0000, v6
	v_max_f32_e32 v42, v44, v44
	v_max_f32_e32 v43, v6, v6
	v_min_f32_e32 v45, v42, v43
	v_cmp_u_f32_e32 vcc, v44, v44
	v_max_f32_e32 v42, v42, v43
	v_cndmask_b32_e32 v45, v45, v44, vcc
	v_cmp_u_f32_e64 s[86:87], v6, v6
	v_cndmask_b32_e32 v42, v42, v44, vcc
	v_cndmask_b32_e64 v45, v45, v6, s[86:87]
	v_cndmask_b32_e64 v42, v42, v6, s[86:87]
	s_movk_i32 s6, 0x1f8
	v_cmp_neq_f32_e32 vcc, v45, v42
	v_cmp_class_f32_e64 s[2:3], v45, s6
	s_or_b64 s[8:9], vcc, s[2:3]
	s_and_saveexec_b64 s[2:3], s[8:9]
	s_cbranch_execz .LBB497_86
; %bb.85:
	v_sub_f32_e32 v44, v45, v42
	s_mov_b32 s7, 0x3fb8aa3b
	v_mul_f32_e32 v45, 0x3fb8aa3b, v44
	v_fma_f32 v46, v44, s7, -v45
	v_rndne_f32_e32 v47, v45
	v_fmac_f32_e32 v46, 0x32a5705f, v44
	v_sub_f32_e32 v45, v45, v47
	v_add_f32_e32 v45, v45, v46
	v_exp_f32_e32 v45, v45
	v_cvt_i32_f32_e32 v46, v47
	s_mov_b32 s7, 0xc2ce8ed0
	v_cmp_ngt_f32_e32 vcc, s7, v44
	s_mov_b32 s7, 0x42b17218
	v_ldexp_f32 v45, v45, v46
	v_cndmask_b32_e32 v45, 0, v45, vcc
	v_mov_b32_e32 v46, 0x7f800000
	v_cmp_nlt_f32_e32 vcc, s7, v44
	v_cndmask_b32_e32 v47, v46, v45, vcc
	v_add_f32_e32 v48, 1.0, v47
	v_cvt_f64_f32_e32 v[44:45], v48
	v_add_f32_e32 v53, -1.0, v48
	v_sub_f32_e32 v54, v53, v48
	v_sub_f32_e32 v53, v47, v53
	v_frexp_exp_i32_f64_e32 v44, v[44:45]
	v_add_f32_e32 v45, 1.0, v54
	v_add_f32_e32 v45, v53, v45
	v_frexp_mant_f32_e32 v53, v48
	s_mov_b32 s8, 0x3f2aaaab
	v_cmp_gt_f32_e32 vcc, s8, v53
	s_mov_b32 s8, 0x3f317218
	s_mov_b32 s7, 0x7f800000
	v_subbrev_co_u32_e32 v44, vcc, 0, v44, vcc
	v_sub_u32_e32 v53, 0, v44
	v_ldexp_f32 v48, v48, v53
	v_ldexp_f32 v45, v45, v53
	v_add_f32_e32 v53, -1.0, v48
	v_add_f32_e32 v56, 1.0, v48
	v_add_f32_e32 v54, 1.0, v53
	v_add_f32_e32 v57, -1.0, v56
	v_sub_f32_e32 v54, v48, v54
	v_sub_f32_e32 v48, v48, v57
	v_add_f32_e32 v54, v45, v54
	v_add_f32_e32 v45, v45, v48
	;; [unrolled: 1-line block ×3, first 2 shown]
	v_rcp_f32_e32 v57, v48
	v_add_f32_e32 v55, v53, v54
	v_sub_f32_e32 v53, v53, v55
	v_add_f32_e32 v53, v54, v53
	v_sub_f32_e32 v54, v56, v48
	v_add_f32_e32 v45, v45, v54
	v_mul_f32_e32 v54, v55, v57
	v_mul_f32_e32 v56, v48, v54
	v_fma_f32 v58, v54, v48, -v56
	v_fmac_f32_e32 v58, v54, v45
	v_add_f32_e32 v59, v56, v58
	v_sub_f32_e32 v60, v55, v59
	v_sub_f32_e32 v55, v55, v60
	;; [unrolled: 1-line block ×4, first 2 shown]
	v_add_f32_e32 v53, v53, v55
	v_sub_f32_e32 v55, v56, v58
	v_add_f32_e32 v53, v55, v53
	v_add_f32_e32 v55, v60, v53
	v_mul_f32_e32 v56, v57, v55
	v_mul_f32_e32 v58, v48, v56
	v_fma_f32 v48, v56, v48, -v58
	v_fmac_f32_e32 v48, v56, v45
	v_sub_f32_e32 v45, v60, v55
	v_add_f32_e32 v45, v53, v45
	v_add_f32_e32 v53, v58, v48
	v_sub_f32_e32 v59, v55, v53
	v_sub_f32_e32 v55, v55, v59
	;; [unrolled: 1-line block ×4, first 2 shown]
	v_add_f32_e32 v45, v45, v53
	v_sub_f32_e32 v48, v58, v48
	v_add_f32_e32 v45, v48, v45
	v_add_f32_e32 v48, v54, v56
	;; [unrolled: 1-line block ×3, first 2 shown]
	v_sub_f32_e32 v53, v48, v54
	v_mul_f32_e32 v45, v57, v45
	v_sub_f32_e32 v53, v56, v53
	v_add_f32_e32 v45, v53, v45
	v_cvt_f32_i32_e32 v44, v44
	v_add_f32_e32 v53, v48, v45
	v_mul_f32_e32 v54, v53, v53
	v_mov_b32_e32 v55, 0x3ecc95a3
	v_fmac_f32_e32 v55, 0x3e9b6dac, v54
	v_mov_b32_e32 v56, 0x3f2aaada
	v_fmac_f32_e32 v56, v54, v55
	v_mul_f32_e32 v55, 0x3f317218, v44
	v_fma_f32 v57, v44, s8, -v55
	v_fmac_f32_e32 v57, 0xb102e308, v44
	v_sub_f32_e32 v44, v53, v48
	v_sub_f32_e32 v44, v45, v44
	v_add_f32_e32 v45, v55, v57
	v_sub_f32_e32 v48, v45, v55
	v_ldexp_f32 v55, v53, 1
	v_mul_f32_e32 v53, v53, v54
	v_mul_f32_e32 v53, v53, v56
	v_add_f32_e32 v54, v55, v53
	v_sub_f32_e32 v55, v54, v55
	v_ldexp_f32 v44, v44, 1
	v_sub_f32_e32 v53, v53, v55
	v_add_f32_e32 v44, v44, v53
	v_add_f32_e32 v53, v54, v44
	v_sub_f32_e32 v54, v53, v54
	v_sub_f32_e32 v44, v44, v54
	v_add_f32_e32 v54, v45, v53
	v_sub_f32_e32 v55, v54, v45
	v_sub_f32_e32 v56, v54, v55
	;; [unrolled: 1-line block ×5, first 2 shown]
	v_add_f32_e32 v45, v53, v45
	v_add_f32_e32 v53, v48, v44
	v_sub_f32_e32 v55, v53, v48
	v_sub_f32_e32 v56, v53, v55
	;; [unrolled: 1-line block ×4, first 2 shown]
	v_add_f32_e32 v45, v53, v45
	v_add_f32_e32 v44, v44, v48
	;; [unrolled: 1-line block ×3, first 2 shown]
	v_sub_f32_e32 v53, v48, v54
	v_sub_f32_e32 v45, v45, v53
	v_add_f32_e32 v44, v44, v45
	v_add_f32_e32 v44, v48, v44
	v_cmp_neq_f32_e32 vcc, s7, v47
	s_mov_b32 s7, 0x33800000
	v_cndmask_b32_e32 v44, v46, v44, vcc
	v_cmp_lt_f32_e64 vcc, |v47|, s7
	v_cndmask_b32_e32 v44, v44, v47, vcc
	v_add_f32_e32 v44, v42, v44
.LBB497_86:
	s_or_b64 exec, exec, s[2:3]
	v_bfe_u32 v42, v44, 16, 1
	s_movk_i32 s7, 0x7fff
	v_add3_u32 v42, v44, v42, s7
	v_and_b32_e32 v42, 0xffff0000, v42
	v_mov_b32_e32 v45, 0x7fc00000
	v_cmp_o_f32_e32 vcc, v44, v44
	v_cndmask_b32_e32 v47, v45, v42, vcc
	v_lshlrev_b32_e32 v42, 16, v7
	v_max_f32_e32 v46, v47, v47
	v_max_f32_e32 v44, v42, v42
	v_min_f32_e32 v48, v46, v44
	v_cmp_u_f32_e32 vcc, v47, v47
	v_max_f32_e32 v46, v46, v44
	v_cndmask_b32_e32 v48, v48, v47, vcc
	v_cmp_u_f32_e64 s[88:89], v42, v42
	v_cndmask_b32_e32 v46, v46, v47, vcc
	v_cndmask_b32_e64 v48, v48, v42, s[88:89]
	v_cndmask_b32_e64 v46, v46, v42, s[88:89]
	v_cmp_neq_f32_e32 vcc, v48, v46
	v_cmp_class_f32_e64 s[2:3], v48, s6
	s_or_b64 s[8:9], vcc, s[2:3]
	s_and_saveexec_b64 s[2:3], s[8:9]
	s_cbranch_execz .LBB497_88
; %bb.87:
	v_sub_f32_e32 v47, v48, v46
	s_mov_b32 s6, 0x3fb8aa3b
	v_mul_f32_e32 v48, 0x3fb8aa3b, v47
	v_fma_f32 v53, v47, s6, -v48
	v_rndne_f32_e32 v54, v48
	v_fmac_f32_e32 v53, 0x32a5705f, v47
	v_sub_f32_e32 v48, v48, v54
	v_add_f32_e32 v48, v48, v53
	v_exp_f32_e32 v48, v48
	v_cvt_i32_f32_e32 v53, v54
	s_mov_b32 s6, 0xc2ce8ed0
	v_cmp_ngt_f32_e32 vcc, s6, v47
	s_mov_b32 s6, 0x42b17218
	v_ldexp_f32 v48, v48, v53
	v_cndmask_b32_e32 v48, 0, v48, vcc
	v_mov_b32_e32 v53, 0x7f800000
	v_cmp_nlt_f32_e32 vcc, s6, v47
	v_cndmask_b32_e32 v54, v53, v48, vcc
	v_add_f32_e32 v55, 1.0, v54
	v_cvt_f64_f32_e32 v[47:48], v55
	v_add_f32_e32 v56, -1.0, v55
	v_sub_f32_e32 v57, v56, v55
	v_sub_f32_e32 v56, v54, v56
	v_frexp_exp_i32_f64_e32 v47, v[47:48]
	v_add_f32_e32 v48, 1.0, v57
	v_add_f32_e32 v48, v56, v48
	v_frexp_mant_f32_e32 v56, v55
	s_mov_b32 s8, 0x3f2aaaab
	v_cmp_gt_f32_e32 vcc, s8, v56
	s_mov_b32 s8, 0x3f317218
	s_mov_b32 s6, 0x7f800000
	v_subbrev_co_u32_e32 v47, vcc, 0, v47, vcc
	v_sub_u32_e32 v56, 0, v47
	v_ldexp_f32 v55, v55, v56
	v_ldexp_f32 v48, v48, v56
	v_add_f32_e32 v56, -1.0, v55
	v_add_f32_e32 v59, 1.0, v55
	v_add_f32_e32 v57, 1.0, v56
	v_add_f32_e32 v60, -1.0, v59
	v_sub_f32_e32 v57, v55, v57
	v_sub_f32_e32 v55, v55, v60
	v_add_f32_e32 v57, v48, v57
	v_add_f32_e32 v48, v48, v55
	;; [unrolled: 1-line block ×3, first 2 shown]
	v_rcp_f32_e32 v60, v55
	v_add_f32_e32 v58, v56, v57
	v_sub_f32_e32 v56, v56, v58
	v_add_f32_e32 v56, v57, v56
	v_sub_f32_e32 v57, v59, v55
	v_add_f32_e32 v48, v48, v57
	v_mul_f32_e32 v57, v58, v60
	v_mul_f32_e32 v59, v55, v57
	v_fma_f32 v61, v57, v55, -v59
	v_fmac_f32_e32 v61, v57, v48
	v_add_f32_e32 v62, v59, v61
	v_sub_f32_e32 v63, v58, v62
	v_sub_f32_e32 v58, v58, v63
	;; [unrolled: 1-line block ×4, first 2 shown]
	v_add_f32_e32 v56, v56, v58
	v_sub_f32_e32 v58, v59, v61
	v_add_f32_e32 v56, v58, v56
	v_add_f32_e32 v58, v63, v56
	v_mul_f32_e32 v59, v60, v58
	v_mul_f32_e32 v61, v55, v59
	v_fma_f32 v55, v59, v55, -v61
	v_fmac_f32_e32 v55, v59, v48
	v_sub_f32_e32 v48, v63, v58
	v_add_f32_e32 v48, v56, v48
	v_add_f32_e32 v56, v61, v55
	v_sub_f32_e32 v62, v58, v56
	v_sub_f32_e32 v58, v58, v62
	;; [unrolled: 1-line block ×4, first 2 shown]
	v_add_f32_e32 v48, v48, v56
	v_sub_f32_e32 v55, v61, v55
	v_add_f32_e32 v48, v55, v48
	v_add_f32_e32 v55, v57, v59
	;; [unrolled: 1-line block ×3, first 2 shown]
	v_sub_f32_e32 v56, v55, v57
	v_mul_f32_e32 v48, v60, v48
	v_sub_f32_e32 v56, v59, v56
	v_add_f32_e32 v48, v56, v48
	v_cvt_f32_i32_e32 v47, v47
	v_add_f32_e32 v56, v55, v48
	v_mul_f32_e32 v57, v56, v56
	v_mov_b32_e32 v58, 0x3ecc95a3
	v_fmac_f32_e32 v58, 0x3e9b6dac, v57
	v_mov_b32_e32 v59, 0x3f2aaada
	v_fmac_f32_e32 v59, v57, v58
	v_mul_f32_e32 v58, 0x3f317218, v47
	v_fma_f32 v60, v47, s8, -v58
	v_fmac_f32_e32 v60, 0xb102e308, v47
	v_sub_f32_e32 v47, v56, v55
	v_sub_f32_e32 v47, v48, v47
	v_add_f32_e32 v48, v58, v60
	v_sub_f32_e32 v55, v48, v58
	v_ldexp_f32 v58, v56, 1
	v_mul_f32_e32 v56, v56, v57
	v_mul_f32_e32 v56, v56, v59
	v_add_f32_e32 v57, v58, v56
	v_sub_f32_e32 v58, v57, v58
	v_ldexp_f32 v47, v47, 1
	v_sub_f32_e32 v56, v56, v58
	v_add_f32_e32 v47, v47, v56
	v_add_f32_e32 v56, v57, v47
	v_sub_f32_e32 v57, v56, v57
	v_sub_f32_e32 v47, v47, v57
	v_add_f32_e32 v57, v48, v56
	v_sub_f32_e32 v58, v57, v48
	v_sub_f32_e32 v59, v57, v58
	;; [unrolled: 1-line block ×5, first 2 shown]
	v_add_f32_e32 v48, v56, v48
	v_add_f32_e32 v56, v55, v47
	v_sub_f32_e32 v58, v56, v55
	v_sub_f32_e32 v59, v56, v58
	;; [unrolled: 1-line block ×4, first 2 shown]
	v_add_f32_e32 v48, v56, v48
	v_add_f32_e32 v47, v47, v55
	;; [unrolled: 1-line block ×3, first 2 shown]
	v_sub_f32_e32 v56, v55, v57
	v_sub_f32_e32 v48, v48, v56
	v_add_f32_e32 v47, v47, v48
	v_add_f32_e32 v47, v55, v47
	v_cmp_neq_f32_e32 vcc, s6, v54
	s_mov_b32 s6, 0x33800000
	v_cndmask_b32_e32 v47, v53, v47, vcc
	v_cmp_lt_f32_e64 vcc, |v54|, s6
	v_cndmask_b32_e32 v47, v47, v54, vcc
	v_add_f32_e32 v47, v46, v47
.LBB497_88:
	s_or_b64 exec, exec, s[2:3]
	v_bfe_u32 v46, v47, 16, 1
	v_add3_u32 v46, v47, v46, s7
	v_and_b32_e32 v46, 0xffff0000, v46
	v_cmp_o_f32_e32 vcc, v47, v47
	v_cndmask_b32_e32 v47, v45, v46, vcc
	v_and_b32_e32 v7, 0xffff0000, v7
	v_max_f32_e32 v45, v47, v47
	v_max_f32_e32 v46, v7, v7
	v_min_f32_e32 v48, v45, v46
	v_cmp_u_f32_e32 vcc, v47, v47
	v_max_f32_e32 v45, v45, v46
	v_cndmask_b32_e32 v48, v48, v47, vcc
	v_cmp_u_f32_e64 s[90:91], v7, v7
	v_cndmask_b32_e32 v45, v45, v47, vcc
	v_cndmask_b32_e64 v48, v48, v7, s[90:91]
	v_cndmask_b32_e64 v45, v45, v7, s[90:91]
	s_movk_i32 s6, 0x1f8
	v_cmp_neq_f32_e32 vcc, v48, v45
	v_cmp_class_f32_e64 s[2:3], v48, s6
	s_or_b64 s[8:9], vcc, s[2:3]
	s_and_saveexec_b64 s[2:3], s[8:9]
	s_cbranch_execz .LBB497_90
; %bb.89:
	v_sub_f32_e32 v47, v48, v45
	s_mov_b32 s7, 0x3fb8aa3b
	v_mul_f32_e32 v48, 0x3fb8aa3b, v47
	v_fma_f32 v53, v47, s7, -v48
	v_rndne_f32_e32 v54, v48
	v_fmac_f32_e32 v53, 0x32a5705f, v47
	v_sub_f32_e32 v48, v48, v54
	v_add_f32_e32 v48, v48, v53
	v_exp_f32_e32 v48, v48
	v_cvt_i32_f32_e32 v53, v54
	s_mov_b32 s7, 0xc2ce8ed0
	v_cmp_ngt_f32_e32 vcc, s7, v47
	s_mov_b32 s7, 0x42b17218
	v_ldexp_f32 v48, v48, v53
	v_cndmask_b32_e32 v48, 0, v48, vcc
	v_mov_b32_e32 v53, 0x7f800000
	v_cmp_nlt_f32_e32 vcc, s7, v47
	v_cndmask_b32_e32 v54, v53, v48, vcc
	v_add_f32_e32 v55, 1.0, v54
	v_cvt_f64_f32_e32 v[47:48], v55
	v_add_f32_e32 v56, -1.0, v55
	v_sub_f32_e32 v57, v56, v55
	v_sub_f32_e32 v56, v54, v56
	v_frexp_exp_i32_f64_e32 v47, v[47:48]
	v_add_f32_e32 v48, 1.0, v57
	v_add_f32_e32 v48, v56, v48
	v_frexp_mant_f32_e32 v56, v55
	s_mov_b32 s8, 0x3f2aaaab
	v_cmp_gt_f32_e32 vcc, s8, v56
	s_mov_b32 s8, 0x3f317218
	s_mov_b32 s7, 0x7f800000
	v_subbrev_co_u32_e32 v47, vcc, 0, v47, vcc
	v_sub_u32_e32 v56, 0, v47
	v_ldexp_f32 v55, v55, v56
	v_ldexp_f32 v48, v48, v56
	v_add_f32_e32 v56, -1.0, v55
	v_add_f32_e32 v59, 1.0, v55
	v_add_f32_e32 v57, 1.0, v56
	v_add_f32_e32 v60, -1.0, v59
	v_sub_f32_e32 v57, v55, v57
	v_sub_f32_e32 v55, v55, v60
	v_add_f32_e32 v57, v48, v57
	v_add_f32_e32 v48, v48, v55
	;; [unrolled: 1-line block ×3, first 2 shown]
	v_rcp_f32_e32 v60, v55
	v_add_f32_e32 v58, v56, v57
	v_sub_f32_e32 v56, v56, v58
	v_add_f32_e32 v56, v57, v56
	v_sub_f32_e32 v57, v59, v55
	v_add_f32_e32 v48, v48, v57
	v_mul_f32_e32 v57, v58, v60
	v_mul_f32_e32 v59, v55, v57
	v_fma_f32 v61, v57, v55, -v59
	v_fmac_f32_e32 v61, v57, v48
	v_add_f32_e32 v62, v59, v61
	v_sub_f32_e32 v63, v58, v62
	v_sub_f32_e32 v58, v58, v63
	;; [unrolled: 1-line block ×4, first 2 shown]
	v_add_f32_e32 v56, v56, v58
	v_sub_f32_e32 v58, v59, v61
	v_add_f32_e32 v56, v58, v56
	v_add_f32_e32 v58, v63, v56
	v_mul_f32_e32 v59, v60, v58
	v_mul_f32_e32 v61, v55, v59
	v_fma_f32 v55, v59, v55, -v61
	v_fmac_f32_e32 v55, v59, v48
	v_sub_f32_e32 v48, v63, v58
	v_add_f32_e32 v48, v56, v48
	v_add_f32_e32 v56, v61, v55
	v_sub_f32_e32 v62, v58, v56
	v_sub_f32_e32 v58, v58, v62
	;; [unrolled: 1-line block ×4, first 2 shown]
	v_add_f32_e32 v48, v48, v56
	v_sub_f32_e32 v55, v61, v55
	v_add_f32_e32 v48, v55, v48
	v_add_f32_e32 v55, v57, v59
	;; [unrolled: 1-line block ×3, first 2 shown]
	v_sub_f32_e32 v56, v55, v57
	v_mul_f32_e32 v48, v60, v48
	v_sub_f32_e32 v56, v59, v56
	v_add_f32_e32 v48, v56, v48
	v_cvt_f32_i32_e32 v47, v47
	v_add_f32_e32 v56, v55, v48
	v_mul_f32_e32 v57, v56, v56
	v_mov_b32_e32 v58, 0x3ecc95a3
	v_fmac_f32_e32 v58, 0x3e9b6dac, v57
	v_mov_b32_e32 v59, 0x3f2aaada
	v_fmac_f32_e32 v59, v57, v58
	v_mul_f32_e32 v58, 0x3f317218, v47
	v_fma_f32 v60, v47, s8, -v58
	v_fmac_f32_e32 v60, 0xb102e308, v47
	v_sub_f32_e32 v47, v56, v55
	v_sub_f32_e32 v47, v48, v47
	v_add_f32_e32 v48, v58, v60
	v_sub_f32_e32 v55, v48, v58
	v_ldexp_f32 v58, v56, 1
	v_mul_f32_e32 v56, v56, v57
	v_mul_f32_e32 v56, v56, v59
	v_add_f32_e32 v57, v58, v56
	v_sub_f32_e32 v58, v57, v58
	v_ldexp_f32 v47, v47, 1
	v_sub_f32_e32 v56, v56, v58
	v_add_f32_e32 v47, v47, v56
	v_add_f32_e32 v56, v57, v47
	v_sub_f32_e32 v57, v56, v57
	v_sub_f32_e32 v47, v47, v57
	v_add_f32_e32 v57, v48, v56
	v_sub_f32_e32 v58, v57, v48
	v_sub_f32_e32 v59, v57, v58
	;; [unrolled: 1-line block ×5, first 2 shown]
	v_add_f32_e32 v48, v56, v48
	v_add_f32_e32 v56, v55, v47
	v_sub_f32_e32 v58, v56, v55
	v_sub_f32_e32 v59, v56, v58
	;; [unrolled: 1-line block ×4, first 2 shown]
	v_add_f32_e32 v48, v56, v48
	v_add_f32_e32 v47, v47, v55
	;; [unrolled: 1-line block ×3, first 2 shown]
	v_sub_f32_e32 v56, v55, v57
	v_sub_f32_e32 v48, v48, v56
	v_add_f32_e32 v47, v47, v48
	v_add_f32_e32 v47, v55, v47
	v_cmp_neq_f32_e32 vcc, s7, v54
	s_mov_b32 s7, 0x33800000
	v_cndmask_b32_e32 v47, v53, v47, vcc
	v_cmp_lt_f32_e64 vcc, |v54|, s7
	v_cndmask_b32_e32 v47, v47, v54, vcc
	v_add_f32_e32 v47, v45, v47
.LBB497_90:
	s_or_b64 exec, exec, s[2:3]
	v_bfe_u32 v45, v47, 16, 1
	s_movk_i32 s7, 0x7fff
	v_add3_u32 v45, v47, v45, s7
	v_and_b32_e32 v45, 0xffff0000, v45
	v_mov_b32_e32 v48, 0x7fc00000
	v_cmp_o_f32_e32 vcc, v47, v47
	v_cndmask_b32_e32 v54, v48, v45, vcc
	v_lshlrev_b32_e32 v45, 16, v8
	v_max_f32_e32 v53, v54, v54
	v_max_f32_e32 v47, v45, v45
	v_min_f32_e32 v55, v53, v47
	v_cmp_u_f32_e32 vcc, v54, v54
	v_max_f32_e32 v53, v53, v47
	v_cndmask_b32_e32 v55, v55, v54, vcc
	v_cmp_u_f32_e64 s[92:93], v45, v45
	v_cndmask_b32_e32 v53, v53, v54, vcc
	v_cndmask_b32_e64 v55, v55, v45, s[92:93]
	v_cndmask_b32_e64 v53, v53, v45, s[92:93]
	v_cmp_neq_f32_e32 vcc, v55, v53
	v_cmp_class_f32_e64 s[2:3], v55, s6
	s_or_b64 s[8:9], vcc, s[2:3]
	s_and_saveexec_b64 s[2:3], s[8:9]
	s_cbranch_execz .LBB497_92
; %bb.91:
	v_sub_f32_e32 v54, v55, v53
	s_mov_b32 s6, 0x3fb8aa3b
	v_mul_f32_e32 v55, 0x3fb8aa3b, v54
	v_fma_f32 v56, v54, s6, -v55
	v_rndne_f32_e32 v57, v55
	v_fmac_f32_e32 v56, 0x32a5705f, v54
	v_sub_f32_e32 v55, v55, v57
	v_add_f32_e32 v55, v55, v56
	v_exp_f32_e32 v55, v55
	v_cvt_i32_f32_e32 v56, v57
	s_mov_b32 s6, 0xc2ce8ed0
	v_cmp_ngt_f32_e32 vcc, s6, v54
	s_mov_b32 s6, 0x42b17218
	v_ldexp_f32 v55, v55, v56
	v_cndmask_b32_e32 v55, 0, v55, vcc
	v_mov_b32_e32 v56, 0x7f800000
	v_cmp_nlt_f32_e32 vcc, s6, v54
	v_cndmask_b32_e32 v57, v56, v55, vcc
	v_add_f32_e32 v58, 1.0, v57
	v_cvt_f64_f32_e32 v[54:55], v58
	v_add_f32_e32 v59, -1.0, v58
	v_sub_f32_e32 v60, v59, v58
	v_sub_f32_e32 v59, v57, v59
	v_frexp_exp_i32_f64_e32 v54, v[54:55]
	v_add_f32_e32 v55, 1.0, v60
	v_add_f32_e32 v55, v59, v55
	v_frexp_mant_f32_e32 v59, v58
	s_mov_b32 s8, 0x3f2aaaab
	v_cmp_gt_f32_e32 vcc, s8, v59
	s_mov_b32 s8, 0x3f317218
	s_mov_b32 s6, 0x7f800000
	v_subbrev_co_u32_e32 v54, vcc, 0, v54, vcc
	v_sub_u32_e32 v59, 0, v54
	v_ldexp_f32 v58, v58, v59
	v_ldexp_f32 v55, v55, v59
	v_add_f32_e32 v59, -1.0, v58
	v_add_f32_e32 v62, 1.0, v58
	v_add_f32_e32 v60, 1.0, v59
	v_add_f32_e32 v63, -1.0, v62
	v_sub_f32_e32 v60, v58, v60
	v_sub_f32_e32 v58, v58, v63
	v_add_f32_e32 v60, v55, v60
	v_add_f32_e32 v55, v55, v58
	;; [unrolled: 1-line block ×3, first 2 shown]
	v_rcp_f32_e32 v63, v58
	v_add_f32_e32 v61, v59, v60
	v_sub_f32_e32 v59, v59, v61
	v_add_f32_e32 v59, v60, v59
	v_sub_f32_e32 v60, v62, v58
	v_add_f32_e32 v55, v55, v60
	v_mul_f32_e32 v60, v61, v63
	v_mul_f32_e32 v62, v58, v60
	v_fma_f32 v64, v60, v58, -v62
	v_fmac_f32_e32 v64, v60, v55
	v_add_f32_e32 v65, v62, v64
	v_sub_f32_e32 v66, v61, v65
	v_sub_f32_e32 v61, v61, v66
	;; [unrolled: 1-line block ×4, first 2 shown]
	v_add_f32_e32 v59, v59, v61
	v_sub_f32_e32 v61, v62, v64
	v_add_f32_e32 v59, v61, v59
	v_add_f32_e32 v61, v66, v59
	v_mul_f32_e32 v62, v63, v61
	v_mul_f32_e32 v64, v58, v62
	v_fma_f32 v58, v62, v58, -v64
	v_fmac_f32_e32 v58, v62, v55
	v_sub_f32_e32 v55, v66, v61
	v_add_f32_e32 v55, v59, v55
	v_add_f32_e32 v59, v64, v58
	v_sub_f32_e32 v65, v61, v59
	v_sub_f32_e32 v61, v61, v65
	;; [unrolled: 1-line block ×4, first 2 shown]
	v_add_f32_e32 v55, v55, v59
	v_sub_f32_e32 v58, v64, v58
	v_add_f32_e32 v55, v58, v55
	v_add_f32_e32 v58, v60, v62
	;; [unrolled: 1-line block ×3, first 2 shown]
	v_sub_f32_e32 v59, v58, v60
	v_mul_f32_e32 v55, v63, v55
	v_sub_f32_e32 v59, v62, v59
	v_add_f32_e32 v55, v59, v55
	v_cvt_f32_i32_e32 v54, v54
	v_add_f32_e32 v59, v58, v55
	v_mul_f32_e32 v60, v59, v59
	v_mov_b32_e32 v61, 0x3ecc95a3
	v_fmac_f32_e32 v61, 0x3e9b6dac, v60
	v_mov_b32_e32 v62, 0x3f2aaada
	v_fmac_f32_e32 v62, v60, v61
	v_mul_f32_e32 v61, 0x3f317218, v54
	v_fma_f32 v63, v54, s8, -v61
	v_fmac_f32_e32 v63, 0xb102e308, v54
	v_sub_f32_e32 v54, v59, v58
	v_sub_f32_e32 v54, v55, v54
	v_add_f32_e32 v55, v61, v63
	v_sub_f32_e32 v58, v55, v61
	v_ldexp_f32 v61, v59, 1
	v_mul_f32_e32 v59, v59, v60
	v_mul_f32_e32 v59, v59, v62
	v_add_f32_e32 v60, v61, v59
	v_sub_f32_e32 v61, v60, v61
	v_ldexp_f32 v54, v54, 1
	v_sub_f32_e32 v59, v59, v61
	v_add_f32_e32 v54, v54, v59
	v_add_f32_e32 v59, v60, v54
	v_sub_f32_e32 v60, v59, v60
	v_sub_f32_e32 v54, v54, v60
	v_add_f32_e32 v60, v55, v59
	v_sub_f32_e32 v61, v60, v55
	v_sub_f32_e32 v62, v60, v61
	;; [unrolled: 1-line block ×5, first 2 shown]
	v_add_f32_e32 v55, v59, v55
	v_add_f32_e32 v59, v58, v54
	v_sub_f32_e32 v61, v59, v58
	v_sub_f32_e32 v62, v59, v61
	;; [unrolled: 1-line block ×4, first 2 shown]
	v_add_f32_e32 v55, v59, v55
	v_add_f32_e32 v54, v54, v58
	;; [unrolled: 1-line block ×3, first 2 shown]
	v_sub_f32_e32 v59, v58, v60
	v_sub_f32_e32 v55, v55, v59
	v_add_f32_e32 v54, v54, v55
	v_add_f32_e32 v54, v58, v54
	v_cmp_neq_f32_e32 vcc, s6, v57
	s_mov_b32 s6, 0x33800000
	v_cndmask_b32_e32 v54, v56, v54, vcc
	v_cmp_lt_f32_e64 vcc, |v57|, s6
	v_cndmask_b32_e32 v54, v54, v57, vcc
	v_add_f32_e32 v54, v53, v54
.LBB497_92:
	s_or_b64 exec, exec, s[2:3]
	v_bfe_u32 v53, v54, 16, 1
	v_add3_u32 v53, v54, v53, s7
	v_and_b32_e32 v53, 0xffff0000, v53
	v_cmp_o_f32_e32 vcc, v54, v54
	v_cndmask_b32_e32 v54, v48, v53, vcc
	v_and_b32_e32 v8, 0xffff0000, v8
	v_max_f32_e32 v53, v54, v54
	v_max_f32_e32 v48, v8, v8
	v_min_f32_e32 v55, v53, v48
	v_cmp_u_f32_e32 vcc, v54, v54
	v_max_f32_e32 v53, v53, v48
	v_cndmask_b32_e32 v55, v55, v54, vcc
	v_cmp_u_f32_e64 s[94:95], v8, v8
	v_cndmask_b32_e32 v53, v53, v54, vcc
	v_cndmask_b32_e64 v55, v55, v8, s[94:95]
	v_cndmask_b32_e64 v53, v53, v8, s[94:95]
	s_movk_i32 s2, 0x1f8
	v_cmp_neq_f32_e32 vcc, v55, v53
	v_cmp_class_f32_e64 s[2:3], v55, s2
	s_or_b64 s[6:7], vcc, s[2:3]
	s_and_saveexec_b64 s[2:3], s[6:7]
	s_cbranch_execz .LBB497_94
; %bb.93:
	v_sub_f32_e32 v54, v55, v53
	s_mov_b32 s6, 0x3fb8aa3b
	v_mul_f32_e32 v55, 0x3fb8aa3b, v54
	v_fma_f32 v56, v54, s6, -v55
	v_rndne_f32_e32 v57, v55
	v_fmac_f32_e32 v56, 0x32a5705f, v54
	v_sub_f32_e32 v55, v55, v57
	v_add_f32_e32 v55, v55, v56
	v_exp_f32_e32 v55, v55
	v_cvt_i32_f32_e32 v56, v57
	s_mov_b32 s6, 0xc2ce8ed0
	v_cmp_ngt_f32_e32 vcc, s6, v54
	s_mov_b32 s6, 0x42b17218
	v_ldexp_f32 v55, v55, v56
	v_cndmask_b32_e32 v55, 0, v55, vcc
	v_mov_b32_e32 v56, 0x7f800000
	v_cmp_nlt_f32_e32 vcc, s6, v54
	v_cndmask_b32_e32 v57, v56, v55, vcc
	v_add_f32_e32 v58, 1.0, v57
	v_cvt_f64_f32_e32 v[54:55], v58
	v_add_f32_e32 v59, -1.0, v58
	v_sub_f32_e32 v60, v59, v58
	v_sub_f32_e32 v59, v57, v59
	v_frexp_exp_i32_f64_e32 v54, v[54:55]
	v_add_f32_e32 v55, 1.0, v60
	v_add_f32_e32 v55, v59, v55
	v_frexp_mant_f32_e32 v59, v58
	s_mov_b32 s7, 0x3f2aaaab
	v_cmp_gt_f32_e32 vcc, s7, v59
	s_mov_b32 s7, 0x3f317218
	s_mov_b32 s6, 0x7f800000
	v_subbrev_co_u32_e32 v54, vcc, 0, v54, vcc
	v_sub_u32_e32 v59, 0, v54
	v_ldexp_f32 v58, v58, v59
	v_ldexp_f32 v55, v55, v59
	v_add_f32_e32 v59, -1.0, v58
	v_add_f32_e32 v62, 1.0, v58
	v_add_f32_e32 v60, 1.0, v59
	v_add_f32_e32 v63, -1.0, v62
	v_sub_f32_e32 v60, v58, v60
	v_sub_f32_e32 v58, v58, v63
	v_add_f32_e32 v60, v55, v60
	v_add_f32_e32 v55, v55, v58
	;; [unrolled: 1-line block ×3, first 2 shown]
	v_rcp_f32_e32 v63, v58
	v_add_f32_e32 v61, v59, v60
	v_sub_f32_e32 v59, v59, v61
	v_add_f32_e32 v59, v60, v59
	v_sub_f32_e32 v60, v62, v58
	v_add_f32_e32 v55, v55, v60
	v_mul_f32_e32 v60, v61, v63
	v_mul_f32_e32 v62, v58, v60
	v_fma_f32 v64, v60, v58, -v62
	v_fmac_f32_e32 v64, v60, v55
	v_add_f32_e32 v65, v62, v64
	v_sub_f32_e32 v66, v61, v65
	v_sub_f32_e32 v61, v61, v66
	;; [unrolled: 1-line block ×4, first 2 shown]
	v_add_f32_e32 v59, v59, v61
	v_sub_f32_e32 v61, v62, v64
	v_add_f32_e32 v59, v61, v59
	v_add_f32_e32 v61, v66, v59
	v_mul_f32_e32 v62, v63, v61
	v_mul_f32_e32 v64, v58, v62
	v_fma_f32 v58, v62, v58, -v64
	v_fmac_f32_e32 v58, v62, v55
	v_sub_f32_e32 v55, v66, v61
	v_add_f32_e32 v55, v59, v55
	v_add_f32_e32 v59, v64, v58
	v_sub_f32_e32 v65, v61, v59
	v_sub_f32_e32 v61, v61, v65
	;; [unrolled: 1-line block ×4, first 2 shown]
	v_add_f32_e32 v55, v55, v59
	v_sub_f32_e32 v58, v64, v58
	v_add_f32_e32 v55, v58, v55
	v_add_f32_e32 v58, v60, v62
	;; [unrolled: 1-line block ×3, first 2 shown]
	v_sub_f32_e32 v59, v58, v60
	v_mul_f32_e32 v55, v63, v55
	v_sub_f32_e32 v59, v62, v59
	v_add_f32_e32 v55, v59, v55
	v_cvt_f32_i32_e32 v54, v54
	v_add_f32_e32 v59, v58, v55
	v_mul_f32_e32 v60, v59, v59
	v_mov_b32_e32 v61, 0x3ecc95a3
	v_fmac_f32_e32 v61, 0x3e9b6dac, v60
	v_mov_b32_e32 v62, 0x3f2aaada
	v_fmac_f32_e32 v62, v60, v61
	v_mul_f32_e32 v61, 0x3f317218, v54
	v_fma_f32 v63, v54, s7, -v61
	v_fmac_f32_e32 v63, 0xb102e308, v54
	v_sub_f32_e32 v54, v59, v58
	v_sub_f32_e32 v54, v55, v54
	v_add_f32_e32 v55, v61, v63
	v_sub_f32_e32 v58, v55, v61
	v_ldexp_f32 v61, v59, 1
	v_mul_f32_e32 v59, v59, v60
	v_mul_f32_e32 v59, v59, v62
	v_add_f32_e32 v60, v61, v59
	v_sub_f32_e32 v61, v60, v61
	v_ldexp_f32 v54, v54, 1
	v_sub_f32_e32 v59, v59, v61
	v_add_f32_e32 v54, v54, v59
	v_add_f32_e32 v59, v60, v54
	v_sub_f32_e32 v60, v59, v60
	v_sub_f32_e32 v54, v54, v60
	v_add_f32_e32 v60, v55, v59
	v_sub_f32_e32 v61, v60, v55
	v_sub_f32_e32 v62, v60, v61
	;; [unrolled: 1-line block ×5, first 2 shown]
	v_add_f32_e32 v55, v59, v55
	v_add_f32_e32 v59, v58, v54
	v_sub_f32_e32 v61, v59, v58
	v_sub_f32_e32 v62, v59, v61
	;; [unrolled: 1-line block ×4, first 2 shown]
	v_add_f32_e32 v55, v59, v55
	v_add_f32_e32 v54, v54, v58
	;; [unrolled: 1-line block ×3, first 2 shown]
	v_sub_f32_e32 v59, v58, v60
	v_sub_f32_e32 v55, v55, v59
	v_add_f32_e32 v54, v54, v55
	v_add_f32_e32 v54, v58, v54
	v_cmp_neq_f32_e32 vcc, s6, v57
	s_mov_b32 s6, 0x33800000
	v_cndmask_b32_e32 v54, v56, v54, vcc
	v_cmp_lt_f32_e64 vcc, |v57|, s6
	v_cndmask_b32_e32 v54, v54, v57, vcc
	v_add_f32_e32 v54, v53, v54
.LBB497_94:
	s_or_b64 exec, exec, s[2:3]
	s_load_dwordx2 s[6:7], s[4:5], 0x18
	v_bfe_u32 v53, v54, 16, 1
	s_movk_i32 s2, 0x7fff
	v_add3_u32 v53, v54, v53, s2
	v_cmp_o_f32_e32 vcc, v54, v54
	v_mov_b32_e32 v54, 0x7fc0
	v_cndmask_b32_sdwa v54, v54, v53, vcc dst_sel:DWORD dst_unused:UNUSED_PAD src0_sel:DWORD src1_sel:WORD_1
	v_lshrrev_b32_e32 v53, 4, v0
	v_and_b32_e32 v53, 14, v53
	v_lshl_add_u32 v53, v0, 1, v53
	v_cmp_gt_u32_e32 vcc, 64, v0
	ds_write_b16 v53, v54
	s_waitcnt lgkmcnt(0)
	s_barrier
	s_and_saveexec_b64 s[8:9], vcc
	s_cbranch_execz .LBB497_134
; %bb.95:
	v_lshrrev_b32_e32 v53, 2, v0
	v_and_b32_e32 v53, 62, v53
	v_lshlrev_b32_e32 v55, 3, v0
	v_add_u32_e32 v53, v53, v55
	ds_read_u16 v55, v53
	ds_read_u16 v56, v53 offset:2
	s_movk_i32 s11, 0x1f8
	s_waitcnt lgkmcnt(1)
	v_lshlrev_b32_e32 v55, 16, v55
	s_waitcnt lgkmcnt(0)
	v_lshlrev_b32_e32 v57, 16, v56
	v_max_f32_e32 v58, v57, v57
	v_max_f32_e32 v56, v55, v55
	v_min_f32_e32 v59, v56, v58
	v_cmp_u_f32_e64 s[4:5], v55, v55
	v_max_f32_e32 v58, v56, v58
	v_cndmask_b32_e64 v59, v59, v55, s[4:5]
	v_cmp_u_f32_e32 vcc, v57, v57
	v_cndmask_b32_e64 v58, v58, v55, s[4:5]
	v_cndmask_b32_e32 v59, v59, v57, vcc
	v_cndmask_b32_e32 v57, v58, v57, vcc
	v_cmp_neq_f32_e32 vcc, v59, v57
	v_cmp_class_f32_e64 s[2:3], v59, s11
	s_or_b64 vcc, vcc, s[2:3]
	v_mov_b32_e32 v58, v55
	s_and_saveexec_b64 s[2:3], vcc
	s_cbranch_execz .LBB497_97
; %bb.96:
	v_sub_f32_e32 v58, v59, v57
	s_mov_b32 s10, 0x3fb8aa3b
	v_mul_f32_e32 v59, 0x3fb8aa3b, v58
	v_fma_f32 v60, v58, s10, -v59
	v_rndne_f32_e32 v61, v59
	v_fmac_f32_e32 v60, 0x32a5705f, v58
	v_sub_f32_e32 v59, v59, v61
	v_add_f32_e32 v59, v59, v60
	v_exp_f32_e32 v59, v59
	v_cvt_i32_f32_e32 v60, v61
	s_mov_b32 s10, 0xc2ce8ed0
	v_cmp_ngt_f32_e32 vcc, s10, v58
	s_mov_b32 s10, 0x42b17218
	v_ldexp_f32 v59, v59, v60
	v_cndmask_b32_e32 v59, 0, v59, vcc
	v_mov_b32_e32 v60, 0x7f800000
	v_cmp_nlt_f32_e32 vcc, s10, v58
	v_cndmask_b32_e32 v61, v60, v59, vcc
	v_add_f32_e32 v62, 1.0, v61
	v_cvt_f64_f32_e32 v[58:59], v62
	v_add_f32_e32 v63, -1.0, v62
	v_sub_f32_e32 v64, v63, v62
	v_sub_f32_e32 v63, v61, v63
	v_frexp_exp_i32_f64_e32 v58, v[58:59]
	v_add_f32_e32 v59, 1.0, v64
	v_add_f32_e32 v59, v63, v59
	v_frexp_mant_f32_e32 v63, v62
	s_mov_b32 s12, 0x3f2aaaab
	v_cmp_gt_f32_e32 vcc, s12, v63
	s_mov_b32 s12, 0x3f317218
	s_mov_b32 s10, 0x7f800000
	v_subbrev_co_u32_e32 v58, vcc, 0, v58, vcc
	v_sub_u32_e32 v63, 0, v58
	v_ldexp_f32 v62, v62, v63
	v_ldexp_f32 v59, v59, v63
	v_add_f32_e32 v63, -1.0, v62
	v_add_f32_e32 v66, 1.0, v62
	v_add_f32_e32 v64, 1.0, v63
	v_add_f32_e32 v67, -1.0, v66
	v_sub_f32_e32 v64, v62, v64
	v_sub_f32_e32 v62, v62, v67
	v_add_f32_e32 v64, v59, v64
	v_add_f32_e32 v59, v59, v62
	;; [unrolled: 1-line block ×3, first 2 shown]
	v_rcp_f32_e32 v67, v62
	v_add_f32_e32 v65, v63, v64
	v_sub_f32_e32 v63, v63, v65
	v_add_f32_e32 v63, v64, v63
	v_sub_f32_e32 v64, v66, v62
	v_add_f32_e32 v59, v59, v64
	v_mul_f32_e32 v64, v65, v67
	v_mul_f32_e32 v66, v62, v64
	v_fma_f32 v68, v64, v62, -v66
	v_fmac_f32_e32 v68, v64, v59
	v_add_f32_e32 v69, v66, v68
	v_sub_f32_e32 v70, v65, v69
	v_sub_f32_e32 v65, v65, v70
	;; [unrolled: 1-line block ×4, first 2 shown]
	v_add_f32_e32 v63, v63, v65
	v_sub_f32_e32 v65, v66, v68
	v_add_f32_e32 v63, v65, v63
	v_add_f32_e32 v65, v70, v63
	v_mul_f32_e32 v66, v67, v65
	v_mul_f32_e32 v68, v62, v66
	v_fma_f32 v62, v66, v62, -v68
	v_fmac_f32_e32 v62, v66, v59
	v_sub_f32_e32 v59, v70, v65
	v_add_f32_e32 v59, v63, v59
	v_add_f32_e32 v63, v68, v62
	v_sub_f32_e32 v69, v65, v63
	v_sub_f32_e32 v65, v65, v69
	;; [unrolled: 1-line block ×4, first 2 shown]
	v_add_f32_e32 v59, v59, v63
	v_sub_f32_e32 v62, v68, v62
	v_add_f32_e32 v59, v62, v59
	v_add_f32_e32 v62, v64, v66
	v_add_f32_e32 v59, v69, v59
	v_sub_f32_e32 v63, v62, v64
	v_mul_f32_e32 v59, v67, v59
	v_sub_f32_e32 v63, v66, v63
	v_add_f32_e32 v59, v63, v59
	v_cvt_f32_i32_e32 v58, v58
	v_add_f32_e32 v63, v62, v59
	v_mul_f32_e32 v64, v63, v63
	v_mov_b32_e32 v65, 0x3ecc95a3
	v_fmac_f32_e32 v65, 0x3e9b6dac, v64
	v_mov_b32_e32 v66, 0x3f2aaada
	v_fmac_f32_e32 v66, v64, v65
	v_mul_f32_e32 v65, 0x3f317218, v58
	v_fma_f32 v67, v58, s12, -v65
	v_fmac_f32_e32 v67, 0xb102e308, v58
	v_sub_f32_e32 v58, v63, v62
	v_sub_f32_e32 v58, v59, v58
	v_add_f32_e32 v59, v65, v67
	v_sub_f32_e32 v62, v59, v65
	v_ldexp_f32 v65, v63, 1
	v_mul_f32_e32 v63, v63, v64
	v_mul_f32_e32 v63, v63, v66
	v_add_f32_e32 v64, v65, v63
	v_sub_f32_e32 v65, v64, v65
	v_ldexp_f32 v58, v58, 1
	v_sub_f32_e32 v63, v63, v65
	v_add_f32_e32 v58, v58, v63
	v_add_f32_e32 v63, v64, v58
	v_sub_f32_e32 v64, v63, v64
	v_sub_f32_e32 v58, v58, v64
	v_add_f32_e32 v64, v59, v63
	v_sub_f32_e32 v65, v64, v59
	v_sub_f32_e32 v66, v64, v65
	v_sub_f32_e32 v62, v67, v62
	v_sub_f32_e32 v59, v59, v66
	v_sub_f32_e32 v63, v63, v65
	v_add_f32_e32 v59, v63, v59
	v_add_f32_e32 v63, v62, v58
	v_sub_f32_e32 v65, v63, v62
	v_sub_f32_e32 v66, v63, v65
	;; [unrolled: 1-line block ×4, first 2 shown]
	v_add_f32_e32 v59, v63, v59
	v_add_f32_e32 v58, v58, v62
	;; [unrolled: 1-line block ×3, first 2 shown]
	v_sub_f32_e32 v63, v62, v64
	v_sub_f32_e32 v59, v59, v63
	v_add_f32_e32 v58, v58, v59
	v_add_f32_e32 v58, v62, v58
	v_cmp_neq_f32_e32 vcc, s10, v61
	s_mov_b32 s10, 0x33800000
	v_cndmask_b32_e32 v58, v60, v58, vcc
	v_cmp_lt_f32_e64 vcc, |v61|, s10
	v_cndmask_b32_e32 v58, v58, v61, vcc
	v_add_f32_e32 v58, v57, v58
.LBB497_97:
	s_or_b64 exec, exec, s[2:3]
	ds_read_u16 v60, v53 offset:4
	v_bfe_u32 v57, v58, 16, 1
	s_movk_i32 s10, 0x7fff
	v_add3_u32 v57, v58, v57, s10
	v_and_b32_e32 v59, 0xffff0000, v57
	v_mov_b32_e32 v57, 0x7fc00000
	v_cmp_o_f32_e32 vcc, v58, v58
	v_cndmask_b32_e32 v59, v57, v59, vcc
	s_waitcnt lgkmcnt(0)
	v_lshlrev_b32_e32 v58, 16, v60
	v_max_f32_e32 v61, v59, v59
	v_max_f32_e32 v62, v58, v58
	v_min_f32_e32 v60, v61, v62
	v_cmp_u_f32_e32 vcc, v59, v59
	v_max_f32_e32 v61, v61, v62
	v_cndmask_b32_e32 v60, v60, v59, vcc
	v_cmp_u_f32_e64 s[2:3], v58, v58
	v_cndmask_b32_e32 v61, v61, v59, vcc
	v_cndmask_b32_e64 v60, v60, v58, s[2:3]
	v_cndmask_b32_e64 v58, v61, v58, s[2:3]
	v_cmp_neq_f32_e32 vcc, v60, v58
	v_cmp_class_f32_e64 s[2:3], v60, s11
	s_or_b64 vcc, vcc, s[2:3]
	s_and_saveexec_b64 s[2:3], vcc
	s_cbranch_execz .LBB497_99
; %bb.98:
	v_sub_f32_e32 v59, v60, v58
	s_mov_b32 s11, 0x3fb8aa3b
	v_mul_f32_e32 v60, 0x3fb8aa3b, v59
	v_fma_f32 v61, v59, s11, -v60
	v_rndne_f32_e32 v62, v60
	v_fmac_f32_e32 v61, 0x32a5705f, v59
	v_sub_f32_e32 v60, v60, v62
	v_add_f32_e32 v60, v60, v61
	v_exp_f32_e32 v60, v60
	v_cvt_i32_f32_e32 v61, v62
	s_mov_b32 s11, 0xc2ce8ed0
	v_cmp_ngt_f32_e32 vcc, s11, v59
	s_mov_b32 s11, 0x42b17218
	v_ldexp_f32 v60, v60, v61
	v_cndmask_b32_e32 v60, 0, v60, vcc
	v_mov_b32_e32 v61, 0x7f800000
	v_cmp_nlt_f32_e32 vcc, s11, v59
	v_cndmask_b32_e32 v62, v61, v60, vcc
	v_add_f32_e32 v63, 1.0, v62
	v_cvt_f64_f32_e32 v[59:60], v63
	v_add_f32_e32 v64, -1.0, v63
	v_sub_f32_e32 v65, v64, v63
	v_sub_f32_e32 v64, v62, v64
	v_frexp_exp_i32_f64_e32 v59, v[59:60]
	v_add_f32_e32 v60, 1.0, v65
	v_add_f32_e32 v60, v64, v60
	v_frexp_mant_f32_e32 v64, v63
	s_mov_b32 s12, 0x3f2aaaab
	v_cmp_gt_f32_e32 vcc, s12, v64
	s_mov_b32 s12, 0x3f317218
	s_mov_b32 s11, 0x7f800000
	v_subbrev_co_u32_e32 v59, vcc, 0, v59, vcc
	v_sub_u32_e32 v64, 0, v59
	v_ldexp_f32 v63, v63, v64
	v_ldexp_f32 v60, v60, v64
	v_add_f32_e32 v64, -1.0, v63
	v_add_f32_e32 v67, 1.0, v63
	v_add_f32_e32 v65, 1.0, v64
	v_add_f32_e32 v68, -1.0, v67
	v_sub_f32_e32 v65, v63, v65
	v_sub_f32_e32 v63, v63, v68
	v_add_f32_e32 v65, v60, v65
	v_add_f32_e32 v60, v60, v63
	;; [unrolled: 1-line block ×3, first 2 shown]
	v_rcp_f32_e32 v68, v63
	v_add_f32_e32 v66, v64, v65
	v_sub_f32_e32 v64, v64, v66
	v_add_f32_e32 v64, v65, v64
	v_sub_f32_e32 v65, v67, v63
	v_add_f32_e32 v60, v60, v65
	v_mul_f32_e32 v65, v66, v68
	v_mul_f32_e32 v67, v63, v65
	v_fma_f32 v69, v65, v63, -v67
	v_fmac_f32_e32 v69, v65, v60
	v_add_f32_e32 v70, v67, v69
	v_sub_f32_e32 v71, v66, v70
	v_sub_f32_e32 v66, v66, v71
	;; [unrolled: 1-line block ×4, first 2 shown]
	v_add_f32_e32 v64, v64, v66
	v_sub_f32_e32 v66, v67, v69
	v_add_f32_e32 v64, v66, v64
	v_add_f32_e32 v66, v71, v64
	v_mul_f32_e32 v67, v68, v66
	v_mul_f32_e32 v69, v63, v67
	v_fma_f32 v63, v67, v63, -v69
	v_fmac_f32_e32 v63, v67, v60
	v_sub_f32_e32 v60, v71, v66
	v_add_f32_e32 v60, v64, v60
	v_add_f32_e32 v64, v69, v63
	v_sub_f32_e32 v70, v66, v64
	v_sub_f32_e32 v66, v66, v70
	;; [unrolled: 1-line block ×4, first 2 shown]
	v_add_f32_e32 v60, v60, v64
	v_sub_f32_e32 v63, v69, v63
	v_add_f32_e32 v60, v63, v60
	v_add_f32_e32 v63, v65, v67
	;; [unrolled: 1-line block ×3, first 2 shown]
	v_sub_f32_e32 v64, v63, v65
	v_mul_f32_e32 v60, v68, v60
	v_sub_f32_e32 v64, v67, v64
	v_add_f32_e32 v60, v64, v60
	v_cvt_f32_i32_e32 v59, v59
	v_add_f32_e32 v64, v63, v60
	v_mul_f32_e32 v65, v64, v64
	v_mov_b32_e32 v66, 0x3ecc95a3
	v_fmac_f32_e32 v66, 0x3e9b6dac, v65
	v_mov_b32_e32 v67, 0x3f2aaada
	v_fmac_f32_e32 v67, v65, v66
	v_mul_f32_e32 v66, 0x3f317218, v59
	v_fma_f32 v68, v59, s12, -v66
	v_fmac_f32_e32 v68, 0xb102e308, v59
	v_sub_f32_e32 v59, v64, v63
	v_sub_f32_e32 v59, v60, v59
	v_add_f32_e32 v60, v66, v68
	v_sub_f32_e32 v63, v60, v66
	v_ldexp_f32 v66, v64, 1
	v_mul_f32_e32 v64, v64, v65
	v_mul_f32_e32 v64, v64, v67
	v_add_f32_e32 v65, v66, v64
	v_sub_f32_e32 v66, v65, v66
	v_ldexp_f32 v59, v59, 1
	v_sub_f32_e32 v64, v64, v66
	v_add_f32_e32 v59, v59, v64
	v_add_f32_e32 v64, v65, v59
	v_sub_f32_e32 v65, v64, v65
	v_sub_f32_e32 v59, v59, v65
	v_add_f32_e32 v65, v60, v64
	v_sub_f32_e32 v66, v65, v60
	v_sub_f32_e32 v67, v65, v66
	;; [unrolled: 1-line block ×5, first 2 shown]
	v_add_f32_e32 v60, v64, v60
	v_add_f32_e32 v64, v63, v59
	v_sub_f32_e32 v66, v64, v63
	v_sub_f32_e32 v67, v64, v66
	;; [unrolled: 1-line block ×4, first 2 shown]
	v_add_f32_e32 v60, v64, v60
	v_add_f32_e32 v59, v59, v63
	;; [unrolled: 1-line block ×3, first 2 shown]
	v_sub_f32_e32 v64, v63, v65
	v_sub_f32_e32 v60, v60, v64
	v_add_f32_e32 v59, v59, v60
	v_add_f32_e32 v59, v63, v59
	v_cmp_neq_f32_e32 vcc, s11, v62
	s_mov_b32 s11, 0x33800000
	v_cndmask_b32_e32 v59, v61, v59, vcc
	v_cmp_lt_f32_e64 vcc, |v62|, s11
	v_cndmask_b32_e32 v59, v59, v62, vcc
	v_add_f32_e32 v59, v58, v59
.LBB497_99:
	s_or_b64 exec, exec, s[2:3]
	ds_read_u16 v60, v53 offset:6
	v_bfe_u32 v58, v59, 16, 1
	v_add3_u32 v58, v59, v58, s10
	v_and_b32_e32 v58, 0xffff0000, v58
	v_cmp_o_f32_e32 vcc, v59, v59
	v_cndmask_b32_e32 v58, v57, v58, vcc
	s_waitcnt lgkmcnt(0)
	v_lshlrev_b32_e32 v57, 16, v60
	v_max_f32_e32 v60, v58, v58
	v_max_f32_e32 v61, v57, v57
	v_min_f32_e32 v59, v60, v61
	v_cmp_u_f32_e32 vcc, v58, v58
	v_max_f32_e32 v60, v60, v61
	v_cndmask_b32_e32 v59, v59, v58, vcc
	v_cmp_u_f32_e64 s[2:3], v57, v57
	v_cndmask_b32_e32 v60, v60, v58, vcc
	v_cndmask_b32_e64 v59, v59, v57, s[2:3]
	v_cndmask_b32_e64 v57, v60, v57, s[2:3]
	s_movk_i32 s2, 0x1f8
	v_cmp_neq_f32_e32 vcc, v59, v57
	v_cmp_class_f32_e64 s[2:3], v59, s2
	s_or_b64 s[10:11], vcc, s[2:3]
	s_and_saveexec_b64 s[2:3], s[10:11]
	s_cbranch_execz .LBB497_101
; %bb.100:
	v_sub_f32_e32 v58, v59, v57
	s_mov_b32 s10, 0x3fb8aa3b
	v_mul_f32_e32 v59, 0x3fb8aa3b, v58
	v_fma_f32 v60, v58, s10, -v59
	v_rndne_f32_e32 v61, v59
	v_fmac_f32_e32 v60, 0x32a5705f, v58
	v_sub_f32_e32 v59, v59, v61
	v_add_f32_e32 v59, v59, v60
	v_exp_f32_e32 v59, v59
	v_cvt_i32_f32_e32 v60, v61
	s_mov_b32 s10, 0xc2ce8ed0
	v_cmp_ngt_f32_e32 vcc, s10, v58
	s_mov_b32 s10, 0x42b17218
	v_ldexp_f32 v59, v59, v60
	v_cndmask_b32_e32 v59, 0, v59, vcc
	v_mov_b32_e32 v60, 0x7f800000
	v_cmp_nlt_f32_e32 vcc, s10, v58
	v_cndmask_b32_e32 v61, v60, v59, vcc
	v_add_f32_e32 v62, 1.0, v61
	v_cvt_f64_f32_e32 v[58:59], v62
	v_add_f32_e32 v63, -1.0, v62
	v_sub_f32_e32 v64, v63, v62
	v_sub_f32_e32 v63, v61, v63
	v_frexp_exp_i32_f64_e32 v58, v[58:59]
	v_add_f32_e32 v59, 1.0, v64
	v_add_f32_e32 v59, v63, v59
	v_frexp_mant_f32_e32 v63, v62
	s_mov_b32 s11, 0x3f2aaaab
	v_cmp_gt_f32_e32 vcc, s11, v63
	s_mov_b32 s11, 0x3f317218
	s_mov_b32 s10, 0x7f800000
	v_subbrev_co_u32_e32 v58, vcc, 0, v58, vcc
	v_sub_u32_e32 v63, 0, v58
	v_ldexp_f32 v62, v62, v63
	v_ldexp_f32 v59, v59, v63
	v_add_f32_e32 v63, -1.0, v62
	v_add_f32_e32 v66, 1.0, v62
	v_add_f32_e32 v64, 1.0, v63
	v_add_f32_e32 v67, -1.0, v66
	v_sub_f32_e32 v64, v62, v64
	v_sub_f32_e32 v62, v62, v67
	v_add_f32_e32 v64, v59, v64
	v_add_f32_e32 v59, v59, v62
	;; [unrolled: 1-line block ×3, first 2 shown]
	v_rcp_f32_e32 v67, v62
	v_add_f32_e32 v65, v63, v64
	v_sub_f32_e32 v63, v63, v65
	v_add_f32_e32 v63, v64, v63
	v_sub_f32_e32 v64, v66, v62
	v_add_f32_e32 v59, v59, v64
	v_mul_f32_e32 v64, v65, v67
	v_mul_f32_e32 v66, v62, v64
	v_fma_f32 v68, v64, v62, -v66
	v_fmac_f32_e32 v68, v64, v59
	v_add_f32_e32 v69, v66, v68
	v_sub_f32_e32 v70, v65, v69
	v_sub_f32_e32 v65, v65, v70
	;; [unrolled: 1-line block ×4, first 2 shown]
	v_add_f32_e32 v63, v63, v65
	v_sub_f32_e32 v65, v66, v68
	v_add_f32_e32 v63, v65, v63
	v_add_f32_e32 v65, v70, v63
	v_mul_f32_e32 v66, v67, v65
	v_mul_f32_e32 v68, v62, v66
	v_fma_f32 v62, v66, v62, -v68
	v_fmac_f32_e32 v62, v66, v59
	v_sub_f32_e32 v59, v70, v65
	v_add_f32_e32 v59, v63, v59
	v_add_f32_e32 v63, v68, v62
	v_sub_f32_e32 v69, v65, v63
	v_sub_f32_e32 v65, v65, v69
	;; [unrolled: 1-line block ×4, first 2 shown]
	v_add_f32_e32 v59, v59, v63
	v_sub_f32_e32 v62, v68, v62
	v_add_f32_e32 v59, v62, v59
	v_add_f32_e32 v62, v64, v66
	;; [unrolled: 1-line block ×3, first 2 shown]
	v_sub_f32_e32 v63, v62, v64
	v_mul_f32_e32 v59, v67, v59
	v_sub_f32_e32 v63, v66, v63
	v_add_f32_e32 v59, v63, v59
	v_cvt_f32_i32_e32 v58, v58
	v_add_f32_e32 v63, v62, v59
	v_mul_f32_e32 v64, v63, v63
	v_mov_b32_e32 v65, 0x3ecc95a3
	v_fmac_f32_e32 v65, 0x3e9b6dac, v64
	v_mov_b32_e32 v66, 0x3f2aaada
	v_fmac_f32_e32 v66, v64, v65
	v_mul_f32_e32 v65, 0x3f317218, v58
	v_fma_f32 v67, v58, s11, -v65
	v_fmac_f32_e32 v67, 0xb102e308, v58
	v_sub_f32_e32 v58, v63, v62
	v_sub_f32_e32 v58, v59, v58
	v_add_f32_e32 v59, v65, v67
	v_sub_f32_e32 v62, v59, v65
	v_ldexp_f32 v65, v63, 1
	v_mul_f32_e32 v63, v63, v64
	v_mul_f32_e32 v63, v63, v66
	v_add_f32_e32 v64, v65, v63
	v_sub_f32_e32 v65, v64, v65
	v_ldexp_f32 v58, v58, 1
	v_sub_f32_e32 v63, v63, v65
	v_add_f32_e32 v58, v58, v63
	v_add_f32_e32 v63, v64, v58
	v_sub_f32_e32 v64, v63, v64
	v_sub_f32_e32 v58, v58, v64
	v_add_f32_e32 v64, v59, v63
	v_sub_f32_e32 v65, v64, v59
	v_sub_f32_e32 v66, v64, v65
	;; [unrolled: 1-line block ×5, first 2 shown]
	v_add_f32_e32 v59, v63, v59
	v_add_f32_e32 v63, v62, v58
	v_sub_f32_e32 v65, v63, v62
	v_sub_f32_e32 v66, v63, v65
	;; [unrolled: 1-line block ×4, first 2 shown]
	v_add_f32_e32 v59, v63, v59
	v_add_f32_e32 v58, v58, v62
	;; [unrolled: 1-line block ×3, first 2 shown]
	v_sub_f32_e32 v63, v62, v64
	v_sub_f32_e32 v59, v59, v63
	v_add_f32_e32 v58, v58, v59
	v_add_f32_e32 v58, v62, v58
	v_cmp_neq_f32_e32 vcc, s10, v61
	s_mov_b32 s10, 0x33800000
	v_cndmask_b32_e32 v58, v60, v58, vcc
	v_cmp_lt_f32_e64 vcc, |v61|, s10
	v_cndmask_b32_e32 v58, v58, v61, vcc
	v_add_f32_e32 v58, v57, v58
.LBB497_101:
	s_or_b64 exec, exec, s[2:3]
	v_bfe_u32 v57, v58, 16, 1
	s_movk_i32 s2, 0x7fff
	v_add3_u32 v57, v58, v57, s2
	v_cmp_o_f32_e32 vcc, v58, v58
	v_mov_b32_e32 v58, 0x7fc0
	v_cndmask_b32_sdwa v59, v58, v57, vcc dst_sel:DWORD dst_unused:UNUSED_PAD src0_sel:DWORD src1_sel:WORD_1
	v_mbcnt_lo_u32_b32 v57, -1, 0
	v_mbcnt_hi_u32_b32 v57, -1, v57
	v_and_b32_e32 v58, 15, v57
	v_and_b32_e32 v60, 0xffff, v59
	v_cmp_ne_u32_e32 vcc, 0, v58
	s_nop 0
	v_mov_b32_dpp v61, v60 row_shr:1 row_mask:0xf bank_mask:0xf
	s_and_saveexec_b64 s[2:3], vcc
	s_xor_b64 s[10:11], exec, s[2:3]
	s_cbranch_execz .LBB497_105
; %bb.102:
	v_lshlrev_b32_e32 v61, 16, v61
	v_lshlrev_b32_e32 v59, 16, v60
	v_max_f32_e32 v62, v59, v59
	v_max_f32_e32 v63, v61, v61
	v_min_f32_e32 v60, v63, v62
	v_cmp_u_f32_e64 s[2:3], v61, v61
	v_max_f32_e32 v62, v63, v62
	v_cndmask_b32_e64 v60, v60, v61, s[2:3]
	v_cmp_u_f32_e32 vcc, v59, v59
	v_cndmask_b32_e64 v62, v62, v61, s[2:3]
	v_cndmask_b32_e32 v60, v60, v59, vcc
	v_cndmask_b32_e32 v59, v62, v59, vcc
	s_movk_i32 s2, 0x1f8
	v_cmp_neq_f32_e32 vcc, v60, v59
	v_cmp_class_f32_e64 s[2:3], v60, s2
	s_or_b64 vcc, vcc, s[2:3]
	s_and_saveexec_b64 s[2:3], vcc
	s_cbranch_execz .LBB497_104
; %bb.103:
	v_sub_f32_e32 v60, v60, v59
	s_mov_b32 s33, 0x3fb8aa3b
	v_mul_f32_e32 v61, 0x3fb8aa3b, v60
	v_fma_f32 v62, v60, s33, -v61
	v_rndne_f32_e32 v63, v61
	v_fmac_f32_e32 v62, 0x32a5705f, v60
	v_sub_f32_e32 v61, v61, v63
	v_add_f32_e32 v61, v61, v62
	v_exp_f32_e32 v61, v61
	v_cvt_i32_f32_e32 v62, v63
	s_mov_b32 s33, 0xc2ce8ed0
	v_cmp_ngt_f32_e32 vcc, s33, v60
	s_mov_b32 s33, 0x42b17218
	v_ldexp_f32 v61, v61, v62
	v_cndmask_b32_e32 v61, 0, v61, vcc
	v_mov_b32_e32 v62, 0x7f800000
	v_cmp_nlt_f32_e32 vcc, s33, v60
	v_cndmask_b32_e32 v63, v62, v61, vcc
	v_add_f32_e32 v64, 1.0, v63
	v_cvt_f64_f32_e32 v[60:61], v64
	v_add_f32_e32 v65, -1.0, v64
	v_sub_f32_e32 v66, v65, v64
	v_sub_f32_e32 v65, v63, v65
	v_frexp_exp_i32_f64_e32 v60, v[60:61]
	v_add_f32_e32 v61, 1.0, v66
	v_add_f32_e32 v61, v65, v61
	v_frexp_mant_f32_e32 v65, v64
	s_mov_b32 s12, 0x3f2aaaab
	v_cmp_gt_f32_e32 vcc, s12, v65
	s_mov_b32 s12, 0x3f317218
	s_mov_b32 s33, 0x7f800000
	v_subbrev_co_u32_e32 v60, vcc, 0, v60, vcc
	v_sub_u32_e32 v65, 0, v60
	v_ldexp_f32 v64, v64, v65
	v_ldexp_f32 v61, v61, v65
	v_add_f32_e32 v65, -1.0, v64
	v_add_f32_e32 v68, 1.0, v64
	v_add_f32_e32 v66, 1.0, v65
	v_add_f32_e32 v69, -1.0, v68
	v_sub_f32_e32 v66, v64, v66
	v_sub_f32_e32 v64, v64, v69
	v_add_f32_e32 v66, v61, v66
	v_add_f32_e32 v61, v61, v64
	;; [unrolled: 1-line block ×3, first 2 shown]
	v_rcp_f32_e32 v69, v64
	v_add_f32_e32 v67, v65, v66
	v_sub_f32_e32 v65, v65, v67
	v_add_f32_e32 v65, v66, v65
	v_sub_f32_e32 v66, v68, v64
	v_add_f32_e32 v61, v61, v66
	v_mul_f32_e32 v66, v67, v69
	v_mul_f32_e32 v68, v64, v66
	v_fma_f32 v70, v66, v64, -v68
	v_fmac_f32_e32 v70, v66, v61
	v_add_f32_e32 v71, v68, v70
	v_sub_f32_e32 v72, v67, v71
	v_sub_f32_e32 v67, v67, v72
	;; [unrolled: 1-line block ×4, first 2 shown]
	v_add_f32_e32 v65, v65, v67
	v_sub_f32_e32 v67, v68, v70
	v_add_f32_e32 v65, v67, v65
	v_add_f32_e32 v67, v72, v65
	v_mul_f32_e32 v68, v69, v67
	v_mul_f32_e32 v70, v64, v68
	v_fma_f32 v64, v68, v64, -v70
	v_fmac_f32_e32 v64, v68, v61
	v_sub_f32_e32 v61, v72, v67
	v_add_f32_e32 v61, v65, v61
	v_add_f32_e32 v65, v70, v64
	v_sub_f32_e32 v71, v67, v65
	v_sub_f32_e32 v67, v67, v71
	;; [unrolled: 1-line block ×4, first 2 shown]
	v_add_f32_e32 v61, v61, v65
	v_sub_f32_e32 v64, v70, v64
	v_add_f32_e32 v61, v64, v61
	v_add_f32_e32 v64, v66, v68
	;; [unrolled: 1-line block ×3, first 2 shown]
	v_sub_f32_e32 v65, v64, v66
	v_mul_f32_e32 v61, v69, v61
	v_sub_f32_e32 v65, v68, v65
	v_add_f32_e32 v61, v65, v61
	v_cvt_f32_i32_e32 v60, v60
	v_add_f32_e32 v65, v64, v61
	v_mul_f32_e32 v66, v65, v65
	v_mov_b32_e32 v67, 0x3ecc95a3
	v_fmac_f32_e32 v67, 0x3e9b6dac, v66
	v_mov_b32_e32 v68, 0x3f2aaada
	v_fmac_f32_e32 v68, v66, v67
	v_mul_f32_e32 v67, 0x3f317218, v60
	v_fma_f32 v69, v60, s12, -v67
	v_fmac_f32_e32 v69, 0xb102e308, v60
	v_sub_f32_e32 v60, v65, v64
	v_sub_f32_e32 v60, v61, v60
	v_add_f32_e32 v61, v67, v69
	v_sub_f32_e32 v64, v61, v67
	v_ldexp_f32 v67, v65, 1
	v_mul_f32_e32 v65, v65, v66
	v_mul_f32_e32 v65, v65, v68
	v_add_f32_e32 v66, v67, v65
	v_sub_f32_e32 v67, v66, v67
	v_ldexp_f32 v60, v60, 1
	v_sub_f32_e32 v65, v65, v67
	v_add_f32_e32 v60, v60, v65
	v_add_f32_e32 v65, v66, v60
	v_sub_f32_e32 v66, v65, v66
	v_sub_f32_e32 v60, v60, v66
	v_add_f32_e32 v66, v61, v65
	v_sub_f32_e32 v67, v66, v61
	v_sub_f32_e32 v68, v66, v67
	;; [unrolled: 1-line block ×5, first 2 shown]
	v_add_f32_e32 v61, v65, v61
	v_add_f32_e32 v65, v64, v60
	v_sub_f32_e32 v67, v65, v64
	v_sub_f32_e32 v68, v65, v67
	;; [unrolled: 1-line block ×4, first 2 shown]
	v_add_f32_e32 v61, v65, v61
	v_add_f32_e32 v60, v60, v64
	;; [unrolled: 1-line block ×3, first 2 shown]
	v_sub_f32_e32 v65, v64, v66
	v_sub_f32_e32 v61, v61, v65
	v_add_f32_e32 v60, v60, v61
	v_add_f32_e32 v60, v64, v60
	v_cmp_neq_f32_e32 vcc, s33, v63
	s_mov_b32 s12, 0x33800000
	v_cndmask_b32_e32 v60, v62, v60, vcc
	v_cmp_lt_f32_e64 vcc, |v63|, s12
	v_cndmask_b32_e32 v60, v60, v63, vcc
	v_add_f32_e32 v61, v59, v60
.LBB497_104:
	s_or_b64 exec, exec, s[2:3]
	v_bfe_u32 v59, v61, 16, 1
	s_movk_i32 s2, 0x7fff
	v_add3_u32 v59, v61, v59, s2
	v_cmp_o_f32_e32 vcc, v61, v61
	v_mov_b32_e32 v60, 0x7fc0
	v_cndmask_b32_sdwa v59, v60, v59, vcc dst_sel:DWORD dst_unused:UNUSED_PAD src0_sel:DWORD src1_sel:WORD_1
	v_and_b32_e32 v60, 0xffff, v59
.LBB497_105:
	s_or_b64 exec, exec, s[10:11]
	s_nop 0
	v_mov_b32_dpp v61, v60 row_shr:2 row_mask:0xf bank_mask:0xf
	v_cmp_lt_u32_e32 vcc, 1, v58
	s_and_saveexec_b64 s[10:11], vcc
	s_cbranch_execz .LBB497_109
; %bb.106:
	v_lshlrev_b32_e32 v61, 16, v61
	v_lshlrev_b32_e32 v59, 16, v60
	v_max_f32_e32 v62, v59, v59
	v_max_f32_e32 v63, v61, v61
	v_min_f32_e32 v60, v63, v62
	v_cmp_u_f32_e32 vcc, v61, v61
	v_max_f32_e32 v62, v63, v62
	v_cndmask_b32_e32 v60, v60, v61, vcc
	v_cmp_u_f32_e64 s[2:3], v59, v59
	v_cndmask_b32_e32 v62, v62, v61, vcc
	v_cndmask_b32_e64 v60, v60, v59, s[2:3]
	v_cndmask_b32_e64 v59, v62, v59, s[2:3]
	s_movk_i32 s2, 0x1f8
	v_cmp_neq_f32_e32 vcc, v60, v59
	v_cmp_class_f32_e64 s[2:3], v60, s2
	s_or_b64 vcc, vcc, s[2:3]
	s_and_saveexec_b64 s[2:3], vcc
	s_cbranch_execz .LBB497_108
; %bb.107:
	v_sub_f32_e32 v60, v60, v59
	s_mov_b32 s12, 0x3fb8aa3b
	v_mul_f32_e32 v61, 0x3fb8aa3b, v60
	v_fma_f32 v62, v60, s12, -v61
	v_rndne_f32_e32 v63, v61
	v_fmac_f32_e32 v62, 0x32a5705f, v60
	v_sub_f32_e32 v61, v61, v63
	v_add_f32_e32 v61, v61, v62
	v_exp_f32_e32 v61, v61
	v_cvt_i32_f32_e32 v62, v63
	s_mov_b32 s12, 0xc2ce8ed0
	v_cmp_ngt_f32_e32 vcc, s12, v60
	s_mov_b32 s12, 0x42b17218
	v_ldexp_f32 v61, v61, v62
	v_cndmask_b32_e32 v61, 0, v61, vcc
	v_mov_b32_e32 v62, 0x7f800000
	v_cmp_nlt_f32_e32 vcc, s12, v60
	v_cndmask_b32_e32 v63, v62, v61, vcc
	v_add_f32_e32 v64, 1.0, v63
	v_cvt_f64_f32_e32 v[60:61], v64
	v_add_f32_e32 v65, -1.0, v64
	v_sub_f32_e32 v66, v65, v64
	v_sub_f32_e32 v65, v63, v65
	v_frexp_exp_i32_f64_e32 v60, v[60:61]
	v_add_f32_e32 v61, 1.0, v66
	v_add_f32_e32 v61, v65, v61
	v_frexp_mant_f32_e32 v65, v64
	s_mov_b32 s13, 0x3f2aaaab
	v_cmp_gt_f32_e32 vcc, s13, v65
	s_mov_b32 s13, 0x3f317218
	s_mov_b32 s12, 0x7f800000
	v_subbrev_co_u32_e32 v60, vcc, 0, v60, vcc
	v_sub_u32_e32 v65, 0, v60
	v_ldexp_f32 v64, v64, v65
	v_ldexp_f32 v61, v61, v65
	v_add_f32_e32 v65, -1.0, v64
	v_add_f32_e32 v68, 1.0, v64
	v_add_f32_e32 v66, 1.0, v65
	v_add_f32_e32 v69, -1.0, v68
	v_sub_f32_e32 v66, v64, v66
	v_sub_f32_e32 v64, v64, v69
	v_add_f32_e32 v66, v61, v66
	v_add_f32_e32 v61, v61, v64
	;; [unrolled: 1-line block ×3, first 2 shown]
	v_rcp_f32_e32 v69, v64
	v_add_f32_e32 v67, v65, v66
	v_sub_f32_e32 v65, v65, v67
	v_add_f32_e32 v65, v66, v65
	v_sub_f32_e32 v66, v68, v64
	v_add_f32_e32 v61, v61, v66
	v_mul_f32_e32 v66, v67, v69
	v_mul_f32_e32 v68, v64, v66
	v_fma_f32 v70, v66, v64, -v68
	v_fmac_f32_e32 v70, v66, v61
	v_add_f32_e32 v71, v68, v70
	v_sub_f32_e32 v72, v67, v71
	v_sub_f32_e32 v67, v67, v72
	;; [unrolled: 1-line block ×4, first 2 shown]
	v_add_f32_e32 v65, v65, v67
	v_sub_f32_e32 v67, v68, v70
	v_add_f32_e32 v65, v67, v65
	v_add_f32_e32 v67, v72, v65
	v_mul_f32_e32 v68, v69, v67
	v_mul_f32_e32 v70, v64, v68
	v_fma_f32 v64, v68, v64, -v70
	v_fmac_f32_e32 v64, v68, v61
	v_sub_f32_e32 v61, v72, v67
	v_add_f32_e32 v61, v65, v61
	v_add_f32_e32 v65, v70, v64
	v_sub_f32_e32 v71, v67, v65
	v_sub_f32_e32 v67, v67, v71
	v_sub_f32_e32 v70, v65, v70
	v_sub_f32_e32 v65, v67, v65
	v_add_f32_e32 v61, v61, v65
	v_sub_f32_e32 v64, v70, v64
	v_add_f32_e32 v61, v64, v61
	v_add_f32_e32 v64, v66, v68
	v_add_f32_e32 v61, v71, v61
	v_sub_f32_e32 v65, v64, v66
	v_mul_f32_e32 v61, v69, v61
	v_sub_f32_e32 v65, v68, v65
	v_add_f32_e32 v61, v65, v61
	v_cvt_f32_i32_e32 v60, v60
	v_add_f32_e32 v65, v64, v61
	v_mul_f32_e32 v66, v65, v65
	v_mov_b32_e32 v67, 0x3ecc95a3
	v_fmac_f32_e32 v67, 0x3e9b6dac, v66
	v_mov_b32_e32 v68, 0x3f2aaada
	v_fmac_f32_e32 v68, v66, v67
	v_mul_f32_e32 v67, 0x3f317218, v60
	v_fma_f32 v69, v60, s13, -v67
	v_fmac_f32_e32 v69, 0xb102e308, v60
	v_sub_f32_e32 v60, v65, v64
	v_sub_f32_e32 v60, v61, v60
	v_add_f32_e32 v61, v67, v69
	v_sub_f32_e32 v64, v61, v67
	v_ldexp_f32 v67, v65, 1
	v_mul_f32_e32 v65, v65, v66
	v_mul_f32_e32 v65, v65, v68
	v_add_f32_e32 v66, v67, v65
	v_sub_f32_e32 v67, v66, v67
	v_ldexp_f32 v60, v60, 1
	v_sub_f32_e32 v65, v65, v67
	v_add_f32_e32 v60, v60, v65
	v_add_f32_e32 v65, v66, v60
	v_sub_f32_e32 v66, v65, v66
	v_sub_f32_e32 v60, v60, v66
	v_add_f32_e32 v66, v61, v65
	v_sub_f32_e32 v67, v66, v61
	v_sub_f32_e32 v68, v66, v67
	;; [unrolled: 1-line block ×5, first 2 shown]
	v_add_f32_e32 v61, v65, v61
	v_add_f32_e32 v65, v64, v60
	v_sub_f32_e32 v67, v65, v64
	v_sub_f32_e32 v68, v65, v67
	;; [unrolled: 1-line block ×4, first 2 shown]
	v_add_f32_e32 v61, v65, v61
	v_add_f32_e32 v60, v60, v64
	;; [unrolled: 1-line block ×3, first 2 shown]
	v_sub_f32_e32 v65, v64, v66
	v_sub_f32_e32 v61, v61, v65
	v_add_f32_e32 v60, v60, v61
	v_add_f32_e32 v60, v64, v60
	v_cmp_neq_f32_e32 vcc, s12, v63
	s_mov_b32 s12, 0x33800000
	v_cndmask_b32_e32 v60, v62, v60, vcc
	v_cmp_lt_f32_e64 vcc, |v63|, s12
	v_cndmask_b32_e32 v60, v60, v63, vcc
	v_add_f32_e32 v61, v59, v60
.LBB497_108:
	s_or_b64 exec, exec, s[2:3]
	v_bfe_u32 v59, v61, 16, 1
	s_movk_i32 s2, 0x7fff
	v_add3_u32 v59, v61, v59, s2
	v_cmp_o_f32_e32 vcc, v61, v61
	v_mov_b32_e32 v60, 0x7fc0
	v_cndmask_b32_sdwa v59, v60, v59, vcc dst_sel:DWORD dst_unused:UNUSED_PAD src0_sel:DWORD src1_sel:WORD_1
	v_and_b32_e32 v60, 0xffff, v59
.LBB497_109:
	s_or_b64 exec, exec, s[10:11]
	s_nop 0
	v_mov_b32_dpp v61, v60 row_shr:4 row_mask:0xf bank_mask:0xf
	v_cmp_lt_u32_e32 vcc, 3, v58
	s_and_saveexec_b64 s[10:11], vcc
	s_cbranch_execz .LBB497_113
; %bb.110:
	v_lshlrev_b32_e32 v61, 16, v61
	v_lshlrev_b32_e32 v59, 16, v60
	v_max_f32_e32 v62, v59, v59
	v_max_f32_e32 v63, v61, v61
	v_min_f32_e32 v60, v63, v62
	v_cmp_u_f32_e32 vcc, v61, v61
	v_max_f32_e32 v62, v63, v62
	v_cndmask_b32_e32 v60, v60, v61, vcc
	v_cmp_u_f32_e64 s[2:3], v59, v59
	v_cndmask_b32_e32 v62, v62, v61, vcc
	v_cndmask_b32_e64 v60, v60, v59, s[2:3]
	v_cndmask_b32_e64 v59, v62, v59, s[2:3]
	s_movk_i32 s2, 0x1f8
	v_cmp_neq_f32_e32 vcc, v60, v59
	v_cmp_class_f32_e64 s[2:3], v60, s2
	s_or_b64 vcc, vcc, s[2:3]
	s_and_saveexec_b64 s[2:3], vcc
	s_cbranch_execz .LBB497_112
; %bb.111:
	v_sub_f32_e32 v60, v60, v59
	s_mov_b32 s12, 0x3fb8aa3b
	v_mul_f32_e32 v61, 0x3fb8aa3b, v60
	v_fma_f32 v62, v60, s12, -v61
	v_rndne_f32_e32 v63, v61
	v_fmac_f32_e32 v62, 0x32a5705f, v60
	v_sub_f32_e32 v61, v61, v63
	v_add_f32_e32 v61, v61, v62
	v_exp_f32_e32 v61, v61
	v_cvt_i32_f32_e32 v62, v63
	s_mov_b32 s12, 0xc2ce8ed0
	v_cmp_ngt_f32_e32 vcc, s12, v60
	s_mov_b32 s12, 0x42b17218
	v_ldexp_f32 v61, v61, v62
	v_cndmask_b32_e32 v61, 0, v61, vcc
	v_mov_b32_e32 v62, 0x7f800000
	v_cmp_nlt_f32_e32 vcc, s12, v60
	v_cndmask_b32_e32 v63, v62, v61, vcc
	v_add_f32_e32 v64, 1.0, v63
	v_cvt_f64_f32_e32 v[60:61], v64
	v_add_f32_e32 v65, -1.0, v64
	v_sub_f32_e32 v66, v65, v64
	v_sub_f32_e32 v65, v63, v65
	v_frexp_exp_i32_f64_e32 v60, v[60:61]
	v_add_f32_e32 v61, 1.0, v66
	v_add_f32_e32 v61, v65, v61
	v_frexp_mant_f32_e32 v65, v64
	s_mov_b32 s13, 0x3f2aaaab
	v_cmp_gt_f32_e32 vcc, s13, v65
	s_mov_b32 s13, 0x3f317218
	s_mov_b32 s12, 0x7f800000
	v_subbrev_co_u32_e32 v60, vcc, 0, v60, vcc
	v_sub_u32_e32 v65, 0, v60
	v_ldexp_f32 v64, v64, v65
	v_ldexp_f32 v61, v61, v65
	v_add_f32_e32 v65, -1.0, v64
	v_add_f32_e32 v68, 1.0, v64
	v_add_f32_e32 v66, 1.0, v65
	v_add_f32_e32 v69, -1.0, v68
	v_sub_f32_e32 v66, v64, v66
	v_sub_f32_e32 v64, v64, v69
	v_add_f32_e32 v66, v61, v66
	v_add_f32_e32 v61, v61, v64
	;; [unrolled: 1-line block ×3, first 2 shown]
	v_rcp_f32_e32 v69, v64
	v_add_f32_e32 v67, v65, v66
	v_sub_f32_e32 v65, v65, v67
	v_add_f32_e32 v65, v66, v65
	v_sub_f32_e32 v66, v68, v64
	v_add_f32_e32 v61, v61, v66
	v_mul_f32_e32 v66, v67, v69
	v_mul_f32_e32 v68, v64, v66
	v_fma_f32 v70, v66, v64, -v68
	v_fmac_f32_e32 v70, v66, v61
	v_add_f32_e32 v71, v68, v70
	v_sub_f32_e32 v72, v67, v71
	v_sub_f32_e32 v67, v67, v72
	;; [unrolled: 1-line block ×4, first 2 shown]
	v_add_f32_e32 v65, v65, v67
	v_sub_f32_e32 v67, v68, v70
	v_add_f32_e32 v65, v67, v65
	v_add_f32_e32 v67, v72, v65
	v_mul_f32_e32 v68, v69, v67
	v_mul_f32_e32 v70, v64, v68
	v_fma_f32 v64, v68, v64, -v70
	v_fmac_f32_e32 v64, v68, v61
	v_sub_f32_e32 v61, v72, v67
	v_add_f32_e32 v61, v65, v61
	v_add_f32_e32 v65, v70, v64
	v_sub_f32_e32 v71, v67, v65
	v_sub_f32_e32 v67, v67, v71
	;; [unrolled: 1-line block ×4, first 2 shown]
	v_add_f32_e32 v61, v61, v65
	v_sub_f32_e32 v64, v70, v64
	v_add_f32_e32 v61, v64, v61
	v_add_f32_e32 v64, v66, v68
	;; [unrolled: 1-line block ×3, first 2 shown]
	v_sub_f32_e32 v65, v64, v66
	v_mul_f32_e32 v61, v69, v61
	v_sub_f32_e32 v65, v68, v65
	v_add_f32_e32 v61, v65, v61
	v_cvt_f32_i32_e32 v60, v60
	v_add_f32_e32 v65, v64, v61
	v_mul_f32_e32 v66, v65, v65
	v_mov_b32_e32 v67, 0x3ecc95a3
	v_fmac_f32_e32 v67, 0x3e9b6dac, v66
	v_mov_b32_e32 v68, 0x3f2aaada
	v_fmac_f32_e32 v68, v66, v67
	v_mul_f32_e32 v67, 0x3f317218, v60
	v_fma_f32 v69, v60, s13, -v67
	v_fmac_f32_e32 v69, 0xb102e308, v60
	v_sub_f32_e32 v60, v65, v64
	v_sub_f32_e32 v60, v61, v60
	v_add_f32_e32 v61, v67, v69
	v_sub_f32_e32 v64, v61, v67
	v_ldexp_f32 v67, v65, 1
	v_mul_f32_e32 v65, v65, v66
	v_mul_f32_e32 v65, v65, v68
	v_add_f32_e32 v66, v67, v65
	v_sub_f32_e32 v67, v66, v67
	v_ldexp_f32 v60, v60, 1
	v_sub_f32_e32 v65, v65, v67
	v_add_f32_e32 v60, v60, v65
	v_add_f32_e32 v65, v66, v60
	v_sub_f32_e32 v66, v65, v66
	v_sub_f32_e32 v60, v60, v66
	v_add_f32_e32 v66, v61, v65
	v_sub_f32_e32 v67, v66, v61
	v_sub_f32_e32 v68, v66, v67
	;; [unrolled: 1-line block ×5, first 2 shown]
	v_add_f32_e32 v61, v65, v61
	v_add_f32_e32 v65, v64, v60
	v_sub_f32_e32 v67, v65, v64
	v_sub_f32_e32 v68, v65, v67
	;; [unrolled: 1-line block ×4, first 2 shown]
	v_add_f32_e32 v61, v65, v61
	v_add_f32_e32 v60, v60, v64
	;; [unrolled: 1-line block ×3, first 2 shown]
	v_sub_f32_e32 v65, v64, v66
	v_sub_f32_e32 v61, v61, v65
	v_add_f32_e32 v60, v60, v61
	v_add_f32_e32 v60, v64, v60
	v_cmp_neq_f32_e32 vcc, s12, v63
	s_mov_b32 s12, 0x33800000
	v_cndmask_b32_e32 v60, v62, v60, vcc
	v_cmp_lt_f32_e64 vcc, |v63|, s12
	v_cndmask_b32_e32 v60, v60, v63, vcc
	v_add_f32_e32 v61, v59, v60
.LBB497_112:
	s_or_b64 exec, exec, s[2:3]
	v_bfe_u32 v59, v61, 16, 1
	s_movk_i32 s2, 0x7fff
	v_add3_u32 v59, v61, v59, s2
	v_cmp_o_f32_e32 vcc, v61, v61
	v_mov_b32_e32 v60, 0x7fc0
	v_cndmask_b32_sdwa v59, v60, v59, vcc dst_sel:DWORD dst_unused:UNUSED_PAD src0_sel:DWORD src1_sel:WORD_1
	v_and_b32_e32 v60, 0xffff, v59
.LBB497_113:
	s_or_b64 exec, exec, s[10:11]
	s_nop 0
	v_mov_b32_dpp v61, v60 row_shr:8 row_mask:0xf bank_mask:0xf
	v_cmp_lt_u32_e32 vcc, 7, v58
	s_and_saveexec_b64 s[10:11], vcc
	s_cbranch_execz .LBB497_117
; %bb.114:
	v_lshlrev_b32_e32 v59, 16, v61
	v_lshlrev_b32_e32 v58, 16, v60
	v_max_f32_e32 v61, v58, v58
	v_max_f32_e32 v62, v59, v59
	v_min_f32_e32 v60, v62, v61
	v_cmp_u_f32_e32 vcc, v59, v59
	v_max_f32_e32 v61, v62, v61
	v_cndmask_b32_e32 v60, v60, v59, vcc
	v_cmp_u_f32_e64 s[2:3], v58, v58
	v_cndmask_b32_e32 v61, v61, v59, vcc
	v_cndmask_b32_e64 v60, v60, v58, s[2:3]
	v_cndmask_b32_e64 v58, v61, v58, s[2:3]
	s_movk_i32 s2, 0x1f8
	v_cmp_neq_f32_e32 vcc, v60, v58
	v_cmp_class_f32_e64 s[2:3], v60, s2
	s_or_b64 vcc, vcc, s[2:3]
	s_and_saveexec_b64 s[2:3], vcc
	s_cbranch_execz .LBB497_116
; %bb.115:
	v_sub_f32_e32 v59, v60, v58
	s_mov_b32 s12, 0x3fb8aa3b
	v_mul_f32_e32 v60, 0x3fb8aa3b, v59
	v_fma_f32 v61, v59, s12, -v60
	v_rndne_f32_e32 v62, v60
	v_fmac_f32_e32 v61, 0x32a5705f, v59
	v_sub_f32_e32 v60, v60, v62
	v_add_f32_e32 v60, v60, v61
	v_exp_f32_e32 v60, v60
	v_cvt_i32_f32_e32 v61, v62
	s_mov_b32 s12, 0xc2ce8ed0
	v_cmp_ngt_f32_e32 vcc, s12, v59
	s_mov_b32 s12, 0x42b17218
	v_ldexp_f32 v60, v60, v61
	v_cndmask_b32_e32 v60, 0, v60, vcc
	v_mov_b32_e32 v61, 0x7f800000
	v_cmp_nlt_f32_e32 vcc, s12, v59
	v_cndmask_b32_e32 v62, v61, v60, vcc
	v_add_f32_e32 v63, 1.0, v62
	v_cvt_f64_f32_e32 v[59:60], v63
	v_add_f32_e32 v64, -1.0, v63
	v_sub_f32_e32 v65, v64, v63
	v_sub_f32_e32 v64, v62, v64
	v_frexp_exp_i32_f64_e32 v59, v[59:60]
	v_add_f32_e32 v60, 1.0, v65
	v_add_f32_e32 v60, v64, v60
	v_frexp_mant_f32_e32 v64, v63
	s_mov_b32 s13, 0x3f2aaaab
	v_cmp_gt_f32_e32 vcc, s13, v64
	s_mov_b32 s13, 0x3f317218
	s_mov_b32 s12, 0x7f800000
	v_subbrev_co_u32_e32 v59, vcc, 0, v59, vcc
	v_sub_u32_e32 v64, 0, v59
	v_ldexp_f32 v63, v63, v64
	v_ldexp_f32 v60, v60, v64
	v_add_f32_e32 v64, -1.0, v63
	v_add_f32_e32 v67, 1.0, v63
	v_add_f32_e32 v65, 1.0, v64
	v_add_f32_e32 v68, -1.0, v67
	v_sub_f32_e32 v65, v63, v65
	v_sub_f32_e32 v63, v63, v68
	v_add_f32_e32 v65, v60, v65
	v_add_f32_e32 v60, v60, v63
	;; [unrolled: 1-line block ×3, first 2 shown]
	v_rcp_f32_e32 v68, v63
	v_add_f32_e32 v66, v64, v65
	v_sub_f32_e32 v64, v64, v66
	v_add_f32_e32 v64, v65, v64
	v_sub_f32_e32 v65, v67, v63
	v_add_f32_e32 v60, v60, v65
	v_mul_f32_e32 v65, v66, v68
	v_mul_f32_e32 v67, v63, v65
	v_fma_f32 v69, v65, v63, -v67
	v_fmac_f32_e32 v69, v65, v60
	v_add_f32_e32 v70, v67, v69
	v_sub_f32_e32 v71, v66, v70
	v_sub_f32_e32 v66, v66, v71
	;; [unrolled: 1-line block ×4, first 2 shown]
	v_add_f32_e32 v64, v64, v66
	v_sub_f32_e32 v66, v67, v69
	v_add_f32_e32 v64, v66, v64
	v_add_f32_e32 v66, v71, v64
	v_mul_f32_e32 v67, v68, v66
	v_mul_f32_e32 v69, v63, v67
	v_fma_f32 v63, v67, v63, -v69
	v_fmac_f32_e32 v63, v67, v60
	v_sub_f32_e32 v60, v71, v66
	v_add_f32_e32 v60, v64, v60
	v_add_f32_e32 v64, v69, v63
	v_sub_f32_e32 v70, v66, v64
	v_sub_f32_e32 v66, v66, v70
	;; [unrolled: 1-line block ×4, first 2 shown]
	v_add_f32_e32 v60, v60, v64
	v_sub_f32_e32 v63, v69, v63
	v_add_f32_e32 v60, v63, v60
	v_add_f32_e32 v63, v65, v67
	;; [unrolled: 1-line block ×3, first 2 shown]
	v_sub_f32_e32 v64, v63, v65
	v_mul_f32_e32 v60, v68, v60
	v_sub_f32_e32 v64, v67, v64
	v_add_f32_e32 v60, v64, v60
	v_cvt_f32_i32_e32 v59, v59
	v_add_f32_e32 v64, v63, v60
	v_mul_f32_e32 v65, v64, v64
	v_mov_b32_e32 v66, 0x3ecc95a3
	v_fmac_f32_e32 v66, 0x3e9b6dac, v65
	v_mov_b32_e32 v67, 0x3f2aaada
	v_fmac_f32_e32 v67, v65, v66
	v_mul_f32_e32 v66, 0x3f317218, v59
	v_fma_f32 v68, v59, s13, -v66
	v_fmac_f32_e32 v68, 0xb102e308, v59
	v_sub_f32_e32 v59, v64, v63
	v_sub_f32_e32 v59, v60, v59
	v_add_f32_e32 v60, v66, v68
	v_sub_f32_e32 v63, v60, v66
	v_ldexp_f32 v66, v64, 1
	v_mul_f32_e32 v64, v64, v65
	v_mul_f32_e32 v64, v64, v67
	v_add_f32_e32 v65, v66, v64
	v_sub_f32_e32 v66, v65, v66
	v_ldexp_f32 v59, v59, 1
	v_sub_f32_e32 v64, v64, v66
	v_add_f32_e32 v59, v59, v64
	v_add_f32_e32 v64, v65, v59
	v_sub_f32_e32 v65, v64, v65
	v_sub_f32_e32 v59, v59, v65
	v_add_f32_e32 v65, v60, v64
	v_sub_f32_e32 v66, v65, v60
	v_sub_f32_e32 v67, v65, v66
	v_sub_f32_e32 v63, v68, v63
	v_sub_f32_e32 v60, v60, v67
	v_sub_f32_e32 v64, v64, v66
	v_add_f32_e32 v60, v64, v60
	v_add_f32_e32 v64, v63, v59
	v_sub_f32_e32 v66, v64, v63
	v_sub_f32_e32 v67, v64, v66
	;; [unrolled: 1-line block ×4, first 2 shown]
	v_add_f32_e32 v60, v64, v60
	v_add_f32_e32 v59, v59, v63
	v_add_f32_e32 v63, v65, v60
	v_sub_f32_e32 v64, v63, v65
	v_sub_f32_e32 v60, v60, v64
	v_add_f32_e32 v59, v59, v60
	v_add_f32_e32 v59, v63, v59
	v_cmp_neq_f32_e32 vcc, s12, v62
	s_mov_b32 s12, 0x33800000
	v_cndmask_b32_e32 v59, v61, v59, vcc
	v_cmp_lt_f32_e64 vcc, |v62|, s12
	v_cndmask_b32_e32 v59, v59, v62, vcc
	v_add_f32_e32 v59, v58, v59
.LBB497_116:
	s_or_b64 exec, exec, s[2:3]
	v_bfe_u32 v58, v59, 16, 1
	s_movk_i32 s2, 0x7fff
	v_add3_u32 v58, v59, v58, s2
	v_cmp_o_f32_e32 vcc, v59, v59
	v_mov_b32_e32 v59, 0x7fc0
	v_cndmask_b32_sdwa v59, v59, v58, vcc dst_sel:DWORD dst_unused:UNUSED_PAD src0_sel:DWORD src1_sel:WORD_1
	v_and_b32_e32 v60, 0xffff, v59
.LBB497_117:
	s_or_b64 exec, exec, s[10:11]
	v_and_b32_e32 v61, 16, v57
	v_mov_b32_dpp v58, v60 row_bcast:15 row_mask:0xf bank_mask:0xf
	v_cmp_ne_u32_e32 vcc, 0, v61
	s_and_saveexec_b64 s[10:11], vcc
	s_cbranch_execz .LBB497_121
; %bb.118:
	v_lshlrev_b32_e32 v59, 16, v58
	v_lshlrev_b32_e32 v58, 16, v60
	v_max_f32_e32 v61, v58, v58
	v_max_f32_e32 v62, v59, v59
	v_min_f32_e32 v60, v62, v61
	v_cmp_u_f32_e32 vcc, v59, v59
	v_max_f32_e32 v61, v62, v61
	v_cndmask_b32_e32 v60, v60, v59, vcc
	v_cmp_u_f32_e64 s[2:3], v58, v58
	v_cndmask_b32_e32 v61, v61, v59, vcc
	v_cndmask_b32_e64 v60, v60, v58, s[2:3]
	v_cndmask_b32_e64 v58, v61, v58, s[2:3]
	s_movk_i32 s2, 0x1f8
	v_cmp_neq_f32_e32 vcc, v60, v58
	v_cmp_class_f32_e64 s[2:3], v60, s2
	s_or_b64 vcc, vcc, s[2:3]
	s_and_saveexec_b64 s[2:3], vcc
	s_cbranch_execz .LBB497_120
; %bb.119:
	v_sub_f32_e32 v59, v60, v58
	s_mov_b32 s12, 0x3fb8aa3b
	v_mul_f32_e32 v60, 0x3fb8aa3b, v59
	v_fma_f32 v61, v59, s12, -v60
	v_rndne_f32_e32 v62, v60
	v_fmac_f32_e32 v61, 0x32a5705f, v59
	v_sub_f32_e32 v60, v60, v62
	v_add_f32_e32 v60, v60, v61
	v_exp_f32_e32 v60, v60
	v_cvt_i32_f32_e32 v61, v62
	s_mov_b32 s12, 0xc2ce8ed0
	v_cmp_ngt_f32_e32 vcc, s12, v59
	s_mov_b32 s12, 0x42b17218
	v_ldexp_f32 v60, v60, v61
	v_cndmask_b32_e32 v60, 0, v60, vcc
	v_mov_b32_e32 v61, 0x7f800000
	v_cmp_nlt_f32_e32 vcc, s12, v59
	v_cndmask_b32_e32 v62, v61, v60, vcc
	v_add_f32_e32 v63, 1.0, v62
	v_cvt_f64_f32_e32 v[59:60], v63
	v_add_f32_e32 v64, -1.0, v63
	v_sub_f32_e32 v65, v64, v63
	v_sub_f32_e32 v64, v62, v64
	v_frexp_exp_i32_f64_e32 v59, v[59:60]
	v_add_f32_e32 v60, 1.0, v65
	v_add_f32_e32 v60, v64, v60
	v_frexp_mant_f32_e32 v64, v63
	s_mov_b32 s13, 0x3f2aaaab
	v_cmp_gt_f32_e32 vcc, s13, v64
	s_mov_b32 s13, 0x3f317218
	s_mov_b32 s12, 0x7f800000
	v_subbrev_co_u32_e32 v59, vcc, 0, v59, vcc
	v_sub_u32_e32 v64, 0, v59
	v_ldexp_f32 v63, v63, v64
	v_ldexp_f32 v60, v60, v64
	v_add_f32_e32 v64, -1.0, v63
	v_add_f32_e32 v67, 1.0, v63
	v_add_f32_e32 v65, 1.0, v64
	v_add_f32_e32 v68, -1.0, v67
	v_sub_f32_e32 v65, v63, v65
	v_sub_f32_e32 v63, v63, v68
	v_add_f32_e32 v65, v60, v65
	v_add_f32_e32 v60, v60, v63
	;; [unrolled: 1-line block ×3, first 2 shown]
	v_rcp_f32_e32 v68, v63
	v_add_f32_e32 v66, v64, v65
	v_sub_f32_e32 v64, v64, v66
	v_add_f32_e32 v64, v65, v64
	v_sub_f32_e32 v65, v67, v63
	v_add_f32_e32 v60, v60, v65
	v_mul_f32_e32 v65, v66, v68
	v_mul_f32_e32 v67, v63, v65
	v_fma_f32 v69, v65, v63, -v67
	v_fmac_f32_e32 v69, v65, v60
	v_add_f32_e32 v70, v67, v69
	v_sub_f32_e32 v71, v66, v70
	v_sub_f32_e32 v66, v66, v71
	;; [unrolled: 1-line block ×4, first 2 shown]
	v_add_f32_e32 v64, v64, v66
	v_sub_f32_e32 v66, v67, v69
	v_add_f32_e32 v64, v66, v64
	v_add_f32_e32 v66, v71, v64
	v_mul_f32_e32 v67, v68, v66
	v_mul_f32_e32 v69, v63, v67
	v_fma_f32 v63, v67, v63, -v69
	v_fmac_f32_e32 v63, v67, v60
	v_sub_f32_e32 v60, v71, v66
	v_add_f32_e32 v60, v64, v60
	v_add_f32_e32 v64, v69, v63
	v_sub_f32_e32 v70, v66, v64
	v_sub_f32_e32 v66, v66, v70
	;; [unrolled: 1-line block ×4, first 2 shown]
	v_add_f32_e32 v60, v60, v64
	v_sub_f32_e32 v63, v69, v63
	v_add_f32_e32 v60, v63, v60
	v_add_f32_e32 v63, v65, v67
	;; [unrolled: 1-line block ×3, first 2 shown]
	v_sub_f32_e32 v64, v63, v65
	v_mul_f32_e32 v60, v68, v60
	v_sub_f32_e32 v64, v67, v64
	v_add_f32_e32 v60, v64, v60
	v_cvt_f32_i32_e32 v59, v59
	v_add_f32_e32 v64, v63, v60
	v_mul_f32_e32 v65, v64, v64
	v_mov_b32_e32 v66, 0x3ecc95a3
	v_fmac_f32_e32 v66, 0x3e9b6dac, v65
	v_mov_b32_e32 v67, 0x3f2aaada
	v_fmac_f32_e32 v67, v65, v66
	v_mul_f32_e32 v66, 0x3f317218, v59
	v_fma_f32 v68, v59, s13, -v66
	v_fmac_f32_e32 v68, 0xb102e308, v59
	v_sub_f32_e32 v59, v64, v63
	v_sub_f32_e32 v59, v60, v59
	v_add_f32_e32 v60, v66, v68
	v_sub_f32_e32 v63, v60, v66
	v_ldexp_f32 v66, v64, 1
	v_mul_f32_e32 v64, v64, v65
	v_mul_f32_e32 v64, v64, v67
	v_add_f32_e32 v65, v66, v64
	v_sub_f32_e32 v66, v65, v66
	v_ldexp_f32 v59, v59, 1
	v_sub_f32_e32 v64, v64, v66
	v_add_f32_e32 v59, v59, v64
	v_add_f32_e32 v64, v65, v59
	v_sub_f32_e32 v65, v64, v65
	v_sub_f32_e32 v59, v59, v65
	v_add_f32_e32 v65, v60, v64
	v_sub_f32_e32 v66, v65, v60
	v_sub_f32_e32 v67, v65, v66
	;; [unrolled: 1-line block ×5, first 2 shown]
	v_add_f32_e32 v60, v64, v60
	v_add_f32_e32 v64, v63, v59
	v_sub_f32_e32 v66, v64, v63
	v_sub_f32_e32 v67, v64, v66
	;; [unrolled: 1-line block ×4, first 2 shown]
	v_add_f32_e32 v60, v64, v60
	v_add_f32_e32 v59, v59, v63
	v_add_f32_e32 v63, v65, v60
	v_sub_f32_e32 v64, v63, v65
	v_sub_f32_e32 v60, v60, v64
	v_add_f32_e32 v59, v59, v60
	v_add_f32_e32 v59, v63, v59
	v_cmp_neq_f32_e32 vcc, s12, v62
	s_mov_b32 s12, 0x33800000
	v_cndmask_b32_e32 v59, v61, v59, vcc
	v_cmp_lt_f32_e64 vcc, |v62|, s12
	v_cndmask_b32_e32 v59, v59, v62, vcc
	v_add_f32_e32 v59, v58, v59
.LBB497_120:
	s_or_b64 exec, exec, s[2:3]
	v_bfe_u32 v58, v59, 16, 1
	s_movk_i32 s2, 0x7fff
	v_add3_u32 v58, v59, v58, s2
	v_cmp_o_f32_e32 vcc, v59, v59
	v_mov_b32_e32 v59, 0x7fc0
	v_cndmask_b32_sdwa v59, v59, v58, vcc dst_sel:DWORD dst_unused:UNUSED_PAD src0_sel:DWORD src1_sel:WORD_1
	v_and_b32_e32 v60, 0xffff, v59
.LBB497_121:
	s_or_b64 exec, exec, s[10:11]
	s_nop 0
	v_mov_b32_dpp v58, v60 row_bcast:31 row_mask:0xf bank_mask:0xf
	v_cmp_lt_u32_e32 vcc, 31, v57
	s_and_saveexec_b64 s[10:11], vcc
	s_cbranch_execz .LBB497_125
; %bb.122:
	v_lshlrev_b32_e32 v59, 16, v58
	v_lshlrev_b32_e32 v58, 16, v60
	v_max_f32_e32 v61, v58, v58
	v_max_f32_e32 v62, v59, v59
	v_min_f32_e32 v60, v62, v61
	v_cmp_u_f32_e32 vcc, v59, v59
	v_max_f32_e32 v61, v62, v61
	v_cndmask_b32_e32 v60, v60, v59, vcc
	v_cmp_u_f32_e64 s[2:3], v58, v58
	v_cndmask_b32_e32 v61, v61, v59, vcc
	v_cndmask_b32_e64 v60, v60, v58, s[2:3]
	v_cndmask_b32_e64 v58, v61, v58, s[2:3]
	s_movk_i32 s2, 0x1f8
	v_cmp_neq_f32_e32 vcc, v60, v58
	v_cmp_class_f32_e64 s[2:3], v60, s2
	s_or_b64 vcc, vcc, s[2:3]
	s_and_saveexec_b64 s[2:3], vcc
	s_cbranch_execz .LBB497_124
; %bb.123:
	v_sub_f32_e32 v59, v60, v58
	s_mov_b32 s12, 0x3fb8aa3b
	v_mul_f32_e32 v60, 0x3fb8aa3b, v59
	v_fma_f32 v61, v59, s12, -v60
	v_rndne_f32_e32 v62, v60
	v_fmac_f32_e32 v61, 0x32a5705f, v59
	v_sub_f32_e32 v60, v60, v62
	v_add_f32_e32 v60, v60, v61
	v_exp_f32_e32 v60, v60
	v_cvt_i32_f32_e32 v61, v62
	s_mov_b32 s12, 0xc2ce8ed0
	v_cmp_ngt_f32_e32 vcc, s12, v59
	s_mov_b32 s12, 0x42b17218
	v_ldexp_f32 v60, v60, v61
	v_cndmask_b32_e32 v60, 0, v60, vcc
	v_mov_b32_e32 v61, 0x7f800000
	v_cmp_nlt_f32_e32 vcc, s12, v59
	v_cndmask_b32_e32 v62, v61, v60, vcc
	v_add_f32_e32 v63, 1.0, v62
	v_cvt_f64_f32_e32 v[59:60], v63
	v_add_f32_e32 v64, -1.0, v63
	v_sub_f32_e32 v65, v64, v63
	v_sub_f32_e32 v64, v62, v64
	v_frexp_exp_i32_f64_e32 v59, v[59:60]
	v_add_f32_e32 v60, 1.0, v65
	v_add_f32_e32 v60, v64, v60
	v_frexp_mant_f32_e32 v64, v63
	s_mov_b32 s13, 0x3f2aaaab
	v_cmp_gt_f32_e32 vcc, s13, v64
	s_mov_b32 s13, 0x3f317218
	s_mov_b32 s12, 0x7f800000
	v_subbrev_co_u32_e32 v59, vcc, 0, v59, vcc
	v_sub_u32_e32 v64, 0, v59
	v_ldexp_f32 v63, v63, v64
	v_ldexp_f32 v60, v60, v64
	v_add_f32_e32 v64, -1.0, v63
	v_add_f32_e32 v67, 1.0, v63
	v_add_f32_e32 v65, 1.0, v64
	v_add_f32_e32 v68, -1.0, v67
	v_sub_f32_e32 v65, v63, v65
	v_sub_f32_e32 v63, v63, v68
	v_add_f32_e32 v65, v60, v65
	v_add_f32_e32 v60, v60, v63
	;; [unrolled: 1-line block ×3, first 2 shown]
	v_rcp_f32_e32 v68, v63
	v_add_f32_e32 v66, v64, v65
	v_sub_f32_e32 v64, v64, v66
	v_add_f32_e32 v64, v65, v64
	v_sub_f32_e32 v65, v67, v63
	v_add_f32_e32 v60, v60, v65
	v_mul_f32_e32 v65, v66, v68
	v_mul_f32_e32 v67, v63, v65
	v_fma_f32 v69, v65, v63, -v67
	v_fmac_f32_e32 v69, v65, v60
	v_add_f32_e32 v70, v67, v69
	v_sub_f32_e32 v71, v66, v70
	v_sub_f32_e32 v66, v66, v71
	;; [unrolled: 1-line block ×4, first 2 shown]
	v_add_f32_e32 v64, v64, v66
	v_sub_f32_e32 v66, v67, v69
	v_add_f32_e32 v64, v66, v64
	v_add_f32_e32 v66, v71, v64
	v_mul_f32_e32 v67, v68, v66
	v_mul_f32_e32 v69, v63, v67
	v_fma_f32 v63, v67, v63, -v69
	v_fmac_f32_e32 v63, v67, v60
	v_sub_f32_e32 v60, v71, v66
	v_add_f32_e32 v60, v64, v60
	v_add_f32_e32 v64, v69, v63
	v_sub_f32_e32 v70, v66, v64
	v_sub_f32_e32 v66, v66, v70
	v_sub_f32_e32 v69, v64, v69
	v_sub_f32_e32 v64, v66, v64
	v_add_f32_e32 v60, v60, v64
	v_sub_f32_e32 v63, v69, v63
	v_add_f32_e32 v60, v63, v60
	v_add_f32_e32 v63, v65, v67
	;; [unrolled: 1-line block ×3, first 2 shown]
	v_sub_f32_e32 v64, v63, v65
	v_mul_f32_e32 v60, v68, v60
	v_sub_f32_e32 v64, v67, v64
	v_add_f32_e32 v60, v64, v60
	v_cvt_f32_i32_e32 v59, v59
	v_add_f32_e32 v64, v63, v60
	v_mul_f32_e32 v65, v64, v64
	v_mov_b32_e32 v66, 0x3ecc95a3
	v_fmac_f32_e32 v66, 0x3e9b6dac, v65
	v_mov_b32_e32 v67, 0x3f2aaada
	v_fmac_f32_e32 v67, v65, v66
	v_mul_f32_e32 v66, 0x3f317218, v59
	v_fma_f32 v68, v59, s13, -v66
	v_fmac_f32_e32 v68, 0xb102e308, v59
	v_sub_f32_e32 v59, v64, v63
	v_sub_f32_e32 v59, v60, v59
	v_add_f32_e32 v60, v66, v68
	v_sub_f32_e32 v63, v60, v66
	v_ldexp_f32 v66, v64, 1
	v_mul_f32_e32 v64, v64, v65
	v_mul_f32_e32 v64, v64, v67
	v_add_f32_e32 v65, v66, v64
	v_sub_f32_e32 v66, v65, v66
	v_ldexp_f32 v59, v59, 1
	v_sub_f32_e32 v64, v64, v66
	v_add_f32_e32 v59, v59, v64
	v_add_f32_e32 v64, v65, v59
	v_sub_f32_e32 v65, v64, v65
	v_sub_f32_e32 v59, v59, v65
	v_add_f32_e32 v65, v60, v64
	v_sub_f32_e32 v66, v65, v60
	v_sub_f32_e32 v67, v65, v66
	v_sub_f32_e32 v63, v68, v63
	v_sub_f32_e32 v60, v60, v67
	v_sub_f32_e32 v64, v64, v66
	v_add_f32_e32 v60, v64, v60
	v_add_f32_e32 v64, v63, v59
	v_sub_f32_e32 v66, v64, v63
	v_sub_f32_e32 v67, v64, v66
	;; [unrolled: 1-line block ×4, first 2 shown]
	v_add_f32_e32 v60, v64, v60
	v_add_f32_e32 v59, v59, v63
	;; [unrolled: 1-line block ×3, first 2 shown]
	v_sub_f32_e32 v64, v63, v65
	v_sub_f32_e32 v60, v60, v64
	v_add_f32_e32 v59, v59, v60
	v_add_f32_e32 v59, v63, v59
	v_cmp_neq_f32_e32 vcc, s12, v62
	s_mov_b32 s12, 0x33800000
	v_cndmask_b32_e32 v59, v61, v59, vcc
	v_cmp_lt_f32_e64 vcc, |v62|, s12
	v_cndmask_b32_e32 v59, v59, v62, vcc
	v_add_f32_e32 v59, v58, v59
.LBB497_124:
	s_or_b64 exec, exec, s[2:3]
	v_bfe_u32 v58, v59, 16, 1
	s_movk_i32 s2, 0x7fff
	v_add3_u32 v58, v59, v58, s2
	v_cmp_o_f32_e32 vcc, v59, v59
	v_mov_b32_e32 v59, 0x7fc0
	v_cndmask_b32_sdwa v59, v59, v58, vcc dst_sel:DWORD dst_unused:UNUSED_PAD src0_sel:DWORD src1_sel:WORD_1
.LBB497_125:
	s_or_b64 exec, exec, s[10:11]
	v_add_u32_e32 v58, -1, v57
	v_and_b32_e32 v60, 64, v57
	v_cmp_lt_i32_e32 vcc, v58, v60
	v_cndmask_b32_e32 v57, v58, v57, vcc
	v_lshlrev_b32_e32 v57, 2, v57
	v_and_b32_e32 v58, 0xffff, v59
	ds_bpermute_b32 v57, v57, v58
	s_waitcnt lgkmcnt(0)
	v_lshlrev_b32_e32 v57, 16, v57
	v_max_f32_e32 v58, v57, v57
	v_min_f32_e32 v59, v58, v56
	v_max_f32_e32 v58, v58, v56
	v_cmp_u_f32_e32 vcc, v57, v57
	v_cndmask_b32_e32 v56, v59, v57, vcc
	v_cndmask_b32_e32 v58, v58, v57, vcc
	v_cndmask_b32_e64 v56, v56, v55, s[4:5]
	v_cndmask_b32_e64 v55, v58, v55, s[4:5]
	s_movk_i32 s4, 0x1f8
	v_cmp_neq_f32_e32 vcc, v56, v55
	v_cmp_class_f32_e64 s[2:3], v56, s4
	s_or_b64 s[10:11], vcc, s[2:3]
	s_and_saveexec_b64 s[2:3], s[10:11]
	s_cbranch_execz .LBB497_127
; %bb.126:
	v_sub_f32_e32 v56, v56, v55
	s_mov_b32 s5, 0x3fb8aa3b
	v_mul_f32_e32 v57, 0x3fb8aa3b, v56
	v_fma_f32 v58, v56, s5, -v57
	v_rndne_f32_e32 v59, v57
	v_fmac_f32_e32 v58, 0x32a5705f, v56
	v_sub_f32_e32 v57, v57, v59
	v_add_f32_e32 v57, v57, v58
	v_exp_f32_e32 v57, v57
	v_cvt_i32_f32_e32 v58, v59
	s_mov_b32 s5, 0xc2ce8ed0
	v_cmp_ngt_f32_e32 vcc, s5, v56
	s_mov_b32 s5, 0x42b17218
	v_ldexp_f32 v57, v57, v58
	v_cndmask_b32_e32 v57, 0, v57, vcc
	v_mov_b32_e32 v58, 0x7f800000
	v_cmp_nlt_f32_e32 vcc, s5, v56
	v_cndmask_b32_e32 v59, v58, v57, vcc
	v_add_f32_e32 v60, 1.0, v59
	v_cvt_f64_f32_e32 v[56:57], v60
	v_add_f32_e32 v61, -1.0, v60
	v_sub_f32_e32 v62, v61, v60
	v_sub_f32_e32 v61, v59, v61
	v_frexp_exp_i32_f64_e32 v56, v[56:57]
	v_add_f32_e32 v57, 1.0, v62
	v_add_f32_e32 v57, v61, v57
	v_frexp_mant_f32_e32 v61, v60
	s_mov_b32 s10, 0x3f2aaaab
	v_cmp_gt_f32_e32 vcc, s10, v61
	s_mov_b32 s10, 0x3f317218
	s_mov_b32 s5, 0x7f800000
	v_subbrev_co_u32_e32 v56, vcc, 0, v56, vcc
	v_sub_u32_e32 v61, 0, v56
	v_ldexp_f32 v60, v60, v61
	v_ldexp_f32 v57, v57, v61
	v_add_f32_e32 v61, -1.0, v60
	v_add_f32_e32 v64, 1.0, v60
	v_add_f32_e32 v62, 1.0, v61
	v_add_f32_e32 v65, -1.0, v64
	v_sub_f32_e32 v62, v60, v62
	v_sub_f32_e32 v60, v60, v65
	v_add_f32_e32 v62, v57, v62
	v_add_f32_e32 v57, v57, v60
	;; [unrolled: 1-line block ×3, first 2 shown]
	v_rcp_f32_e32 v65, v60
	v_add_f32_e32 v63, v61, v62
	v_sub_f32_e32 v61, v61, v63
	v_add_f32_e32 v61, v62, v61
	v_sub_f32_e32 v62, v64, v60
	v_add_f32_e32 v57, v57, v62
	v_mul_f32_e32 v62, v63, v65
	v_mul_f32_e32 v64, v60, v62
	v_fma_f32 v66, v62, v60, -v64
	v_fmac_f32_e32 v66, v62, v57
	v_add_f32_e32 v67, v64, v66
	v_sub_f32_e32 v68, v63, v67
	v_sub_f32_e32 v63, v63, v68
	v_sub_f32_e32 v64, v67, v64
	v_sub_f32_e32 v63, v63, v67
	v_add_f32_e32 v61, v61, v63
	v_sub_f32_e32 v63, v64, v66
	v_add_f32_e32 v61, v63, v61
	v_add_f32_e32 v63, v68, v61
	v_mul_f32_e32 v64, v65, v63
	v_mul_f32_e32 v66, v60, v64
	v_fma_f32 v60, v64, v60, -v66
	v_fmac_f32_e32 v60, v64, v57
	v_sub_f32_e32 v57, v68, v63
	v_add_f32_e32 v57, v61, v57
	v_add_f32_e32 v61, v66, v60
	v_sub_f32_e32 v67, v63, v61
	v_sub_f32_e32 v63, v63, v67
	;; [unrolled: 1-line block ×4, first 2 shown]
	v_add_f32_e32 v57, v57, v61
	v_sub_f32_e32 v60, v66, v60
	v_add_f32_e32 v57, v60, v57
	v_add_f32_e32 v60, v62, v64
	;; [unrolled: 1-line block ×3, first 2 shown]
	v_sub_f32_e32 v61, v60, v62
	v_mul_f32_e32 v57, v65, v57
	v_sub_f32_e32 v61, v64, v61
	v_add_f32_e32 v57, v61, v57
	v_cvt_f32_i32_e32 v56, v56
	v_add_f32_e32 v61, v60, v57
	v_mul_f32_e32 v62, v61, v61
	v_mov_b32_e32 v63, 0x3ecc95a3
	v_fmac_f32_e32 v63, 0x3e9b6dac, v62
	v_mov_b32_e32 v64, 0x3f2aaada
	v_fmac_f32_e32 v64, v62, v63
	v_mul_f32_e32 v63, 0x3f317218, v56
	v_fma_f32 v65, v56, s10, -v63
	v_fmac_f32_e32 v65, 0xb102e308, v56
	v_sub_f32_e32 v56, v61, v60
	v_sub_f32_e32 v56, v57, v56
	v_add_f32_e32 v57, v63, v65
	v_sub_f32_e32 v60, v57, v63
	v_ldexp_f32 v63, v61, 1
	v_mul_f32_e32 v61, v61, v62
	v_mul_f32_e32 v61, v61, v64
	v_add_f32_e32 v62, v63, v61
	v_sub_f32_e32 v63, v62, v63
	v_ldexp_f32 v56, v56, 1
	v_sub_f32_e32 v61, v61, v63
	v_add_f32_e32 v56, v56, v61
	v_add_f32_e32 v61, v62, v56
	v_sub_f32_e32 v62, v61, v62
	v_sub_f32_e32 v56, v56, v62
	v_add_f32_e32 v62, v57, v61
	v_sub_f32_e32 v63, v62, v57
	v_sub_f32_e32 v64, v62, v63
	;; [unrolled: 1-line block ×5, first 2 shown]
	v_add_f32_e32 v57, v61, v57
	v_add_f32_e32 v61, v60, v56
	v_sub_f32_e32 v63, v61, v60
	v_sub_f32_e32 v64, v61, v63
	;; [unrolled: 1-line block ×4, first 2 shown]
	v_add_f32_e32 v57, v61, v57
	v_add_f32_e32 v56, v56, v60
	;; [unrolled: 1-line block ×3, first 2 shown]
	v_sub_f32_e32 v61, v60, v62
	v_sub_f32_e32 v57, v57, v61
	v_add_f32_e32 v56, v56, v57
	v_add_f32_e32 v56, v60, v56
	v_cmp_neq_f32_e32 vcc, s5, v59
	s_mov_b32 s5, 0x33800000
	v_cndmask_b32_e32 v56, v58, v56, vcc
	v_cmp_lt_f32_e64 vcc, |v59|, s5
	v_cndmask_b32_e32 v56, v56, v59, vcc
	v_add_f32_e32 v57, v55, v56
.LBB497_127:
	s_or_b64 exec, exec, s[2:3]
	v_bfe_u32 v55, v57, 16, 1
	s_movk_i32 s5, 0x7fff
	v_add3_u32 v56, v57, v55, s5
	v_cmp_o_f32_e32 vcc, v57, v57
	v_mov_b32_e32 v55, 0x7fc0
	v_cndmask_b32_sdwa v56, v55, v56, vcc dst_sel:DWORD dst_unused:UNUSED_PAD src0_sel:DWORD src1_sel:WORD_1
	v_cmp_eq_u32_e32 vcc, 0, v0
	v_cndmask_b32_e32 v54, v56, v54, vcc
	; wave barrier
	ds_write_b16 v53, v54
	; wave barrier
	ds_read_u16 v57, v53 offset:2
	v_lshlrev_b32_e32 v56, 16, v54
	v_max_f32_e32 v58, v56, v56
	v_cmp_u_f32_e32 vcc, v56, v56
	s_waitcnt lgkmcnt(0)
	v_lshlrev_b32_e32 v54, 16, v57
	v_max_f32_e32 v59, v54, v54
	v_min_f32_e32 v57, v58, v59
	v_max_f32_e32 v58, v58, v59
	v_cndmask_b32_e32 v57, v57, v56, vcc
	v_cmp_u_f32_e64 s[2:3], v54, v54
	v_cndmask_b32_e32 v58, v58, v56, vcc
	v_cndmask_b32_e64 v57, v57, v54, s[2:3]
	v_cndmask_b32_e64 v54, v58, v54, s[2:3]
	v_cmp_neq_f32_e32 vcc, v57, v54
	v_cmp_class_f32_e64 s[2:3], v57, s4
	s_or_b64 s[10:11], vcc, s[2:3]
	s_and_saveexec_b64 s[2:3], s[10:11]
	s_cbranch_execz .LBB497_129
; %bb.128:
	v_sub_f32_e32 v56, v57, v54
	s_mov_b32 s4, 0x3fb8aa3b
	v_mul_f32_e32 v57, 0x3fb8aa3b, v56
	v_fma_f32 v58, v56, s4, -v57
	v_rndne_f32_e32 v59, v57
	v_fmac_f32_e32 v58, 0x32a5705f, v56
	v_sub_f32_e32 v57, v57, v59
	v_add_f32_e32 v57, v57, v58
	v_exp_f32_e32 v57, v57
	v_cvt_i32_f32_e32 v58, v59
	s_mov_b32 s4, 0xc2ce8ed0
	v_cmp_ngt_f32_e32 vcc, s4, v56
	s_mov_b32 s4, 0x42b17218
	v_ldexp_f32 v57, v57, v58
	v_cndmask_b32_e32 v57, 0, v57, vcc
	v_mov_b32_e32 v58, 0x7f800000
	v_cmp_nlt_f32_e32 vcc, s4, v56
	v_cndmask_b32_e32 v59, v58, v57, vcc
	v_add_f32_e32 v60, 1.0, v59
	v_cvt_f64_f32_e32 v[56:57], v60
	v_add_f32_e32 v61, -1.0, v60
	v_sub_f32_e32 v62, v61, v60
	v_sub_f32_e32 v61, v59, v61
	v_frexp_exp_i32_f64_e32 v56, v[56:57]
	v_add_f32_e32 v57, 1.0, v62
	v_add_f32_e32 v57, v61, v57
	v_frexp_mant_f32_e32 v61, v60
	s_mov_b32 s10, 0x3f2aaaab
	v_cmp_gt_f32_e32 vcc, s10, v61
	s_mov_b32 s10, 0x3f317218
	s_mov_b32 s4, 0x7f800000
	v_subbrev_co_u32_e32 v56, vcc, 0, v56, vcc
	v_sub_u32_e32 v61, 0, v56
	v_ldexp_f32 v60, v60, v61
	v_ldexp_f32 v57, v57, v61
	v_add_f32_e32 v61, -1.0, v60
	v_add_f32_e32 v64, 1.0, v60
	v_add_f32_e32 v62, 1.0, v61
	v_add_f32_e32 v65, -1.0, v64
	v_sub_f32_e32 v62, v60, v62
	v_sub_f32_e32 v60, v60, v65
	v_add_f32_e32 v62, v57, v62
	v_add_f32_e32 v57, v57, v60
	;; [unrolled: 1-line block ×3, first 2 shown]
	v_rcp_f32_e32 v65, v60
	v_add_f32_e32 v63, v61, v62
	v_sub_f32_e32 v61, v61, v63
	v_add_f32_e32 v61, v62, v61
	v_sub_f32_e32 v62, v64, v60
	v_add_f32_e32 v57, v57, v62
	v_mul_f32_e32 v62, v63, v65
	v_mul_f32_e32 v64, v60, v62
	v_fma_f32 v66, v62, v60, -v64
	v_fmac_f32_e32 v66, v62, v57
	v_add_f32_e32 v67, v64, v66
	v_sub_f32_e32 v68, v63, v67
	v_sub_f32_e32 v63, v63, v68
	;; [unrolled: 1-line block ×4, first 2 shown]
	v_add_f32_e32 v61, v61, v63
	v_sub_f32_e32 v63, v64, v66
	v_add_f32_e32 v61, v63, v61
	v_add_f32_e32 v63, v68, v61
	v_mul_f32_e32 v64, v65, v63
	v_mul_f32_e32 v66, v60, v64
	v_fma_f32 v60, v64, v60, -v66
	v_fmac_f32_e32 v60, v64, v57
	v_sub_f32_e32 v57, v68, v63
	v_add_f32_e32 v57, v61, v57
	v_add_f32_e32 v61, v66, v60
	v_sub_f32_e32 v67, v63, v61
	v_sub_f32_e32 v63, v63, v67
	;; [unrolled: 1-line block ×4, first 2 shown]
	v_add_f32_e32 v57, v57, v61
	v_sub_f32_e32 v60, v66, v60
	v_add_f32_e32 v57, v60, v57
	v_add_f32_e32 v60, v62, v64
	;; [unrolled: 1-line block ×3, first 2 shown]
	v_sub_f32_e32 v61, v60, v62
	v_mul_f32_e32 v57, v65, v57
	v_sub_f32_e32 v61, v64, v61
	v_add_f32_e32 v57, v61, v57
	v_cvt_f32_i32_e32 v56, v56
	v_add_f32_e32 v61, v60, v57
	v_mul_f32_e32 v62, v61, v61
	v_mov_b32_e32 v63, 0x3ecc95a3
	v_fmac_f32_e32 v63, 0x3e9b6dac, v62
	v_mov_b32_e32 v64, 0x3f2aaada
	v_fmac_f32_e32 v64, v62, v63
	v_mul_f32_e32 v63, 0x3f317218, v56
	v_fma_f32 v65, v56, s10, -v63
	v_fmac_f32_e32 v65, 0xb102e308, v56
	v_sub_f32_e32 v56, v61, v60
	v_sub_f32_e32 v56, v57, v56
	v_add_f32_e32 v57, v63, v65
	v_sub_f32_e32 v60, v57, v63
	v_ldexp_f32 v63, v61, 1
	v_mul_f32_e32 v61, v61, v62
	v_mul_f32_e32 v61, v61, v64
	v_add_f32_e32 v62, v63, v61
	v_sub_f32_e32 v63, v62, v63
	v_ldexp_f32 v56, v56, 1
	v_sub_f32_e32 v61, v61, v63
	v_add_f32_e32 v56, v56, v61
	v_add_f32_e32 v61, v62, v56
	v_sub_f32_e32 v62, v61, v62
	v_sub_f32_e32 v56, v56, v62
	v_add_f32_e32 v62, v57, v61
	v_sub_f32_e32 v63, v62, v57
	v_sub_f32_e32 v64, v62, v63
	;; [unrolled: 1-line block ×5, first 2 shown]
	v_add_f32_e32 v57, v61, v57
	v_add_f32_e32 v61, v60, v56
	v_sub_f32_e32 v63, v61, v60
	v_sub_f32_e32 v64, v61, v63
	;; [unrolled: 1-line block ×4, first 2 shown]
	v_add_f32_e32 v57, v61, v57
	v_add_f32_e32 v56, v56, v60
	;; [unrolled: 1-line block ×3, first 2 shown]
	v_sub_f32_e32 v61, v60, v62
	v_sub_f32_e32 v57, v57, v61
	v_add_f32_e32 v56, v56, v57
	v_add_f32_e32 v56, v60, v56
	v_cmp_neq_f32_e32 vcc, s4, v59
	s_mov_b32 s4, 0x33800000
	v_cndmask_b32_e32 v56, v58, v56, vcc
	v_cmp_lt_f32_e64 vcc, |v59|, s4
	v_cndmask_b32_e32 v56, v56, v59, vcc
	v_add_f32_e32 v56, v54, v56
.LBB497_129:
	s_or_b64 exec, exec, s[2:3]
	v_bfe_u32 v54, v56, 16, 1
	v_add3_u32 v54, v56, v54, s5
	v_cmp_o_f32_e32 vcc, v56, v56
	ds_read_u16 v56, v53 offset:4
	v_cndmask_b32_sdwa v54, v55, v54, vcc dst_sel:DWORD dst_unused:UNUSED_PAD src0_sel:DWORD src1_sel:WORD_1
	ds_write_b16 v53, v54 offset:2
	v_lshlrev_b32_e32 v55, 16, v54
	v_max_f32_e32 v57, v55, v55
	s_waitcnt lgkmcnt(1)
	v_lshlrev_b32_e32 v54, 16, v56
	v_max_f32_e32 v58, v54, v54
	v_min_f32_e32 v56, v57, v58
	v_cmp_u_f32_e32 vcc, v55, v55
	v_max_f32_e32 v57, v57, v58
	v_cndmask_b32_e32 v56, v56, v55, vcc
	v_cmp_u_f32_e64 s[2:3], v54, v54
	v_cndmask_b32_e32 v57, v57, v55, vcc
	v_cndmask_b32_e64 v56, v56, v54, s[2:3]
	v_cndmask_b32_e64 v54, v57, v54, s[2:3]
	s_movk_i32 s4, 0x1f8
	v_cmp_neq_f32_e32 vcc, v56, v54
	v_cmp_class_f32_e64 s[2:3], v56, s4
	s_or_b64 s[10:11], vcc, s[2:3]
	s_and_saveexec_b64 s[2:3], s[10:11]
	s_cbranch_execz .LBB497_131
; %bb.130:
	v_sub_f32_e32 v55, v56, v54
	s_mov_b32 s5, 0x3fb8aa3b
	v_mul_f32_e32 v56, 0x3fb8aa3b, v55
	v_fma_f32 v57, v55, s5, -v56
	v_rndne_f32_e32 v58, v56
	v_fmac_f32_e32 v57, 0x32a5705f, v55
	v_sub_f32_e32 v56, v56, v58
	v_add_f32_e32 v56, v56, v57
	v_exp_f32_e32 v56, v56
	v_cvt_i32_f32_e32 v57, v58
	s_mov_b32 s5, 0xc2ce8ed0
	v_cmp_ngt_f32_e32 vcc, s5, v55
	s_mov_b32 s5, 0x42b17218
	v_ldexp_f32 v56, v56, v57
	v_cndmask_b32_e32 v56, 0, v56, vcc
	v_mov_b32_e32 v57, 0x7f800000
	v_cmp_nlt_f32_e32 vcc, s5, v55
	v_cndmask_b32_e32 v58, v57, v56, vcc
	v_add_f32_e32 v59, 1.0, v58
	v_cvt_f64_f32_e32 v[55:56], v59
	v_add_f32_e32 v60, -1.0, v59
	v_sub_f32_e32 v61, v60, v59
	v_sub_f32_e32 v60, v58, v60
	v_frexp_exp_i32_f64_e32 v55, v[55:56]
	v_add_f32_e32 v56, 1.0, v61
	v_add_f32_e32 v56, v60, v56
	v_frexp_mant_f32_e32 v60, v59
	s_mov_b32 s10, 0x3f2aaaab
	v_cmp_gt_f32_e32 vcc, s10, v60
	s_mov_b32 s10, 0x3f317218
	s_mov_b32 s5, 0x7f800000
	v_subbrev_co_u32_e32 v55, vcc, 0, v55, vcc
	v_sub_u32_e32 v60, 0, v55
	v_ldexp_f32 v59, v59, v60
	v_ldexp_f32 v56, v56, v60
	v_add_f32_e32 v60, -1.0, v59
	v_add_f32_e32 v63, 1.0, v59
	v_add_f32_e32 v61, 1.0, v60
	v_add_f32_e32 v64, -1.0, v63
	v_sub_f32_e32 v61, v59, v61
	v_sub_f32_e32 v59, v59, v64
	v_add_f32_e32 v61, v56, v61
	v_add_f32_e32 v56, v56, v59
	;; [unrolled: 1-line block ×3, first 2 shown]
	v_rcp_f32_e32 v64, v59
	v_add_f32_e32 v62, v60, v61
	v_sub_f32_e32 v60, v60, v62
	v_add_f32_e32 v60, v61, v60
	v_sub_f32_e32 v61, v63, v59
	v_add_f32_e32 v56, v56, v61
	v_mul_f32_e32 v61, v62, v64
	v_mul_f32_e32 v63, v59, v61
	v_fma_f32 v65, v61, v59, -v63
	v_fmac_f32_e32 v65, v61, v56
	v_add_f32_e32 v66, v63, v65
	v_sub_f32_e32 v67, v62, v66
	v_sub_f32_e32 v62, v62, v67
	;; [unrolled: 1-line block ×4, first 2 shown]
	v_add_f32_e32 v60, v60, v62
	v_sub_f32_e32 v62, v63, v65
	v_add_f32_e32 v60, v62, v60
	v_add_f32_e32 v62, v67, v60
	v_mul_f32_e32 v63, v64, v62
	v_mul_f32_e32 v65, v59, v63
	v_fma_f32 v59, v63, v59, -v65
	v_fmac_f32_e32 v59, v63, v56
	v_sub_f32_e32 v56, v67, v62
	v_add_f32_e32 v56, v60, v56
	v_add_f32_e32 v60, v65, v59
	v_sub_f32_e32 v66, v62, v60
	v_sub_f32_e32 v62, v62, v66
	;; [unrolled: 1-line block ×4, first 2 shown]
	v_add_f32_e32 v56, v56, v60
	v_sub_f32_e32 v59, v65, v59
	v_add_f32_e32 v56, v59, v56
	v_add_f32_e32 v59, v61, v63
	;; [unrolled: 1-line block ×3, first 2 shown]
	v_sub_f32_e32 v60, v59, v61
	v_mul_f32_e32 v56, v64, v56
	v_sub_f32_e32 v60, v63, v60
	v_add_f32_e32 v56, v60, v56
	v_cvt_f32_i32_e32 v55, v55
	v_add_f32_e32 v60, v59, v56
	v_mul_f32_e32 v61, v60, v60
	v_mov_b32_e32 v62, 0x3ecc95a3
	v_fmac_f32_e32 v62, 0x3e9b6dac, v61
	v_mov_b32_e32 v63, 0x3f2aaada
	v_fmac_f32_e32 v63, v61, v62
	v_mul_f32_e32 v62, 0x3f317218, v55
	v_fma_f32 v64, v55, s10, -v62
	v_fmac_f32_e32 v64, 0xb102e308, v55
	v_sub_f32_e32 v55, v60, v59
	v_sub_f32_e32 v55, v56, v55
	v_add_f32_e32 v56, v62, v64
	v_sub_f32_e32 v59, v56, v62
	v_ldexp_f32 v62, v60, 1
	v_mul_f32_e32 v60, v60, v61
	v_mul_f32_e32 v60, v60, v63
	v_add_f32_e32 v61, v62, v60
	v_sub_f32_e32 v62, v61, v62
	v_ldexp_f32 v55, v55, 1
	v_sub_f32_e32 v60, v60, v62
	v_add_f32_e32 v55, v55, v60
	v_add_f32_e32 v60, v61, v55
	v_sub_f32_e32 v61, v60, v61
	v_sub_f32_e32 v55, v55, v61
	v_add_f32_e32 v61, v56, v60
	v_sub_f32_e32 v62, v61, v56
	v_sub_f32_e32 v63, v61, v62
	;; [unrolled: 1-line block ×5, first 2 shown]
	v_add_f32_e32 v56, v60, v56
	v_add_f32_e32 v60, v59, v55
	v_sub_f32_e32 v62, v60, v59
	v_sub_f32_e32 v63, v60, v62
	;; [unrolled: 1-line block ×4, first 2 shown]
	v_add_f32_e32 v56, v60, v56
	v_add_f32_e32 v55, v55, v59
	;; [unrolled: 1-line block ×3, first 2 shown]
	v_sub_f32_e32 v60, v59, v61
	v_sub_f32_e32 v56, v56, v60
	v_add_f32_e32 v55, v55, v56
	v_add_f32_e32 v55, v59, v55
	v_cmp_neq_f32_e32 vcc, s5, v58
	s_mov_b32 s5, 0x33800000
	v_cndmask_b32_e32 v55, v57, v55, vcc
	v_cmp_lt_f32_e64 vcc, |v58|, s5
	v_cndmask_b32_e32 v55, v55, v58, vcc
	v_add_f32_e32 v55, v54, v55
.LBB497_131:
	s_or_b64 exec, exec, s[2:3]
	v_bfe_u32 v54, v55, 16, 1
	s_movk_i32 s5, 0x7fff
	v_add3_u32 v56, v55, v54, s5
	v_cmp_o_f32_e32 vcc, v55, v55
	ds_read_u16 v55, v53 offset:6
	v_mov_b32_e32 v54, 0x7fc0
	v_cndmask_b32_sdwa v56, v54, v56, vcc dst_sel:DWORD dst_unused:UNUSED_PAD src0_sel:DWORD src1_sel:WORD_1
	ds_write_b16 v53, v56 offset:4
	v_lshlrev_b32_e32 v56, 16, v56
	s_waitcnt lgkmcnt(1)
	v_lshlrev_b32_e32 v55, 16, v55
	v_max_f32_e32 v58, v56, v56
	v_max_f32_e32 v59, v55, v55
	v_min_f32_e32 v57, v58, v59
	v_cmp_u_f32_e32 vcc, v56, v56
	v_max_f32_e32 v58, v58, v59
	v_cndmask_b32_e32 v57, v57, v56, vcc
	v_cmp_u_f32_e64 s[2:3], v55, v55
	v_cndmask_b32_e32 v58, v58, v56, vcc
	v_cndmask_b32_e64 v57, v57, v55, s[2:3]
	v_cndmask_b32_e64 v55, v58, v55, s[2:3]
	v_cmp_neq_f32_e32 vcc, v57, v55
	v_cmp_class_f32_e64 s[2:3], v57, s4
	s_or_b64 s[10:11], vcc, s[2:3]
	s_and_saveexec_b64 s[2:3], s[10:11]
	s_cbranch_execz .LBB497_133
; %bb.132:
	v_sub_f32_e32 v56, v57, v55
	s_mov_b32 s4, 0x3fb8aa3b
	v_mul_f32_e32 v57, 0x3fb8aa3b, v56
	v_fma_f32 v58, v56, s4, -v57
	v_rndne_f32_e32 v59, v57
	v_fmac_f32_e32 v58, 0x32a5705f, v56
	v_sub_f32_e32 v57, v57, v59
	v_add_f32_e32 v57, v57, v58
	v_exp_f32_e32 v57, v57
	v_cvt_i32_f32_e32 v58, v59
	s_mov_b32 s4, 0xc2ce8ed0
	v_cmp_ngt_f32_e32 vcc, s4, v56
	s_mov_b32 s4, 0x42b17218
	v_ldexp_f32 v57, v57, v58
	v_cndmask_b32_e32 v57, 0, v57, vcc
	v_mov_b32_e32 v58, 0x7f800000
	v_cmp_nlt_f32_e32 vcc, s4, v56
	v_cndmask_b32_e32 v59, v58, v57, vcc
	v_add_f32_e32 v60, 1.0, v59
	v_cvt_f64_f32_e32 v[56:57], v60
	v_add_f32_e32 v61, -1.0, v60
	v_sub_f32_e32 v62, v61, v60
	v_sub_f32_e32 v61, v59, v61
	v_frexp_exp_i32_f64_e32 v56, v[56:57]
	v_add_f32_e32 v57, 1.0, v62
	v_add_f32_e32 v57, v61, v57
	v_frexp_mant_f32_e32 v61, v60
	s_mov_b32 s10, 0x3f2aaaab
	v_cmp_gt_f32_e32 vcc, s10, v61
	s_mov_b32 s10, 0x3f317218
	s_mov_b32 s4, 0x7f800000
	v_subbrev_co_u32_e32 v56, vcc, 0, v56, vcc
	v_sub_u32_e32 v61, 0, v56
	v_ldexp_f32 v60, v60, v61
	v_ldexp_f32 v57, v57, v61
	v_add_f32_e32 v61, -1.0, v60
	v_add_f32_e32 v64, 1.0, v60
	v_add_f32_e32 v62, 1.0, v61
	v_add_f32_e32 v65, -1.0, v64
	v_sub_f32_e32 v62, v60, v62
	v_sub_f32_e32 v60, v60, v65
	v_add_f32_e32 v62, v57, v62
	v_add_f32_e32 v57, v57, v60
	;; [unrolled: 1-line block ×3, first 2 shown]
	v_rcp_f32_e32 v65, v60
	v_add_f32_e32 v63, v61, v62
	v_sub_f32_e32 v61, v61, v63
	v_add_f32_e32 v61, v62, v61
	v_sub_f32_e32 v62, v64, v60
	v_add_f32_e32 v57, v57, v62
	v_mul_f32_e32 v62, v63, v65
	v_mul_f32_e32 v64, v60, v62
	v_fma_f32 v66, v62, v60, -v64
	v_fmac_f32_e32 v66, v62, v57
	v_add_f32_e32 v67, v64, v66
	v_sub_f32_e32 v68, v63, v67
	v_sub_f32_e32 v63, v63, v68
	;; [unrolled: 1-line block ×4, first 2 shown]
	v_add_f32_e32 v61, v61, v63
	v_sub_f32_e32 v63, v64, v66
	v_add_f32_e32 v61, v63, v61
	v_add_f32_e32 v63, v68, v61
	v_mul_f32_e32 v64, v65, v63
	v_mul_f32_e32 v66, v60, v64
	v_fma_f32 v60, v64, v60, -v66
	v_fmac_f32_e32 v60, v64, v57
	v_sub_f32_e32 v57, v68, v63
	v_add_f32_e32 v57, v61, v57
	v_add_f32_e32 v61, v66, v60
	v_sub_f32_e32 v67, v63, v61
	v_sub_f32_e32 v63, v63, v67
	;; [unrolled: 1-line block ×4, first 2 shown]
	v_add_f32_e32 v57, v57, v61
	v_sub_f32_e32 v60, v66, v60
	v_add_f32_e32 v57, v60, v57
	v_add_f32_e32 v60, v62, v64
	;; [unrolled: 1-line block ×3, first 2 shown]
	v_sub_f32_e32 v61, v60, v62
	v_mul_f32_e32 v57, v65, v57
	v_sub_f32_e32 v61, v64, v61
	v_add_f32_e32 v57, v61, v57
	v_cvt_f32_i32_e32 v56, v56
	v_add_f32_e32 v61, v60, v57
	v_mul_f32_e32 v62, v61, v61
	v_mov_b32_e32 v63, 0x3ecc95a3
	v_fmac_f32_e32 v63, 0x3e9b6dac, v62
	v_mov_b32_e32 v64, 0x3f2aaada
	v_fmac_f32_e32 v64, v62, v63
	v_mul_f32_e32 v63, 0x3f317218, v56
	v_fma_f32 v65, v56, s10, -v63
	v_fmac_f32_e32 v65, 0xb102e308, v56
	v_sub_f32_e32 v56, v61, v60
	v_sub_f32_e32 v56, v57, v56
	v_add_f32_e32 v57, v63, v65
	v_sub_f32_e32 v60, v57, v63
	v_ldexp_f32 v63, v61, 1
	v_mul_f32_e32 v61, v61, v62
	v_mul_f32_e32 v61, v61, v64
	v_add_f32_e32 v62, v63, v61
	v_sub_f32_e32 v63, v62, v63
	v_ldexp_f32 v56, v56, 1
	v_sub_f32_e32 v61, v61, v63
	v_add_f32_e32 v56, v56, v61
	v_add_f32_e32 v61, v62, v56
	v_sub_f32_e32 v62, v61, v62
	v_sub_f32_e32 v56, v56, v62
	v_add_f32_e32 v62, v57, v61
	v_sub_f32_e32 v63, v62, v57
	v_sub_f32_e32 v64, v62, v63
	;; [unrolled: 1-line block ×5, first 2 shown]
	v_add_f32_e32 v57, v61, v57
	v_add_f32_e32 v61, v60, v56
	v_sub_f32_e32 v63, v61, v60
	v_sub_f32_e32 v64, v61, v63
	v_sub_f32_e32 v60, v60, v64
	v_sub_f32_e32 v56, v56, v63
	v_add_f32_e32 v57, v61, v57
	v_add_f32_e32 v56, v56, v60
	;; [unrolled: 1-line block ×3, first 2 shown]
	v_sub_f32_e32 v61, v60, v62
	v_sub_f32_e32 v57, v57, v61
	v_add_f32_e32 v56, v56, v57
	v_add_f32_e32 v56, v60, v56
	v_cmp_neq_f32_e32 vcc, s4, v59
	s_mov_b32 s4, 0x33800000
	v_cndmask_b32_e32 v56, v58, v56, vcc
	v_cmp_lt_f32_e64 vcc, |v59|, s4
	v_cndmask_b32_e32 v56, v56, v59, vcc
	v_add_f32_e32 v56, v55, v56
.LBB497_133:
	s_or_b64 exec, exec, s[2:3]
	v_bfe_u32 v55, v56, 16, 1
	v_add3_u32 v55, v56, v55, s5
	v_cmp_o_f32_e32 vcc, v56, v56
	v_cndmask_b32_sdwa v54, v54, v55, vcc dst_sel:DWORD dst_unused:UNUSED_PAD src0_sel:DWORD src1_sel:WORD_1
	ds_write_b16 v53, v54 offset:6
.LBB497_134:
	s_or_b64 exec, exec, s[8:9]
	v_mul_u32_u24_e32 v53, 46, v0
	v_cmp_ne_u32_e32 vcc, 0, v0
	s_waitcnt lgkmcnt(0)
	s_barrier
	s_and_saveexec_b64 s[2:3], vcc
	s_cbranch_execz .LBB497_138
; %bb.135:
	v_add_u32_e32 v0, -1, v0
	v_lshrrev_b32_e32 v1, 4, v0
	v_and_b32_e32 v1, 0xffffffe, v1
	v_lshl_add_u32 v0, v0, 1, v1
	ds_read_u16 v0, v0
	s_waitcnt lgkmcnt(0)
	v_lshlrev_b32_e32 v1, 16, v0
	v_max_f32_e32 v0, v1, v1
	v_min_f32_e32 v51, v0, v50
	v_max_f32_e32 v0, v0, v50
	v_cmp_u_f32_e32 vcc, v1, v1
	v_cndmask_b32_e32 v50, v51, v1, vcc
	v_cndmask_b32_e32 v0, v0, v1, vcc
	v_cndmask_b32_e64 v50, v50, v49, s[0:1]
	v_cndmask_b32_e64 v0, v0, v49, s[0:1]
	s_movk_i32 s0, 0x1f8
	v_cmp_neq_f32_e32 vcc, v50, v0
	v_cmp_class_f32_e64 s[0:1], v50, s0
	s_or_b64 s[4:5], vcc, s[0:1]
	s_and_saveexec_b64 s[0:1], s[4:5]
	s_cbranch_execz .LBB497_137
; %bb.136:
	v_sub_f32_e32 v1, v50, v0
	s_mov_b32 s4, 0x3fb8aa3b
	v_mul_f32_e32 v49, 0x3fb8aa3b, v1
	v_fma_f32 v50, v1, s4, -v49
	v_rndne_f32_e32 v51, v49
	v_fmac_f32_e32 v50, 0x32a5705f, v1
	v_sub_f32_e32 v49, v49, v51
	v_add_f32_e32 v49, v49, v50
	v_exp_f32_e32 v49, v49
	v_cvt_i32_f32_e32 v50, v51
	s_mov_b32 s4, 0xc2ce8ed0
	v_cmp_ngt_f32_e32 vcc, s4, v1
	s_mov_b32 s4, 0x42b17218
	v_ldexp_f32 v49, v49, v50
	v_cndmask_b32_e32 v49, 0, v49, vcc
	v_mov_b32_e32 v51, 0x7f800000
	v_cmp_nlt_f32_e32 vcc, s4, v1
	v_cndmask_b32_e32 v1, v51, v49, vcc
	v_add_f32_e32 v52, 1.0, v1
	v_cvt_f64_f32_e32 v[49:50], v52
	v_add_f32_e32 v54, -1.0, v52
	v_sub_f32_e32 v55, v54, v52
	v_sub_f32_e32 v54, v1, v54
	v_frexp_exp_i32_f64_e32 v49, v[49:50]
	v_add_f32_e32 v50, 1.0, v55
	v_add_f32_e32 v50, v54, v50
	v_frexp_mant_f32_e32 v54, v52
	s_mov_b32 s5, 0x3f2aaaab
	v_cmp_gt_f32_e32 vcc, s5, v54
	s_mov_b32 s5, 0x3f317218
	s_mov_b32 s4, 0x7f800000
	v_subbrev_co_u32_e32 v49, vcc, 0, v49, vcc
	v_sub_u32_e32 v54, 0, v49
	v_ldexp_f32 v52, v52, v54
	v_ldexp_f32 v50, v50, v54
	v_add_f32_e32 v54, -1.0, v52
	v_add_f32_e32 v57, 1.0, v52
	v_add_f32_e32 v55, 1.0, v54
	v_add_f32_e32 v58, -1.0, v57
	v_sub_f32_e32 v55, v52, v55
	v_sub_f32_e32 v52, v52, v58
	v_add_f32_e32 v55, v50, v55
	v_add_f32_e32 v50, v50, v52
	;; [unrolled: 1-line block ×3, first 2 shown]
	v_rcp_f32_e32 v58, v52
	v_add_f32_e32 v56, v54, v55
	v_sub_f32_e32 v54, v54, v56
	v_add_f32_e32 v54, v55, v54
	v_sub_f32_e32 v55, v57, v52
	v_add_f32_e32 v50, v50, v55
	v_mul_f32_e32 v55, v56, v58
	v_mul_f32_e32 v57, v52, v55
	v_fma_f32 v59, v55, v52, -v57
	v_fmac_f32_e32 v59, v55, v50
	v_add_f32_e32 v60, v57, v59
	v_sub_f32_e32 v61, v56, v60
	v_sub_f32_e32 v56, v56, v61
	;; [unrolled: 1-line block ×4, first 2 shown]
	v_add_f32_e32 v54, v54, v56
	v_sub_f32_e32 v56, v57, v59
	v_add_f32_e32 v54, v56, v54
	v_add_f32_e32 v56, v61, v54
	v_mul_f32_e32 v57, v58, v56
	v_mul_f32_e32 v59, v52, v57
	v_fma_f32 v52, v57, v52, -v59
	v_fmac_f32_e32 v52, v57, v50
	v_sub_f32_e32 v50, v61, v56
	v_add_f32_e32 v50, v54, v50
	v_add_f32_e32 v54, v59, v52
	v_sub_f32_e32 v60, v56, v54
	v_sub_f32_e32 v56, v56, v60
	;; [unrolled: 1-line block ×4, first 2 shown]
	v_add_f32_e32 v50, v50, v54
	v_sub_f32_e32 v52, v59, v52
	v_add_f32_e32 v50, v52, v50
	v_add_f32_e32 v52, v55, v57
	;; [unrolled: 1-line block ×3, first 2 shown]
	v_sub_f32_e32 v54, v52, v55
	v_mul_f32_e32 v50, v58, v50
	v_sub_f32_e32 v54, v57, v54
	v_add_f32_e32 v50, v54, v50
	v_cvt_f32_i32_e32 v49, v49
	v_add_f32_e32 v54, v52, v50
	v_mul_f32_e32 v55, v54, v54
	v_mov_b32_e32 v56, 0x3ecc95a3
	v_fmac_f32_e32 v56, 0x3e9b6dac, v55
	v_mov_b32_e32 v57, 0x3f2aaada
	v_fmac_f32_e32 v57, v55, v56
	v_mul_f32_e32 v56, 0x3f317218, v49
	v_fma_f32 v58, v49, s5, -v56
	v_fmac_f32_e32 v58, 0xb102e308, v49
	v_sub_f32_e32 v49, v54, v52
	v_sub_f32_e32 v49, v50, v49
	v_add_f32_e32 v50, v56, v58
	v_sub_f32_e32 v52, v50, v56
	v_ldexp_f32 v56, v54, 1
	v_mul_f32_e32 v54, v54, v55
	v_mul_f32_e32 v54, v54, v57
	v_add_f32_e32 v55, v56, v54
	v_sub_f32_e32 v56, v55, v56
	v_ldexp_f32 v49, v49, 1
	v_sub_f32_e32 v54, v54, v56
	v_add_f32_e32 v49, v49, v54
	v_add_f32_e32 v54, v55, v49
	v_sub_f32_e32 v55, v54, v55
	v_sub_f32_e32 v49, v49, v55
	v_add_f32_e32 v55, v50, v54
	v_sub_f32_e32 v56, v55, v50
	v_sub_f32_e32 v57, v55, v56
	;; [unrolled: 1-line block ×5, first 2 shown]
	v_add_f32_e32 v50, v54, v50
	v_add_f32_e32 v54, v52, v49
	v_sub_f32_e32 v56, v54, v52
	v_sub_f32_e32 v57, v54, v56
	;; [unrolled: 1-line block ×4, first 2 shown]
	v_add_f32_e32 v50, v54, v50
	v_add_f32_e32 v49, v49, v52
	;; [unrolled: 1-line block ×3, first 2 shown]
	v_sub_f32_e32 v54, v52, v55
	v_sub_f32_e32 v50, v50, v54
	v_add_f32_e32 v49, v49, v50
	v_add_f32_e32 v49, v52, v49
	v_cmp_neq_f32_e32 vcc, s4, v1
	s_mov_b32 s4, 0x33800000
	v_cndmask_b32_e32 v49, v51, v49, vcc
	v_cmp_lt_f32_e64 vcc, |v1|, s4
	v_cndmask_b32_e32 v1, v49, v1, vcc
	v_add_f32_e32 v1, v0, v1
.LBB497_137:
	s_or_b64 exec, exec, s[0:1]
	v_bfe_u32 v0, v1, 16, 1
	s_movk_i32 s0, 0x7fff
	v_add3_u32 v0, v1, v0, s0
	v_cmp_o_f32_e32 vcc, v1, v1
	v_mov_b32_e32 v1, 0x7fc0
	v_cndmask_b32_sdwa v1, v1, v0, vcc dst_sel:DWORD dst_unused:UNUSED_PAD src0_sel:DWORD src1_sel:WORD_1
	v_lshlrev_b32_e32 v49, 16, v1
	v_max_f32_e32 v0, v49, v49
	v_min_f32_e32 v51, v0, v22
	v_max_f32_e32 v52, v0, v22
	;;#ASMSTART
	;;#ASMEND
.LBB497_138:
	s_or_b64 exec, exec, s[2:3]
	v_cmp_u_f32_e32 vcc, v49, v49
	v_cndmask_b32_e32 v0, v51, v49, vcc
	v_cndmask_b32_e64 v22, v0, v14, s[50:51]
	v_cndmask_b32_e32 v0, v52, v49, vcc
	v_cndmask_b32_e64 v0, v0, v14, s[50:51]
	s_movk_i32 s2, 0x1f8
	v_cmp_neq_f32_e32 vcc, v22, v0
	v_cmp_class_f32_e64 s[0:1], v22, s2
	s_or_b64 s[4:5], vcc, s[0:1]
	s_and_saveexec_b64 s[0:1], s[4:5]
	s_cbranch_execz .LBB497_140
; %bb.139:
	v_sub_f32_e32 v14, v22, v0
	s_mov_b32 s3, 0x3fb8aa3b
	v_mul_f32_e32 v22, 0x3fb8aa3b, v14
	v_fma_f32 v49, v14, s3, -v22
	v_rndne_f32_e32 v50, v22
	v_fmac_f32_e32 v49, 0x32a5705f, v14
	v_sub_f32_e32 v22, v22, v50
	v_add_f32_e32 v22, v22, v49
	v_exp_f32_e32 v22, v22
	v_cvt_i32_f32_e32 v49, v50
	s_mov_b32 s3, 0xc2ce8ed0
	v_cmp_ngt_f32_e32 vcc, s3, v14
	s_mov_b32 s3, 0x42b17218
	v_ldexp_f32 v22, v22, v49
	v_cndmask_b32_e32 v22, 0, v22, vcc
	v_mov_b32_e32 v51, 0x7f800000
	v_cmp_nlt_f32_e32 vcc, s3, v14
	v_cndmask_b32_e32 v14, v51, v22, vcc
	v_add_f32_e32 v22, 1.0, v14
	v_cvt_f64_f32_e32 v[49:50], v22
	v_add_f32_e32 v52, -1.0, v22
	v_sub_f32_e32 v54, v52, v22
	v_sub_f32_e32 v52, v14, v52
	v_frexp_exp_i32_f64_e32 v49, v[49:50]
	v_add_f32_e32 v50, 1.0, v54
	v_add_f32_e32 v50, v52, v50
	v_frexp_mant_f32_e32 v52, v22
	s_mov_b32 s4, 0x3f2aaaab
	v_cmp_gt_f32_e32 vcc, s4, v52
	s_mov_b32 s4, 0x3f317218
	s_mov_b32 s3, 0x7f800000
	v_subbrev_co_u32_e32 v49, vcc, 0, v49, vcc
	v_sub_u32_e32 v52, 0, v49
	v_ldexp_f32 v22, v22, v52
	v_ldexp_f32 v50, v50, v52
	v_add_f32_e32 v52, -1.0, v22
	v_add_f32_e32 v56, 1.0, v22
	v_add_f32_e32 v54, 1.0, v52
	v_add_f32_e32 v57, -1.0, v56
	v_sub_f32_e32 v54, v22, v54
	v_sub_f32_e32 v22, v22, v57
	v_add_f32_e32 v22, v50, v22
	v_add_f32_e32 v54, v50, v54
	;; [unrolled: 1-line block ×3, first 2 shown]
	v_rcp_f32_e32 v57, v50
	v_add_f32_e32 v55, v52, v54
	v_sub_f32_e32 v52, v52, v55
	v_add_f32_e32 v52, v54, v52
	v_sub_f32_e32 v54, v56, v50
	v_add_f32_e32 v22, v22, v54
	v_mul_f32_e32 v54, v55, v57
	v_mul_f32_e32 v56, v50, v54
	v_fma_f32 v58, v54, v50, -v56
	v_fmac_f32_e32 v58, v54, v22
	v_add_f32_e32 v59, v56, v58
	v_sub_f32_e32 v60, v55, v59
	v_sub_f32_e32 v55, v55, v60
	v_sub_f32_e32 v56, v59, v56
	v_sub_f32_e32 v55, v55, v59
	v_add_f32_e32 v52, v52, v55
	v_sub_f32_e32 v55, v56, v58
	v_add_f32_e32 v52, v55, v52
	v_add_f32_e32 v55, v60, v52
	v_mul_f32_e32 v56, v57, v55
	v_mul_f32_e32 v58, v50, v56
	v_fma_f32 v50, v56, v50, -v58
	v_fmac_f32_e32 v50, v56, v22
	v_sub_f32_e32 v22, v60, v55
	v_add_f32_e32 v22, v52, v22
	v_add_f32_e32 v52, v58, v50
	v_sub_f32_e32 v59, v55, v52
	v_sub_f32_e32 v55, v55, v59
	;; [unrolled: 1-line block ×4, first 2 shown]
	v_add_f32_e32 v22, v22, v52
	v_sub_f32_e32 v50, v58, v50
	v_add_f32_e32 v22, v50, v22
	v_add_f32_e32 v50, v54, v56
	;; [unrolled: 1-line block ×3, first 2 shown]
	v_sub_f32_e32 v52, v50, v54
	v_mul_f32_e32 v22, v57, v22
	v_sub_f32_e32 v52, v56, v52
	v_add_f32_e32 v22, v52, v22
	v_cvt_f32_i32_e32 v49, v49
	v_add_f32_e32 v52, v50, v22
	v_mul_f32_e32 v54, v52, v52
	v_mov_b32_e32 v55, 0x3ecc95a3
	v_fmac_f32_e32 v55, 0x3e9b6dac, v54
	v_mov_b32_e32 v56, 0x3f2aaada
	v_fmac_f32_e32 v56, v54, v55
	v_mul_f32_e32 v55, 0x3f317218, v49
	v_fma_f32 v57, v49, s4, -v55
	v_fmac_f32_e32 v57, 0xb102e308, v49
	v_sub_f32_e32 v49, v52, v50
	v_sub_f32_e32 v22, v22, v49
	v_add_f32_e32 v49, v55, v57
	v_sub_f32_e32 v50, v49, v55
	v_ldexp_f32 v55, v52, 1
	v_mul_f32_e32 v52, v52, v54
	v_mul_f32_e32 v52, v52, v56
	v_add_f32_e32 v54, v55, v52
	v_sub_f32_e32 v55, v54, v55
	v_ldexp_f32 v22, v22, 1
	v_sub_f32_e32 v52, v52, v55
	v_add_f32_e32 v22, v22, v52
	v_add_f32_e32 v52, v54, v22
	v_sub_f32_e32 v54, v52, v54
	v_sub_f32_e32 v22, v22, v54
	v_add_f32_e32 v54, v49, v52
	v_sub_f32_e32 v55, v54, v49
	v_sub_f32_e32 v56, v54, v55
	;; [unrolled: 1-line block ×5, first 2 shown]
	v_add_f32_e32 v49, v52, v49
	v_add_f32_e32 v52, v50, v22
	v_sub_f32_e32 v55, v52, v50
	v_sub_f32_e32 v56, v52, v55
	;; [unrolled: 1-line block ×4, first 2 shown]
	v_add_f32_e32 v49, v52, v49
	v_add_f32_e32 v22, v22, v50
	;; [unrolled: 1-line block ×3, first 2 shown]
	v_sub_f32_e32 v52, v50, v54
	v_sub_f32_e32 v49, v49, v52
	v_add_f32_e32 v22, v22, v49
	v_add_f32_e32 v22, v50, v22
	v_cmp_neq_f32_e32 vcc, s3, v14
	s_mov_b32 s3, 0x33800000
	v_cndmask_b32_e32 v22, v51, v22, vcc
	v_cmp_lt_f32_e64 vcc, |v14|, s3
	v_cndmask_b32_e32 v14, v22, v14, vcc
	v_add_f32_e32 v49, v0, v14
.LBB497_140:
	s_or_b64 exec, exec, s[0:1]
	v_bfe_u32 v0, v49, 16, 1
	s_movk_i32 s3, 0x7fff
	v_add3_u32 v0, v49, v0, s3
	v_cmp_o_f32_e32 vcc, v49, v49
	v_mov_b32_e32 v14, 0x7fc0
	v_cndmask_b32_sdwa v0, v14, v0, vcc dst_sel:DWORD dst_unused:UNUSED_PAD src0_sel:DWORD src1_sel:WORD_1
	v_lshlrev_b32_e32 v22, 16, v0
	v_max_f32_e32 v50, v22, v22
	v_min_f32_e32 v49, v50, v16
	v_cmp_u_f32_e32 vcc, v22, v22
	v_max_f32_e32 v16, v50, v16
	v_cndmask_b32_e32 v49, v49, v22, vcc
	v_cndmask_b32_e32 v16, v16, v22, vcc
	v_cndmask_b32_e64 v49, v49, v15, s[52:53]
	v_cndmask_b32_e64 v15, v16, v15, s[52:53]
	v_cmp_neq_f32_e32 vcc, v49, v15
	v_cmp_class_f32_e64 s[0:1], v49, s2
	s_or_b64 s[4:5], vcc, s[0:1]
	s_and_saveexec_b64 s[0:1], s[4:5]
	s_cbranch_execz .LBB497_142
; %bb.141:
	v_sub_f32_e32 v16, v49, v15
	s_mov_b32 s2, 0x3fb8aa3b
	v_mul_f32_e32 v22, 0x3fb8aa3b, v16
	v_fma_f32 v49, v16, s2, -v22
	v_rndne_f32_e32 v50, v22
	v_fmac_f32_e32 v49, 0x32a5705f, v16
	v_sub_f32_e32 v22, v22, v50
	v_add_f32_e32 v22, v22, v49
	v_exp_f32_e32 v22, v22
	v_cvt_i32_f32_e32 v49, v50
	s_mov_b32 s2, 0xc2ce8ed0
	v_cmp_ngt_f32_e32 vcc, s2, v16
	s_mov_b32 s2, 0x42b17218
	v_ldexp_f32 v22, v22, v49
	v_cndmask_b32_e32 v22, 0, v22, vcc
	v_mov_b32_e32 v51, 0x7f800000
	v_cmp_nlt_f32_e32 vcc, s2, v16
	v_cndmask_b32_e32 v16, v51, v22, vcc
	v_add_f32_e32 v22, 1.0, v16
	v_cvt_f64_f32_e32 v[49:50], v22
	v_add_f32_e32 v52, -1.0, v22
	v_sub_f32_e32 v54, v52, v22
	v_sub_f32_e32 v52, v16, v52
	v_frexp_exp_i32_f64_e32 v49, v[49:50]
	v_add_f32_e32 v50, 1.0, v54
	v_add_f32_e32 v50, v52, v50
	v_frexp_mant_f32_e32 v52, v22
	s_mov_b32 s4, 0x3f2aaaab
	v_cmp_gt_f32_e32 vcc, s4, v52
	s_mov_b32 s4, 0x3f317218
	s_mov_b32 s2, 0x7f800000
	v_subbrev_co_u32_e32 v49, vcc, 0, v49, vcc
	v_sub_u32_e32 v52, 0, v49
	v_ldexp_f32 v22, v22, v52
	v_ldexp_f32 v50, v50, v52
	v_add_f32_e32 v52, -1.0, v22
	v_add_f32_e32 v56, 1.0, v22
	v_add_f32_e32 v54, 1.0, v52
	v_add_f32_e32 v57, -1.0, v56
	v_sub_f32_e32 v54, v22, v54
	v_sub_f32_e32 v22, v22, v57
	v_add_f32_e32 v22, v50, v22
	v_add_f32_e32 v54, v50, v54
	;; [unrolled: 1-line block ×3, first 2 shown]
	v_rcp_f32_e32 v57, v50
	v_add_f32_e32 v55, v52, v54
	v_sub_f32_e32 v52, v52, v55
	v_add_f32_e32 v52, v54, v52
	v_sub_f32_e32 v54, v56, v50
	v_add_f32_e32 v22, v22, v54
	v_mul_f32_e32 v54, v55, v57
	v_mul_f32_e32 v56, v50, v54
	v_fma_f32 v58, v54, v50, -v56
	v_fmac_f32_e32 v58, v54, v22
	v_add_f32_e32 v59, v56, v58
	v_sub_f32_e32 v60, v55, v59
	v_sub_f32_e32 v55, v55, v60
	v_sub_f32_e32 v56, v59, v56
	v_sub_f32_e32 v55, v55, v59
	v_add_f32_e32 v52, v52, v55
	v_sub_f32_e32 v55, v56, v58
	v_add_f32_e32 v52, v55, v52
	v_add_f32_e32 v55, v60, v52
	v_mul_f32_e32 v56, v57, v55
	v_mul_f32_e32 v58, v50, v56
	v_fma_f32 v50, v56, v50, -v58
	v_fmac_f32_e32 v50, v56, v22
	v_sub_f32_e32 v22, v60, v55
	v_add_f32_e32 v22, v52, v22
	v_add_f32_e32 v52, v58, v50
	v_sub_f32_e32 v59, v55, v52
	v_sub_f32_e32 v55, v55, v59
	;; [unrolled: 1-line block ×4, first 2 shown]
	v_add_f32_e32 v22, v22, v52
	v_sub_f32_e32 v50, v58, v50
	v_add_f32_e32 v22, v50, v22
	v_add_f32_e32 v50, v54, v56
	;; [unrolled: 1-line block ×3, first 2 shown]
	v_sub_f32_e32 v52, v50, v54
	v_mul_f32_e32 v22, v57, v22
	v_sub_f32_e32 v52, v56, v52
	v_add_f32_e32 v22, v52, v22
	v_cvt_f32_i32_e32 v49, v49
	v_add_f32_e32 v52, v50, v22
	v_mul_f32_e32 v54, v52, v52
	v_mov_b32_e32 v55, 0x3ecc95a3
	v_fmac_f32_e32 v55, 0x3e9b6dac, v54
	v_mov_b32_e32 v56, 0x3f2aaada
	v_fmac_f32_e32 v56, v54, v55
	v_mul_f32_e32 v55, 0x3f317218, v49
	v_fma_f32 v57, v49, s4, -v55
	v_fmac_f32_e32 v57, 0xb102e308, v49
	v_sub_f32_e32 v49, v52, v50
	v_sub_f32_e32 v22, v22, v49
	v_add_f32_e32 v49, v55, v57
	v_sub_f32_e32 v50, v49, v55
	v_ldexp_f32 v55, v52, 1
	v_mul_f32_e32 v52, v52, v54
	v_mul_f32_e32 v52, v52, v56
	v_add_f32_e32 v54, v55, v52
	v_sub_f32_e32 v55, v54, v55
	v_ldexp_f32 v22, v22, 1
	v_sub_f32_e32 v52, v52, v55
	v_add_f32_e32 v22, v22, v52
	v_add_f32_e32 v52, v54, v22
	v_sub_f32_e32 v54, v52, v54
	v_sub_f32_e32 v22, v22, v54
	v_add_f32_e32 v54, v49, v52
	v_sub_f32_e32 v55, v54, v49
	v_sub_f32_e32 v56, v54, v55
	;; [unrolled: 1-line block ×5, first 2 shown]
	v_add_f32_e32 v49, v52, v49
	v_add_f32_e32 v52, v50, v22
	v_sub_f32_e32 v55, v52, v50
	v_sub_f32_e32 v56, v52, v55
	;; [unrolled: 1-line block ×4, first 2 shown]
	v_add_f32_e32 v49, v52, v49
	v_add_f32_e32 v22, v22, v50
	;; [unrolled: 1-line block ×3, first 2 shown]
	v_sub_f32_e32 v52, v50, v54
	v_sub_f32_e32 v49, v49, v52
	v_add_f32_e32 v22, v22, v49
	v_add_f32_e32 v22, v50, v22
	v_cmp_neq_f32_e32 vcc, s2, v16
	s_mov_b32 s2, 0x33800000
	v_cndmask_b32_e32 v22, v51, v22, vcc
	v_cmp_lt_f32_e64 vcc, |v16|, s2
	v_cndmask_b32_e32 v16, v22, v16, vcc
	v_add_f32_e32 v22, v15, v16
.LBB497_142:
	s_or_b64 exec, exec, s[0:1]
	v_bfe_u32 v15, v22, 16, 1
	v_add3_u32 v15, v22, v15, s3
	v_cmp_o_f32_e32 vcc, v22, v22
	v_cndmask_b32_sdwa v14, v14, v15, vcc dst_sel:DWORD dst_unused:UNUSED_PAD src0_sel:DWORD src1_sel:WORD_1
	v_lshlrev_b32_e32 v15, 16, v14
	v_max_f32_e32 v22, v15, v15
	v_min_f32_e32 v16, v22, v18
	v_cmp_u_f32_e32 vcc, v15, v15
	v_max_f32_e32 v18, v22, v18
	v_cndmask_b32_e32 v16, v16, v15, vcc
	v_cndmask_b32_e32 v18, v18, v15, vcc
	v_cndmask_b32_e64 v16, v16, v2, s[54:55]
	v_cndmask_b32_e64 v2, v18, v2, s[54:55]
	s_movk_i32 s2, 0x1f8
	v_cmp_neq_f32_e32 vcc, v16, v2
	v_cmp_class_f32_e64 s[0:1], v16, s2
	s_or_b64 s[4:5], vcc, s[0:1]
	s_and_saveexec_b64 s[0:1], s[4:5]
	s_cbranch_execz .LBB497_144
; %bb.143:
	v_sub_f32_e32 v15, v16, v2
	s_mov_b32 s3, 0x3fb8aa3b
	v_mul_f32_e32 v16, 0x3fb8aa3b, v15
	v_fma_f32 v18, v15, s3, -v16
	v_rndne_f32_e32 v22, v16
	v_fmac_f32_e32 v18, 0x32a5705f, v15
	v_sub_f32_e32 v16, v16, v22
	v_add_f32_e32 v16, v16, v18
	v_exp_f32_e32 v16, v16
	v_cvt_i32_f32_e32 v18, v22
	s_mov_b32 s3, 0xc2ce8ed0
	v_cmp_ngt_f32_e32 vcc, s3, v15
	s_mov_b32 s3, 0x42b17218
	v_ldexp_f32 v16, v16, v18
	v_cndmask_b32_e32 v16, 0, v16, vcc
	v_mov_b32_e32 v18, 0x7f800000
	v_cmp_nlt_f32_e32 vcc, s3, v15
	v_cndmask_b32_e32 v22, v18, v16, vcc
	v_add_f32_e32 v49, 1.0, v22
	v_cvt_f64_f32_e32 v[15:16], v49
	v_add_f32_e32 v50, -1.0, v49
	v_sub_f32_e32 v51, v50, v49
	v_sub_f32_e32 v50, v22, v50
	v_frexp_exp_i32_f64_e32 v15, v[15:16]
	v_add_f32_e32 v16, 1.0, v51
	v_add_f32_e32 v16, v50, v16
	v_frexp_mant_f32_e32 v50, v49
	s_mov_b32 s4, 0x3f2aaaab
	v_cmp_gt_f32_e32 vcc, s4, v50
	s_mov_b32 s4, 0x3f317218
	s_mov_b32 s3, 0x7f800000
	v_subbrev_co_u32_e32 v15, vcc, 0, v15, vcc
	v_sub_u32_e32 v50, 0, v15
	v_ldexp_f32 v49, v49, v50
	v_ldexp_f32 v16, v16, v50
	v_add_f32_e32 v50, -1.0, v49
	v_add_f32_e32 v54, 1.0, v49
	v_add_f32_e32 v51, 1.0, v50
	v_add_f32_e32 v55, -1.0, v54
	v_sub_f32_e32 v51, v49, v51
	v_sub_f32_e32 v49, v49, v55
	v_add_f32_e32 v51, v16, v51
	v_add_f32_e32 v16, v16, v49
	;; [unrolled: 1-line block ×3, first 2 shown]
	v_rcp_f32_e32 v55, v49
	v_add_f32_e32 v52, v50, v51
	v_sub_f32_e32 v50, v50, v52
	v_add_f32_e32 v50, v51, v50
	v_sub_f32_e32 v51, v54, v49
	v_add_f32_e32 v16, v16, v51
	v_mul_f32_e32 v51, v52, v55
	v_mul_f32_e32 v54, v49, v51
	v_fma_f32 v56, v51, v49, -v54
	v_fmac_f32_e32 v56, v51, v16
	v_add_f32_e32 v57, v54, v56
	v_sub_f32_e32 v58, v52, v57
	v_sub_f32_e32 v52, v52, v58
	;; [unrolled: 1-line block ×4, first 2 shown]
	v_add_f32_e32 v50, v50, v52
	v_sub_f32_e32 v52, v54, v56
	v_add_f32_e32 v50, v52, v50
	v_add_f32_e32 v52, v58, v50
	v_mul_f32_e32 v54, v55, v52
	v_mul_f32_e32 v56, v49, v54
	v_fma_f32 v49, v54, v49, -v56
	v_fmac_f32_e32 v49, v54, v16
	v_sub_f32_e32 v16, v58, v52
	v_add_f32_e32 v16, v50, v16
	v_add_f32_e32 v50, v56, v49
	v_sub_f32_e32 v57, v52, v50
	v_sub_f32_e32 v52, v52, v57
	;; [unrolled: 1-line block ×4, first 2 shown]
	v_add_f32_e32 v16, v16, v50
	v_sub_f32_e32 v49, v56, v49
	v_add_f32_e32 v16, v49, v16
	v_add_f32_e32 v49, v51, v54
	;; [unrolled: 1-line block ×3, first 2 shown]
	v_sub_f32_e32 v50, v49, v51
	v_mul_f32_e32 v16, v55, v16
	v_sub_f32_e32 v50, v54, v50
	v_add_f32_e32 v16, v50, v16
	v_cvt_f32_i32_e32 v15, v15
	v_add_f32_e32 v50, v49, v16
	v_mul_f32_e32 v51, v50, v50
	v_mov_b32_e32 v52, 0x3ecc95a3
	v_fmac_f32_e32 v52, 0x3e9b6dac, v51
	v_mov_b32_e32 v54, 0x3f2aaada
	v_fmac_f32_e32 v54, v51, v52
	v_mul_f32_e32 v52, 0x3f317218, v15
	v_fma_f32 v55, v15, s4, -v52
	v_fmac_f32_e32 v55, 0xb102e308, v15
	v_sub_f32_e32 v15, v50, v49
	v_sub_f32_e32 v15, v16, v15
	v_add_f32_e32 v16, v52, v55
	v_sub_f32_e32 v49, v16, v52
	v_ldexp_f32 v52, v50, 1
	v_mul_f32_e32 v50, v50, v51
	v_mul_f32_e32 v50, v50, v54
	v_add_f32_e32 v51, v52, v50
	v_sub_f32_e32 v52, v51, v52
	v_ldexp_f32 v15, v15, 1
	v_sub_f32_e32 v50, v50, v52
	v_add_f32_e32 v15, v15, v50
	v_add_f32_e32 v50, v51, v15
	v_sub_f32_e32 v51, v50, v51
	v_sub_f32_e32 v15, v15, v51
	v_add_f32_e32 v51, v16, v50
	v_sub_f32_e32 v52, v51, v16
	v_sub_f32_e32 v54, v51, v52
	;; [unrolled: 1-line block ×5, first 2 shown]
	v_add_f32_e32 v16, v50, v16
	v_add_f32_e32 v50, v49, v15
	v_sub_f32_e32 v52, v50, v49
	v_sub_f32_e32 v54, v50, v52
	;; [unrolled: 1-line block ×4, first 2 shown]
	v_add_f32_e32 v16, v50, v16
	v_add_f32_e32 v15, v15, v49
	;; [unrolled: 1-line block ×3, first 2 shown]
	v_sub_f32_e32 v50, v49, v51
	v_sub_f32_e32 v16, v16, v50
	v_add_f32_e32 v15, v15, v16
	v_add_f32_e32 v15, v49, v15
	v_cmp_neq_f32_e32 vcc, s3, v22
	s_mov_b32 s3, 0x33800000
	v_cndmask_b32_e32 v15, v18, v15, vcc
	v_cmp_lt_f32_e64 vcc, |v22|, s3
	v_cndmask_b32_e32 v15, v15, v22, vcc
	v_add_f32_e32 v15, v2, v15
.LBB497_144:
	s_or_b64 exec, exec, s[0:1]
	v_bfe_u32 v2, v15, 16, 1
	s_movk_i32 s3, 0x7fff
	v_add3_u32 v2, v15, v2, s3
	v_cmp_o_f32_e32 vcc, v15, v15
	v_mov_b32_e32 v15, 0x7fc0
	v_cndmask_b32_sdwa v2, v15, v2, vcc dst_sel:DWORD dst_unused:UNUSED_PAD src0_sel:DWORD src1_sel:WORD_1
	v_lshlrev_b32_e32 v18, 16, v2
	v_max_f32_e32 v16, v18, v18
	v_min_f32_e32 v22, v16, v19
	v_cmp_u_f32_e32 vcc, v18, v18
	v_max_f32_e32 v16, v16, v19
	v_cndmask_b32_e32 v22, v22, v18, vcc
	v_cndmask_b32_e32 v16, v16, v18, vcc
	v_cndmask_b32_e64 v22, v22, v17, s[56:57]
	v_cndmask_b32_e64 v16, v16, v17, s[56:57]
	v_cmp_neq_f32_e32 vcc, v22, v16
	v_cmp_class_f32_e64 s[0:1], v22, s2
	s_or_b64 s[4:5], vcc, s[0:1]
	s_and_saveexec_b64 s[0:1], s[4:5]
	s_cbranch_execz .LBB497_146
; %bb.145:
	v_sub_f32_e32 v17, v22, v16
	s_mov_b32 s2, 0x3fb8aa3b
	v_mul_f32_e32 v18, 0x3fb8aa3b, v17
	v_fma_f32 v19, v17, s2, -v18
	v_rndne_f32_e32 v22, v18
	v_fmac_f32_e32 v19, 0x32a5705f, v17
	v_sub_f32_e32 v18, v18, v22
	v_add_f32_e32 v18, v18, v19
	v_exp_f32_e32 v18, v18
	v_cvt_i32_f32_e32 v19, v22
	s_mov_b32 s2, 0xc2ce8ed0
	v_cmp_ngt_f32_e32 vcc, s2, v17
	s_mov_b32 s2, 0x42b17218
	v_ldexp_f32 v18, v18, v19
	v_cndmask_b32_e32 v18, 0, v18, vcc
	v_mov_b32_e32 v19, 0x7f800000
	v_cmp_nlt_f32_e32 vcc, s2, v17
	v_cndmask_b32_e32 v22, v19, v18, vcc
	v_add_f32_e32 v49, 1.0, v22
	v_cvt_f64_f32_e32 v[17:18], v49
	v_add_f32_e32 v50, -1.0, v49
	v_sub_f32_e32 v51, v50, v49
	v_sub_f32_e32 v50, v22, v50
	v_frexp_exp_i32_f64_e32 v17, v[17:18]
	v_add_f32_e32 v18, 1.0, v51
	v_add_f32_e32 v18, v50, v18
	v_frexp_mant_f32_e32 v50, v49
	s_mov_b32 s4, 0x3f2aaaab
	v_cmp_gt_f32_e32 vcc, s4, v50
	s_mov_b32 s4, 0x3f317218
	s_mov_b32 s2, 0x7f800000
	v_subbrev_co_u32_e32 v17, vcc, 0, v17, vcc
	v_sub_u32_e32 v50, 0, v17
	v_ldexp_f32 v49, v49, v50
	v_ldexp_f32 v18, v18, v50
	v_add_f32_e32 v50, -1.0, v49
	v_add_f32_e32 v54, 1.0, v49
	v_add_f32_e32 v51, 1.0, v50
	v_add_f32_e32 v55, -1.0, v54
	v_sub_f32_e32 v51, v49, v51
	v_sub_f32_e32 v49, v49, v55
	v_add_f32_e32 v51, v18, v51
	v_add_f32_e32 v18, v18, v49
	;; [unrolled: 1-line block ×3, first 2 shown]
	v_rcp_f32_e32 v55, v49
	v_add_f32_e32 v52, v50, v51
	v_sub_f32_e32 v50, v50, v52
	v_add_f32_e32 v50, v51, v50
	v_sub_f32_e32 v51, v54, v49
	v_add_f32_e32 v18, v18, v51
	v_mul_f32_e32 v51, v52, v55
	v_mul_f32_e32 v54, v49, v51
	v_fma_f32 v56, v51, v49, -v54
	v_fmac_f32_e32 v56, v51, v18
	v_add_f32_e32 v57, v54, v56
	v_sub_f32_e32 v58, v52, v57
	v_sub_f32_e32 v52, v52, v58
	;; [unrolled: 1-line block ×4, first 2 shown]
	v_add_f32_e32 v50, v50, v52
	v_sub_f32_e32 v52, v54, v56
	v_add_f32_e32 v50, v52, v50
	v_add_f32_e32 v52, v58, v50
	v_mul_f32_e32 v54, v55, v52
	v_mul_f32_e32 v56, v49, v54
	v_fma_f32 v49, v54, v49, -v56
	v_fmac_f32_e32 v49, v54, v18
	v_sub_f32_e32 v18, v58, v52
	v_add_f32_e32 v18, v50, v18
	v_add_f32_e32 v50, v56, v49
	v_sub_f32_e32 v57, v52, v50
	v_sub_f32_e32 v52, v52, v57
	v_sub_f32_e32 v56, v50, v56
	v_sub_f32_e32 v50, v52, v50
	v_add_f32_e32 v18, v18, v50
	v_sub_f32_e32 v49, v56, v49
	v_add_f32_e32 v18, v49, v18
	v_add_f32_e32 v49, v51, v54
	v_add_f32_e32 v18, v57, v18
	v_sub_f32_e32 v50, v49, v51
	v_mul_f32_e32 v18, v55, v18
	v_sub_f32_e32 v50, v54, v50
	v_add_f32_e32 v18, v50, v18
	v_cvt_f32_i32_e32 v17, v17
	v_add_f32_e32 v50, v49, v18
	v_mul_f32_e32 v51, v50, v50
	v_mov_b32_e32 v52, 0x3ecc95a3
	v_fmac_f32_e32 v52, 0x3e9b6dac, v51
	v_mov_b32_e32 v54, 0x3f2aaada
	v_fmac_f32_e32 v54, v51, v52
	v_mul_f32_e32 v52, 0x3f317218, v17
	v_fma_f32 v55, v17, s4, -v52
	v_fmac_f32_e32 v55, 0xb102e308, v17
	v_sub_f32_e32 v17, v50, v49
	v_sub_f32_e32 v17, v18, v17
	v_add_f32_e32 v18, v52, v55
	v_sub_f32_e32 v49, v18, v52
	v_ldexp_f32 v52, v50, 1
	v_mul_f32_e32 v50, v50, v51
	v_mul_f32_e32 v50, v50, v54
	v_add_f32_e32 v51, v52, v50
	v_sub_f32_e32 v52, v51, v52
	v_ldexp_f32 v17, v17, 1
	v_sub_f32_e32 v50, v50, v52
	v_add_f32_e32 v17, v17, v50
	v_add_f32_e32 v50, v51, v17
	v_sub_f32_e32 v51, v50, v51
	v_sub_f32_e32 v17, v17, v51
	v_add_f32_e32 v51, v18, v50
	v_sub_f32_e32 v52, v51, v18
	v_sub_f32_e32 v54, v51, v52
	;; [unrolled: 1-line block ×5, first 2 shown]
	v_add_f32_e32 v18, v50, v18
	v_add_f32_e32 v50, v49, v17
	v_sub_f32_e32 v52, v50, v49
	v_sub_f32_e32 v54, v50, v52
	v_sub_f32_e32 v49, v49, v54
	v_sub_f32_e32 v17, v17, v52
	v_add_f32_e32 v18, v50, v18
	v_add_f32_e32 v17, v17, v49
	v_add_f32_e32 v49, v51, v18
	v_sub_f32_e32 v50, v49, v51
	v_sub_f32_e32 v18, v18, v50
	v_add_f32_e32 v17, v17, v18
	v_add_f32_e32 v17, v49, v17
	v_cmp_neq_f32_e32 vcc, s2, v22
	s_mov_b32 s2, 0x33800000
	v_cndmask_b32_e32 v17, v19, v17, vcc
	v_cmp_lt_f32_e64 vcc, |v22|, s2
	v_cndmask_b32_e32 v17, v17, v22, vcc
	v_add_f32_e32 v18, v16, v17
.LBB497_146:
	s_or_b64 exec, exec, s[0:1]
	v_bfe_u32 v16, v18, 16, 1
	v_add3_u32 v16, v18, v16, s3
	v_cmp_o_f32_e32 vcc, v18, v18
	v_cndmask_b32_sdwa v15, v15, v16, vcc dst_sel:DWORD dst_unused:UNUSED_PAD src0_sel:DWORD src1_sel:WORD_1
	v_lshlrev_b32_e32 v16, 16, v15
	v_max_f32_e32 v18, v16, v16
	v_min_f32_e32 v17, v18, v21
	v_cmp_u_f32_e32 vcc, v16, v16
	v_max_f32_e32 v18, v18, v21
	v_cndmask_b32_e32 v17, v17, v16, vcc
	v_cndmask_b32_e32 v18, v18, v16, vcc
	v_cndmask_b32_e64 v17, v17, v3, s[58:59]
	v_cndmask_b32_e64 v3, v18, v3, s[58:59]
	s_movk_i32 s2, 0x1f8
	v_cmp_neq_f32_e32 vcc, v17, v3
	v_cmp_class_f32_e64 s[0:1], v17, s2
	s_or_b64 s[4:5], vcc, s[0:1]
	s_and_saveexec_b64 s[0:1], s[4:5]
	s_cbranch_execz .LBB497_148
; %bb.147:
	v_sub_f32_e32 v16, v17, v3
	s_mov_b32 s3, 0x3fb8aa3b
	v_mul_f32_e32 v17, 0x3fb8aa3b, v16
	v_fma_f32 v18, v16, s3, -v17
	v_rndne_f32_e32 v19, v17
	v_fmac_f32_e32 v18, 0x32a5705f, v16
	v_sub_f32_e32 v17, v17, v19
	v_add_f32_e32 v17, v17, v18
	v_exp_f32_e32 v17, v17
	v_cvt_i32_f32_e32 v18, v19
	s_mov_b32 s3, 0xc2ce8ed0
	v_cmp_ngt_f32_e32 vcc, s3, v16
	s_mov_b32 s3, 0x42b17218
	v_ldexp_f32 v17, v17, v18
	v_cndmask_b32_e32 v17, 0, v17, vcc
	v_mov_b32_e32 v18, 0x7f800000
	v_cmp_nlt_f32_e32 vcc, s3, v16
	v_cndmask_b32_e32 v19, v18, v17, vcc
	v_add_f32_e32 v21, 1.0, v19
	v_cvt_f64_f32_e32 v[16:17], v21
	v_add_f32_e32 v22, -1.0, v21
	v_sub_f32_e32 v49, v22, v21
	v_sub_f32_e32 v22, v19, v22
	v_frexp_exp_i32_f64_e32 v16, v[16:17]
	v_add_f32_e32 v17, 1.0, v49
	v_add_f32_e32 v17, v22, v17
	v_frexp_mant_f32_e32 v22, v21
	s_mov_b32 s4, 0x3f2aaaab
	v_cmp_gt_f32_e32 vcc, s4, v22
	s_mov_b32 s4, 0x3f317218
	s_mov_b32 s3, 0x7f800000
	v_subbrev_co_u32_e32 v16, vcc, 0, v16, vcc
	v_sub_u32_e32 v22, 0, v16
	v_ldexp_f32 v21, v21, v22
	v_ldexp_f32 v17, v17, v22
	v_add_f32_e32 v22, -1.0, v21
	v_add_f32_e32 v51, 1.0, v21
	v_add_f32_e32 v49, 1.0, v22
	v_add_f32_e32 v52, -1.0, v51
	v_sub_f32_e32 v49, v21, v49
	v_sub_f32_e32 v21, v21, v52
	v_add_f32_e32 v49, v17, v49
	v_add_f32_e32 v17, v17, v21
	;; [unrolled: 1-line block ×3, first 2 shown]
	v_rcp_f32_e32 v52, v21
	v_add_f32_e32 v50, v22, v49
	v_sub_f32_e32 v22, v22, v50
	v_add_f32_e32 v22, v49, v22
	v_sub_f32_e32 v49, v51, v21
	v_add_f32_e32 v17, v17, v49
	v_mul_f32_e32 v49, v50, v52
	v_mul_f32_e32 v51, v21, v49
	v_fma_f32 v54, v49, v21, -v51
	v_fmac_f32_e32 v54, v49, v17
	v_add_f32_e32 v55, v51, v54
	v_sub_f32_e32 v56, v50, v55
	v_sub_f32_e32 v50, v50, v56
	;; [unrolled: 1-line block ×4, first 2 shown]
	v_add_f32_e32 v22, v22, v50
	v_sub_f32_e32 v50, v51, v54
	v_add_f32_e32 v22, v50, v22
	v_add_f32_e32 v50, v56, v22
	v_mul_f32_e32 v51, v52, v50
	v_mul_f32_e32 v54, v21, v51
	v_fma_f32 v21, v51, v21, -v54
	v_fmac_f32_e32 v21, v51, v17
	v_sub_f32_e32 v17, v56, v50
	v_add_f32_e32 v17, v22, v17
	v_add_f32_e32 v22, v54, v21
	v_sub_f32_e32 v55, v50, v22
	v_sub_f32_e32 v50, v50, v55
	;; [unrolled: 1-line block ×4, first 2 shown]
	v_add_f32_e32 v17, v17, v22
	v_sub_f32_e32 v21, v54, v21
	v_add_f32_e32 v17, v21, v17
	v_add_f32_e32 v21, v49, v51
	v_add_f32_e32 v17, v55, v17
	v_sub_f32_e32 v22, v21, v49
	v_mul_f32_e32 v17, v52, v17
	v_sub_f32_e32 v22, v51, v22
	v_add_f32_e32 v17, v22, v17
	v_cvt_f32_i32_e32 v16, v16
	v_add_f32_e32 v22, v21, v17
	v_mul_f32_e32 v49, v22, v22
	v_mov_b32_e32 v50, 0x3ecc95a3
	v_fmac_f32_e32 v50, 0x3e9b6dac, v49
	v_mov_b32_e32 v51, 0x3f2aaada
	v_fmac_f32_e32 v51, v49, v50
	v_mul_f32_e32 v50, 0x3f317218, v16
	v_fma_f32 v52, v16, s4, -v50
	v_fmac_f32_e32 v52, 0xb102e308, v16
	v_sub_f32_e32 v16, v22, v21
	v_sub_f32_e32 v16, v17, v16
	v_add_f32_e32 v17, v50, v52
	v_sub_f32_e32 v21, v17, v50
	v_ldexp_f32 v50, v22, 1
	v_mul_f32_e32 v22, v22, v49
	v_mul_f32_e32 v22, v22, v51
	v_add_f32_e32 v49, v50, v22
	v_sub_f32_e32 v50, v49, v50
	v_ldexp_f32 v16, v16, 1
	v_sub_f32_e32 v22, v22, v50
	v_add_f32_e32 v16, v16, v22
	v_add_f32_e32 v22, v49, v16
	v_sub_f32_e32 v49, v22, v49
	v_sub_f32_e32 v16, v16, v49
	v_add_f32_e32 v49, v17, v22
	v_sub_f32_e32 v50, v49, v17
	v_sub_f32_e32 v51, v49, v50
	;; [unrolled: 1-line block ×5, first 2 shown]
	v_add_f32_e32 v17, v22, v17
	v_add_f32_e32 v22, v21, v16
	v_sub_f32_e32 v50, v22, v21
	v_sub_f32_e32 v51, v22, v50
	;; [unrolled: 1-line block ×4, first 2 shown]
	v_add_f32_e32 v17, v22, v17
	v_add_f32_e32 v16, v16, v21
	;; [unrolled: 1-line block ×3, first 2 shown]
	v_sub_f32_e32 v22, v21, v49
	v_sub_f32_e32 v17, v17, v22
	v_add_f32_e32 v16, v16, v17
	v_add_f32_e32 v16, v21, v16
	v_cmp_neq_f32_e32 vcc, s3, v19
	s_mov_b32 s3, 0x33800000
	v_cndmask_b32_e32 v16, v18, v16, vcc
	v_cmp_lt_f32_e64 vcc, |v19|, s3
	v_cndmask_b32_e32 v16, v16, v19, vcc
	v_add_f32_e32 v16, v3, v16
.LBB497_148:
	s_or_b64 exec, exec, s[0:1]
	v_bfe_u32 v3, v16, 16, 1
	s_movk_i32 s3, 0x7fff
	v_add3_u32 v3, v16, v3, s3
	v_cmp_o_f32_e32 vcc, v16, v16
	v_mov_b32_e32 v16, 0x7fc0
	v_cndmask_b32_sdwa v3, v16, v3, vcc dst_sel:DWORD dst_unused:UNUSED_PAD src0_sel:DWORD src1_sel:WORD_1
	v_lshlrev_b32_e32 v18, 16, v3
	v_max_f32_e32 v17, v18, v18
	v_min_f32_e32 v19, v17, v23
	v_cmp_u_f32_e32 vcc, v18, v18
	v_max_f32_e32 v17, v17, v23
	v_cndmask_b32_e32 v19, v19, v18, vcc
	v_cndmask_b32_e32 v17, v17, v18, vcc
	v_cndmask_b32_e64 v19, v19, v20, s[60:61]
	v_cndmask_b32_e64 v17, v17, v20, s[60:61]
	v_cmp_neq_f32_e32 vcc, v19, v17
	v_cmp_class_f32_e64 s[0:1], v19, s2
	s_or_b64 s[4:5], vcc, s[0:1]
	s_and_saveexec_b64 s[0:1], s[4:5]
	s_cbranch_execz .LBB497_150
; %bb.149:
	v_sub_f32_e32 v18, v19, v17
	s_mov_b32 s2, 0x3fb8aa3b
	v_mul_f32_e32 v19, 0x3fb8aa3b, v18
	v_fma_f32 v20, v18, s2, -v19
	v_rndne_f32_e32 v21, v19
	v_fmac_f32_e32 v20, 0x32a5705f, v18
	v_sub_f32_e32 v19, v19, v21
	v_add_f32_e32 v19, v19, v20
	v_exp_f32_e32 v19, v19
	v_cvt_i32_f32_e32 v20, v21
	s_mov_b32 s2, 0xc2ce8ed0
	v_cmp_ngt_f32_e32 vcc, s2, v18
	s_mov_b32 s2, 0x42b17218
	v_ldexp_f32 v19, v19, v20
	v_cndmask_b32_e32 v19, 0, v19, vcc
	v_mov_b32_e32 v20, 0x7f800000
	v_cmp_nlt_f32_e32 vcc, s2, v18
	v_cndmask_b32_e32 v21, v20, v19, vcc
	v_add_f32_e32 v22, 1.0, v21
	v_cvt_f64_f32_e32 v[18:19], v22
	v_add_f32_e32 v23, -1.0, v22
	v_sub_f32_e32 v49, v23, v22
	v_sub_f32_e32 v23, v21, v23
	v_frexp_exp_i32_f64_e32 v18, v[18:19]
	v_add_f32_e32 v19, 1.0, v49
	v_add_f32_e32 v19, v23, v19
	v_frexp_mant_f32_e32 v23, v22
	s_mov_b32 s4, 0x3f2aaaab
	v_cmp_gt_f32_e32 vcc, s4, v23
	s_mov_b32 s4, 0x3f317218
	s_mov_b32 s2, 0x7f800000
	v_subbrev_co_u32_e32 v18, vcc, 0, v18, vcc
	v_sub_u32_e32 v23, 0, v18
	v_ldexp_f32 v22, v22, v23
	v_ldexp_f32 v19, v19, v23
	v_add_f32_e32 v23, -1.0, v22
	v_add_f32_e32 v51, 1.0, v22
	v_add_f32_e32 v49, 1.0, v23
	v_add_f32_e32 v52, -1.0, v51
	v_sub_f32_e32 v49, v22, v49
	v_sub_f32_e32 v22, v22, v52
	v_add_f32_e32 v49, v19, v49
	v_add_f32_e32 v19, v19, v22
	;; [unrolled: 1-line block ×3, first 2 shown]
	v_rcp_f32_e32 v52, v22
	v_add_f32_e32 v50, v23, v49
	v_sub_f32_e32 v23, v23, v50
	v_add_f32_e32 v23, v49, v23
	v_sub_f32_e32 v49, v51, v22
	v_add_f32_e32 v19, v19, v49
	v_mul_f32_e32 v49, v50, v52
	v_mul_f32_e32 v51, v22, v49
	v_fma_f32 v54, v49, v22, -v51
	v_fmac_f32_e32 v54, v49, v19
	v_add_f32_e32 v55, v51, v54
	v_sub_f32_e32 v56, v50, v55
	v_sub_f32_e32 v50, v50, v56
	;; [unrolled: 1-line block ×4, first 2 shown]
	v_add_f32_e32 v23, v23, v50
	v_sub_f32_e32 v50, v51, v54
	v_add_f32_e32 v23, v50, v23
	v_add_f32_e32 v50, v56, v23
	v_mul_f32_e32 v51, v52, v50
	v_mul_f32_e32 v54, v22, v51
	v_fma_f32 v22, v51, v22, -v54
	v_fmac_f32_e32 v22, v51, v19
	v_sub_f32_e32 v19, v56, v50
	v_add_f32_e32 v19, v23, v19
	v_add_f32_e32 v23, v54, v22
	v_sub_f32_e32 v55, v50, v23
	v_sub_f32_e32 v50, v50, v55
	;; [unrolled: 1-line block ×4, first 2 shown]
	v_add_f32_e32 v19, v19, v23
	v_sub_f32_e32 v22, v54, v22
	v_add_f32_e32 v19, v22, v19
	v_add_f32_e32 v22, v49, v51
	;; [unrolled: 1-line block ×3, first 2 shown]
	v_sub_f32_e32 v23, v22, v49
	v_mul_f32_e32 v19, v52, v19
	v_sub_f32_e32 v23, v51, v23
	v_add_f32_e32 v19, v23, v19
	v_cvt_f32_i32_e32 v18, v18
	v_add_f32_e32 v23, v22, v19
	v_mul_f32_e32 v49, v23, v23
	v_mov_b32_e32 v50, 0x3ecc95a3
	v_fmac_f32_e32 v50, 0x3e9b6dac, v49
	v_mov_b32_e32 v51, 0x3f2aaada
	v_fmac_f32_e32 v51, v49, v50
	v_mul_f32_e32 v50, 0x3f317218, v18
	v_fma_f32 v52, v18, s4, -v50
	v_fmac_f32_e32 v52, 0xb102e308, v18
	v_sub_f32_e32 v18, v23, v22
	v_sub_f32_e32 v18, v19, v18
	v_add_f32_e32 v19, v50, v52
	v_sub_f32_e32 v22, v19, v50
	v_ldexp_f32 v50, v23, 1
	v_mul_f32_e32 v23, v23, v49
	v_mul_f32_e32 v23, v23, v51
	v_add_f32_e32 v49, v50, v23
	v_sub_f32_e32 v50, v49, v50
	v_ldexp_f32 v18, v18, 1
	v_sub_f32_e32 v23, v23, v50
	v_add_f32_e32 v18, v18, v23
	v_add_f32_e32 v23, v49, v18
	v_sub_f32_e32 v49, v23, v49
	v_sub_f32_e32 v18, v18, v49
	v_add_f32_e32 v49, v19, v23
	v_sub_f32_e32 v50, v49, v19
	v_sub_f32_e32 v51, v49, v50
	;; [unrolled: 1-line block ×5, first 2 shown]
	v_add_f32_e32 v19, v23, v19
	v_add_f32_e32 v23, v22, v18
	v_sub_f32_e32 v50, v23, v22
	v_sub_f32_e32 v51, v23, v50
	;; [unrolled: 1-line block ×4, first 2 shown]
	v_add_f32_e32 v19, v23, v19
	v_add_f32_e32 v18, v18, v22
	;; [unrolled: 1-line block ×3, first 2 shown]
	v_sub_f32_e32 v23, v22, v49
	v_sub_f32_e32 v19, v19, v23
	v_add_f32_e32 v18, v18, v19
	v_add_f32_e32 v18, v22, v18
	v_cmp_neq_f32_e32 vcc, s2, v21
	s_mov_b32 s2, 0x33800000
	v_cndmask_b32_e32 v18, v20, v18, vcc
	v_cmp_lt_f32_e64 vcc, |v21|, s2
	v_cndmask_b32_e32 v18, v18, v21, vcc
	v_add_f32_e32 v18, v17, v18
.LBB497_150:
	s_or_b64 exec, exec, s[0:1]
	v_bfe_u32 v17, v18, 16, 1
	v_add3_u32 v17, v18, v17, s3
	v_cmp_o_f32_e32 vcc, v18, v18
	v_cndmask_b32_sdwa v16, v16, v17, vcc dst_sel:DWORD dst_unused:UNUSED_PAD src0_sel:DWORD src1_sel:WORD_1
	v_lshlrev_b32_e32 v17, 16, v16
	v_max_f32_e32 v19, v17, v17
	v_min_f32_e32 v18, v19, v25
	v_cmp_u_f32_e32 vcc, v17, v17
	v_max_f32_e32 v19, v19, v25
	v_cndmask_b32_e32 v18, v18, v17, vcc
	v_cndmask_b32_e32 v19, v19, v17, vcc
	v_cndmask_b32_e64 v18, v18, v4, s[62:63]
	v_cndmask_b32_e64 v4, v19, v4, s[62:63]
	s_movk_i32 s2, 0x1f8
	v_cmp_neq_f32_e32 vcc, v18, v4
	v_cmp_class_f32_e64 s[0:1], v18, s2
	s_or_b64 s[4:5], vcc, s[0:1]
	s_and_saveexec_b64 s[0:1], s[4:5]
	s_cbranch_execz .LBB497_152
; %bb.151:
	v_sub_f32_e32 v17, v18, v4
	s_mov_b32 s3, 0x3fb8aa3b
	v_mul_f32_e32 v18, 0x3fb8aa3b, v17
	v_fma_f32 v19, v17, s3, -v18
	v_rndne_f32_e32 v20, v18
	v_fmac_f32_e32 v19, 0x32a5705f, v17
	v_sub_f32_e32 v18, v18, v20
	v_add_f32_e32 v18, v18, v19
	v_exp_f32_e32 v18, v18
	v_cvt_i32_f32_e32 v19, v20
	s_mov_b32 s3, 0xc2ce8ed0
	v_cmp_ngt_f32_e32 vcc, s3, v17
	s_mov_b32 s3, 0x42b17218
	v_ldexp_f32 v18, v18, v19
	v_cndmask_b32_e32 v18, 0, v18, vcc
	v_mov_b32_e32 v19, 0x7f800000
	v_cmp_nlt_f32_e32 vcc, s3, v17
	v_cndmask_b32_e32 v20, v19, v18, vcc
	v_add_f32_e32 v21, 1.0, v20
	v_cvt_f64_f32_e32 v[17:18], v21
	v_add_f32_e32 v22, -1.0, v21
	v_sub_f32_e32 v23, v22, v21
	v_sub_f32_e32 v22, v20, v22
	v_frexp_exp_i32_f64_e32 v17, v[17:18]
	v_add_f32_e32 v18, 1.0, v23
	v_add_f32_e32 v18, v22, v18
	v_frexp_mant_f32_e32 v22, v21
	s_mov_b32 s4, 0x3f2aaaab
	v_cmp_gt_f32_e32 vcc, s4, v22
	s_mov_b32 s4, 0x3f317218
	s_mov_b32 s3, 0x7f800000
	v_subbrev_co_u32_e32 v17, vcc, 0, v17, vcc
	v_sub_u32_e32 v22, 0, v17
	v_ldexp_f32 v21, v21, v22
	v_ldexp_f32 v18, v18, v22
	v_add_f32_e32 v22, -1.0, v21
	v_add_f32_e32 v49, 1.0, v21
	v_add_f32_e32 v23, 1.0, v22
	v_add_f32_e32 v50, -1.0, v49
	v_sub_f32_e32 v23, v21, v23
	v_sub_f32_e32 v21, v21, v50
	v_add_f32_e32 v23, v18, v23
	v_add_f32_e32 v18, v18, v21
	;; [unrolled: 1-line block ×3, first 2 shown]
	v_rcp_f32_e32 v50, v21
	v_add_f32_e32 v25, v22, v23
	v_sub_f32_e32 v22, v22, v25
	v_add_f32_e32 v22, v23, v22
	v_sub_f32_e32 v23, v49, v21
	v_add_f32_e32 v18, v18, v23
	v_mul_f32_e32 v23, v25, v50
	v_mul_f32_e32 v49, v21, v23
	v_fma_f32 v51, v23, v21, -v49
	v_fmac_f32_e32 v51, v23, v18
	v_add_f32_e32 v52, v49, v51
	v_sub_f32_e32 v54, v25, v52
	v_sub_f32_e32 v25, v25, v54
	;; [unrolled: 1-line block ×4, first 2 shown]
	v_add_f32_e32 v22, v22, v25
	v_sub_f32_e32 v25, v49, v51
	v_add_f32_e32 v22, v25, v22
	v_add_f32_e32 v25, v54, v22
	v_mul_f32_e32 v49, v50, v25
	v_mul_f32_e32 v51, v21, v49
	v_fma_f32 v21, v49, v21, -v51
	v_fmac_f32_e32 v21, v49, v18
	v_sub_f32_e32 v18, v54, v25
	v_add_f32_e32 v18, v22, v18
	v_add_f32_e32 v22, v51, v21
	v_sub_f32_e32 v52, v25, v22
	v_sub_f32_e32 v25, v25, v52
	;; [unrolled: 1-line block ×4, first 2 shown]
	v_add_f32_e32 v18, v18, v22
	v_sub_f32_e32 v21, v51, v21
	v_add_f32_e32 v18, v21, v18
	v_add_f32_e32 v21, v23, v49
	;; [unrolled: 1-line block ×3, first 2 shown]
	v_sub_f32_e32 v22, v21, v23
	v_mul_f32_e32 v18, v50, v18
	v_sub_f32_e32 v22, v49, v22
	v_add_f32_e32 v18, v22, v18
	v_cvt_f32_i32_e32 v17, v17
	v_add_f32_e32 v22, v21, v18
	v_mul_f32_e32 v23, v22, v22
	v_mov_b32_e32 v25, 0x3ecc95a3
	v_fmac_f32_e32 v25, 0x3e9b6dac, v23
	v_mov_b32_e32 v49, 0x3f2aaada
	v_fmac_f32_e32 v49, v23, v25
	v_mul_f32_e32 v25, 0x3f317218, v17
	v_fma_f32 v50, v17, s4, -v25
	v_fmac_f32_e32 v50, 0xb102e308, v17
	v_sub_f32_e32 v17, v22, v21
	v_sub_f32_e32 v17, v18, v17
	v_add_f32_e32 v18, v25, v50
	v_sub_f32_e32 v21, v18, v25
	v_ldexp_f32 v25, v22, 1
	v_mul_f32_e32 v22, v22, v23
	v_mul_f32_e32 v22, v22, v49
	v_add_f32_e32 v23, v25, v22
	v_sub_f32_e32 v25, v23, v25
	v_ldexp_f32 v17, v17, 1
	v_sub_f32_e32 v22, v22, v25
	v_add_f32_e32 v17, v17, v22
	v_add_f32_e32 v22, v23, v17
	v_sub_f32_e32 v23, v22, v23
	v_sub_f32_e32 v17, v17, v23
	v_add_f32_e32 v23, v18, v22
	v_sub_f32_e32 v25, v23, v18
	v_sub_f32_e32 v49, v23, v25
	;; [unrolled: 1-line block ×5, first 2 shown]
	v_add_f32_e32 v18, v22, v18
	v_add_f32_e32 v22, v21, v17
	v_sub_f32_e32 v25, v22, v21
	v_sub_f32_e32 v49, v22, v25
	;; [unrolled: 1-line block ×4, first 2 shown]
	v_add_f32_e32 v18, v22, v18
	v_add_f32_e32 v17, v17, v21
	;; [unrolled: 1-line block ×3, first 2 shown]
	v_sub_f32_e32 v22, v21, v23
	v_sub_f32_e32 v18, v18, v22
	v_add_f32_e32 v17, v17, v18
	v_add_f32_e32 v17, v21, v17
	v_cmp_neq_f32_e32 vcc, s3, v20
	s_mov_b32 s3, 0x33800000
	v_cndmask_b32_e32 v17, v19, v17, vcc
	v_cmp_lt_f32_e64 vcc, |v20|, s3
	v_cndmask_b32_e32 v17, v17, v20, vcc
	v_add_f32_e32 v17, v4, v17
.LBB497_152:
	s_or_b64 exec, exec, s[0:1]
	v_bfe_u32 v4, v17, 16, 1
	s_movk_i32 s3, 0x7fff
	v_add3_u32 v4, v17, v4, s3
	v_cmp_o_f32_e32 vcc, v17, v17
	v_mov_b32_e32 v17, 0x7fc0
	v_cndmask_b32_sdwa v4, v17, v4, vcc dst_sel:DWORD dst_unused:UNUSED_PAD src0_sel:DWORD src1_sel:WORD_1
	v_lshlrev_b32_e32 v19, 16, v4
	v_max_f32_e32 v18, v19, v19
	v_min_f32_e32 v20, v18, v26
	v_cmp_u_f32_e32 vcc, v19, v19
	v_max_f32_e32 v18, v18, v26
	v_cndmask_b32_e32 v20, v20, v19, vcc
	v_cndmask_b32_e32 v18, v18, v19, vcc
	v_cndmask_b32_e64 v20, v20, v24, s[64:65]
	v_cndmask_b32_e64 v18, v18, v24, s[64:65]
	v_cmp_neq_f32_e32 vcc, v20, v18
	v_cmp_class_f32_e64 s[0:1], v20, s2
	s_or_b64 s[4:5], vcc, s[0:1]
	s_and_saveexec_b64 s[0:1], s[4:5]
	s_cbranch_execz .LBB497_154
; %bb.153:
	v_sub_f32_e32 v19, v20, v18
	s_mov_b32 s2, 0x3fb8aa3b
	v_mul_f32_e32 v20, 0x3fb8aa3b, v19
	v_fma_f32 v21, v19, s2, -v20
	v_rndne_f32_e32 v22, v20
	v_fmac_f32_e32 v21, 0x32a5705f, v19
	v_sub_f32_e32 v20, v20, v22
	v_add_f32_e32 v20, v20, v21
	v_exp_f32_e32 v20, v20
	v_cvt_i32_f32_e32 v21, v22
	s_mov_b32 s2, 0xc2ce8ed0
	v_cmp_ngt_f32_e32 vcc, s2, v19
	s_mov_b32 s2, 0x42b17218
	v_ldexp_f32 v20, v20, v21
	v_cndmask_b32_e32 v20, 0, v20, vcc
	v_mov_b32_e32 v21, 0x7f800000
	v_cmp_nlt_f32_e32 vcc, s2, v19
	v_cndmask_b32_e32 v22, v21, v20, vcc
	v_add_f32_e32 v23, 1.0, v22
	v_cvt_f64_f32_e32 v[19:20], v23
	v_add_f32_e32 v24, -1.0, v23
	v_sub_f32_e32 v25, v24, v23
	v_sub_f32_e32 v24, v22, v24
	v_frexp_exp_i32_f64_e32 v19, v[19:20]
	v_add_f32_e32 v20, 1.0, v25
	v_add_f32_e32 v20, v24, v20
	v_frexp_mant_f32_e32 v24, v23
	s_mov_b32 s4, 0x3f2aaaab
	v_cmp_gt_f32_e32 vcc, s4, v24
	s_mov_b32 s4, 0x3f317218
	s_mov_b32 s2, 0x7f800000
	v_subbrev_co_u32_e32 v19, vcc, 0, v19, vcc
	v_sub_u32_e32 v24, 0, v19
	v_ldexp_f32 v23, v23, v24
	v_ldexp_f32 v20, v20, v24
	v_add_f32_e32 v24, -1.0, v23
	v_add_f32_e32 v49, 1.0, v23
	v_add_f32_e32 v25, 1.0, v24
	v_add_f32_e32 v50, -1.0, v49
	v_sub_f32_e32 v25, v23, v25
	v_sub_f32_e32 v23, v23, v50
	v_add_f32_e32 v25, v20, v25
	v_add_f32_e32 v20, v20, v23
	;; [unrolled: 1-line block ×3, first 2 shown]
	v_rcp_f32_e32 v50, v23
	v_add_f32_e32 v26, v24, v25
	v_sub_f32_e32 v24, v24, v26
	v_add_f32_e32 v24, v25, v24
	v_sub_f32_e32 v25, v49, v23
	v_add_f32_e32 v20, v20, v25
	v_mul_f32_e32 v25, v26, v50
	v_mul_f32_e32 v49, v23, v25
	v_fma_f32 v51, v25, v23, -v49
	v_fmac_f32_e32 v51, v25, v20
	v_add_f32_e32 v52, v49, v51
	v_sub_f32_e32 v54, v26, v52
	v_sub_f32_e32 v26, v26, v54
	;; [unrolled: 1-line block ×4, first 2 shown]
	v_add_f32_e32 v24, v24, v26
	v_sub_f32_e32 v26, v49, v51
	v_add_f32_e32 v24, v26, v24
	v_add_f32_e32 v26, v54, v24
	v_mul_f32_e32 v49, v50, v26
	v_mul_f32_e32 v51, v23, v49
	v_fma_f32 v23, v49, v23, -v51
	v_fmac_f32_e32 v23, v49, v20
	v_sub_f32_e32 v20, v54, v26
	v_add_f32_e32 v20, v24, v20
	v_add_f32_e32 v24, v51, v23
	v_sub_f32_e32 v52, v26, v24
	v_sub_f32_e32 v26, v26, v52
	;; [unrolled: 1-line block ×4, first 2 shown]
	v_add_f32_e32 v20, v20, v24
	v_sub_f32_e32 v23, v51, v23
	v_add_f32_e32 v20, v23, v20
	v_add_f32_e32 v23, v25, v49
	;; [unrolled: 1-line block ×3, first 2 shown]
	v_sub_f32_e32 v24, v23, v25
	v_mul_f32_e32 v20, v50, v20
	v_sub_f32_e32 v24, v49, v24
	v_add_f32_e32 v20, v24, v20
	v_cvt_f32_i32_e32 v19, v19
	v_add_f32_e32 v24, v23, v20
	v_mul_f32_e32 v25, v24, v24
	v_mov_b32_e32 v26, 0x3ecc95a3
	v_fmac_f32_e32 v26, 0x3e9b6dac, v25
	v_mov_b32_e32 v49, 0x3f2aaada
	v_fmac_f32_e32 v49, v25, v26
	v_mul_f32_e32 v26, 0x3f317218, v19
	v_fma_f32 v50, v19, s4, -v26
	v_fmac_f32_e32 v50, 0xb102e308, v19
	v_sub_f32_e32 v19, v24, v23
	v_sub_f32_e32 v19, v20, v19
	v_add_f32_e32 v20, v26, v50
	v_sub_f32_e32 v23, v20, v26
	v_ldexp_f32 v26, v24, 1
	v_mul_f32_e32 v24, v24, v25
	v_mul_f32_e32 v24, v24, v49
	v_add_f32_e32 v25, v26, v24
	v_sub_f32_e32 v26, v25, v26
	v_ldexp_f32 v19, v19, 1
	v_sub_f32_e32 v24, v24, v26
	v_add_f32_e32 v19, v19, v24
	v_add_f32_e32 v24, v25, v19
	v_sub_f32_e32 v25, v24, v25
	v_sub_f32_e32 v19, v19, v25
	v_add_f32_e32 v25, v20, v24
	v_sub_f32_e32 v26, v25, v20
	v_sub_f32_e32 v49, v25, v26
	;; [unrolled: 1-line block ×5, first 2 shown]
	v_add_f32_e32 v20, v24, v20
	v_add_f32_e32 v24, v23, v19
	v_sub_f32_e32 v26, v24, v23
	v_sub_f32_e32 v49, v24, v26
	;; [unrolled: 1-line block ×4, first 2 shown]
	v_add_f32_e32 v20, v24, v20
	v_add_f32_e32 v19, v19, v23
	;; [unrolled: 1-line block ×3, first 2 shown]
	v_sub_f32_e32 v24, v23, v25
	v_sub_f32_e32 v20, v20, v24
	v_add_f32_e32 v19, v19, v20
	v_add_f32_e32 v19, v23, v19
	v_cmp_neq_f32_e32 vcc, s2, v22
	s_mov_b32 s2, 0x33800000
	v_cndmask_b32_e32 v19, v21, v19, vcc
	v_cmp_lt_f32_e64 vcc, |v22|, s2
	v_cndmask_b32_e32 v19, v19, v22, vcc
	v_add_f32_e32 v19, v18, v19
.LBB497_154:
	s_or_b64 exec, exec, s[0:1]
	v_bfe_u32 v18, v19, 16, 1
	v_add3_u32 v18, v19, v18, s3
	v_cmp_o_f32_e32 vcc, v19, v19
	v_cndmask_b32_sdwa v17, v17, v18, vcc dst_sel:DWORD dst_unused:UNUSED_PAD src0_sel:DWORD src1_sel:WORD_1
	v_lshlrev_b32_e32 v18, 16, v17
	v_max_f32_e32 v20, v18, v18
	v_min_f32_e32 v19, v20, v28
	v_cmp_u_f32_e32 vcc, v18, v18
	v_max_f32_e32 v20, v20, v28
	v_cndmask_b32_e32 v19, v19, v18, vcc
	v_cndmask_b32_e32 v20, v20, v18, vcc
	v_cndmask_b32_e64 v19, v19, v9, s[66:67]
	v_cndmask_b32_e64 v9, v20, v9, s[66:67]
	s_movk_i32 s2, 0x1f8
	v_cmp_neq_f32_e32 vcc, v19, v9
	v_cmp_class_f32_e64 s[0:1], v19, s2
	s_or_b64 s[4:5], vcc, s[0:1]
	s_and_saveexec_b64 s[0:1], s[4:5]
	s_cbranch_execz .LBB497_156
; %bb.155:
	v_sub_f32_e32 v18, v19, v9
	s_mov_b32 s3, 0x3fb8aa3b
	v_mul_f32_e32 v19, 0x3fb8aa3b, v18
	v_fma_f32 v20, v18, s3, -v19
	v_rndne_f32_e32 v21, v19
	v_fmac_f32_e32 v20, 0x32a5705f, v18
	v_sub_f32_e32 v19, v19, v21
	v_add_f32_e32 v19, v19, v20
	v_exp_f32_e32 v19, v19
	v_cvt_i32_f32_e32 v20, v21
	s_mov_b32 s3, 0xc2ce8ed0
	v_cmp_ngt_f32_e32 vcc, s3, v18
	s_mov_b32 s3, 0x42b17218
	v_ldexp_f32 v19, v19, v20
	v_cndmask_b32_e32 v19, 0, v19, vcc
	v_mov_b32_e32 v20, 0x7f800000
	v_cmp_nlt_f32_e32 vcc, s3, v18
	v_cndmask_b32_e32 v21, v20, v19, vcc
	v_add_f32_e32 v22, 1.0, v21
	v_cvt_f64_f32_e32 v[18:19], v22
	v_add_f32_e32 v23, -1.0, v22
	v_sub_f32_e32 v24, v23, v22
	v_sub_f32_e32 v23, v21, v23
	v_frexp_exp_i32_f64_e32 v18, v[18:19]
	v_add_f32_e32 v19, 1.0, v24
	v_add_f32_e32 v19, v23, v19
	v_frexp_mant_f32_e32 v23, v22
	s_mov_b32 s4, 0x3f2aaaab
	v_cmp_gt_f32_e32 vcc, s4, v23
	s_mov_b32 s4, 0x3f317218
	s_mov_b32 s3, 0x7f800000
	v_subbrev_co_u32_e32 v18, vcc, 0, v18, vcc
	v_sub_u32_e32 v23, 0, v18
	v_ldexp_f32 v22, v22, v23
	v_ldexp_f32 v19, v19, v23
	v_add_f32_e32 v23, -1.0, v22
	v_add_f32_e32 v26, 1.0, v22
	v_add_f32_e32 v24, 1.0, v23
	v_add_f32_e32 v28, -1.0, v26
	v_sub_f32_e32 v24, v22, v24
	v_sub_f32_e32 v22, v22, v28
	v_add_f32_e32 v24, v19, v24
	v_add_f32_e32 v19, v19, v22
	;; [unrolled: 1-line block ×3, first 2 shown]
	v_rcp_f32_e32 v28, v22
	v_add_f32_e32 v25, v23, v24
	v_sub_f32_e32 v23, v23, v25
	v_add_f32_e32 v23, v24, v23
	v_sub_f32_e32 v24, v26, v22
	v_add_f32_e32 v19, v19, v24
	v_mul_f32_e32 v24, v25, v28
	v_mul_f32_e32 v26, v22, v24
	v_fma_f32 v49, v24, v22, -v26
	v_fmac_f32_e32 v49, v24, v19
	v_add_f32_e32 v50, v26, v49
	v_sub_f32_e32 v51, v25, v50
	v_sub_f32_e32 v25, v25, v51
	v_sub_f32_e32 v26, v50, v26
	v_sub_f32_e32 v25, v25, v50
	v_add_f32_e32 v23, v23, v25
	v_sub_f32_e32 v25, v26, v49
	v_add_f32_e32 v23, v25, v23
	v_add_f32_e32 v25, v51, v23
	v_mul_f32_e32 v26, v28, v25
	v_mul_f32_e32 v49, v22, v26
	v_fma_f32 v22, v26, v22, -v49
	v_fmac_f32_e32 v22, v26, v19
	v_sub_f32_e32 v19, v51, v25
	v_add_f32_e32 v19, v23, v19
	v_add_f32_e32 v23, v49, v22
	v_sub_f32_e32 v50, v25, v23
	v_sub_f32_e32 v25, v25, v50
	v_sub_f32_e32 v49, v23, v49
	v_sub_f32_e32 v23, v25, v23
	v_add_f32_e32 v19, v19, v23
	v_sub_f32_e32 v22, v49, v22
	v_add_f32_e32 v19, v22, v19
	v_add_f32_e32 v22, v24, v26
	v_add_f32_e32 v19, v50, v19
	v_sub_f32_e32 v23, v22, v24
	v_mul_f32_e32 v19, v28, v19
	v_sub_f32_e32 v23, v26, v23
	v_add_f32_e32 v19, v23, v19
	v_cvt_f32_i32_e32 v18, v18
	v_add_f32_e32 v23, v22, v19
	v_mul_f32_e32 v24, v23, v23
	v_mov_b32_e32 v25, 0x3ecc95a3
	v_fmac_f32_e32 v25, 0x3e9b6dac, v24
	v_mov_b32_e32 v26, 0x3f2aaada
	v_fmac_f32_e32 v26, v24, v25
	v_mul_f32_e32 v25, 0x3f317218, v18
	v_fma_f32 v28, v18, s4, -v25
	v_fmac_f32_e32 v28, 0xb102e308, v18
	v_sub_f32_e32 v18, v23, v22
	v_sub_f32_e32 v18, v19, v18
	v_add_f32_e32 v19, v25, v28
	v_sub_f32_e32 v22, v19, v25
	v_ldexp_f32 v25, v23, 1
	v_mul_f32_e32 v23, v23, v24
	v_mul_f32_e32 v23, v23, v26
	v_add_f32_e32 v24, v25, v23
	v_sub_f32_e32 v25, v24, v25
	v_ldexp_f32 v18, v18, 1
	v_sub_f32_e32 v23, v23, v25
	v_add_f32_e32 v18, v18, v23
	v_add_f32_e32 v23, v24, v18
	v_sub_f32_e32 v24, v23, v24
	v_sub_f32_e32 v18, v18, v24
	v_add_f32_e32 v24, v19, v23
	v_sub_f32_e32 v25, v24, v19
	v_sub_f32_e32 v26, v24, v25
	;; [unrolled: 1-line block ×5, first 2 shown]
	v_add_f32_e32 v19, v23, v19
	v_add_f32_e32 v23, v22, v18
	v_sub_f32_e32 v25, v23, v22
	v_sub_f32_e32 v26, v23, v25
	;; [unrolled: 1-line block ×4, first 2 shown]
	v_add_f32_e32 v19, v23, v19
	v_add_f32_e32 v18, v18, v22
	;; [unrolled: 1-line block ×3, first 2 shown]
	v_sub_f32_e32 v23, v22, v24
	v_sub_f32_e32 v19, v19, v23
	v_add_f32_e32 v18, v18, v19
	v_add_f32_e32 v18, v22, v18
	v_cmp_neq_f32_e32 vcc, s3, v21
	s_mov_b32 s3, 0x33800000
	v_cndmask_b32_e32 v18, v20, v18, vcc
	v_cmp_lt_f32_e64 vcc, |v21|, s3
	v_cndmask_b32_e32 v18, v18, v21, vcc
	v_add_f32_e32 v18, v9, v18
.LBB497_156:
	s_or_b64 exec, exec, s[0:1]
	v_bfe_u32 v9, v18, 16, 1
	s_movk_i32 s3, 0x7fff
	v_add3_u32 v9, v18, v9, s3
	v_cmp_o_f32_e32 vcc, v18, v18
	v_mov_b32_e32 v18, 0x7fc0
	v_cndmask_b32_sdwa v9, v18, v9, vcc dst_sel:DWORD dst_unused:UNUSED_PAD src0_sel:DWORD src1_sel:WORD_1
	v_lshlrev_b32_e32 v20, 16, v9
	v_max_f32_e32 v19, v20, v20
	v_min_f32_e32 v21, v19, v29
	v_cmp_u_f32_e32 vcc, v20, v20
	v_max_f32_e32 v19, v19, v29
	v_cndmask_b32_e32 v21, v21, v20, vcc
	v_cndmask_b32_e32 v19, v19, v20, vcc
	v_cndmask_b32_e64 v21, v21, v27, s[68:69]
	v_cndmask_b32_e64 v19, v19, v27, s[68:69]
	v_cmp_neq_f32_e32 vcc, v21, v19
	v_cmp_class_f32_e64 s[0:1], v21, s2
	s_or_b64 s[4:5], vcc, s[0:1]
	s_and_saveexec_b64 s[0:1], s[4:5]
	s_cbranch_execz .LBB497_158
; %bb.157:
	v_sub_f32_e32 v20, v21, v19
	s_mov_b32 s2, 0x3fb8aa3b
	v_mul_f32_e32 v21, 0x3fb8aa3b, v20
	v_fma_f32 v22, v20, s2, -v21
	v_rndne_f32_e32 v23, v21
	v_fmac_f32_e32 v22, 0x32a5705f, v20
	v_sub_f32_e32 v21, v21, v23
	v_add_f32_e32 v21, v21, v22
	v_exp_f32_e32 v21, v21
	v_cvt_i32_f32_e32 v22, v23
	s_mov_b32 s2, 0xc2ce8ed0
	v_cmp_ngt_f32_e32 vcc, s2, v20
	s_mov_b32 s2, 0x42b17218
	v_ldexp_f32 v21, v21, v22
	v_cndmask_b32_e32 v21, 0, v21, vcc
	v_mov_b32_e32 v22, 0x7f800000
	v_cmp_nlt_f32_e32 vcc, s2, v20
	v_cndmask_b32_e32 v23, v22, v21, vcc
	v_add_f32_e32 v24, 1.0, v23
	v_cvt_f64_f32_e32 v[20:21], v24
	v_add_f32_e32 v25, -1.0, v24
	v_sub_f32_e32 v26, v25, v24
	v_sub_f32_e32 v25, v23, v25
	v_frexp_exp_i32_f64_e32 v20, v[20:21]
	v_add_f32_e32 v21, 1.0, v26
	v_add_f32_e32 v21, v25, v21
	v_frexp_mant_f32_e32 v25, v24
	s_mov_b32 s4, 0x3f2aaaab
	v_cmp_gt_f32_e32 vcc, s4, v25
	s_mov_b32 s4, 0x3f317218
	s_mov_b32 s2, 0x7f800000
	v_subbrev_co_u32_e32 v20, vcc, 0, v20, vcc
	v_sub_u32_e32 v25, 0, v20
	v_ldexp_f32 v24, v24, v25
	v_ldexp_f32 v21, v21, v25
	v_add_f32_e32 v25, -1.0, v24
	v_add_f32_e32 v28, 1.0, v24
	v_add_f32_e32 v26, 1.0, v25
	v_add_f32_e32 v29, -1.0, v28
	v_sub_f32_e32 v26, v24, v26
	v_sub_f32_e32 v24, v24, v29
	v_add_f32_e32 v26, v21, v26
	v_add_f32_e32 v21, v21, v24
	;; [unrolled: 1-line block ×3, first 2 shown]
	v_rcp_f32_e32 v29, v24
	v_add_f32_e32 v27, v25, v26
	v_sub_f32_e32 v25, v25, v27
	v_add_f32_e32 v25, v26, v25
	v_sub_f32_e32 v26, v28, v24
	v_add_f32_e32 v21, v21, v26
	v_mul_f32_e32 v26, v27, v29
	v_mul_f32_e32 v28, v24, v26
	v_fma_f32 v49, v26, v24, -v28
	v_fmac_f32_e32 v49, v26, v21
	v_add_f32_e32 v50, v28, v49
	v_sub_f32_e32 v51, v27, v50
	v_sub_f32_e32 v27, v27, v51
	;; [unrolled: 1-line block ×4, first 2 shown]
	v_add_f32_e32 v25, v25, v27
	v_sub_f32_e32 v27, v28, v49
	v_add_f32_e32 v25, v27, v25
	v_add_f32_e32 v27, v51, v25
	v_mul_f32_e32 v28, v29, v27
	v_mul_f32_e32 v49, v24, v28
	v_fma_f32 v24, v28, v24, -v49
	v_fmac_f32_e32 v24, v28, v21
	v_sub_f32_e32 v21, v51, v27
	v_add_f32_e32 v21, v25, v21
	v_add_f32_e32 v25, v49, v24
	v_sub_f32_e32 v50, v27, v25
	v_sub_f32_e32 v27, v27, v50
	v_sub_f32_e32 v49, v25, v49
	v_sub_f32_e32 v25, v27, v25
	v_add_f32_e32 v21, v21, v25
	v_sub_f32_e32 v24, v49, v24
	v_add_f32_e32 v21, v24, v21
	v_add_f32_e32 v24, v26, v28
	;; [unrolled: 1-line block ×3, first 2 shown]
	v_sub_f32_e32 v25, v24, v26
	v_mul_f32_e32 v21, v29, v21
	v_sub_f32_e32 v25, v28, v25
	v_add_f32_e32 v21, v25, v21
	v_cvt_f32_i32_e32 v20, v20
	v_add_f32_e32 v25, v24, v21
	v_mul_f32_e32 v26, v25, v25
	v_mov_b32_e32 v27, 0x3ecc95a3
	v_fmac_f32_e32 v27, 0x3e9b6dac, v26
	v_mov_b32_e32 v28, 0x3f2aaada
	v_fmac_f32_e32 v28, v26, v27
	v_mul_f32_e32 v27, 0x3f317218, v20
	v_fma_f32 v29, v20, s4, -v27
	v_fmac_f32_e32 v29, 0xb102e308, v20
	v_sub_f32_e32 v20, v25, v24
	v_sub_f32_e32 v20, v21, v20
	v_add_f32_e32 v21, v27, v29
	v_sub_f32_e32 v24, v21, v27
	v_ldexp_f32 v27, v25, 1
	v_mul_f32_e32 v25, v25, v26
	v_mul_f32_e32 v25, v25, v28
	v_add_f32_e32 v26, v27, v25
	v_sub_f32_e32 v27, v26, v27
	v_ldexp_f32 v20, v20, 1
	v_sub_f32_e32 v25, v25, v27
	v_add_f32_e32 v20, v20, v25
	v_add_f32_e32 v25, v26, v20
	v_sub_f32_e32 v26, v25, v26
	v_sub_f32_e32 v20, v20, v26
	v_add_f32_e32 v26, v21, v25
	v_sub_f32_e32 v27, v26, v21
	v_sub_f32_e32 v28, v26, v27
	;; [unrolled: 1-line block ×5, first 2 shown]
	v_add_f32_e32 v21, v25, v21
	v_add_f32_e32 v25, v24, v20
	v_sub_f32_e32 v27, v25, v24
	v_sub_f32_e32 v28, v25, v27
	;; [unrolled: 1-line block ×4, first 2 shown]
	v_add_f32_e32 v21, v25, v21
	v_add_f32_e32 v20, v20, v24
	v_add_f32_e32 v24, v26, v21
	v_sub_f32_e32 v25, v24, v26
	v_sub_f32_e32 v21, v21, v25
	v_add_f32_e32 v20, v20, v21
	v_add_f32_e32 v20, v24, v20
	v_cmp_neq_f32_e32 vcc, s2, v23
	s_mov_b32 s2, 0x33800000
	v_cndmask_b32_e32 v20, v22, v20, vcc
	v_cmp_lt_f32_e64 vcc, |v23|, s2
	v_cndmask_b32_e32 v20, v20, v23, vcc
	v_add_f32_e32 v20, v19, v20
.LBB497_158:
	s_or_b64 exec, exec, s[0:1]
	v_bfe_u32 v19, v20, 16, 1
	v_add3_u32 v19, v20, v19, s3
	v_cmp_o_f32_e32 vcc, v20, v20
	v_cndmask_b32_sdwa v18, v18, v19, vcc dst_sel:DWORD dst_unused:UNUSED_PAD src0_sel:DWORD src1_sel:WORD_1
	v_lshlrev_b32_e32 v19, 16, v18
	v_max_f32_e32 v21, v19, v19
	v_min_f32_e32 v20, v21, v31
	v_cmp_u_f32_e32 vcc, v19, v19
	v_max_f32_e32 v21, v21, v31
	v_cndmask_b32_e32 v20, v20, v19, vcc
	v_cndmask_b32_e32 v21, v21, v19, vcc
	v_cndmask_b32_e64 v20, v20, v10, s[70:71]
	v_cndmask_b32_e64 v10, v21, v10, s[70:71]
	s_movk_i32 s2, 0x1f8
	v_cmp_neq_f32_e32 vcc, v20, v10
	v_cmp_class_f32_e64 s[0:1], v20, s2
	s_or_b64 s[4:5], vcc, s[0:1]
	s_and_saveexec_b64 s[0:1], s[4:5]
	s_cbranch_execz .LBB497_160
; %bb.159:
	v_sub_f32_e32 v19, v20, v10
	s_mov_b32 s3, 0x3fb8aa3b
	v_mul_f32_e32 v20, 0x3fb8aa3b, v19
	v_fma_f32 v21, v19, s3, -v20
	v_rndne_f32_e32 v22, v20
	v_fmac_f32_e32 v21, 0x32a5705f, v19
	v_sub_f32_e32 v20, v20, v22
	v_add_f32_e32 v20, v20, v21
	v_exp_f32_e32 v20, v20
	v_cvt_i32_f32_e32 v21, v22
	s_mov_b32 s3, 0xc2ce8ed0
	v_cmp_ngt_f32_e32 vcc, s3, v19
	s_mov_b32 s3, 0x42b17218
	v_ldexp_f32 v20, v20, v21
	v_cndmask_b32_e32 v20, 0, v20, vcc
	v_mov_b32_e32 v21, 0x7f800000
	v_cmp_nlt_f32_e32 vcc, s3, v19
	v_cndmask_b32_e32 v22, v21, v20, vcc
	v_add_f32_e32 v23, 1.0, v22
	v_cvt_f64_f32_e32 v[19:20], v23
	v_add_f32_e32 v24, -1.0, v23
	v_sub_f32_e32 v25, v24, v23
	v_sub_f32_e32 v24, v22, v24
	v_frexp_exp_i32_f64_e32 v19, v[19:20]
	v_add_f32_e32 v20, 1.0, v25
	v_add_f32_e32 v20, v24, v20
	v_frexp_mant_f32_e32 v24, v23
	s_mov_b32 s4, 0x3f2aaaab
	v_cmp_gt_f32_e32 vcc, s4, v24
	s_mov_b32 s4, 0x3f317218
	s_mov_b32 s3, 0x7f800000
	v_subbrev_co_u32_e32 v19, vcc, 0, v19, vcc
	v_sub_u32_e32 v24, 0, v19
	v_ldexp_f32 v23, v23, v24
	v_ldexp_f32 v20, v20, v24
	v_add_f32_e32 v24, -1.0, v23
	v_add_f32_e32 v27, 1.0, v23
	v_add_f32_e32 v25, 1.0, v24
	v_add_f32_e32 v28, -1.0, v27
	v_sub_f32_e32 v25, v23, v25
	v_sub_f32_e32 v23, v23, v28
	v_add_f32_e32 v25, v20, v25
	v_add_f32_e32 v20, v20, v23
	;; [unrolled: 1-line block ×3, first 2 shown]
	v_rcp_f32_e32 v28, v23
	v_add_f32_e32 v26, v24, v25
	v_sub_f32_e32 v24, v24, v26
	v_add_f32_e32 v24, v25, v24
	v_sub_f32_e32 v25, v27, v23
	v_add_f32_e32 v20, v20, v25
	v_mul_f32_e32 v25, v26, v28
	v_mul_f32_e32 v27, v23, v25
	v_fma_f32 v29, v25, v23, -v27
	v_fmac_f32_e32 v29, v25, v20
	v_add_f32_e32 v31, v27, v29
	v_sub_f32_e32 v49, v26, v31
	v_sub_f32_e32 v26, v26, v49
	;; [unrolled: 1-line block ×4, first 2 shown]
	v_add_f32_e32 v24, v24, v26
	v_sub_f32_e32 v26, v27, v29
	v_add_f32_e32 v24, v26, v24
	v_add_f32_e32 v26, v49, v24
	v_mul_f32_e32 v27, v28, v26
	v_mul_f32_e32 v29, v23, v27
	v_fma_f32 v23, v27, v23, -v29
	v_fmac_f32_e32 v23, v27, v20
	v_sub_f32_e32 v20, v49, v26
	v_add_f32_e32 v20, v24, v20
	v_add_f32_e32 v24, v29, v23
	v_sub_f32_e32 v31, v26, v24
	v_sub_f32_e32 v26, v26, v31
	;; [unrolled: 1-line block ×4, first 2 shown]
	v_add_f32_e32 v20, v20, v24
	v_sub_f32_e32 v23, v29, v23
	v_add_f32_e32 v20, v23, v20
	v_add_f32_e32 v23, v25, v27
	;; [unrolled: 1-line block ×3, first 2 shown]
	v_sub_f32_e32 v24, v23, v25
	v_mul_f32_e32 v20, v28, v20
	v_sub_f32_e32 v24, v27, v24
	v_add_f32_e32 v20, v24, v20
	v_cvt_f32_i32_e32 v19, v19
	v_add_f32_e32 v24, v23, v20
	v_mul_f32_e32 v25, v24, v24
	v_mov_b32_e32 v26, 0x3ecc95a3
	v_fmac_f32_e32 v26, 0x3e9b6dac, v25
	v_mov_b32_e32 v27, 0x3f2aaada
	v_fmac_f32_e32 v27, v25, v26
	v_mul_f32_e32 v26, 0x3f317218, v19
	v_fma_f32 v28, v19, s4, -v26
	v_fmac_f32_e32 v28, 0xb102e308, v19
	v_sub_f32_e32 v19, v24, v23
	v_sub_f32_e32 v19, v20, v19
	v_add_f32_e32 v20, v26, v28
	v_sub_f32_e32 v23, v20, v26
	v_ldexp_f32 v26, v24, 1
	v_mul_f32_e32 v24, v24, v25
	v_mul_f32_e32 v24, v24, v27
	v_add_f32_e32 v25, v26, v24
	v_sub_f32_e32 v26, v25, v26
	v_ldexp_f32 v19, v19, 1
	v_sub_f32_e32 v24, v24, v26
	v_add_f32_e32 v19, v19, v24
	v_add_f32_e32 v24, v25, v19
	v_sub_f32_e32 v25, v24, v25
	v_sub_f32_e32 v19, v19, v25
	v_add_f32_e32 v25, v20, v24
	v_sub_f32_e32 v26, v25, v20
	v_sub_f32_e32 v27, v25, v26
	v_sub_f32_e32 v23, v28, v23
	v_sub_f32_e32 v20, v20, v27
	v_sub_f32_e32 v24, v24, v26
	v_add_f32_e32 v20, v24, v20
	v_add_f32_e32 v24, v23, v19
	v_sub_f32_e32 v26, v24, v23
	v_sub_f32_e32 v27, v24, v26
	;; [unrolled: 1-line block ×4, first 2 shown]
	v_add_f32_e32 v20, v24, v20
	v_add_f32_e32 v19, v19, v23
	;; [unrolled: 1-line block ×3, first 2 shown]
	v_sub_f32_e32 v24, v23, v25
	v_sub_f32_e32 v20, v20, v24
	v_add_f32_e32 v19, v19, v20
	v_add_f32_e32 v19, v23, v19
	v_cmp_neq_f32_e32 vcc, s3, v22
	s_mov_b32 s3, 0x33800000
	v_cndmask_b32_e32 v19, v21, v19, vcc
	v_cmp_lt_f32_e64 vcc, |v22|, s3
	v_cndmask_b32_e32 v19, v19, v22, vcc
	v_add_f32_e32 v19, v10, v19
.LBB497_160:
	s_or_b64 exec, exec, s[0:1]
	v_bfe_u32 v10, v19, 16, 1
	s_movk_i32 s3, 0x7fff
	v_add3_u32 v10, v19, v10, s3
	v_cmp_o_f32_e32 vcc, v19, v19
	v_mov_b32_e32 v19, 0x7fc0
	v_cndmask_b32_sdwa v10, v19, v10, vcc dst_sel:DWORD dst_unused:UNUSED_PAD src0_sel:DWORD src1_sel:WORD_1
	v_lshlrev_b32_e32 v21, 16, v10
	v_max_f32_e32 v20, v21, v21
	v_min_f32_e32 v22, v20, v32
	v_cmp_u_f32_e32 vcc, v21, v21
	v_max_f32_e32 v20, v20, v32
	v_cndmask_b32_e32 v22, v22, v21, vcc
	v_cndmask_b32_e32 v20, v20, v21, vcc
	v_cndmask_b32_e64 v22, v22, v30, s[72:73]
	v_cndmask_b32_e64 v20, v20, v30, s[72:73]
	v_cmp_neq_f32_e32 vcc, v22, v20
	v_cmp_class_f32_e64 s[0:1], v22, s2
	s_or_b64 s[4:5], vcc, s[0:1]
	s_and_saveexec_b64 s[0:1], s[4:5]
	s_cbranch_execz .LBB497_162
; %bb.161:
	v_sub_f32_e32 v21, v22, v20
	s_mov_b32 s2, 0x3fb8aa3b
	v_mul_f32_e32 v22, 0x3fb8aa3b, v21
	v_fma_f32 v23, v21, s2, -v22
	v_rndne_f32_e32 v24, v22
	v_fmac_f32_e32 v23, 0x32a5705f, v21
	v_sub_f32_e32 v22, v22, v24
	v_add_f32_e32 v22, v22, v23
	v_exp_f32_e32 v22, v22
	v_cvt_i32_f32_e32 v23, v24
	s_mov_b32 s2, 0xc2ce8ed0
	v_cmp_ngt_f32_e32 vcc, s2, v21
	s_mov_b32 s2, 0x42b17218
	v_ldexp_f32 v22, v22, v23
	v_cndmask_b32_e32 v22, 0, v22, vcc
	v_mov_b32_e32 v23, 0x7f800000
	v_cmp_nlt_f32_e32 vcc, s2, v21
	v_cndmask_b32_e32 v24, v23, v22, vcc
	v_add_f32_e32 v25, 1.0, v24
	v_cvt_f64_f32_e32 v[21:22], v25
	v_add_f32_e32 v26, -1.0, v25
	v_sub_f32_e32 v27, v26, v25
	v_sub_f32_e32 v26, v24, v26
	v_frexp_exp_i32_f64_e32 v21, v[21:22]
	v_add_f32_e32 v22, 1.0, v27
	v_add_f32_e32 v22, v26, v22
	v_frexp_mant_f32_e32 v26, v25
	s_mov_b32 s4, 0x3f2aaaab
	v_cmp_gt_f32_e32 vcc, s4, v26
	s_mov_b32 s4, 0x3f317218
	s_mov_b32 s2, 0x7f800000
	v_subbrev_co_u32_e32 v21, vcc, 0, v21, vcc
	v_sub_u32_e32 v26, 0, v21
	v_ldexp_f32 v25, v25, v26
	v_ldexp_f32 v22, v22, v26
	v_add_f32_e32 v26, -1.0, v25
	v_add_f32_e32 v29, 1.0, v25
	v_add_f32_e32 v27, 1.0, v26
	v_add_f32_e32 v30, -1.0, v29
	v_sub_f32_e32 v27, v25, v27
	v_sub_f32_e32 v25, v25, v30
	v_add_f32_e32 v27, v22, v27
	v_add_f32_e32 v22, v22, v25
	;; [unrolled: 1-line block ×3, first 2 shown]
	v_rcp_f32_e32 v30, v25
	v_add_f32_e32 v28, v26, v27
	v_sub_f32_e32 v26, v26, v28
	v_add_f32_e32 v26, v27, v26
	v_sub_f32_e32 v27, v29, v25
	v_add_f32_e32 v22, v22, v27
	v_mul_f32_e32 v27, v28, v30
	v_mul_f32_e32 v29, v25, v27
	v_fma_f32 v31, v27, v25, -v29
	v_fmac_f32_e32 v31, v27, v22
	v_add_f32_e32 v32, v29, v31
	v_sub_f32_e32 v49, v28, v32
	v_sub_f32_e32 v28, v28, v49
	;; [unrolled: 1-line block ×4, first 2 shown]
	v_add_f32_e32 v26, v26, v28
	v_sub_f32_e32 v28, v29, v31
	v_add_f32_e32 v26, v28, v26
	v_add_f32_e32 v28, v49, v26
	v_mul_f32_e32 v29, v30, v28
	v_mul_f32_e32 v31, v25, v29
	v_fma_f32 v25, v29, v25, -v31
	v_fmac_f32_e32 v25, v29, v22
	v_sub_f32_e32 v22, v49, v28
	v_add_f32_e32 v22, v26, v22
	v_add_f32_e32 v26, v31, v25
	v_sub_f32_e32 v32, v28, v26
	v_sub_f32_e32 v28, v28, v32
	;; [unrolled: 1-line block ×4, first 2 shown]
	v_add_f32_e32 v22, v22, v26
	v_sub_f32_e32 v25, v31, v25
	v_add_f32_e32 v22, v25, v22
	v_add_f32_e32 v25, v27, v29
	;; [unrolled: 1-line block ×3, first 2 shown]
	v_sub_f32_e32 v26, v25, v27
	v_mul_f32_e32 v22, v30, v22
	v_sub_f32_e32 v26, v29, v26
	v_add_f32_e32 v22, v26, v22
	v_cvt_f32_i32_e32 v21, v21
	v_add_f32_e32 v26, v25, v22
	v_mul_f32_e32 v27, v26, v26
	v_mov_b32_e32 v28, 0x3ecc95a3
	v_fmac_f32_e32 v28, 0x3e9b6dac, v27
	v_mov_b32_e32 v29, 0x3f2aaada
	v_fmac_f32_e32 v29, v27, v28
	v_mul_f32_e32 v28, 0x3f317218, v21
	v_fma_f32 v30, v21, s4, -v28
	v_fmac_f32_e32 v30, 0xb102e308, v21
	v_sub_f32_e32 v21, v26, v25
	v_sub_f32_e32 v21, v22, v21
	v_add_f32_e32 v22, v28, v30
	v_sub_f32_e32 v25, v22, v28
	v_ldexp_f32 v28, v26, 1
	v_mul_f32_e32 v26, v26, v27
	v_mul_f32_e32 v26, v26, v29
	v_add_f32_e32 v27, v28, v26
	v_sub_f32_e32 v28, v27, v28
	v_ldexp_f32 v21, v21, 1
	v_sub_f32_e32 v26, v26, v28
	v_add_f32_e32 v21, v21, v26
	v_add_f32_e32 v26, v27, v21
	v_sub_f32_e32 v27, v26, v27
	v_sub_f32_e32 v21, v21, v27
	v_add_f32_e32 v27, v22, v26
	v_sub_f32_e32 v28, v27, v22
	v_sub_f32_e32 v29, v27, v28
	;; [unrolled: 1-line block ×5, first 2 shown]
	v_add_f32_e32 v22, v26, v22
	v_add_f32_e32 v26, v25, v21
	v_sub_f32_e32 v28, v26, v25
	v_sub_f32_e32 v29, v26, v28
	;; [unrolled: 1-line block ×4, first 2 shown]
	v_add_f32_e32 v22, v26, v22
	v_add_f32_e32 v21, v21, v25
	;; [unrolled: 1-line block ×3, first 2 shown]
	v_sub_f32_e32 v26, v25, v27
	v_sub_f32_e32 v22, v22, v26
	v_add_f32_e32 v21, v21, v22
	v_add_f32_e32 v21, v25, v21
	v_cmp_neq_f32_e32 vcc, s2, v24
	s_mov_b32 s2, 0x33800000
	v_cndmask_b32_e32 v21, v23, v21, vcc
	v_cmp_lt_f32_e64 vcc, |v24|, s2
	v_cndmask_b32_e32 v21, v21, v24, vcc
	v_add_f32_e32 v21, v20, v21
.LBB497_162:
	s_or_b64 exec, exec, s[0:1]
	v_bfe_u32 v20, v21, 16, 1
	v_add3_u32 v20, v21, v20, s3
	v_cmp_o_f32_e32 vcc, v21, v21
	v_cndmask_b32_sdwa v19, v19, v20, vcc dst_sel:DWORD dst_unused:UNUSED_PAD src0_sel:DWORD src1_sel:WORD_1
	v_lshlrev_b32_e32 v20, 16, v19
	v_max_f32_e32 v22, v20, v20
	v_min_f32_e32 v21, v22, v34
	v_cmp_u_f32_e32 vcc, v20, v20
	v_max_f32_e32 v22, v22, v34
	v_cndmask_b32_e32 v21, v21, v20, vcc
	v_cndmask_b32_e32 v22, v22, v20, vcc
	v_cndmask_b32_e64 v21, v21, v11, s[74:75]
	v_cndmask_b32_e64 v11, v22, v11, s[74:75]
	s_movk_i32 s2, 0x1f8
	v_cmp_neq_f32_e32 vcc, v21, v11
	v_cmp_class_f32_e64 s[0:1], v21, s2
	s_or_b64 s[4:5], vcc, s[0:1]
	s_and_saveexec_b64 s[0:1], s[4:5]
	s_cbranch_execz .LBB497_164
; %bb.163:
	v_sub_f32_e32 v20, v21, v11
	s_mov_b32 s3, 0x3fb8aa3b
	v_mul_f32_e32 v21, 0x3fb8aa3b, v20
	v_fma_f32 v22, v20, s3, -v21
	v_rndne_f32_e32 v23, v21
	v_fmac_f32_e32 v22, 0x32a5705f, v20
	v_sub_f32_e32 v21, v21, v23
	v_add_f32_e32 v21, v21, v22
	v_exp_f32_e32 v21, v21
	v_cvt_i32_f32_e32 v22, v23
	s_mov_b32 s3, 0xc2ce8ed0
	v_cmp_ngt_f32_e32 vcc, s3, v20
	s_mov_b32 s3, 0x42b17218
	v_ldexp_f32 v21, v21, v22
	v_cndmask_b32_e32 v21, 0, v21, vcc
	v_mov_b32_e32 v22, 0x7f800000
	v_cmp_nlt_f32_e32 vcc, s3, v20
	v_cndmask_b32_e32 v23, v22, v21, vcc
	v_add_f32_e32 v24, 1.0, v23
	v_cvt_f64_f32_e32 v[20:21], v24
	v_add_f32_e32 v25, -1.0, v24
	v_sub_f32_e32 v26, v25, v24
	v_sub_f32_e32 v25, v23, v25
	v_frexp_exp_i32_f64_e32 v20, v[20:21]
	v_add_f32_e32 v21, 1.0, v26
	v_add_f32_e32 v21, v25, v21
	v_frexp_mant_f32_e32 v25, v24
	s_mov_b32 s4, 0x3f2aaaab
	v_cmp_gt_f32_e32 vcc, s4, v25
	s_mov_b32 s4, 0x3f317218
	s_mov_b32 s3, 0x7f800000
	v_subbrev_co_u32_e32 v20, vcc, 0, v20, vcc
	v_sub_u32_e32 v25, 0, v20
	v_ldexp_f32 v24, v24, v25
	v_ldexp_f32 v21, v21, v25
	v_add_f32_e32 v25, -1.0, v24
	v_add_f32_e32 v28, 1.0, v24
	v_add_f32_e32 v26, 1.0, v25
	v_add_f32_e32 v29, -1.0, v28
	v_sub_f32_e32 v26, v24, v26
	v_sub_f32_e32 v24, v24, v29
	v_add_f32_e32 v26, v21, v26
	v_add_f32_e32 v21, v21, v24
	;; [unrolled: 1-line block ×3, first 2 shown]
	v_rcp_f32_e32 v29, v24
	v_add_f32_e32 v27, v25, v26
	v_sub_f32_e32 v25, v25, v27
	v_add_f32_e32 v25, v26, v25
	v_sub_f32_e32 v26, v28, v24
	v_add_f32_e32 v21, v21, v26
	v_mul_f32_e32 v26, v27, v29
	v_mul_f32_e32 v28, v24, v26
	v_fma_f32 v30, v26, v24, -v28
	v_fmac_f32_e32 v30, v26, v21
	v_add_f32_e32 v31, v28, v30
	v_sub_f32_e32 v32, v27, v31
	v_sub_f32_e32 v27, v27, v32
	;; [unrolled: 1-line block ×4, first 2 shown]
	v_add_f32_e32 v25, v25, v27
	v_sub_f32_e32 v27, v28, v30
	v_add_f32_e32 v25, v27, v25
	v_add_f32_e32 v27, v32, v25
	v_mul_f32_e32 v28, v29, v27
	v_mul_f32_e32 v30, v24, v28
	v_fma_f32 v24, v28, v24, -v30
	v_fmac_f32_e32 v24, v28, v21
	v_sub_f32_e32 v21, v32, v27
	v_add_f32_e32 v21, v25, v21
	v_add_f32_e32 v25, v30, v24
	v_sub_f32_e32 v31, v27, v25
	v_sub_f32_e32 v27, v27, v31
	;; [unrolled: 1-line block ×4, first 2 shown]
	v_add_f32_e32 v21, v21, v25
	v_sub_f32_e32 v24, v30, v24
	v_add_f32_e32 v21, v24, v21
	v_add_f32_e32 v24, v26, v28
	;; [unrolled: 1-line block ×3, first 2 shown]
	v_sub_f32_e32 v25, v24, v26
	v_mul_f32_e32 v21, v29, v21
	v_sub_f32_e32 v25, v28, v25
	v_add_f32_e32 v21, v25, v21
	v_cvt_f32_i32_e32 v20, v20
	v_add_f32_e32 v25, v24, v21
	v_mul_f32_e32 v26, v25, v25
	v_mov_b32_e32 v27, 0x3ecc95a3
	v_fmac_f32_e32 v27, 0x3e9b6dac, v26
	v_mov_b32_e32 v28, 0x3f2aaada
	v_fmac_f32_e32 v28, v26, v27
	v_mul_f32_e32 v27, 0x3f317218, v20
	v_fma_f32 v29, v20, s4, -v27
	v_fmac_f32_e32 v29, 0xb102e308, v20
	v_sub_f32_e32 v20, v25, v24
	v_sub_f32_e32 v20, v21, v20
	v_add_f32_e32 v21, v27, v29
	v_sub_f32_e32 v24, v21, v27
	v_ldexp_f32 v27, v25, 1
	v_mul_f32_e32 v25, v25, v26
	v_mul_f32_e32 v25, v25, v28
	v_add_f32_e32 v26, v27, v25
	v_sub_f32_e32 v27, v26, v27
	v_ldexp_f32 v20, v20, 1
	v_sub_f32_e32 v25, v25, v27
	v_add_f32_e32 v20, v20, v25
	v_add_f32_e32 v25, v26, v20
	v_sub_f32_e32 v26, v25, v26
	v_sub_f32_e32 v20, v20, v26
	v_add_f32_e32 v26, v21, v25
	v_sub_f32_e32 v27, v26, v21
	v_sub_f32_e32 v28, v26, v27
	v_sub_f32_e32 v24, v29, v24
	v_sub_f32_e32 v21, v21, v28
	v_sub_f32_e32 v25, v25, v27
	v_add_f32_e32 v21, v25, v21
	v_add_f32_e32 v25, v24, v20
	v_sub_f32_e32 v27, v25, v24
	v_sub_f32_e32 v28, v25, v27
	;; [unrolled: 1-line block ×4, first 2 shown]
	v_add_f32_e32 v21, v25, v21
	v_add_f32_e32 v20, v20, v24
	v_add_f32_e32 v24, v26, v21
	v_sub_f32_e32 v25, v24, v26
	v_sub_f32_e32 v21, v21, v25
	v_add_f32_e32 v20, v20, v21
	v_add_f32_e32 v20, v24, v20
	v_cmp_neq_f32_e32 vcc, s3, v23
	s_mov_b32 s3, 0x33800000
	v_cndmask_b32_e32 v20, v22, v20, vcc
	v_cmp_lt_f32_e64 vcc, |v23|, s3
	v_cndmask_b32_e32 v20, v20, v23, vcc
	v_add_f32_e32 v20, v11, v20
.LBB497_164:
	s_or_b64 exec, exec, s[0:1]
	v_bfe_u32 v11, v20, 16, 1
	s_movk_i32 s3, 0x7fff
	v_add3_u32 v11, v20, v11, s3
	v_cmp_o_f32_e32 vcc, v20, v20
	v_mov_b32_e32 v20, 0x7fc0
	v_cndmask_b32_sdwa v11, v20, v11, vcc dst_sel:DWORD dst_unused:UNUSED_PAD src0_sel:DWORD src1_sel:WORD_1
	v_lshlrev_b32_e32 v22, 16, v11
	v_max_f32_e32 v21, v22, v22
	v_min_f32_e32 v23, v21, v35
	v_cmp_u_f32_e32 vcc, v22, v22
	v_max_f32_e32 v21, v21, v35
	v_cndmask_b32_e32 v23, v23, v22, vcc
	v_cndmask_b32_e32 v21, v21, v22, vcc
	v_cndmask_b32_e64 v23, v23, v33, s[76:77]
	v_cndmask_b32_e64 v21, v21, v33, s[76:77]
	v_cmp_neq_f32_e32 vcc, v23, v21
	v_cmp_class_f32_e64 s[0:1], v23, s2
	s_or_b64 s[4:5], vcc, s[0:1]
	s_and_saveexec_b64 s[0:1], s[4:5]
	s_cbranch_execz .LBB497_166
; %bb.165:
	v_sub_f32_e32 v22, v23, v21
	s_mov_b32 s2, 0x3fb8aa3b
	v_mul_f32_e32 v23, 0x3fb8aa3b, v22
	v_fma_f32 v24, v22, s2, -v23
	v_rndne_f32_e32 v25, v23
	v_fmac_f32_e32 v24, 0x32a5705f, v22
	v_sub_f32_e32 v23, v23, v25
	v_add_f32_e32 v23, v23, v24
	v_exp_f32_e32 v23, v23
	v_cvt_i32_f32_e32 v24, v25
	s_mov_b32 s2, 0xc2ce8ed0
	v_cmp_ngt_f32_e32 vcc, s2, v22
	s_mov_b32 s2, 0x42b17218
	v_ldexp_f32 v23, v23, v24
	v_cndmask_b32_e32 v23, 0, v23, vcc
	v_mov_b32_e32 v24, 0x7f800000
	v_cmp_nlt_f32_e32 vcc, s2, v22
	v_cndmask_b32_e32 v25, v24, v23, vcc
	v_add_f32_e32 v26, 1.0, v25
	v_cvt_f64_f32_e32 v[22:23], v26
	v_add_f32_e32 v27, -1.0, v26
	v_sub_f32_e32 v28, v27, v26
	v_sub_f32_e32 v27, v25, v27
	v_frexp_exp_i32_f64_e32 v22, v[22:23]
	v_add_f32_e32 v23, 1.0, v28
	v_add_f32_e32 v23, v27, v23
	v_frexp_mant_f32_e32 v27, v26
	s_mov_b32 s4, 0x3f2aaaab
	v_cmp_gt_f32_e32 vcc, s4, v27
	s_mov_b32 s4, 0x3f317218
	s_mov_b32 s2, 0x7f800000
	v_subbrev_co_u32_e32 v22, vcc, 0, v22, vcc
	v_sub_u32_e32 v27, 0, v22
	v_ldexp_f32 v26, v26, v27
	v_ldexp_f32 v23, v23, v27
	v_add_f32_e32 v27, -1.0, v26
	v_add_f32_e32 v30, 1.0, v26
	v_add_f32_e32 v28, 1.0, v27
	v_add_f32_e32 v31, -1.0, v30
	v_sub_f32_e32 v28, v26, v28
	v_sub_f32_e32 v26, v26, v31
	v_add_f32_e32 v28, v23, v28
	v_add_f32_e32 v23, v23, v26
	;; [unrolled: 1-line block ×3, first 2 shown]
	v_rcp_f32_e32 v31, v26
	v_add_f32_e32 v29, v27, v28
	v_sub_f32_e32 v27, v27, v29
	v_add_f32_e32 v27, v28, v27
	v_sub_f32_e32 v28, v30, v26
	v_add_f32_e32 v23, v23, v28
	v_mul_f32_e32 v28, v29, v31
	v_mul_f32_e32 v30, v26, v28
	v_fma_f32 v32, v28, v26, -v30
	v_fmac_f32_e32 v32, v28, v23
	v_add_f32_e32 v33, v30, v32
	v_sub_f32_e32 v34, v29, v33
	v_sub_f32_e32 v29, v29, v34
	;; [unrolled: 1-line block ×4, first 2 shown]
	v_add_f32_e32 v27, v27, v29
	v_sub_f32_e32 v29, v30, v32
	v_add_f32_e32 v27, v29, v27
	v_add_f32_e32 v29, v34, v27
	v_mul_f32_e32 v30, v31, v29
	v_mul_f32_e32 v32, v26, v30
	v_fma_f32 v26, v30, v26, -v32
	v_fmac_f32_e32 v26, v30, v23
	v_sub_f32_e32 v23, v34, v29
	v_add_f32_e32 v23, v27, v23
	v_add_f32_e32 v27, v32, v26
	v_sub_f32_e32 v33, v29, v27
	v_sub_f32_e32 v29, v29, v33
	;; [unrolled: 1-line block ×4, first 2 shown]
	v_add_f32_e32 v23, v23, v27
	v_sub_f32_e32 v26, v32, v26
	v_add_f32_e32 v23, v26, v23
	v_add_f32_e32 v26, v28, v30
	;; [unrolled: 1-line block ×3, first 2 shown]
	v_sub_f32_e32 v27, v26, v28
	v_mul_f32_e32 v23, v31, v23
	v_sub_f32_e32 v27, v30, v27
	v_add_f32_e32 v23, v27, v23
	v_cvt_f32_i32_e32 v22, v22
	v_add_f32_e32 v27, v26, v23
	v_mul_f32_e32 v28, v27, v27
	v_mov_b32_e32 v29, 0x3ecc95a3
	v_fmac_f32_e32 v29, 0x3e9b6dac, v28
	v_mov_b32_e32 v30, 0x3f2aaada
	v_fmac_f32_e32 v30, v28, v29
	v_mul_f32_e32 v29, 0x3f317218, v22
	v_fma_f32 v31, v22, s4, -v29
	v_fmac_f32_e32 v31, 0xb102e308, v22
	v_sub_f32_e32 v22, v27, v26
	v_sub_f32_e32 v22, v23, v22
	v_add_f32_e32 v23, v29, v31
	v_sub_f32_e32 v26, v23, v29
	v_ldexp_f32 v29, v27, 1
	v_mul_f32_e32 v27, v27, v28
	v_mul_f32_e32 v27, v27, v30
	v_add_f32_e32 v28, v29, v27
	v_sub_f32_e32 v29, v28, v29
	v_ldexp_f32 v22, v22, 1
	v_sub_f32_e32 v27, v27, v29
	v_add_f32_e32 v22, v22, v27
	v_add_f32_e32 v27, v28, v22
	v_sub_f32_e32 v28, v27, v28
	v_sub_f32_e32 v22, v22, v28
	v_add_f32_e32 v28, v23, v27
	v_sub_f32_e32 v29, v28, v23
	v_sub_f32_e32 v30, v28, v29
	;; [unrolled: 1-line block ×5, first 2 shown]
	v_add_f32_e32 v23, v27, v23
	v_add_f32_e32 v27, v26, v22
	v_sub_f32_e32 v29, v27, v26
	v_sub_f32_e32 v30, v27, v29
	;; [unrolled: 1-line block ×4, first 2 shown]
	v_add_f32_e32 v23, v27, v23
	v_add_f32_e32 v22, v22, v26
	;; [unrolled: 1-line block ×3, first 2 shown]
	v_sub_f32_e32 v27, v26, v28
	v_sub_f32_e32 v23, v23, v27
	v_add_f32_e32 v22, v22, v23
	v_add_f32_e32 v22, v26, v22
	v_cmp_neq_f32_e32 vcc, s2, v25
	s_mov_b32 s2, 0x33800000
	v_cndmask_b32_e32 v22, v24, v22, vcc
	v_cmp_lt_f32_e64 vcc, |v25|, s2
	v_cndmask_b32_e32 v22, v22, v25, vcc
	v_add_f32_e32 v22, v21, v22
.LBB497_166:
	s_or_b64 exec, exec, s[0:1]
	v_bfe_u32 v21, v22, 16, 1
	v_add3_u32 v21, v22, v21, s3
	v_cmp_o_f32_e32 vcc, v22, v22
	v_cndmask_b32_sdwa v20, v20, v21, vcc dst_sel:DWORD dst_unused:UNUSED_PAD src0_sel:DWORD src1_sel:WORD_1
	v_lshlrev_b32_e32 v21, 16, v20
	v_max_f32_e32 v23, v21, v21
	v_min_f32_e32 v22, v23, v37
	v_cmp_u_f32_e32 vcc, v21, v21
	v_max_f32_e32 v23, v23, v37
	v_cndmask_b32_e32 v22, v22, v21, vcc
	v_cndmask_b32_e32 v23, v23, v21, vcc
	v_cndmask_b32_e64 v22, v22, v12, s[78:79]
	v_cndmask_b32_e64 v12, v23, v12, s[78:79]
	s_movk_i32 s2, 0x1f8
	v_cmp_neq_f32_e32 vcc, v22, v12
	v_cmp_class_f32_e64 s[0:1], v22, s2
	s_or_b64 s[4:5], vcc, s[0:1]
	s_and_saveexec_b64 s[0:1], s[4:5]
	s_cbranch_execz .LBB497_168
; %bb.167:
	v_sub_f32_e32 v21, v22, v12
	s_mov_b32 s3, 0x3fb8aa3b
	v_mul_f32_e32 v22, 0x3fb8aa3b, v21
	v_fma_f32 v23, v21, s3, -v22
	v_rndne_f32_e32 v24, v22
	v_fmac_f32_e32 v23, 0x32a5705f, v21
	v_sub_f32_e32 v22, v22, v24
	v_add_f32_e32 v22, v22, v23
	v_exp_f32_e32 v22, v22
	v_cvt_i32_f32_e32 v23, v24
	s_mov_b32 s3, 0xc2ce8ed0
	v_cmp_ngt_f32_e32 vcc, s3, v21
	s_mov_b32 s3, 0x42b17218
	v_ldexp_f32 v22, v22, v23
	v_cndmask_b32_e32 v22, 0, v22, vcc
	v_mov_b32_e32 v23, 0x7f800000
	v_cmp_nlt_f32_e32 vcc, s3, v21
	v_cndmask_b32_e32 v24, v23, v22, vcc
	v_add_f32_e32 v25, 1.0, v24
	v_cvt_f64_f32_e32 v[21:22], v25
	v_add_f32_e32 v26, -1.0, v25
	v_sub_f32_e32 v27, v26, v25
	v_sub_f32_e32 v26, v24, v26
	v_frexp_exp_i32_f64_e32 v21, v[21:22]
	v_add_f32_e32 v22, 1.0, v27
	v_add_f32_e32 v22, v26, v22
	v_frexp_mant_f32_e32 v26, v25
	s_mov_b32 s4, 0x3f2aaaab
	v_cmp_gt_f32_e32 vcc, s4, v26
	s_mov_b32 s4, 0x3f317218
	s_mov_b32 s3, 0x7f800000
	v_subbrev_co_u32_e32 v21, vcc, 0, v21, vcc
	v_sub_u32_e32 v26, 0, v21
	v_ldexp_f32 v25, v25, v26
	v_ldexp_f32 v22, v22, v26
	v_add_f32_e32 v26, -1.0, v25
	v_add_f32_e32 v29, 1.0, v25
	v_add_f32_e32 v27, 1.0, v26
	v_add_f32_e32 v30, -1.0, v29
	v_sub_f32_e32 v27, v25, v27
	v_sub_f32_e32 v25, v25, v30
	v_add_f32_e32 v27, v22, v27
	v_add_f32_e32 v22, v22, v25
	;; [unrolled: 1-line block ×3, first 2 shown]
	v_rcp_f32_e32 v30, v25
	v_add_f32_e32 v28, v26, v27
	v_sub_f32_e32 v26, v26, v28
	v_add_f32_e32 v26, v27, v26
	v_sub_f32_e32 v27, v29, v25
	v_add_f32_e32 v22, v22, v27
	v_mul_f32_e32 v27, v28, v30
	v_mul_f32_e32 v29, v25, v27
	v_fma_f32 v31, v27, v25, -v29
	v_fmac_f32_e32 v31, v27, v22
	v_add_f32_e32 v32, v29, v31
	v_sub_f32_e32 v33, v28, v32
	v_sub_f32_e32 v28, v28, v33
	;; [unrolled: 1-line block ×4, first 2 shown]
	v_add_f32_e32 v26, v26, v28
	v_sub_f32_e32 v28, v29, v31
	v_add_f32_e32 v26, v28, v26
	v_add_f32_e32 v28, v33, v26
	v_mul_f32_e32 v29, v30, v28
	v_mul_f32_e32 v31, v25, v29
	v_fma_f32 v25, v29, v25, -v31
	v_fmac_f32_e32 v25, v29, v22
	v_sub_f32_e32 v22, v33, v28
	v_add_f32_e32 v22, v26, v22
	v_add_f32_e32 v26, v31, v25
	v_sub_f32_e32 v32, v28, v26
	v_sub_f32_e32 v28, v28, v32
	;; [unrolled: 1-line block ×4, first 2 shown]
	v_add_f32_e32 v22, v22, v26
	v_sub_f32_e32 v25, v31, v25
	v_add_f32_e32 v22, v25, v22
	v_add_f32_e32 v25, v27, v29
	;; [unrolled: 1-line block ×3, first 2 shown]
	v_sub_f32_e32 v26, v25, v27
	v_mul_f32_e32 v22, v30, v22
	v_sub_f32_e32 v26, v29, v26
	v_add_f32_e32 v22, v26, v22
	v_cvt_f32_i32_e32 v21, v21
	v_add_f32_e32 v26, v25, v22
	v_mul_f32_e32 v27, v26, v26
	v_mov_b32_e32 v28, 0x3ecc95a3
	v_fmac_f32_e32 v28, 0x3e9b6dac, v27
	v_mov_b32_e32 v29, 0x3f2aaada
	v_fmac_f32_e32 v29, v27, v28
	v_mul_f32_e32 v28, 0x3f317218, v21
	v_fma_f32 v30, v21, s4, -v28
	v_fmac_f32_e32 v30, 0xb102e308, v21
	v_sub_f32_e32 v21, v26, v25
	v_sub_f32_e32 v21, v22, v21
	v_add_f32_e32 v22, v28, v30
	v_sub_f32_e32 v25, v22, v28
	v_ldexp_f32 v28, v26, 1
	v_mul_f32_e32 v26, v26, v27
	v_mul_f32_e32 v26, v26, v29
	v_add_f32_e32 v27, v28, v26
	v_sub_f32_e32 v28, v27, v28
	v_ldexp_f32 v21, v21, 1
	v_sub_f32_e32 v26, v26, v28
	v_add_f32_e32 v21, v21, v26
	v_add_f32_e32 v26, v27, v21
	v_sub_f32_e32 v27, v26, v27
	v_sub_f32_e32 v21, v21, v27
	v_add_f32_e32 v27, v22, v26
	v_sub_f32_e32 v28, v27, v22
	v_sub_f32_e32 v29, v27, v28
	;; [unrolled: 1-line block ×5, first 2 shown]
	v_add_f32_e32 v22, v26, v22
	v_add_f32_e32 v26, v25, v21
	v_sub_f32_e32 v28, v26, v25
	v_sub_f32_e32 v29, v26, v28
	;; [unrolled: 1-line block ×4, first 2 shown]
	v_add_f32_e32 v22, v26, v22
	v_add_f32_e32 v21, v21, v25
	;; [unrolled: 1-line block ×3, first 2 shown]
	v_sub_f32_e32 v26, v25, v27
	v_sub_f32_e32 v22, v22, v26
	v_add_f32_e32 v21, v21, v22
	v_add_f32_e32 v21, v25, v21
	v_cmp_neq_f32_e32 vcc, s3, v24
	s_mov_b32 s3, 0x33800000
	v_cndmask_b32_e32 v21, v23, v21, vcc
	v_cmp_lt_f32_e64 vcc, |v24|, s3
	v_cndmask_b32_e32 v21, v21, v24, vcc
	v_add_f32_e32 v21, v12, v21
.LBB497_168:
	s_or_b64 exec, exec, s[0:1]
	v_bfe_u32 v12, v21, 16, 1
	s_movk_i32 s3, 0x7fff
	v_add3_u32 v12, v21, v12, s3
	v_cmp_o_f32_e32 vcc, v21, v21
	v_mov_b32_e32 v21, 0x7fc0
	v_cndmask_b32_sdwa v12, v21, v12, vcc dst_sel:DWORD dst_unused:UNUSED_PAD src0_sel:DWORD src1_sel:WORD_1
	v_lshlrev_b32_e32 v23, 16, v12
	v_max_f32_e32 v22, v23, v23
	v_min_f32_e32 v24, v22, v38
	v_cmp_u_f32_e32 vcc, v23, v23
	v_max_f32_e32 v22, v22, v38
	v_cndmask_b32_e32 v24, v24, v23, vcc
	v_cndmask_b32_e32 v22, v22, v23, vcc
	v_cndmask_b32_e64 v24, v24, v36, s[80:81]
	v_cndmask_b32_e64 v22, v22, v36, s[80:81]
	v_cmp_neq_f32_e32 vcc, v24, v22
	v_cmp_class_f32_e64 s[0:1], v24, s2
	s_or_b64 s[4:5], vcc, s[0:1]
	s_and_saveexec_b64 s[0:1], s[4:5]
	s_cbranch_execz .LBB497_170
; %bb.169:
	v_sub_f32_e32 v23, v24, v22
	s_mov_b32 s2, 0x3fb8aa3b
	v_mul_f32_e32 v24, 0x3fb8aa3b, v23
	v_fma_f32 v25, v23, s2, -v24
	v_rndne_f32_e32 v26, v24
	v_fmac_f32_e32 v25, 0x32a5705f, v23
	v_sub_f32_e32 v24, v24, v26
	v_add_f32_e32 v24, v24, v25
	v_exp_f32_e32 v24, v24
	v_cvt_i32_f32_e32 v25, v26
	s_mov_b32 s2, 0xc2ce8ed0
	v_cmp_ngt_f32_e32 vcc, s2, v23
	s_mov_b32 s2, 0x42b17218
	v_ldexp_f32 v24, v24, v25
	v_cndmask_b32_e32 v24, 0, v24, vcc
	v_mov_b32_e32 v25, 0x7f800000
	v_cmp_nlt_f32_e32 vcc, s2, v23
	v_cndmask_b32_e32 v26, v25, v24, vcc
	v_add_f32_e32 v27, 1.0, v26
	v_cvt_f64_f32_e32 v[23:24], v27
	v_add_f32_e32 v28, -1.0, v27
	v_sub_f32_e32 v29, v28, v27
	v_sub_f32_e32 v28, v26, v28
	v_frexp_exp_i32_f64_e32 v23, v[23:24]
	v_add_f32_e32 v24, 1.0, v29
	v_add_f32_e32 v24, v28, v24
	v_frexp_mant_f32_e32 v28, v27
	s_mov_b32 s4, 0x3f2aaaab
	v_cmp_gt_f32_e32 vcc, s4, v28
	s_mov_b32 s4, 0x3f317218
	s_mov_b32 s2, 0x7f800000
	v_subbrev_co_u32_e32 v23, vcc, 0, v23, vcc
	v_sub_u32_e32 v28, 0, v23
	v_ldexp_f32 v27, v27, v28
	v_ldexp_f32 v24, v24, v28
	v_add_f32_e32 v28, -1.0, v27
	v_add_f32_e32 v31, 1.0, v27
	v_add_f32_e32 v29, 1.0, v28
	v_add_f32_e32 v32, -1.0, v31
	v_sub_f32_e32 v29, v27, v29
	v_sub_f32_e32 v27, v27, v32
	v_add_f32_e32 v29, v24, v29
	v_add_f32_e32 v24, v24, v27
	;; [unrolled: 1-line block ×3, first 2 shown]
	v_rcp_f32_e32 v32, v27
	v_add_f32_e32 v30, v28, v29
	v_sub_f32_e32 v28, v28, v30
	v_add_f32_e32 v28, v29, v28
	v_sub_f32_e32 v29, v31, v27
	v_add_f32_e32 v24, v24, v29
	v_mul_f32_e32 v29, v30, v32
	v_mul_f32_e32 v31, v27, v29
	v_fma_f32 v33, v29, v27, -v31
	v_fmac_f32_e32 v33, v29, v24
	v_add_f32_e32 v34, v31, v33
	v_sub_f32_e32 v35, v30, v34
	v_sub_f32_e32 v30, v30, v35
	;; [unrolled: 1-line block ×4, first 2 shown]
	v_add_f32_e32 v28, v28, v30
	v_sub_f32_e32 v30, v31, v33
	v_add_f32_e32 v28, v30, v28
	v_add_f32_e32 v30, v35, v28
	v_mul_f32_e32 v31, v32, v30
	v_mul_f32_e32 v33, v27, v31
	v_fma_f32 v27, v31, v27, -v33
	v_fmac_f32_e32 v27, v31, v24
	v_sub_f32_e32 v24, v35, v30
	v_add_f32_e32 v24, v28, v24
	v_add_f32_e32 v28, v33, v27
	v_sub_f32_e32 v34, v30, v28
	v_sub_f32_e32 v30, v30, v34
	;; [unrolled: 1-line block ×4, first 2 shown]
	v_add_f32_e32 v24, v24, v28
	v_sub_f32_e32 v27, v33, v27
	v_add_f32_e32 v24, v27, v24
	v_add_f32_e32 v27, v29, v31
	v_add_f32_e32 v24, v34, v24
	v_sub_f32_e32 v28, v27, v29
	v_mul_f32_e32 v24, v32, v24
	v_sub_f32_e32 v28, v31, v28
	v_add_f32_e32 v24, v28, v24
	v_cvt_f32_i32_e32 v23, v23
	v_add_f32_e32 v28, v27, v24
	v_mul_f32_e32 v29, v28, v28
	v_mov_b32_e32 v30, 0x3ecc95a3
	v_fmac_f32_e32 v30, 0x3e9b6dac, v29
	v_mov_b32_e32 v31, 0x3f2aaada
	v_fmac_f32_e32 v31, v29, v30
	v_mul_f32_e32 v30, 0x3f317218, v23
	v_fma_f32 v32, v23, s4, -v30
	v_fmac_f32_e32 v32, 0xb102e308, v23
	v_sub_f32_e32 v23, v28, v27
	v_sub_f32_e32 v23, v24, v23
	v_add_f32_e32 v24, v30, v32
	v_sub_f32_e32 v27, v24, v30
	v_ldexp_f32 v30, v28, 1
	v_mul_f32_e32 v28, v28, v29
	v_mul_f32_e32 v28, v28, v31
	v_add_f32_e32 v29, v30, v28
	v_sub_f32_e32 v30, v29, v30
	v_ldexp_f32 v23, v23, 1
	v_sub_f32_e32 v28, v28, v30
	v_add_f32_e32 v23, v23, v28
	v_add_f32_e32 v28, v29, v23
	v_sub_f32_e32 v29, v28, v29
	v_sub_f32_e32 v23, v23, v29
	v_add_f32_e32 v29, v24, v28
	v_sub_f32_e32 v30, v29, v24
	v_sub_f32_e32 v31, v29, v30
	;; [unrolled: 1-line block ×5, first 2 shown]
	v_add_f32_e32 v24, v28, v24
	v_add_f32_e32 v28, v27, v23
	v_sub_f32_e32 v30, v28, v27
	v_sub_f32_e32 v31, v28, v30
	;; [unrolled: 1-line block ×4, first 2 shown]
	v_add_f32_e32 v24, v28, v24
	v_add_f32_e32 v23, v23, v27
	;; [unrolled: 1-line block ×3, first 2 shown]
	v_sub_f32_e32 v28, v27, v29
	v_sub_f32_e32 v24, v24, v28
	v_add_f32_e32 v23, v23, v24
	v_add_f32_e32 v23, v27, v23
	v_cmp_neq_f32_e32 vcc, s2, v26
	s_mov_b32 s2, 0x33800000
	v_cndmask_b32_e32 v23, v25, v23, vcc
	v_cmp_lt_f32_e64 vcc, |v26|, s2
	v_cndmask_b32_e32 v23, v23, v26, vcc
	v_add_f32_e32 v23, v22, v23
.LBB497_170:
	s_or_b64 exec, exec, s[0:1]
	v_bfe_u32 v22, v23, 16, 1
	v_add3_u32 v22, v23, v22, s3
	v_cmp_o_f32_e32 vcc, v23, v23
	v_cndmask_b32_sdwa v21, v21, v22, vcc dst_sel:DWORD dst_unused:UNUSED_PAD src0_sel:DWORD src1_sel:WORD_1
	v_lshlrev_b32_e32 v22, 16, v21
	v_max_f32_e32 v24, v22, v22
	v_min_f32_e32 v23, v24, v40
	v_cmp_u_f32_e32 vcc, v22, v22
	v_max_f32_e32 v24, v24, v40
	v_cndmask_b32_e32 v23, v23, v22, vcc
	v_cndmask_b32_e32 v24, v24, v22, vcc
	v_cndmask_b32_e64 v23, v23, v5, s[82:83]
	v_cndmask_b32_e64 v5, v24, v5, s[82:83]
	s_movk_i32 s2, 0x1f8
	v_cmp_neq_f32_e32 vcc, v23, v5
	v_cmp_class_f32_e64 s[0:1], v23, s2
	s_or_b64 s[4:5], vcc, s[0:1]
	s_and_saveexec_b64 s[0:1], s[4:5]
	s_cbranch_execz .LBB497_172
; %bb.171:
	v_sub_f32_e32 v22, v23, v5
	s_mov_b32 s3, 0x3fb8aa3b
	v_mul_f32_e32 v23, 0x3fb8aa3b, v22
	v_fma_f32 v24, v22, s3, -v23
	v_rndne_f32_e32 v25, v23
	v_fmac_f32_e32 v24, 0x32a5705f, v22
	v_sub_f32_e32 v23, v23, v25
	v_add_f32_e32 v23, v23, v24
	v_exp_f32_e32 v23, v23
	v_cvt_i32_f32_e32 v24, v25
	s_mov_b32 s3, 0xc2ce8ed0
	v_cmp_ngt_f32_e32 vcc, s3, v22
	s_mov_b32 s3, 0x42b17218
	v_ldexp_f32 v23, v23, v24
	v_cndmask_b32_e32 v23, 0, v23, vcc
	v_mov_b32_e32 v24, 0x7f800000
	v_cmp_nlt_f32_e32 vcc, s3, v22
	v_cndmask_b32_e32 v25, v24, v23, vcc
	v_add_f32_e32 v26, 1.0, v25
	v_cvt_f64_f32_e32 v[22:23], v26
	v_add_f32_e32 v27, -1.0, v26
	v_sub_f32_e32 v28, v27, v26
	v_sub_f32_e32 v27, v25, v27
	v_frexp_exp_i32_f64_e32 v22, v[22:23]
	v_add_f32_e32 v23, 1.0, v28
	v_add_f32_e32 v23, v27, v23
	v_frexp_mant_f32_e32 v27, v26
	s_mov_b32 s4, 0x3f2aaaab
	v_cmp_gt_f32_e32 vcc, s4, v27
	s_mov_b32 s4, 0x3f317218
	s_mov_b32 s3, 0x7f800000
	v_subbrev_co_u32_e32 v22, vcc, 0, v22, vcc
	v_sub_u32_e32 v27, 0, v22
	v_ldexp_f32 v26, v26, v27
	v_ldexp_f32 v23, v23, v27
	v_add_f32_e32 v27, -1.0, v26
	v_add_f32_e32 v30, 1.0, v26
	v_add_f32_e32 v28, 1.0, v27
	v_add_f32_e32 v31, -1.0, v30
	v_sub_f32_e32 v28, v26, v28
	v_sub_f32_e32 v26, v26, v31
	v_add_f32_e32 v28, v23, v28
	v_add_f32_e32 v23, v23, v26
	;; [unrolled: 1-line block ×3, first 2 shown]
	v_rcp_f32_e32 v31, v26
	v_add_f32_e32 v29, v27, v28
	v_sub_f32_e32 v27, v27, v29
	v_add_f32_e32 v27, v28, v27
	v_sub_f32_e32 v28, v30, v26
	v_add_f32_e32 v23, v23, v28
	v_mul_f32_e32 v28, v29, v31
	v_mul_f32_e32 v30, v26, v28
	v_fma_f32 v32, v28, v26, -v30
	v_fmac_f32_e32 v32, v28, v23
	v_add_f32_e32 v33, v30, v32
	v_sub_f32_e32 v34, v29, v33
	v_sub_f32_e32 v29, v29, v34
	;; [unrolled: 1-line block ×4, first 2 shown]
	v_add_f32_e32 v27, v27, v29
	v_sub_f32_e32 v29, v30, v32
	v_add_f32_e32 v27, v29, v27
	v_add_f32_e32 v29, v34, v27
	v_mul_f32_e32 v30, v31, v29
	v_mul_f32_e32 v32, v26, v30
	v_fma_f32 v26, v30, v26, -v32
	v_fmac_f32_e32 v26, v30, v23
	v_sub_f32_e32 v23, v34, v29
	v_add_f32_e32 v23, v27, v23
	v_add_f32_e32 v27, v32, v26
	v_sub_f32_e32 v33, v29, v27
	v_sub_f32_e32 v29, v29, v33
	;; [unrolled: 1-line block ×4, first 2 shown]
	v_add_f32_e32 v23, v23, v27
	v_sub_f32_e32 v26, v32, v26
	v_add_f32_e32 v23, v26, v23
	v_add_f32_e32 v26, v28, v30
	;; [unrolled: 1-line block ×3, first 2 shown]
	v_sub_f32_e32 v27, v26, v28
	v_mul_f32_e32 v23, v31, v23
	v_sub_f32_e32 v27, v30, v27
	v_add_f32_e32 v23, v27, v23
	v_cvt_f32_i32_e32 v22, v22
	v_add_f32_e32 v27, v26, v23
	v_mul_f32_e32 v28, v27, v27
	v_mov_b32_e32 v29, 0x3ecc95a3
	v_fmac_f32_e32 v29, 0x3e9b6dac, v28
	v_mov_b32_e32 v30, 0x3f2aaada
	v_fmac_f32_e32 v30, v28, v29
	v_mul_f32_e32 v29, 0x3f317218, v22
	v_fma_f32 v31, v22, s4, -v29
	v_fmac_f32_e32 v31, 0xb102e308, v22
	v_sub_f32_e32 v22, v27, v26
	v_sub_f32_e32 v22, v23, v22
	v_add_f32_e32 v23, v29, v31
	v_sub_f32_e32 v26, v23, v29
	v_ldexp_f32 v29, v27, 1
	v_mul_f32_e32 v27, v27, v28
	v_mul_f32_e32 v27, v27, v30
	v_add_f32_e32 v28, v29, v27
	v_sub_f32_e32 v29, v28, v29
	v_ldexp_f32 v22, v22, 1
	v_sub_f32_e32 v27, v27, v29
	v_add_f32_e32 v22, v22, v27
	v_add_f32_e32 v27, v28, v22
	v_sub_f32_e32 v28, v27, v28
	v_sub_f32_e32 v22, v22, v28
	v_add_f32_e32 v28, v23, v27
	v_sub_f32_e32 v29, v28, v23
	v_sub_f32_e32 v30, v28, v29
	;; [unrolled: 1-line block ×5, first 2 shown]
	v_add_f32_e32 v23, v27, v23
	v_add_f32_e32 v27, v26, v22
	v_sub_f32_e32 v29, v27, v26
	v_sub_f32_e32 v30, v27, v29
	;; [unrolled: 1-line block ×4, first 2 shown]
	v_add_f32_e32 v23, v27, v23
	v_add_f32_e32 v22, v22, v26
	;; [unrolled: 1-line block ×3, first 2 shown]
	v_sub_f32_e32 v27, v26, v28
	v_sub_f32_e32 v23, v23, v27
	v_add_f32_e32 v22, v22, v23
	v_add_f32_e32 v22, v26, v22
	v_cmp_neq_f32_e32 vcc, s3, v25
	s_mov_b32 s3, 0x33800000
	v_cndmask_b32_e32 v22, v24, v22, vcc
	v_cmp_lt_f32_e64 vcc, |v25|, s3
	v_cndmask_b32_e32 v22, v22, v25, vcc
	v_add_f32_e32 v22, v5, v22
.LBB497_172:
	s_or_b64 exec, exec, s[0:1]
	v_bfe_u32 v5, v22, 16, 1
	s_movk_i32 s3, 0x7fff
	v_add3_u32 v5, v22, v5, s3
	v_cmp_o_f32_e32 vcc, v22, v22
	v_mov_b32_e32 v22, 0x7fc0
	v_cndmask_b32_sdwa v5, v22, v5, vcc dst_sel:DWORD dst_unused:UNUSED_PAD src0_sel:DWORD src1_sel:WORD_1
	v_lshlrev_b32_e32 v24, 16, v5
	v_max_f32_e32 v23, v24, v24
	v_min_f32_e32 v25, v23, v41
	v_cmp_u_f32_e32 vcc, v24, v24
	v_max_f32_e32 v23, v23, v41
	v_cndmask_b32_e32 v25, v25, v24, vcc
	v_cndmask_b32_e32 v23, v23, v24, vcc
	v_cndmask_b32_e64 v25, v25, v39, s[84:85]
	v_cndmask_b32_e64 v23, v23, v39, s[84:85]
	v_cmp_neq_f32_e32 vcc, v25, v23
	v_cmp_class_f32_e64 s[0:1], v25, s2
	s_or_b64 s[4:5], vcc, s[0:1]
	s_and_saveexec_b64 s[0:1], s[4:5]
	s_cbranch_execz .LBB497_174
; %bb.173:
	v_sub_f32_e32 v24, v25, v23
	s_mov_b32 s2, 0x3fb8aa3b
	v_mul_f32_e32 v25, 0x3fb8aa3b, v24
	v_fma_f32 v26, v24, s2, -v25
	v_rndne_f32_e32 v27, v25
	v_fmac_f32_e32 v26, 0x32a5705f, v24
	v_sub_f32_e32 v25, v25, v27
	v_add_f32_e32 v25, v25, v26
	v_exp_f32_e32 v25, v25
	v_cvt_i32_f32_e32 v26, v27
	s_mov_b32 s2, 0xc2ce8ed0
	v_cmp_ngt_f32_e32 vcc, s2, v24
	s_mov_b32 s2, 0x42b17218
	v_ldexp_f32 v25, v25, v26
	v_cndmask_b32_e32 v25, 0, v25, vcc
	v_mov_b32_e32 v26, 0x7f800000
	v_cmp_nlt_f32_e32 vcc, s2, v24
	v_cndmask_b32_e32 v27, v26, v25, vcc
	v_add_f32_e32 v28, 1.0, v27
	v_cvt_f64_f32_e32 v[24:25], v28
	v_add_f32_e32 v29, -1.0, v28
	v_sub_f32_e32 v30, v29, v28
	v_sub_f32_e32 v29, v27, v29
	v_frexp_exp_i32_f64_e32 v24, v[24:25]
	v_add_f32_e32 v25, 1.0, v30
	v_add_f32_e32 v25, v29, v25
	v_frexp_mant_f32_e32 v29, v28
	s_mov_b32 s4, 0x3f2aaaab
	v_cmp_gt_f32_e32 vcc, s4, v29
	s_mov_b32 s4, 0x3f317218
	s_mov_b32 s2, 0x7f800000
	v_subbrev_co_u32_e32 v24, vcc, 0, v24, vcc
	v_sub_u32_e32 v29, 0, v24
	v_ldexp_f32 v28, v28, v29
	v_ldexp_f32 v25, v25, v29
	v_add_f32_e32 v29, -1.0, v28
	v_add_f32_e32 v32, 1.0, v28
	v_add_f32_e32 v30, 1.0, v29
	v_add_f32_e32 v33, -1.0, v32
	v_sub_f32_e32 v30, v28, v30
	v_sub_f32_e32 v28, v28, v33
	v_add_f32_e32 v30, v25, v30
	v_add_f32_e32 v25, v25, v28
	;; [unrolled: 1-line block ×3, first 2 shown]
	v_rcp_f32_e32 v33, v28
	v_add_f32_e32 v31, v29, v30
	v_sub_f32_e32 v29, v29, v31
	v_add_f32_e32 v29, v30, v29
	v_sub_f32_e32 v30, v32, v28
	v_add_f32_e32 v25, v25, v30
	v_mul_f32_e32 v30, v31, v33
	v_mul_f32_e32 v32, v28, v30
	v_fma_f32 v34, v30, v28, -v32
	v_fmac_f32_e32 v34, v30, v25
	v_add_f32_e32 v35, v32, v34
	v_sub_f32_e32 v36, v31, v35
	v_sub_f32_e32 v31, v31, v36
	v_sub_f32_e32 v32, v35, v32
	v_sub_f32_e32 v31, v31, v35
	v_add_f32_e32 v29, v29, v31
	v_sub_f32_e32 v31, v32, v34
	v_add_f32_e32 v29, v31, v29
	v_add_f32_e32 v31, v36, v29
	v_mul_f32_e32 v32, v33, v31
	v_mul_f32_e32 v34, v28, v32
	v_fma_f32 v28, v32, v28, -v34
	v_fmac_f32_e32 v28, v32, v25
	v_sub_f32_e32 v25, v36, v31
	v_add_f32_e32 v25, v29, v25
	v_add_f32_e32 v29, v34, v28
	v_sub_f32_e32 v35, v31, v29
	v_sub_f32_e32 v31, v31, v35
	;; [unrolled: 1-line block ×4, first 2 shown]
	v_add_f32_e32 v25, v25, v29
	v_sub_f32_e32 v28, v34, v28
	v_add_f32_e32 v25, v28, v25
	v_add_f32_e32 v28, v30, v32
	;; [unrolled: 1-line block ×3, first 2 shown]
	v_sub_f32_e32 v29, v28, v30
	v_mul_f32_e32 v25, v33, v25
	v_sub_f32_e32 v29, v32, v29
	v_add_f32_e32 v25, v29, v25
	v_cvt_f32_i32_e32 v24, v24
	v_add_f32_e32 v29, v28, v25
	v_mul_f32_e32 v30, v29, v29
	v_mov_b32_e32 v31, 0x3ecc95a3
	v_fmac_f32_e32 v31, 0x3e9b6dac, v30
	v_mov_b32_e32 v32, 0x3f2aaada
	v_fmac_f32_e32 v32, v30, v31
	v_mul_f32_e32 v31, 0x3f317218, v24
	v_fma_f32 v33, v24, s4, -v31
	v_fmac_f32_e32 v33, 0xb102e308, v24
	v_sub_f32_e32 v24, v29, v28
	v_sub_f32_e32 v24, v25, v24
	v_add_f32_e32 v25, v31, v33
	v_sub_f32_e32 v28, v25, v31
	v_ldexp_f32 v31, v29, 1
	v_mul_f32_e32 v29, v29, v30
	v_mul_f32_e32 v29, v29, v32
	v_add_f32_e32 v30, v31, v29
	v_sub_f32_e32 v31, v30, v31
	v_ldexp_f32 v24, v24, 1
	v_sub_f32_e32 v29, v29, v31
	v_add_f32_e32 v24, v24, v29
	v_add_f32_e32 v29, v30, v24
	v_sub_f32_e32 v30, v29, v30
	v_sub_f32_e32 v24, v24, v30
	v_add_f32_e32 v30, v25, v29
	v_sub_f32_e32 v31, v30, v25
	v_sub_f32_e32 v32, v30, v31
	;; [unrolled: 1-line block ×5, first 2 shown]
	v_add_f32_e32 v25, v29, v25
	v_add_f32_e32 v29, v28, v24
	v_sub_f32_e32 v31, v29, v28
	v_sub_f32_e32 v32, v29, v31
	;; [unrolled: 1-line block ×4, first 2 shown]
	v_add_f32_e32 v25, v29, v25
	v_add_f32_e32 v24, v24, v28
	;; [unrolled: 1-line block ×3, first 2 shown]
	v_sub_f32_e32 v29, v28, v30
	v_sub_f32_e32 v25, v25, v29
	v_add_f32_e32 v24, v24, v25
	v_add_f32_e32 v24, v28, v24
	v_cmp_neq_f32_e32 vcc, s2, v27
	s_mov_b32 s2, 0x33800000
	v_cndmask_b32_e32 v24, v26, v24, vcc
	v_cmp_lt_f32_e64 vcc, |v27|, s2
	v_cndmask_b32_e32 v24, v24, v27, vcc
	v_add_f32_e32 v24, v23, v24
.LBB497_174:
	s_or_b64 exec, exec, s[0:1]
	v_bfe_u32 v23, v24, 16, 1
	v_add3_u32 v23, v24, v23, s3
	v_cmp_o_f32_e32 vcc, v24, v24
	v_cndmask_b32_sdwa v22, v22, v23, vcc dst_sel:DWORD dst_unused:UNUSED_PAD src0_sel:DWORD src1_sel:WORD_1
	v_lshlrev_b32_e32 v23, 16, v22
	v_max_f32_e32 v25, v23, v23
	v_min_f32_e32 v24, v25, v43
	v_cmp_u_f32_e32 vcc, v23, v23
	v_max_f32_e32 v25, v25, v43
	v_cndmask_b32_e32 v24, v24, v23, vcc
	v_cndmask_b32_e32 v25, v25, v23, vcc
	v_cndmask_b32_e64 v24, v24, v6, s[86:87]
	v_cndmask_b32_e64 v6, v25, v6, s[86:87]
	s_movk_i32 s2, 0x1f8
	v_cmp_neq_f32_e32 vcc, v24, v6
	v_cmp_class_f32_e64 s[0:1], v24, s2
	s_or_b64 s[4:5], vcc, s[0:1]
	s_and_saveexec_b64 s[0:1], s[4:5]
	s_cbranch_execz .LBB497_176
; %bb.175:
	v_sub_f32_e32 v23, v24, v6
	s_mov_b32 s3, 0x3fb8aa3b
	v_mul_f32_e32 v24, 0x3fb8aa3b, v23
	v_fma_f32 v25, v23, s3, -v24
	v_rndne_f32_e32 v26, v24
	v_fmac_f32_e32 v25, 0x32a5705f, v23
	v_sub_f32_e32 v24, v24, v26
	v_add_f32_e32 v24, v24, v25
	v_exp_f32_e32 v24, v24
	v_cvt_i32_f32_e32 v25, v26
	s_mov_b32 s3, 0xc2ce8ed0
	v_cmp_ngt_f32_e32 vcc, s3, v23
	s_mov_b32 s3, 0x42b17218
	v_ldexp_f32 v24, v24, v25
	v_cndmask_b32_e32 v24, 0, v24, vcc
	v_mov_b32_e32 v25, 0x7f800000
	v_cmp_nlt_f32_e32 vcc, s3, v23
	v_cndmask_b32_e32 v26, v25, v24, vcc
	v_add_f32_e32 v27, 1.0, v26
	v_cvt_f64_f32_e32 v[23:24], v27
	v_add_f32_e32 v28, -1.0, v27
	v_sub_f32_e32 v29, v28, v27
	v_sub_f32_e32 v28, v26, v28
	v_frexp_exp_i32_f64_e32 v23, v[23:24]
	v_add_f32_e32 v24, 1.0, v29
	v_add_f32_e32 v24, v28, v24
	v_frexp_mant_f32_e32 v28, v27
	s_mov_b32 s4, 0x3f2aaaab
	v_cmp_gt_f32_e32 vcc, s4, v28
	s_mov_b32 s4, 0x3f317218
	s_mov_b32 s3, 0x7f800000
	v_subbrev_co_u32_e32 v23, vcc, 0, v23, vcc
	v_sub_u32_e32 v28, 0, v23
	v_ldexp_f32 v27, v27, v28
	v_ldexp_f32 v24, v24, v28
	v_add_f32_e32 v28, -1.0, v27
	v_add_f32_e32 v31, 1.0, v27
	v_add_f32_e32 v29, 1.0, v28
	v_add_f32_e32 v32, -1.0, v31
	v_sub_f32_e32 v29, v27, v29
	v_sub_f32_e32 v27, v27, v32
	v_add_f32_e32 v29, v24, v29
	v_add_f32_e32 v24, v24, v27
	;; [unrolled: 1-line block ×3, first 2 shown]
	v_rcp_f32_e32 v32, v27
	v_add_f32_e32 v30, v28, v29
	v_sub_f32_e32 v28, v28, v30
	v_add_f32_e32 v28, v29, v28
	v_sub_f32_e32 v29, v31, v27
	v_add_f32_e32 v24, v24, v29
	v_mul_f32_e32 v29, v30, v32
	v_mul_f32_e32 v31, v27, v29
	v_fma_f32 v33, v29, v27, -v31
	v_fmac_f32_e32 v33, v29, v24
	v_add_f32_e32 v34, v31, v33
	v_sub_f32_e32 v35, v30, v34
	v_sub_f32_e32 v30, v30, v35
	;; [unrolled: 1-line block ×4, first 2 shown]
	v_add_f32_e32 v28, v28, v30
	v_sub_f32_e32 v30, v31, v33
	v_add_f32_e32 v28, v30, v28
	v_add_f32_e32 v30, v35, v28
	v_mul_f32_e32 v31, v32, v30
	v_mul_f32_e32 v33, v27, v31
	v_fma_f32 v27, v31, v27, -v33
	v_fmac_f32_e32 v27, v31, v24
	v_sub_f32_e32 v24, v35, v30
	v_add_f32_e32 v24, v28, v24
	v_add_f32_e32 v28, v33, v27
	v_sub_f32_e32 v34, v30, v28
	v_sub_f32_e32 v30, v30, v34
	;; [unrolled: 1-line block ×4, first 2 shown]
	v_add_f32_e32 v24, v24, v28
	v_sub_f32_e32 v27, v33, v27
	v_add_f32_e32 v24, v27, v24
	v_add_f32_e32 v27, v29, v31
	;; [unrolled: 1-line block ×3, first 2 shown]
	v_sub_f32_e32 v28, v27, v29
	v_mul_f32_e32 v24, v32, v24
	v_sub_f32_e32 v28, v31, v28
	v_add_f32_e32 v24, v28, v24
	v_cvt_f32_i32_e32 v23, v23
	v_add_f32_e32 v28, v27, v24
	v_mul_f32_e32 v29, v28, v28
	v_mov_b32_e32 v30, 0x3ecc95a3
	v_fmac_f32_e32 v30, 0x3e9b6dac, v29
	v_mov_b32_e32 v31, 0x3f2aaada
	v_fmac_f32_e32 v31, v29, v30
	v_mul_f32_e32 v30, 0x3f317218, v23
	v_fma_f32 v32, v23, s4, -v30
	v_fmac_f32_e32 v32, 0xb102e308, v23
	v_sub_f32_e32 v23, v28, v27
	v_sub_f32_e32 v23, v24, v23
	v_add_f32_e32 v24, v30, v32
	v_sub_f32_e32 v27, v24, v30
	v_ldexp_f32 v30, v28, 1
	v_mul_f32_e32 v28, v28, v29
	v_mul_f32_e32 v28, v28, v31
	v_add_f32_e32 v29, v30, v28
	v_sub_f32_e32 v30, v29, v30
	v_ldexp_f32 v23, v23, 1
	v_sub_f32_e32 v28, v28, v30
	v_add_f32_e32 v23, v23, v28
	v_add_f32_e32 v28, v29, v23
	v_sub_f32_e32 v29, v28, v29
	v_sub_f32_e32 v23, v23, v29
	v_add_f32_e32 v29, v24, v28
	v_sub_f32_e32 v30, v29, v24
	v_sub_f32_e32 v31, v29, v30
	;; [unrolled: 1-line block ×5, first 2 shown]
	v_add_f32_e32 v24, v28, v24
	v_add_f32_e32 v28, v27, v23
	v_sub_f32_e32 v30, v28, v27
	v_sub_f32_e32 v31, v28, v30
	;; [unrolled: 1-line block ×4, first 2 shown]
	v_add_f32_e32 v24, v28, v24
	v_add_f32_e32 v23, v23, v27
	;; [unrolled: 1-line block ×3, first 2 shown]
	v_sub_f32_e32 v28, v27, v29
	v_sub_f32_e32 v24, v24, v28
	v_add_f32_e32 v23, v23, v24
	v_add_f32_e32 v23, v27, v23
	v_cmp_neq_f32_e32 vcc, s3, v26
	s_mov_b32 s3, 0x33800000
	v_cndmask_b32_e32 v23, v25, v23, vcc
	v_cmp_lt_f32_e64 vcc, |v26|, s3
	v_cndmask_b32_e32 v23, v23, v26, vcc
	v_add_f32_e32 v23, v6, v23
.LBB497_176:
	s_or_b64 exec, exec, s[0:1]
	v_bfe_u32 v6, v23, 16, 1
	s_movk_i32 s3, 0x7fff
	v_add3_u32 v6, v23, v6, s3
	v_cmp_o_f32_e32 vcc, v23, v23
	v_mov_b32_e32 v23, 0x7fc0
	v_cndmask_b32_sdwa v6, v23, v6, vcc dst_sel:DWORD dst_unused:UNUSED_PAD src0_sel:DWORD src1_sel:WORD_1
	v_lshlrev_b32_e32 v25, 16, v6
	v_max_f32_e32 v24, v25, v25
	v_min_f32_e32 v26, v24, v44
	v_cmp_u_f32_e32 vcc, v25, v25
	v_max_f32_e32 v24, v24, v44
	v_cndmask_b32_e32 v26, v26, v25, vcc
	v_cndmask_b32_e32 v24, v24, v25, vcc
	v_cndmask_b32_e64 v26, v26, v42, s[88:89]
	v_cndmask_b32_e64 v24, v24, v42, s[88:89]
	v_cmp_neq_f32_e32 vcc, v26, v24
	v_cmp_class_f32_e64 s[0:1], v26, s2
	s_or_b64 s[4:5], vcc, s[0:1]
	s_and_saveexec_b64 s[0:1], s[4:5]
	s_cbranch_execz .LBB497_178
; %bb.177:
	v_sub_f32_e32 v25, v26, v24
	s_mov_b32 s2, 0x3fb8aa3b
	v_mul_f32_e32 v26, 0x3fb8aa3b, v25
	v_fma_f32 v27, v25, s2, -v26
	v_rndne_f32_e32 v28, v26
	v_fmac_f32_e32 v27, 0x32a5705f, v25
	v_sub_f32_e32 v26, v26, v28
	v_add_f32_e32 v26, v26, v27
	v_exp_f32_e32 v26, v26
	v_cvt_i32_f32_e32 v27, v28
	s_mov_b32 s2, 0xc2ce8ed0
	v_cmp_ngt_f32_e32 vcc, s2, v25
	s_mov_b32 s2, 0x42b17218
	v_ldexp_f32 v26, v26, v27
	v_cndmask_b32_e32 v26, 0, v26, vcc
	v_mov_b32_e32 v27, 0x7f800000
	v_cmp_nlt_f32_e32 vcc, s2, v25
	v_cndmask_b32_e32 v28, v27, v26, vcc
	v_add_f32_e32 v29, 1.0, v28
	v_cvt_f64_f32_e32 v[25:26], v29
	v_add_f32_e32 v30, -1.0, v29
	v_sub_f32_e32 v31, v30, v29
	v_sub_f32_e32 v30, v28, v30
	v_frexp_exp_i32_f64_e32 v25, v[25:26]
	v_add_f32_e32 v26, 1.0, v31
	v_add_f32_e32 v26, v30, v26
	v_frexp_mant_f32_e32 v30, v29
	s_mov_b32 s4, 0x3f2aaaab
	v_cmp_gt_f32_e32 vcc, s4, v30
	s_mov_b32 s4, 0x3f317218
	s_mov_b32 s2, 0x7f800000
	v_subbrev_co_u32_e32 v25, vcc, 0, v25, vcc
	v_sub_u32_e32 v30, 0, v25
	v_ldexp_f32 v29, v29, v30
	v_ldexp_f32 v26, v26, v30
	v_add_f32_e32 v30, -1.0, v29
	v_add_f32_e32 v33, 1.0, v29
	v_add_f32_e32 v31, 1.0, v30
	v_add_f32_e32 v34, -1.0, v33
	v_sub_f32_e32 v31, v29, v31
	v_sub_f32_e32 v29, v29, v34
	v_add_f32_e32 v31, v26, v31
	v_add_f32_e32 v26, v26, v29
	;; [unrolled: 1-line block ×3, first 2 shown]
	v_rcp_f32_e32 v34, v29
	v_add_f32_e32 v32, v30, v31
	v_sub_f32_e32 v30, v30, v32
	v_add_f32_e32 v30, v31, v30
	v_sub_f32_e32 v31, v33, v29
	v_add_f32_e32 v26, v26, v31
	v_mul_f32_e32 v31, v32, v34
	v_mul_f32_e32 v33, v29, v31
	v_fma_f32 v35, v31, v29, -v33
	v_fmac_f32_e32 v35, v31, v26
	v_add_f32_e32 v36, v33, v35
	v_sub_f32_e32 v37, v32, v36
	v_sub_f32_e32 v32, v32, v37
	;; [unrolled: 1-line block ×4, first 2 shown]
	v_add_f32_e32 v30, v30, v32
	v_sub_f32_e32 v32, v33, v35
	v_add_f32_e32 v30, v32, v30
	v_add_f32_e32 v32, v37, v30
	v_mul_f32_e32 v33, v34, v32
	v_mul_f32_e32 v35, v29, v33
	v_fma_f32 v29, v33, v29, -v35
	v_fmac_f32_e32 v29, v33, v26
	v_sub_f32_e32 v26, v37, v32
	v_add_f32_e32 v26, v30, v26
	v_add_f32_e32 v30, v35, v29
	v_sub_f32_e32 v36, v32, v30
	v_sub_f32_e32 v32, v32, v36
	;; [unrolled: 1-line block ×4, first 2 shown]
	v_add_f32_e32 v26, v26, v30
	v_sub_f32_e32 v29, v35, v29
	v_add_f32_e32 v26, v29, v26
	v_add_f32_e32 v29, v31, v33
	;; [unrolled: 1-line block ×3, first 2 shown]
	v_sub_f32_e32 v30, v29, v31
	v_mul_f32_e32 v26, v34, v26
	v_sub_f32_e32 v30, v33, v30
	v_add_f32_e32 v26, v30, v26
	v_cvt_f32_i32_e32 v25, v25
	v_add_f32_e32 v30, v29, v26
	v_mul_f32_e32 v31, v30, v30
	v_mov_b32_e32 v32, 0x3ecc95a3
	v_fmac_f32_e32 v32, 0x3e9b6dac, v31
	v_mov_b32_e32 v33, 0x3f2aaada
	v_fmac_f32_e32 v33, v31, v32
	v_mul_f32_e32 v32, 0x3f317218, v25
	v_fma_f32 v34, v25, s4, -v32
	v_fmac_f32_e32 v34, 0xb102e308, v25
	v_sub_f32_e32 v25, v30, v29
	v_sub_f32_e32 v25, v26, v25
	v_add_f32_e32 v26, v32, v34
	v_sub_f32_e32 v29, v26, v32
	v_ldexp_f32 v32, v30, 1
	v_mul_f32_e32 v30, v30, v31
	v_mul_f32_e32 v30, v30, v33
	v_add_f32_e32 v31, v32, v30
	v_sub_f32_e32 v32, v31, v32
	v_ldexp_f32 v25, v25, 1
	v_sub_f32_e32 v30, v30, v32
	v_add_f32_e32 v25, v25, v30
	v_add_f32_e32 v30, v31, v25
	v_sub_f32_e32 v31, v30, v31
	v_sub_f32_e32 v25, v25, v31
	v_add_f32_e32 v31, v26, v30
	v_sub_f32_e32 v32, v31, v26
	v_sub_f32_e32 v33, v31, v32
	;; [unrolled: 1-line block ×5, first 2 shown]
	v_add_f32_e32 v26, v30, v26
	v_add_f32_e32 v30, v29, v25
	v_sub_f32_e32 v32, v30, v29
	v_sub_f32_e32 v33, v30, v32
	;; [unrolled: 1-line block ×4, first 2 shown]
	v_add_f32_e32 v26, v30, v26
	v_add_f32_e32 v25, v25, v29
	;; [unrolled: 1-line block ×3, first 2 shown]
	v_sub_f32_e32 v30, v29, v31
	v_sub_f32_e32 v26, v26, v30
	v_add_f32_e32 v25, v25, v26
	v_add_f32_e32 v25, v29, v25
	v_cmp_neq_f32_e32 vcc, s2, v28
	s_mov_b32 s2, 0x33800000
	v_cndmask_b32_e32 v25, v27, v25, vcc
	v_cmp_lt_f32_e64 vcc, |v28|, s2
	v_cndmask_b32_e32 v25, v25, v28, vcc
	v_add_f32_e32 v25, v24, v25
.LBB497_178:
	s_or_b64 exec, exec, s[0:1]
	v_bfe_u32 v24, v25, 16, 1
	v_add3_u32 v24, v25, v24, s3
	v_cmp_o_f32_e32 vcc, v25, v25
	v_cndmask_b32_sdwa v23, v23, v24, vcc dst_sel:DWORD dst_unused:UNUSED_PAD src0_sel:DWORD src1_sel:WORD_1
	v_lshlrev_b32_e32 v24, 16, v23
	v_max_f32_e32 v26, v24, v24
	v_min_f32_e32 v25, v26, v46
	v_cmp_u_f32_e32 vcc, v24, v24
	v_max_f32_e32 v26, v26, v46
	v_cndmask_b32_e32 v25, v25, v24, vcc
	v_cndmask_b32_e32 v26, v26, v24, vcc
	v_cndmask_b32_e64 v25, v25, v7, s[90:91]
	v_cndmask_b32_e64 v7, v26, v7, s[90:91]
	s_movk_i32 s2, 0x1f8
	v_cmp_neq_f32_e32 vcc, v25, v7
	v_cmp_class_f32_e64 s[0:1], v25, s2
	s_or_b64 s[4:5], vcc, s[0:1]
	s_and_saveexec_b64 s[0:1], s[4:5]
	s_cbranch_execz .LBB497_180
; %bb.179:
	v_sub_f32_e32 v24, v25, v7
	s_mov_b32 s3, 0x3fb8aa3b
	v_mul_f32_e32 v25, 0x3fb8aa3b, v24
	v_fma_f32 v26, v24, s3, -v25
	v_rndne_f32_e32 v27, v25
	v_fmac_f32_e32 v26, 0x32a5705f, v24
	v_sub_f32_e32 v25, v25, v27
	v_add_f32_e32 v25, v25, v26
	v_exp_f32_e32 v25, v25
	v_cvt_i32_f32_e32 v26, v27
	s_mov_b32 s3, 0xc2ce8ed0
	v_cmp_ngt_f32_e32 vcc, s3, v24
	s_mov_b32 s3, 0x42b17218
	v_ldexp_f32 v25, v25, v26
	v_cndmask_b32_e32 v25, 0, v25, vcc
	v_mov_b32_e32 v26, 0x7f800000
	v_cmp_nlt_f32_e32 vcc, s3, v24
	v_cndmask_b32_e32 v27, v26, v25, vcc
	v_add_f32_e32 v28, 1.0, v27
	v_cvt_f64_f32_e32 v[24:25], v28
	v_add_f32_e32 v29, -1.0, v28
	v_sub_f32_e32 v30, v29, v28
	v_sub_f32_e32 v29, v27, v29
	v_frexp_exp_i32_f64_e32 v24, v[24:25]
	v_add_f32_e32 v25, 1.0, v30
	v_add_f32_e32 v25, v29, v25
	v_frexp_mant_f32_e32 v29, v28
	s_mov_b32 s4, 0x3f2aaaab
	v_cmp_gt_f32_e32 vcc, s4, v29
	s_mov_b32 s4, 0x3f317218
	s_mov_b32 s3, 0x7f800000
	v_subbrev_co_u32_e32 v24, vcc, 0, v24, vcc
	v_sub_u32_e32 v29, 0, v24
	v_ldexp_f32 v28, v28, v29
	v_ldexp_f32 v25, v25, v29
	v_add_f32_e32 v29, -1.0, v28
	v_add_f32_e32 v32, 1.0, v28
	v_add_f32_e32 v30, 1.0, v29
	v_add_f32_e32 v33, -1.0, v32
	v_sub_f32_e32 v30, v28, v30
	v_sub_f32_e32 v28, v28, v33
	v_add_f32_e32 v30, v25, v30
	v_add_f32_e32 v25, v25, v28
	;; [unrolled: 1-line block ×3, first 2 shown]
	v_rcp_f32_e32 v33, v28
	v_add_f32_e32 v31, v29, v30
	v_sub_f32_e32 v29, v29, v31
	v_add_f32_e32 v29, v30, v29
	v_sub_f32_e32 v30, v32, v28
	v_add_f32_e32 v25, v25, v30
	v_mul_f32_e32 v30, v31, v33
	v_mul_f32_e32 v32, v28, v30
	v_fma_f32 v34, v30, v28, -v32
	v_fmac_f32_e32 v34, v30, v25
	v_add_f32_e32 v35, v32, v34
	v_sub_f32_e32 v36, v31, v35
	v_sub_f32_e32 v31, v31, v36
	;; [unrolled: 1-line block ×4, first 2 shown]
	v_add_f32_e32 v29, v29, v31
	v_sub_f32_e32 v31, v32, v34
	v_add_f32_e32 v29, v31, v29
	v_add_f32_e32 v31, v36, v29
	v_mul_f32_e32 v32, v33, v31
	v_mul_f32_e32 v34, v28, v32
	v_fma_f32 v28, v32, v28, -v34
	v_fmac_f32_e32 v28, v32, v25
	v_sub_f32_e32 v25, v36, v31
	v_add_f32_e32 v25, v29, v25
	v_add_f32_e32 v29, v34, v28
	v_sub_f32_e32 v35, v31, v29
	v_sub_f32_e32 v31, v31, v35
	;; [unrolled: 1-line block ×4, first 2 shown]
	v_add_f32_e32 v25, v25, v29
	v_sub_f32_e32 v28, v34, v28
	v_add_f32_e32 v25, v28, v25
	v_add_f32_e32 v28, v30, v32
	;; [unrolled: 1-line block ×3, first 2 shown]
	v_sub_f32_e32 v29, v28, v30
	v_mul_f32_e32 v25, v33, v25
	v_sub_f32_e32 v29, v32, v29
	v_add_f32_e32 v25, v29, v25
	v_cvt_f32_i32_e32 v24, v24
	v_add_f32_e32 v29, v28, v25
	v_mul_f32_e32 v30, v29, v29
	v_mov_b32_e32 v31, 0x3ecc95a3
	v_fmac_f32_e32 v31, 0x3e9b6dac, v30
	v_mov_b32_e32 v32, 0x3f2aaada
	v_fmac_f32_e32 v32, v30, v31
	v_mul_f32_e32 v31, 0x3f317218, v24
	v_fma_f32 v33, v24, s4, -v31
	v_fmac_f32_e32 v33, 0xb102e308, v24
	v_sub_f32_e32 v24, v29, v28
	v_sub_f32_e32 v24, v25, v24
	v_add_f32_e32 v25, v31, v33
	v_sub_f32_e32 v28, v25, v31
	v_ldexp_f32 v31, v29, 1
	v_mul_f32_e32 v29, v29, v30
	v_mul_f32_e32 v29, v29, v32
	v_add_f32_e32 v30, v31, v29
	v_sub_f32_e32 v31, v30, v31
	v_ldexp_f32 v24, v24, 1
	v_sub_f32_e32 v29, v29, v31
	v_add_f32_e32 v24, v24, v29
	v_add_f32_e32 v29, v30, v24
	v_sub_f32_e32 v30, v29, v30
	v_sub_f32_e32 v24, v24, v30
	v_add_f32_e32 v30, v25, v29
	v_sub_f32_e32 v31, v30, v25
	v_sub_f32_e32 v32, v30, v31
	;; [unrolled: 1-line block ×5, first 2 shown]
	v_add_f32_e32 v25, v29, v25
	v_add_f32_e32 v29, v28, v24
	v_sub_f32_e32 v31, v29, v28
	v_sub_f32_e32 v32, v29, v31
	v_sub_f32_e32 v28, v28, v32
	v_sub_f32_e32 v24, v24, v31
	v_add_f32_e32 v25, v29, v25
	v_add_f32_e32 v24, v24, v28
	;; [unrolled: 1-line block ×3, first 2 shown]
	v_sub_f32_e32 v29, v28, v30
	v_sub_f32_e32 v25, v25, v29
	v_add_f32_e32 v24, v24, v25
	v_add_f32_e32 v24, v28, v24
	v_cmp_neq_f32_e32 vcc, s3, v27
	s_mov_b32 s3, 0x33800000
	v_cndmask_b32_e32 v24, v26, v24, vcc
	v_cmp_lt_f32_e64 vcc, |v27|, s3
	v_cndmask_b32_e32 v24, v24, v27, vcc
	v_add_f32_e32 v24, v7, v24
.LBB497_180:
	s_or_b64 exec, exec, s[0:1]
	v_bfe_u32 v7, v24, 16, 1
	s_movk_i32 s3, 0x7fff
	v_add3_u32 v7, v24, v7, s3
	v_cmp_o_f32_e32 vcc, v24, v24
	v_mov_b32_e32 v24, 0x7fc0
	v_cndmask_b32_sdwa v7, v24, v7, vcc dst_sel:DWORD dst_unused:UNUSED_PAD src0_sel:DWORD src1_sel:WORD_1
	v_lshlrev_b32_e32 v26, 16, v7
	v_max_f32_e32 v25, v26, v26
	v_min_f32_e32 v27, v25, v47
	v_cmp_u_f32_e32 vcc, v26, v26
	v_max_f32_e32 v25, v25, v47
	v_cndmask_b32_e32 v27, v27, v26, vcc
	v_cndmask_b32_e32 v25, v25, v26, vcc
	v_cndmask_b32_e64 v27, v27, v45, s[92:93]
	v_cndmask_b32_e64 v25, v25, v45, s[92:93]
	v_cmp_neq_f32_e32 vcc, v27, v25
	v_cmp_class_f32_e64 s[0:1], v27, s2
	s_or_b64 s[4:5], vcc, s[0:1]
	s_and_saveexec_b64 s[0:1], s[4:5]
	s_cbranch_execz .LBB497_182
; %bb.181:
	v_sub_f32_e32 v26, v27, v25
	s_mov_b32 s2, 0x3fb8aa3b
	v_mul_f32_e32 v27, 0x3fb8aa3b, v26
	v_fma_f32 v28, v26, s2, -v27
	v_rndne_f32_e32 v29, v27
	v_fmac_f32_e32 v28, 0x32a5705f, v26
	v_sub_f32_e32 v27, v27, v29
	v_add_f32_e32 v27, v27, v28
	v_exp_f32_e32 v27, v27
	v_cvt_i32_f32_e32 v28, v29
	s_mov_b32 s2, 0xc2ce8ed0
	v_cmp_ngt_f32_e32 vcc, s2, v26
	s_mov_b32 s2, 0x42b17218
	v_ldexp_f32 v27, v27, v28
	v_cndmask_b32_e32 v27, 0, v27, vcc
	v_mov_b32_e32 v28, 0x7f800000
	v_cmp_nlt_f32_e32 vcc, s2, v26
	v_cndmask_b32_e32 v29, v28, v27, vcc
	v_add_f32_e32 v30, 1.0, v29
	v_cvt_f64_f32_e32 v[26:27], v30
	v_add_f32_e32 v31, -1.0, v30
	v_sub_f32_e32 v32, v31, v30
	v_sub_f32_e32 v31, v29, v31
	v_frexp_exp_i32_f64_e32 v26, v[26:27]
	v_add_f32_e32 v27, 1.0, v32
	v_add_f32_e32 v27, v31, v27
	v_frexp_mant_f32_e32 v31, v30
	s_mov_b32 s4, 0x3f2aaaab
	v_cmp_gt_f32_e32 vcc, s4, v31
	s_mov_b32 s4, 0x3f317218
	s_mov_b32 s2, 0x7f800000
	v_subbrev_co_u32_e32 v26, vcc, 0, v26, vcc
	v_sub_u32_e32 v31, 0, v26
	v_ldexp_f32 v30, v30, v31
	v_ldexp_f32 v27, v27, v31
	v_add_f32_e32 v31, -1.0, v30
	v_add_f32_e32 v34, 1.0, v30
	v_add_f32_e32 v32, 1.0, v31
	v_add_f32_e32 v35, -1.0, v34
	v_sub_f32_e32 v32, v30, v32
	v_sub_f32_e32 v30, v30, v35
	v_add_f32_e32 v32, v27, v32
	v_add_f32_e32 v27, v27, v30
	;; [unrolled: 1-line block ×3, first 2 shown]
	v_rcp_f32_e32 v35, v30
	v_add_f32_e32 v33, v31, v32
	v_sub_f32_e32 v31, v31, v33
	v_add_f32_e32 v31, v32, v31
	v_sub_f32_e32 v32, v34, v30
	v_add_f32_e32 v27, v27, v32
	v_mul_f32_e32 v32, v33, v35
	v_mul_f32_e32 v34, v30, v32
	v_fma_f32 v36, v32, v30, -v34
	v_fmac_f32_e32 v36, v32, v27
	v_add_f32_e32 v37, v34, v36
	v_sub_f32_e32 v38, v33, v37
	v_sub_f32_e32 v33, v33, v38
	;; [unrolled: 1-line block ×4, first 2 shown]
	v_add_f32_e32 v31, v31, v33
	v_sub_f32_e32 v33, v34, v36
	v_add_f32_e32 v31, v33, v31
	v_add_f32_e32 v33, v38, v31
	v_mul_f32_e32 v34, v35, v33
	v_mul_f32_e32 v36, v30, v34
	v_fma_f32 v30, v34, v30, -v36
	v_fmac_f32_e32 v30, v34, v27
	v_sub_f32_e32 v27, v38, v33
	v_add_f32_e32 v27, v31, v27
	v_add_f32_e32 v31, v36, v30
	v_sub_f32_e32 v37, v33, v31
	v_sub_f32_e32 v33, v33, v37
	;; [unrolled: 1-line block ×4, first 2 shown]
	v_add_f32_e32 v27, v27, v31
	v_sub_f32_e32 v30, v36, v30
	v_add_f32_e32 v27, v30, v27
	v_add_f32_e32 v30, v32, v34
	v_add_f32_e32 v27, v37, v27
	v_sub_f32_e32 v31, v30, v32
	v_mul_f32_e32 v27, v35, v27
	v_sub_f32_e32 v31, v34, v31
	v_add_f32_e32 v27, v31, v27
	v_cvt_f32_i32_e32 v26, v26
	v_add_f32_e32 v31, v30, v27
	v_mul_f32_e32 v32, v31, v31
	v_mov_b32_e32 v33, 0x3ecc95a3
	v_fmac_f32_e32 v33, 0x3e9b6dac, v32
	v_mov_b32_e32 v34, 0x3f2aaada
	v_fmac_f32_e32 v34, v32, v33
	v_mul_f32_e32 v33, 0x3f317218, v26
	v_fma_f32 v35, v26, s4, -v33
	v_fmac_f32_e32 v35, 0xb102e308, v26
	v_sub_f32_e32 v26, v31, v30
	v_sub_f32_e32 v26, v27, v26
	v_add_f32_e32 v27, v33, v35
	v_sub_f32_e32 v30, v27, v33
	v_ldexp_f32 v33, v31, 1
	v_mul_f32_e32 v31, v31, v32
	v_mul_f32_e32 v31, v31, v34
	v_add_f32_e32 v32, v33, v31
	v_sub_f32_e32 v33, v32, v33
	v_ldexp_f32 v26, v26, 1
	v_sub_f32_e32 v31, v31, v33
	v_add_f32_e32 v26, v26, v31
	v_add_f32_e32 v31, v32, v26
	v_sub_f32_e32 v32, v31, v32
	v_sub_f32_e32 v26, v26, v32
	v_add_f32_e32 v32, v27, v31
	v_sub_f32_e32 v33, v32, v27
	v_sub_f32_e32 v34, v32, v33
	;; [unrolled: 1-line block ×5, first 2 shown]
	v_add_f32_e32 v27, v31, v27
	v_add_f32_e32 v31, v30, v26
	v_sub_f32_e32 v33, v31, v30
	v_sub_f32_e32 v34, v31, v33
	;; [unrolled: 1-line block ×4, first 2 shown]
	v_add_f32_e32 v27, v31, v27
	v_add_f32_e32 v26, v26, v30
	;; [unrolled: 1-line block ×3, first 2 shown]
	v_sub_f32_e32 v31, v30, v32
	v_sub_f32_e32 v27, v27, v31
	v_add_f32_e32 v26, v26, v27
	v_add_f32_e32 v26, v30, v26
	v_cmp_neq_f32_e32 vcc, s2, v29
	s_mov_b32 s2, 0x33800000
	v_cndmask_b32_e32 v26, v28, v26, vcc
	v_cmp_lt_f32_e64 vcc, |v29|, s2
	v_cndmask_b32_e32 v26, v26, v29, vcc
	v_add_f32_e32 v26, v25, v26
.LBB497_182:
	s_or_b64 exec, exec, s[0:1]
	v_bfe_u32 v25, v26, 16, 1
	v_add3_u32 v25, v26, v25, s3
	v_cmp_o_f32_e32 vcc, v26, v26
	v_cndmask_b32_sdwa v24, v24, v25, vcc dst_sel:DWORD dst_unused:UNUSED_PAD src0_sel:DWORD src1_sel:WORD_1
	v_lshlrev_b32_e32 v25, 16, v24
	v_max_f32_e32 v27, v25, v25
	v_min_f32_e32 v26, v27, v48
	v_cmp_u_f32_e32 vcc, v25, v25
	v_max_f32_e32 v27, v27, v48
	v_cndmask_b32_e32 v26, v26, v25, vcc
	v_cndmask_b32_e32 v27, v27, v25, vcc
	v_cndmask_b32_e64 v26, v26, v8, s[94:95]
	v_cndmask_b32_e64 v8, v27, v8, s[94:95]
	s_movk_i32 s0, 0x1f8
	v_cmp_neq_f32_e32 vcc, v26, v8
	v_cmp_class_f32_e64 s[0:1], v26, s0
	s_or_b64 s[2:3], vcc, s[0:1]
	s_and_saveexec_b64 s[0:1], s[2:3]
	s_cbranch_execz .LBB497_184
; %bb.183:
	v_sub_f32_e32 v25, v26, v8
	s_mov_b32 s2, 0x3fb8aa3b
	v_mul_f32_e32 v26, 0x3fb8aa3b, v25
	v_fma_f32 v27, v25, s2, -v26
	v_rndne_f32_e32 v28, v26
	v_fmac_f32_e32 v27, 0x32a5705f, v25
	v_sub_f32_e32 v26, v26, v28
	v_add_f32_e32 v26, v26, v27
	v_exp_f32_e32 v26, v26
	v_cvt_i32_f32_e32 v27, v28
	s_mov_b32 s2, 0xc2ce8ed0
	v_cmp_ngt_f32_e32 vcc, s2, v25
	s_mov_b32 s2, 0x42b17218
	v_ldexp_f32 v26, v26, v27
	v_cndmask_b32_e32 v26, 0, v26, vcc
	v_mov_b32_e32 v27, 0x7f800000
	v_cmp_nlt_f32_e32 vcc, s2, v25
	v_cndmask_b32_e32 v28, v27, v26, vcc
	v_add_f32_e32 v29, 1.0, v28
	v_cvt_f64_f32_e32 v[25:26], v29
	v_add_f32_e32 v30, -1.0, v29
	v_sub_f32_e32 v31, v30, v29
	v_sub_f32_e32 v30, v28, v30
	v_frexp_exp_i32_f64_e32 v25, v[25:26]
	v_add_f32_e32 v26, 1.0, v31
	v_add_f32_e32 v26, v30, v26
	v_frexp_mant_f32_e32 v30, v29
	s_mov_b32 s3, 0x3f2aaaab
	v_cmp_gt_f32_e32 vcc, s3, v30
	s_mov_b32 s3, 0x3f317218
	s_mov_b32 s2, 0x7f800000
	v_subbrev_co_u32_e32 v25, vcc, 0, v25, vcc
	v_sub_u32_e32 v30, 0, v25
	v_ldexp_f32 v29, v29, v30
	v_ldexp_f32 v26, v26, v30
	v_add_f32_e32 v30, -1.0, v29
	v_add_f32_e32 v33, 1.0, v29
	v_add_f32_e32 v31, 1.0, v30
	v_add_f32_e32 v34, -1.0, v33
	v_sub_f32_e32 v31, v29, v31
	v_sub_f32_e32 v29, v29, v34
	v_add_f32_e32 v31, v26, v31
	v_add_f32_e32 v26, v26, v29
	;; [unrolled: 1-line block ×3, first 2 shown]
	v_rcp_f32_e32 v34, v29
	v_add_f32_e32 v32, v30, v31
	v_sub_f32_e32 v30, v30, v32
	v_add_f32_e32 v30, v31, v30
	v_sub_f32_e32 v31, v33, v29
	v_add_f32_e32 v26, v26, v31
	v_mul_f32_e32 v31, v32, v34
	v_mul_f32_e32 v33, v29, v31
	v_fma_f32 v35, v31, v29, -v33
	v_fmac_f32_e32 v35, v31, v26
	v_add_f32_e32 v36, v33, v35
	v_sub_f32_e32 v37, v32, v36
	v_sub_f32_e32 v32, v32, v37
	;; [unrolled: 1-line block ×4, first 2 shown]
	v_add_f32_e32 v30, v30, v32
	v_sub_f32_e32 v32, v33, v35
	v_add_f32_e32 v30, v32, v30
	v_add_f32_e32 v32, v37, v30
	v_mul_f32_e32 v33, v34, v32
	v_mul_f32_e32 v35, v29, v33
	v_fma_f32 v29, v33, v29, -v35
	v_fmac_f32_e32 v29, v33, v26
	v_sub_f32_e32 v26, v37, v32
	v_add_f32_e32 v26, v30, v26
	v_add_f32_e32 v30, v35, v29
	v_sub_f32_e32 v36, v32, v30
	v_sub_f32_e32 v32, v32, v36
	;; [unrolled: 1-line block ×4, first 2 shown]
	v_add_f32_e32 v26, v26, v30
	v_sub_f32_e32 v29, v35, v29
	v_add_f32_e32 v26, v29, v26
	v_add_f32_e32 v29, v31, v33
	;; [unrolled: 1-line block ×3, first 2 shown]
	v_sub_f32_e32 v30, v29, v31
	v_mul_f32_e32 v26, v34, v26
	v_sub_f32_e32 v30, v33, v30
	v_add_f32_e32 v26, v30, v26
	v_cvt_f32_i32_e32 v25, v25
	v_add_f32_e32 v30, v29, v26
	v_mul_f32_e32 v31, v30, v30
	v_mov_b32_e32 v32, 0x3ecc95a3
	v_fmac_f32_e32 v32, 0x3e9b6dac, v31
	v_mov_b32_e32 v33, 0x3f2aaada
	v_fmac_f32_e32 v33, v31, v32
	v_mul_f32_e32 v32, 0x3f317218, v25
	v_fma_f32 v34, v25, s3, -v32
	v_fmac_f32_e32 v34, 0xb102e308, v25
	v_sub_f32_e32 v25, v30, v29
	v_sub_f32_e32 v25, v26, v25
	v_add_f32_e32 v26, v32, v34
	v_sub_f32_e32 v29, v26, v32
	v_ldexp_f32 v32, v30, 1
	v_mul_f32_e32 v30, v30, v31
	v_mul_f32_e32 v30, v30, v33
	v_add_f32_e32 v31, v32, v30
	v_sub_f32_e32 v32, v31, v32
	v_ldexp_f32 v25, v25, 1
	v_sub_f32_e32 v30, v30, v32
	v_add_f32_e32 v25, v25, v30
	v_add_f32_e32 v30, v31, v25
	v_sub_f32_e32 v31, v30, v31
	v_sub_f32_e32 v25, v25, v31
	v_add_f32_e32 v31, v26, v30
	v_sub_f32_e32 v32, v31, v26
	v_sub_f32_e32 v33, v31, v32
	;; [unrolled: 1-line block ×5, first 2 shown]
	v_add_f32_e32 v26, v30, v26
	v_add_f32_e32 v30, v29, v25
	v_sub_f32_e32 v32, v30, v29
	v_sub_f32_e32 v33, v30, v32
	;; [unrolled: 1-line block ×4, first 2 shown]
	v_add_f32_e32 v26, v30, v26
	v_add_f32_e32 v25, v25, v29
	;; [unrolled: 1-line block ×3, first 2 shown]
	v_sub_f32_e32 v30, v29, v31
	v_sub_f32_e32 v26, v26, v30
	v_add_f32_e32 v25, v25, v26
	v_add_f32_e32 v25, v29, v25
	v_cmp_neq_f32_e32 vcc, s2, v28
	s_mov_b32 s2, 0x33800000
	v_cndmask_b32_e32 v25, v27, v25, vcc
	v_cmp_lt_f32_e64 vcc, |v28|, s2
	v_cndmask_b32_e32 v25, v25, v28, vcc
	v_add_f32_e32 v25, v8, v25
.LBB497_184:
	s_or_b64 exec, exec, s[0:1]
	v_bfe_u32 v8, v25, 16, 1
	s_movk_i32 s0, 0x7fff
	v_add3_u32 v8, v25, v8, s0
	v_cmp_o_f32_e32 vcc, v25, v25
	v_mov_b32_e32 v25, 0x7fc0
	s_mov_b32 s0, 0x5040100
	v_cndmask_b32_sdwa v8, v25, v8, vcc dst_sel:DWORD dst_unused:UNUSED_PAD src0_sel:DWORD src1_sel:WORD_1
	v_add_u32_e32 v25, v13, v53
	v_perm_b32 v4, v4, v16, s0
	v_perm_b32 v3, v3, v15, s0
	;; [unrolled: 1-line block ×4, first 2 shown]
	s_barrier
	ds_write_b128 v25, v[1:4]
	v_perm_b32 v3, v12, v20, s0
	v_perm_b32 v2, v11, v19, s0
	;; [unrolled: 1-line block ×4, first 2 shown]
	ds_write_b128 v25, v[0:3] offset:16
	v_perm_b32 v2, v7, v23, s0
	v_perm_b32 v1, v6, v22, s0
	;; [unrolled: 1-line block ×4, first 2 shown]
	ds_write_b128 v25, v[0:3] offset:32
	s_waitcnt lgkmcnt(0)
	s_barrier
	ds_read_u16 v25, v13 offset:512
	ds_read_u16 v24, v13 offset:1024
	;; [unrolled: 1-line block ×23, first 2 shown]
	v_mov_b32_e32 v1, s7
	v_add_co_u32_e32 v0, vcc, s6, v13
	v_addc_co_u32_e32 v1, vcc, 0, v1, vcc
	s_mov_b64 s[0:1], exec
	v_readlane_b32 s2, v73, 0
	v_readlane_b32 s3, v73, 1
	s_and_b64 s[2:3], s[0:1], s[2:3]
	s_mov_b64 exec, s[2:3]
	s_cbranch_execz .LBB497_186
; %bb.185:
	ds_read_u16 v13, v13
	s_waitcnt lgkmcnt(0)
	global_store_short v[0:1], v13, off
.LBB497_186:
	s_or_b64 exec, exec, s[0:1]
	s_mov_b64 s[0:1], exec
	v_readlane_b32 s2, v73, 2
	v_readlane_b32 s3, v73, 3
	s_and_b64 s[2:3], s[0:1], s[2:3]
	s_mov_b64 exec, s[2:3]
	s_cbranch_execz .LBB497_188
; %bb.187:
	s_waitcnt lgkmcnt(14)
	global_store_short v[0:1], v25, off offset:512
.LBB497_188:
	s_or_b64 exec, exec, s[0:1]
	s_mov_b64 s[0:1], exec
	v_readlane_b32 s2, v73, 4
	v_readlane_b32 s3, v73, 5
	s_and_b64 s[2:3], s[0:1], s[2:3]
	s_mov_b64 exec, s[2:3]
	s_cbranch_execz .LBB497_190
; %bb.189:
	s_waitcnt lgkmcnt(14)
	global_store_short v[0:1], v24, off offset:1024
.LBB497_190:
	;; [unrolled: 11-line block ×5, first 2 shown]
	s_or_b64 exec, exec, s[0:1]
	s_mov_b64 s[0:1], exec
	v_readlane_b32 s2, v73, 12
	v_readlane_b32 s3, v73, 13
	s_and_b64 s[2:3], s[0:1], s[2:3]
	s_mov_b64 exec, s[2:3]
	s_cbranch_execnz .LBB497_215
; %bb.197:
	s_or_b64 exec, exec, s[0:1]
	s_and_saveexec_b64 s[0:1], s[14:15]
	s_cbranch_execnz .LBB497_216
.LBB497_198:
	s_or_b64 exec, exec, s[0:1]
	s_and_saveexec_b64 s[0:1], s[16:17]
	s_cbranch_execnz .LBB497_217
.LBB497_199:
	s_or_b64 exec, exec, s[0:1]
	s_and_saveexec_b64 s[0:1], s[18:19]
	s_cbranch_execnz .LBB497_218
.LBB497_200:
	s_or_b64 exec, exec, s[0:1]
	s_and_saveexec_b64 s[0:1], s[20:21]
	s_cbranch_execnz .LBB497_219
.LBB497_201:
	s_or_b64 exec, exec, s[0:1]
	s_and_saveexec_b64 s[0:1], s[22:23]
	s_cbranch_execnz .LBB497_220
.LBB497_202:
	s_or_b64 exec, exec, s[0:1]
	s_and_saveexec_b64 s[0:1], s[24:25]
	s_cbranch_execnz .LBB497_221
.LBB497_203:
	s_or_b64 exec, exec, s[0:1]
	s_and_saveexec_b64 s[0:1], s[26:27]
	s_cbranch_execnz .LBB497_222
.LBB497_204:
	s_or_b64 exec, exec, s[0:1]
	s_and_saveexec_b64 s[0:1], s[28:29]
	s_cbranch_execnz .LBB497_223
.LBB497_205:
	s_or_b64 exec, exec, s[0:1]
	s_and_saveexec_b64 s[0:1], s[30:31]
	s_cbranch_execnz .LBB497_224
.LBB497_206:
	s_or_b64 exec, exec, s[0:1]
	s_and_saveexec_b64 s[0:1], s[34:35]
	s_cbranch_execnz .LBB497_225
.LBB497_207:
	s_or_b64 exec, exec, s[0:1]
	s_and_saveexec_b64 s[0:1], s[36:37]
	s_cbranch_execnz .LBB497_226
.LBB497_208:
	s_or_b64 exec, exec, s[0:1]
	s_and_saveexec_b64 s[0:1], s[38:39]
	s_cbranch_execnz .LBB497_227
.LBB497_209:
	s_or_b64 exec, exec, s[0:1]
	s_and_saveexec_b64 s[0:1], s[40:41]
	s_cbranch_execnz .LBB497_228
.LBB497_210:
	s_or_b64 exec, exec, s[0:1]
	s_and_saveexec_b64 s[0:1], s[42:43]
	s_cbranch_execnz .LBB497_229
.LBB497_211:
	s_or_b64 exec, exec, s[0:1]
	s_and_saveexec_b64 s[0:1], s[44:45]
	s_cbranch_execnz .LBB497_230
.LBB497_212:
	s_or_b64 exec, exec, s[0:1]
	s_and_saveexec_b64 s[0:1], s[46:47]
	s_cbranch_execnz .LBB497_231
.LBB497_213:
	s_or_b64 exec, exec, s[0:1]
	s_and_saveexec_b64 s[0:1], s[48:49]
	s_cbranch_execnz .LBB497_232
.LBB497_214:
	s_endpgm
.LBB497_215:
	s_waitcnt lgkmcnt(14)
	global_store_short v[0:1], v20, off offset:3072
	s_or_b64 exec, exec, s[0:1]
	s_and_saveexec_b64 s[0:1], s[14:15]
	s_cbranch_execz .LBB497_198
.LBB497_216:
	s_waitcnt lgkmcnt(14)
	global_store_short v[0:1], v19, off offset:3584
	s_or_b64 exec, exec, s[0:1]
	s_and_saveexec_b64 s[0:1], s[16:17]
	s_cbranch_execz .LBB497_199
.LBB497_217:
	s_waitcnt lgkmcnt(14)
	v_add_co_u32_e32 v19, vcc, 0x1000, v0
	v_addc_co_u32_e32 v20, vcc, 0, v1, vcc
	global_store_short v[19:20], v18, off
	s_or_b64 exec, exec, s[0:1]
	s_and_saveexec_b64 s[0:1], s[18:19]
	s_cbranch_execz .LBB497_200
.LBB497_218:
	s_waitcnt lgkmcnt(14)
	v_add_co_u32_e32 v18, vcc, 0x1000, v0
	v_addc_co_u32_e32 v19, vcc, 0, v1, vcc
	global_store_short v[18:19], v17, off offset:512
	s_or_b64 exec, exec, s[0:1]
	s_and_saveexec_b64 s[0:1], s[20:21]
	s_cbranch_execz .LBB497_201
.LBB497_219:
	s_waitcnt lgkmcnt(14)
	v_add_co_u32_e32 v17, vcc, 0x1000, v0
	v_addc_co_u32_e32 v18, vcc, 0, v1, vcc
	s_waitcnt lgkmcnt(13)
	global_store_short v[17:18], v16, off offset:1024
	s_or_b64 exec, exec, s[0:1]
	s_and_saveexec_b64 s[0:1], s[22:23]
	s_cbranch_execz .LBB497_202
.LBB497_220:
	s_waitcnt lgkmcnt(13)
	v_add_co_u32_e32 v16, vcc, 0x1000, v0
	v_addc_co_u32_e32 v17, vcc, 0, v1, vcc
	s_waitcnt lgkmcnt(12)
	global_store_short v[16:17], v15, off offset:1536
	s_or_b64 exec, exec, s[0:1]
	s_and_saveexec_b64 s[0:1], s[24:25]
	s_cbranch_execz .LBB497_203
.LBB497_221:
	s_waitcnt lgkmcnt(12)
	v_add_co_u32_e32 v15, vcc, 0x1000, v0
	v_addc_co_u32_e32 v16, vcc, 0, v1, vcc
	s_waitcnt lgkmcnt(11)
	global_store_short v[15:16], v14, off offset:2048
	s_or_b64 exec, exec, s[0:1]
	s_and_saveexec_b64 s[0:1], s[26:27]
	s_cbranch_execz .LBB497_204
.LBB497_222:
	v_add_co_u32_e32 v13, vcc, 0x1000, v0
	s_waitcnt lgkmcnt(11)
	v_addc_co_u32_e32 v14, vcc, 0, v1, vcc
	s_waitcnt lgkmcnt(10)
	global_store_short v[13:14], v12, off offset:2560
	s_or_b64 exec, exec, s[0:1]
	s_and_saveexec_b64 s[0:1], s[28:29]
	s_cbranch_execz .LBB497_205
.LBB497_223:
	s_waitcnt lgkmcnt(10)
	v_add_co_u32_e32 v12, vcc, 0x1000, v0
	v_addc_co_u32_e32 v13, vcc, 0, v1, vcc
	s_waitcnt lgkmcnt(9)
	global_store_short v[12:13], v11, off offset:3072
	s_or_b64 exec, exec, s[0:1]
	s_and_saveexec_b64 s[0:1], s[30:31]
	s_cbranch_execz .LBB497_206
.LBB497_224:
	s_waitcnt lgkmcnt(9)
	v_add_co_u32_e32 v11, vcc, 0x1000, v0
	v_addc_co_u32_e32 v12, vcc, 0, v1, vcc
	s_waitcnt lgkmcnt(8)
	global_store_short v[11:12], v10, off offset:3584
	s_or_b64 exec, exec, s[0:1]
	s_and_saveexec_b64 s[0:1], s[34:35]
	s_cbranch_execz .LBB497_207
.LBB497_225:
	s_waitcnt lgkmcnt(8)
	v_add_co_u32_e32 v10, vcc, 0x2000, v0
	v_addc_co_u32_e32 v11, vcc, 0, v1, vcc
	s_waitcnt lgkmcnt(7)
	global_store_short v[10:11], v9, off
	s_or_b64 exec, exec, s[0:1]
	s_and_saveexec_b64 s[0:1], s[36:37]
	s_cbranch_execz .LBB497_208
.LBB497_226:
	s_waitcnt lgkmcnt(7)
	v_add_co_u32_e32 v9, vcc, 0x2000, v0
	v_addc_co_u32_e32 v10, vcc, 0, v1, vcc
	s_waitcnt lgkmcnt(6)
	global_store_short v[9:10], v8, off offset:512
	s_or_b64 exec, exec, s[0:1]
	s_and_saveexec_b64 s[0:1], s[38:39]
	s_cbranch_execz .LBB497_209
.LBB497_227:
	s_waitcnt lgkmcnt(6)
	v_add_co_u32_e32 v8, vcc, 0x2000, v0
	v_addc_co_u32_e32 v9, vcc, 0, v1, vcc
	s_waitcnt lgkmcnt(5)
	global_store_short v[8:9], v7, off offset:1024
	s_or_b64 exec, exec, s[0:1]
	s_and_saveexec_b64 s[0:1], s[40:41]
	s_cbranch_execz .LBB497_210
.LBB497_228:
	s_waitcnt lgkmcnt(5)
	v_add_co_u32_e32 v7, vcc, 0x2000, v0
	v_addc_co_u32_e32 v8, vcc, 0, v1, vcc
	s_waitcnt lgkmcnt(4)
	global_store_short v[7:8], v6, off offset:1536
	s_or_b64 exec, exec, s[0:1]
	s_and_saveexec_b64 s[0:1], s[42:43]
	s_cbranch_execz .LBB497_211
.LBB497_229:
	s_waitcnt lgkmcnt(4)
	v_add_co_u32_e32 v6, vcc, 0x2000, v0
	v_addc_co_u32_e32 v7, vcc, 0, v1, vcc
	s_waitcnt lgkmcnt(3)
	global_store_short v[6:7], v5, off offset:2048
	s_or_b64 exec, exec, s[0:1]
	s_and_saveexec_b64 s[0:1], s[44:45]
	s_cbranch_execz .LBB497_212
.LBB497_230:
	s_waitcnt lgkmcnt(3)
	v_add_co_u32_e32 v5, vcc, 0x2000, v0
	v_addc_co_u32_e32 v6, vcc, 0, v1, vcc
	s_waitcnt lgkmcnt(2)
	global_store_short v[5:6], v4, off offset:2560
	s_or_b64 exec, exec, s[0:1]
	s_and_saveexec_b64 s[0:1], s[46:47]
	s_cbranch_execz .LBB497_213
.LBB497_231:
	s_waitcnt lgkmcnt(2)
	v_add_co_u32_e32 v4, vcc, 0x2000, v0
	v_addc_co_u32_e32 v5, vcc, 0, v1, vcc
	s_waitcnt lgkmcnt(1)
	global_store_short v[4:5], v3, off offset:3072
	s_or_b64 exec, exec, s[0:1]
	s_and_saveexec_b64 s[0:1], s[48:49]
	s_cbranch_execz .LBB497_214
.LBB497_232:
	v_add_co_u32_e32 v0, vcc, 0x2000, v0
	v_addc_co_u32_e32 v1, vcc, 0, v1, vcc
	s_waitcnt lgkmcnt(0)
	global_store_short v[0:1], v2, off offset:3584
	s_endpgm
	.section	.rodata,"a",@progbits
	.p2align	6, 0x0
	.amdhsa_kernel _ZN7rocprim17ROCPRIM_400000_NS6detail17trampoline_kernelINS0_14default_configENS1_20scan_config_selectorIN3c108BFloat16EEEZZNS1_9scan_implILNS1_25lookback_scan_determinismE0ELb0ELb0ES3_PKS6_PS6_S6_ZZZN2at6native31launch_logcumsumexp_cuda_kernelERKNSD_10TensorBaseESH_lENKUlvE_clEvENKUlvE4_clEvEUlS6_S6_E_S6_EEDaPvRmT3_T4_T5_mT6_P12ihipStream_tbENKUlT_T0_E_clISt17integral_constantIbLb1EESX_IbLb0EEEEDaST_SU_EUlST_E0_NS1_11comp_targetILNS1_3genE2ELNS1_11target_archE906ELNS1_3gpuE6ELNS1_3repE0EEENS1_30default_config_static_selectorELNS0_4arch9wavefront6targetE1EEEvT1_
		.amdhsa_group_segment_fixed_size 12288
		.amdhsa_private_segment_fixed_size 0
		.amdhsa_kernarg_size 32
		.amdhsa_user_sgpr_count 6
		.amdhsa_user_sgpr_private_segment_buffer 1
		.amdhsa_user_sgpr_dispatch_ptr 0
		.amdhsa_user_sgpr_queue_ptr 0
		.amdhsa_user_sgpr_kernarg_segment_ptr 1
		.amdhsa_user_sgpr_dispatch_id 0
		.amdhsa_user_sgpr_flat_scratch_init 0
		.amdhsa_user_sgpr_private_segment_size 0
		.amdhsa_uses_dynamic_stack 0
		.amdhsa_system_sgpr_private_segment_wavefront_offset 0
		.amdhsa_system_sgpr_workgroup_id_x 1
		.amdhsa_system_sgpr_workgroup_id_y 0
		.amdhsa_system_sgpr_workgroup_id_z 0
		.amdhsa_system_sgpr_workgroup_info 0
		.amdhsa_system_vgpr_workitem_id 0
		.amdhsa_next_free_vgpr 74
		.amdhsa_next_free_sgpr 98
		.amdhsa_reserve_vcc 1
		.amdhsa_reserve_flat_scratch 0
		.amdhsa_float_round_mode_32 0
		.amdhsa_float_round_mode_16_64 0
		.amdhsa_float_denorm_mode_32 3
		.amdhsa_float_denorm_mode_16_64 3
		.amdhsa_dx10_clamp 1
		.amdhsa_ieee_mode 1
		.amdhsa_fp16_overflow 0
		.amdhsa_exception_fp_ieee_invalid_op 0
		.amdhsa_exception_fp_denorm_src 0
		.amdhsa_exception_fp_ieee_div_zero 0
		.amdhsa_exception_fp_ieee_overflow 0
		.amdhsa_exception_fp_ieee_underflow 0
		.amdhsa_exception_fp_ieee_inexact 0
		.amdhsa_exception_int_div_zero 0
	.end_amdhsa_kernel
	.section	.text._ZN7rocprim17ROCPRIM_400000_NS6detail17trampoline_kernelINS0_14default_configENS1_20scan_config_selectorIN3c108BFloat16EEEZZNS1_9scan_implILNS1_25lookback_scan_determinismE0ELb0ELb0ES3_PKS6_PS6_S6_ZZZN2at6native31launch_logcumsumexp_cuda_kernelERKNSD_10TensorBaseESH_lENKUlvE_clEvENKUlvE4_clEvEUlS6_S6_E_S6_EEDaPvRmT3_T4_T5_mT6_P12ihipStream_tbENKUlT_T0_E_clISt17integral_constantIbLb1EESX_IbLb0EEEEDaST_SU_EUlST_E0_NS1_11comp_targetILNS1_3genE2ELNS1_11target_archE906ELNS1_3gpuE6ELNS1_3repE0EEENS1_30default_config_static_selectorELNS0_4arch9wavefront6targetE1EEEvT1_,"axG",@progbits,_ZN7rocprim17ROCPRIM_400000_NS6detail17trampoline_kernelINS0_14default_configENS1_20scan_config_selectorIN3c108BFloat16EEEZZNS1_9scan_implILNS1_25lookback_scan_determinismE0ELb0ELb0ES3_PKS6_PS6_S6_ZZZN2at6native31launch_logcumsumexp_cuda_kernelERKNSD_10TensorBaseESH_lENKUlvE_clEvENKUlvE4_clEvEUlS6_S6_E_S6_EEDaPvRmT3_T4_T5_mT6_P12ihipStream_tbENKUlT_T0_E_clISt17integral_constantIbLb1EESX_IbLb0EEEEDaST_SU_EUlST_E0_NS1_11comp_targetILNS1_3genE2ELNS1_11target_archE906ELNS1_3gpuE6ELNS1_3repE0EEENS1_30default_config_static_selectorELNS0_4arch9wavefront6targetE1EEEvT1_,comdat
.Lfunc_end497:
	.size	_ZN7rocprim17ROCPRIM_400000_NS6detail17trampoline_kernelINS0_14default_configENS1_20scan_config_selectorIN3c108BFloat16EEEZZNS1_9scan_implILNS1_25lookback_scan_determinismE0ELb0ELb0ES3_PKS6_PS6_S6_ZZZN2at6native31launch_logcumsumexp_cuda_kernelERKNSD_10TensorBaseESH_lENKUlvE_clEvENKUlvE4_clEvEUlS6_S6_E_S6_EEDaPvRmT3_T4_T5_mT6_P12ihipStream_tbENKUlT_T0_E_clISt17integral_constantIbLb1EESX_IbLb0EEEEDaST_SU_EUlST_E0_NS1_11comp_targetILNS1_3genE2ELNS1_11target_archE906ELNS1_3gpuE6ELNS1_3repE0EEENS1_30default_config_static_selectorELNS0_4arch9wavefront6targetE1EEEvT1_, .Lfunc_end497-_ZN7rocprim17ROCPRIM_400000_NS6detail17trampoline_kernelINS0_14default_configENS1_20scan_config_selectorIN3c108BFloat16EEEZZNS1_9scan_implILNS1_25lookback_scan_determinismE0ELb0ELb0ES3_PKS6_PS6_S6_ZZZN2at6native31launch_logcumsumexp_cuda_kernelERKNSD_10TensorBaseESH_lENKUlvE_clEvENKUlvE4_clEvEUlS6_S6_E_S6_EEDaPvRmT3_T4_T5_mT6_P12ihipStream_tbENKUlT_T0_E_clISt17integral_constantIbLb1EESX_IbLb0EEEEDaST_SU_EUlST_E0_NS1_11comp_targetILNS1_3genE2ELNS1_11target_archE906ELNS1_3gpuE6ELNS1_3repE0EEENS1_30default_config_static_selectorELNS0_4arch9wavefront6targetE1EEEvT1_
                                        ; -- End function
	.set _ZN7rocprim17ROCPRIM_400000_NS6detail17trampoline_kernelINS0_14default_configENS1_20scan_config_selectorIN3c108BFloat16EEEZZNS1_9scan_implILNS1_25lookback_scan_determinismE0ELb0ELb0ES3_PKS6_PS6_S6_ZZZN2at6native31launch_logcumsumexp_cuda_kernelERKNSD_10TensorBaseESH_lENKUlvE_clEvENKUlvE4_clEvEUlS6_S6_E_S6_EEDaPvRmT3_T4_T5_mT6_P12ihipStream_tbENKUlT_T0_E_clISt17integral_constantIbLb1EESX_IbLb0EEEEDaST_SU_EUlST_E0_NS1_11comp_targetILNS1_3genE2ELNS1_11target_archE906ELNS1_3gpuE6ELNS1_3repE0EEENS1_30default_config_static_selectorELNS0_4arch9wavefront6targetE1EEEvT1_.num_vgpr, 74
	.set _ZN7rocprim17ROCPRIM_400000_NS6detail17trampoline_kernelINS0_14default_configENS1_20scan_config_selectorIN3c108BFloat16EEEZZNS1_9scan_implILNS1_25lookback_scan_determinismE0ELb0ELb0ES3_PKS6_PS6_S6_ZZZN2at6native31launch_logcumsumexp_cuda_kernelERKNSD_10TensorBaseESH_lENKUlvE_clEvENKUlvE4_clEvEUlS6_S6_E_S6_EEDaPvRmT3_T4_T5_mT6_P12ihipStream_tbENKUlT_T0_E_clISt17integral_constantIbLb1EESX_IbLb0EEEEDaST_SU_EUlST_E0_NS1_11comp_targetILNS1_3genE2ELNS1_11target_archE906ELNS1_3gpuE6ELNS1_3repE0EEENS1_30default_config_static_selectorELNS0_4arch9wavefront6targetE1EEEvT1_.num_agpr, 0
	.set _ZN7rocprim17ROCPRIM_400000_NS6detail17trampoline_kernelINS0_14default_configENS1_20scan_config_selectorIN3c108BFloat16EEEZZNS1_9scan_implILNS1_25lookback_scan_determinismE0ELb0ELb0ES3_PKS6_PS6_S6_ZZZN2at6native31launch_logcumsumexp_cuda_kernelERKNSD_10TensorBaseESH_lENKUlvE_clEvENKUlvE4_clEvEUlS6_S6_E_S6_EEDaPvRmT3_T4_T5_mT6_P12ihipStream_tbENKUlT_T0_E_clISt17integral_constantIbLb1EESX_IbLb0EEEEDaST_SU_EUlST_E0_NS1_11comp_targetILNS1_3genE2ELNS1_11target_archE906ELNS1_3gpuE6ELNS1_3repE0EEENS1_30default_config_static_selectorELNS0_4arch9wavefront6targetE1EEEvT1_.numbered_sgpr, 96
	.set _ZN7rocprim17ROCPRIM_400000_NS6detail17trampoline_kernelINS0_14default_configENS1_20scan_config_selectorIN3c108BFloat16EEEZZNS1_9scan_implILNS1_25lookback_scan_determinismE0ELb0ELb0ES3_PKS6_PS6_S6_ZZZN2at6native31launch_logcumsumexp_cuda_kernelERKNSD_10TensorBaseESH_lENKUlvE_clEvENKUlvE4_clEvEUlS6_S6_E_S6_EEDaPvRmT3_T4_T5_mT6_P12ihipStream_tbENKUlT_T0_E_clISt17integral_constantIbLb1EESX_IbLb0EEEEDaST_SU_EUlST_E0_NS1_11comp_targetILNS1_3genE2ELNS1_11target_archE906ELNS1_3gpuE6ELNS1_3repE0EEENS1_30default_config_static_selectorELNS0_4arch9wavefront6targetE1EEEvT1_.num_named_barrier, 0
	.set _ZN7rocprim17ROCPRIM_400000_NS6detail17trampoline_kernelINS0_14default_configENS1_20scan_config_selectorIN3c108BFloat16EEEZZNS1_9scan_implILNS1_25lookback_scan_determinismE0ELb0ELb0ES3_PKS6_PS6_S6_ZZZN2at6native31launch_logcumsumexp_cuda_kernelERKNSD_10TensorBaseESH_lENKUlvE_clEvENKUlvE4_clEvEUlS6_S6_E_S6_EEDaPvRmT3_T4_T5_mT6_P12ihipStream_tbENKUlT_T0_E_clISt17integral_constantIbLb1EESX_IbLb0EEEEDaST_SU_EUlST_E0_NS1_11comp_targetILNS1_3genE2ELNS1_11target_archE906ELNS1_3gpuE6ELNS1_3repE0EEENS1_30default_config_static_selectorELNS0_4arch9wavefront6targetE1EEEvT1_.private_seg_size, 0
	.set _ZN7rocprim17ROCPRIM_400000_NS6detail17trampoline_kernelINS0_14default_configENS1_20scan_config_selectorIN3c108BFloat16EEEZZNS1_9scan_implILNS1_25lookback_scan_determinismE0ELb0ELb0ES3_PKS6_PS6_S6_ZZZN2at6native31launch_logcumsumexp_cuda_kernelERKNSD_10TensorBaseESH_lENKUlvE_clEvENKUlvE4_clEvEUlS6_S6_E_S6_EEDaPvRmT3_T4_T5_mT6_P12ihipStream_tbENKUlT_T0_E_clISt17integral_constantIbLb1EESX_IbLb0EEEEDaST_SU_EUlST_E0_NS1_11comp_targetILNS1_3genE2ELNS1_11target_archE906ELNS1_3gpuE6ELNS1_3repE0EEENS1_30default_config_static_selectorELNS0_4arch9wavefront6targetE1EEEvT1_.uses_vcc, 1
	.set _ZN7rocprim17ROCPRIM_400000_NS6detail17trampoline_kernelINS0_14default_configENS1_20scan_config_selectorIN3c108BFloat16EEEZZNS1_9scan_implILNS1_25lookback_scan_determinismE0ELb0ELb0ES3_PKS6_PS6_S6_ZZZN2at6native31launch_logcumsumexp_cuda_kernelERKNSD_10TensorBaseESH_lENKUlvE_clEvENKUlvE4_clEvEUlS6_S6_E_S6_EEDaPvRmT3_T4_T5_mT6_P12ihipStream_tbENKUlT_T0_E_clISt17integral_constantIbLb1EESX_IbLb0EEEEDaST_SU_EUlST_E0_NS1_11comp_targetILNS1_3genE2ELNS1_11target_archE906ELNS1_3gpuE6ELNS1_3repE0EEENS1_30default_config_static_selectorELNS0_4arch9wavefront6targetE1EEEvT1_.uses_flat_scratch, 0
	.set _ZN7rocprim17ROCPRIM_400000_NS6detail17trampoline_kernelINS0_14default_configENS1_20scan_config_selectorIN3c108BFloat16EEEZZNS1_9scan_implILNS1_25lookback_scan_determinismE0ELb0ELb0ES3_PKS6_PS6_S6_ZZZN2at6native31launch_logcumsumexp_cuda_kernelERKNSD_10TensorBaseESH_lENKUlvE_clEvENKUlvE4_clEvEUlS6_S6_E_S6_EEDaPvRmT3_T4_T5_mT6_P12ihipStream_tbENKUlT_T0_E_clISt17integral_constantIbLb1EESX_IbLb0EEEEDaST_SU_EUlST_E0_NS1_11comp_targetILNS1_3genE2ELNS1_11target_archE906ELNS1_3gpuE6ELNS1_3repE0EEENS1_30default_config_static_selectorELNS0_4arch9wavefront6targetE1EEEvT1_.has_dyn_sized_stack, 0
	.set _ZN7rocprim17ROCPRIM_400000_NS6detail17trampoline_kernelINS0_14default_configENS1_20scan_config_selectorIN3c108BFloat16EEEZZNS1_9scan_implILNS1_25lookback_scan_determinismE0ELb0ELb0ES3_PKS6_PS6_S6_ZZZN2at6native31launch_logcumsumexp_cuda_kernelERKNSD_10TensorBaseESH_lENKUlvE_clEvENKUlvE4_clEvEUlS6_S6_E_S6_EEDaPvRmT3_T4_T5_mT6_P12ihipStream_tbENKUlT_T0_E_clISt17integral_constantIbLb1EESX_IbLb0EEEEDaST_SU_EUlST_E0_NS1_11comp_targetILNS1_3genE2ELNS1_11target_archE906ELNS1_3gpuE6ELNS1_3repE0EEENS1_30default_config_static_selectorELNS0_4arch9wavefront6targetE1EEEvT1_.has_recursion, 0
	.set _ZN7rocprim17ROCPRIM_400000_NS6detail17trampoline_kernelINS0_14default_configENS1_20scan_config_selectorIN3c108BFloat16EEEZZNS1_9scan_implILNS1_25lookback_scan_determinismE0ELb0ELb0ES3_PKS6_PS6_S6_ZZZN2at6native31launch_logcumsumexp_cuda_kernelERKNSD_10TensorBaseESH_lENKUlvE_clEvENKUlvE4_clEvEUlS6_S6_E_S6_EEDaPvRmT3_T4_T5_mT6_P12ihipStream_tbENKUlT_T0_E_clISt17integral_constantIbLb1EESX_IbLb0EEEEDaST_SU_EUlST_E0_NS1_11comp_targetILNS1_3genE2ELNS1_11target_archE906ELNS1_3gpuE6ELNS1_3repE0EEENS1_30default_config_static_selectorELNS0_4arch9wavefront6targetE1EEEvT1_.has_indirect_call, 0
	.section	.AMDGPU.csdata,"",@progbits
; Kernel info:
; codeLenInByte = 48648
; TotalNumSgprs: 100
; NumVgprs: 74
; ScratchSize: 0
; MemoryBound: 0
; FloatMode: 240
; IeeeMode: 1
; LDSByteSize: 12288 bytes/workgroup (compile time only)
; SGPRBlocks: 12
; VGPRBlocks: 18
; NumSGPRsForWavesPerEU: 102
; NumVGPRsForWavesPerEU: 74
; Occupancy: 3
; WaveLimiterHint : 0
; COMPUTE_PGM_RSRC2:SCRATCH_EN: 0
; COMPUTE_PGM_RSRC2:USER_SGPR: 6
; COMPUTE_PGM_RSRC2:TRAP_HANDLER: 0
; COMPUTE_PGM_RSRC2:TGID_X_EN: 1
; COMPUTE_PGM_RSRC2:TGID_Y_EN: 0
; COMPUTE_PGM_RSRC2:TGID_Z_EN: 0
; COMPUTE_PGM_RSRC2:TIDIG_COMP_CNT: 0
	.section	.text._ZN7rocprim17ROCPRIM_400000_NS6detail17trampoline_kernelINS0_14default_configENS1_20scan_config_selectorIN3c108BFloat16EEEZZNS1_9scan_implILNS1_25lookback_scan_determinismE0ELb0ELb0ES3_PKS6_PS6_S6_ZZZN2at6native31launch_logcumsumexp_cuda_kernelERKNSD_10TensorBaseESH_lENKUlvE_clEvENKUlvE4_clEvEUlS6_S6_E_S6_EEDaPvRmT3_T4_T5_mT6_P12ihipStream_tbENKUlT_T0_E_clISt17integral_constantIbLb1EESX_IbLb0EEEEDaST_SU_EUlST_E0_NS1_11comp_targetILNS1_3genE10ELNS1_11target_archE1201ELNS1_3gpuE5ELNS1_3repE0EEENS1_30default_config_static_selectorELNS0_4arch9wavefront6targetE1EEEvT1_,"axG",@progbits,_ZN7rocprim17ROCPRIM_400000_NS6detail17trampoline_kernelINS0_14default_configENS1_20scan_config_selectorIN3c108BFloat16EEEZZNS1_9scan_implILNS1_25lookback_scan_determinismE0ELb0ELb0ES3_PKS6_PS6_S6_ZZZN2at6native31launch_logcumsumexp_cuda_kernelERKNSD_10TensorBaseESH_lENKUlvE_clEvENKUlvE4_clEvEUlS6_S6_E_S6_EEDaPvRmT3_T4_T5_mT6_P12ihipStream_tbENKUlT_T0_E_clISt17integral_constantIbLb1EESX_IbLb0EEEEDaST_SU_EUlST_E0_NS1_11comp_targetILNS1_3genE10ELNS1_11target_archE1201ELNS1_3gpuE5ELNS1_3repE0EEENS1_30default_config_static_selectorELNS0_4arch9wavefront6targetE1EEEvT1_,comdat
	.globl	_ZN7rocprim17ROCPRIM_400000_NS6detail17trampoline_kernelINS0_14default_configENS1_20scan_config_selectorIN3c108BFloat16EEEZZNS1_9scan_implILNS1_25lookback_scan_determinismE0ELb0ELb0ES3_PKS6_PS6_S6_ZZZN2at6native31launch_logcumsumexp_cuda_kernelERKNSD_10TensorBaseESH_lENKUlvE_clEvENKUlvE4_clEvEUlS6_S6_E_S6_EEDaPvRmT3_T4_T5_mT6_P12ihipStream_tbENKUlT_T0_E_clISt17integral_constantIbLb1EESX_IbLb0EEEEDaST_SU_EUlST_E0_NS1_11comp_targetILNS1_3genE10ELNS1_11target_archE1201ELNS1_3gpuE5ELNS1_3repE0EEENS1_30default_config_static_selectorELNS0_4arch9wavefront6targetE1EEEvT1_ ; -- Begin function _ZN7rocprim17ROCPRIM_400000_NS6detail17trampoline_kernelINS0_14default_configENS1_20scan_config_selectorIN3c108BFloat16EEEZZNS1_9scan_implILNS1_25lookback_scan_determinismE0ELb0ELb0ES3_PKS6_PS6_S6_ZZZN2at6native31launch_logcumsumexp_cuda_kernelERKNSD_10TensorBaseESH_lENKUlvE_clEvENKUlvE4_clEvEUlS6_S6_E_S6_EEDaPvRmT3_T4_T5_mT6_P12ihipStream_tbENKUlT_T0_E_clISt17integral_constantIbLb1EESX_IbLb0EEEEDaST_SU_EUlST_E0_NS1_11comp_targetILNS1_3genE10ELNS1_11target_archE1201ELNS1_3gpuE5ELNS1_3repE0EEENS1_30default_config_static_selectorELNS0_4arch9wavefront6targetE1EEEvT1_
	.p2align	8
	.type	_ZN7rocprim17ROCPRIM_400000_NS6detail17trampoline_kernelINS0_14default_configENS1_20scan_config_selectorIN3c108BFloat16EEEZZNS1_9scan_implILNS1_25lookback_scan_determinismE0ELb0ELb0ES3_PKS6_PS6_S6_ZZZN2at6native31launch_logcumsumexp_cuda_kernelERKNSD_10TensorBaseESH_lENKUlvE_clEvENKUlvE4_clEvEUlS6_S6_E_S6_EEDaPvRmT3_T4_T5_mT6_P12ihipStream_tbENKUlT_T0_E_clISt17integral_constantIbLb1EESX_IbLb0EEEEDaST_SU_EUlST_E0_NS1_11comp_targetILNS1_3genE10ELNS1_11target_archE1201ELNS1_3gpuE5ELNS1_3repE0EEENS1_30default_config_static_selectorELNS0_4arch9wavefront6targetE1EEEvT1_,@function
_ZN7rocprim17ROCPRIM_400000_NS6detail17trampoline_kernelINS0_14default_configENS1_20scan_config_selectorIN3c108BFloat16EEEZZNS1_9scan_implILNS1_25lookback_scan_determinismE0ELb0ELb0ES3_PKS6_PS6_S6_ZZZN2at6native31launch_logcumsumexp_cuda_kernelERKNSD_10TensorBaseESH_lENKUlvE_clEvENKUlvE4_clEvEUlS6_S6_E_S6_EEDaPvRmT3_T4_T5_mT6_P12ihipStream_tbENKUlT_T0_E_clISt17integral_constantIbLb1EESX_IbLb0EEEEDaST_SU_EUlST_E0_NS1_11comp_targetILNS1_3genE10ELNS1_11target_archE1201ELNS1_3gpuE5ELNS1_3repE0EEENS1_30default_config_static_selectorELNS0_4arch9wavefront6targetE1EEEvT1_: ; @_ZN7rocprim17ROCPRIM_400000_NS6detail17trampoline_kernelINS0_14default_configENS1_20scan_config_selectorIN3c108BFloat16EEEZZNS1_9scan_implILNS1_25lookback_scan_determinismE0ELb0ELb0ES3_PKS6_PS6_S6_ZZZN2at6native31launch_logcumsumexp_cuda_kernelERKNSD_10TensorBaseESH_lENKUlvE_clEvENKUlvE4_clEvEUlS6_S6_E_S6_EEDaPvRmT3_T4_T5_mT6_P12ihipStream_tbENKUlT_T0_E_clISt17integral_constantIbLb1EESX_IbLb0EEEEDaST_SU_EUlST_E0_NS1_11comp_targetILNS1_3genE10ELNS1_11target_archE1201ELNS1_3gpuE5ELNS1_3repE0EEENS1_30default_config_static_selectorELNS0_4arch9wavefront6targetE1EEEvT1_
; %bb.0:
	.section	.rodata,"a",@progbits
	.p2align	6, 0x0
	.amdhsa_kernel _ZN7rocprim17ROCPRIM_400000_NS6detail17trampoline_kernelINS0_14default_configENS1_20scan_config_selectorIN3c108BFloat16EEEZZNS1_9scan_implILNS1_25lookback_scan_determinismE0ELb0ELb0ES3_PKS6_PS6_S6_ZZZN2at6native31launch_logcumsumexp_cuda_kernelERKNSD_10TensorBaseESH_lENKUlvE_clEvENKUlvE4_clEvEUlS6_S6_E_S6_EEDaPvRmT3_T4_T5_mT6_P12ihipStream_tbENKUlT_T0_E_clISt17integral_constantIbLb1EESX_IbLb0EEEEDaST_SU_EUlST_E0_NS1_11comp_targetILNS1_3genE10ELNS1_11target_archE1201ELNS1_3gpuE5ELNS1_3repE0EEENS1_30default_config_static_selectorELNS0_4arch9wavefront6targetE1EEEvT1_
		.amdhsa_group_segment_fixed_size 0
		.amdhsa_private_segment_fixed_size 0
		.amdhsa_kernarg_size 32
		.amdhsa_user_sgpr_count 6
		.amdhsa_user_sgpr_private_segment_buffer 1
		.amdhsa_user_sgpr_dispatch_ptr 0
		.amdhsa_user_sgpr_queue_ptr 0
		.amdhsa_user_sgpr_kernarg_segment_ptr 1
		.amdhsa_user_sgpr_dispatch_id 0
		.amdhsa_user_sgpr_flat_scratch_init 0
		.amdhsa_user_sgpr_private_segment_size 0
		.amdhsa_uses_dynamic_stack 0
		.amdhsa_system_sgpr_private_segment_wavefront_offset 0
		.amdhsa_system_sgpr_workgroup_id_x 1
		.amdhsa_system_sgpr_workgroup_id_y 0
		.amdhsa_system_sgpr_workgroup_id_z 0
		.amdhsa_system_sgpr_workgroup_info 0
		.amdhsa_system_vgpr_workitem_id 0
		.amdhsa_next_free_vgpr 1
		.amdhsa_next_free_sgpr 0
		.amdhsa_reserve_vcc 0
		.amdhsa_reserve_flat_scratch 0
		.amdhsa_float_round_mode_32 0
		.amdhsa_float_round_mode_16_64 0
		.amdhsa_float_denorm_mode_32 3
		.amdhsa_float_denorm_mode_16_64 3
		.amdhsa_dx10_clamp 1
		.amdhsa_ieee_mode 1
		.amdhsa_fp16_overflow 0
		.amdhsa_exception_fp_ieee_invalid_op 0
		.amdhsa_exception_fp_denorm_src 0
		.amdhsa_exception_fp_ieee_div_zero 0
		.amdhsa_exception_fp_ieee_overflow 0
		.amdhsa_exception_fp_ieee_underflow 0
		.amdhsa_exception_fp_ieee_inexact 0
		.amdhsa_exception_int_div_zero 0
	.end_amdhsa_kernel
	.section	.text._ZN7rocprim17ROCPRIM_400000_NS6detail17trampoline_kernelINS0_14default_configENS1_20scan_config_selectorIN3c108BFloat16EEEZZNS1_9scan_implILNS1_25lookback_scan_determinismE0ELb0ELb0ES3_PKS6_PS6_S6_ZZZN2at6native31launch_logcumsumexp_cuda_kernelERKNSD_10TensorBaseESH_lENKUlvE_clEvENKUlvE4_clEvEUlS6_S6_E_S6_EEDaPvRmT3_T4_T5_mT6_P12ihipStream_tbENKUlT_T0_E_clISt17integral_constantIbLb1EESX_IbLb0EEEEDaST_SU_EUlST_E0_NS1_11comp_targetILNS1_3genE10ELNS1_11target_archE1201ELNS1_3gpuE5ELNS1_3repE0EEENS1_30default_config_static_selectorELNS0_4arch9wavefront6targetE1EEEvT1_,"axG",@progbits,_ZN7rocprim17ROCPRIM_400000_NS6detail17trampoline_kernelINS0_14default_configENS1_20scan_config_selectorIN3c108BFloat16EEEZZNS1_9scan_implILNS1_25lookback_scan_determinismE0ELb0ELb0ES3_PKS6_PS6_S6_ZZZN2at6native31launch_logcumsumexp_cuda_kernelERKNSD_10TensorBaseESH_lENKUlvE_clEvENKUlvE4_clEvEUlS6_S6_E_S6_EEDaPvRmT3_T4_T5_mT6_P12ihipStream_tbENKUlT_T0_E_clISt17integral_constantIbLb1EESX_IbLb0EEEEDaST_SU_EUlST_E0_NS1_11comp_targetILNS1_3genE10ELNS1_11target_archE1201ELNS1_3gpuE5ELNS1_3repE0EEENS1_30default_config_static_selectorELNS0_4arch9wavefront6targetE1EEEvT1_,comdat
.Lfunc_end498:
	.size	_ZN7rocprim17ROCPRIM_400000_NS6detail17trampoline_kernelINS0_14default_configENS1_20scan_config_selectorIN3c108BFloat16EEEZZNS1_9scan_implILNS1_25lookback_scan_determinismE0ELb0ELb0ES3_PKS6_PS6_S6_ZZZN2at6native31launch_logcumsumexp_cuda_kernelERKNSD_10TensorBaseESH_lENKUlvE_clEvENKUlvE4_clEvEUlS6_S6_E_S6_EEDaPvRmT3_T4_T5_mT6_P12ihipStream_tbENKUlT_T0_E_clISt17integral_constantIbLb1EESX_IbLb0EEEEDaST_SU_EUlST_E0_NS1_11comp_targetILNS1_3genE10ELNS1_11target_archE1201ELNS1_3gpuE5ELNS1_3repE0EEENS1_30default_config_static_selectorELNS0_4arch9wavefront6targetE1EEEvT1_, .Lfunc_end498-_ZN7rocprim17ROCPRIM_400000_NS6detail17trampoline_kernelINS0_14default_configENS1_20scan_config_selectorIN3c108BFloat16EEEZZNS1_9scan_implILNS1_25lookback_scan_determinismE0ELb0ELb0ES3_PKS6_PS6_S6_ZZZN2at6native31launch_logcumsumexp_cuda_kernelERKNSD_10TensorBaseESH_lENKUlvE_clEvENKUlvE4_clEvEUlS6_S6_E_S6_EEDaPvRmT3_T4_T5_mT6_P12ihipStream_tbENKUlT_T0_E_clISt17integral_constantIbLb1EESX_IbLb0EEEEDaST_SU_EUlST_E0_NS1_11comp_targetILNS1_3genE10ELNS1_11target_archE1201ELNS1_3gpuE5ELNS1_3repE0EEENS1_30default_config_static_selectorELNS0_4arch9wavefront6targetE1EEEvT1_
                                        ; -- End function
	.set _ZN7rocprim17ROCPRIM_400000_NS6detail17trampoline_kernelINS0_14default_configENS1_20scan_config_selectorIN3c108BFloat16EEEZZNS1_9scan_implILNS1_25lookback_scan_determinismE0ELb0ELb0ES3_PKS6_PS6_S6_ZZZN2at6native31launch_logcumsumexp_cuda_kernelERKNSD_10TensorBaseESH_lENKUlvE_clEvENKUlvE4_clEvEUlS6_S6_E_S6_EEDaPvRmT3_T4_T5_mT6_P12ihipStream_tbENKUlT_T0_E_clISt17integral_constantIbLb1EESX_IbLb0EEEEDaST_SU_EUlST_E0_NS1_11comp_targetILNS1_3genE10ELNS1_11target_archE1201ELNS1_3gpuE5ELNS1_3repE0EEENS1_30default_config_static_selectorELNS0_4arch9wavefront6targetE1EEEvT1_.num_vgpr, 0
	.set _ZN7rocprim17ROCPRIM_400000_NS6detail17trampoline_kernelINS0_14default_configENS1_20scan_config_selectorIN3c108BFloat16EEEZZNS1_9scan_implILNS1_25lookback_scan_determinismE0ELb0ELb0ES3_PKS6_PS6_S6_ZZZN2at6native31launch_logcumsumexp_cuda_kernelERKNSD_10TensorBaseESH_lENKUlvE_clEvENKUlvE4_clEvEUlS6_S6_E_S6_EEDaPvRmT3_T4_T5_mT6_P12ihipStream_tbENKUlT_T0_E_clISt17integral_constantIbLb1EESX_IbLb0EEEEDaST_SU_EUlST_E0_NS1_11comp_targetILNS1_3genE10ELNS1_11target_archE1201ELNS1_3gpuE5ELNS1_3repE0EEENS1_30default_config_static_selectorELNS0_4arch9wavefront6targetE1EEEvT1_.num_agpr, 0
	.set _ZN7rocprim17ROCPRIM_400000_NS6detail17trampoline_kernelINS0_14default_configENS1_20scan_config_selectorIN3c108BFloat16EEEZZNS1_9scan_implILNS1_25lookback_scan_determinismE0ELb0ELb0ES3_PKS6_PS6_S6_ZZZN2at6native31launch_logcumsumexp_cuda_kernelERKNSD_10TensorBaseESH_lENKUlvE_clEvENKUlvE4_clEvEUlS6_S6_E_S6_EEDaPvRmT3_T4_T5_mT6_P12ihipStream_tbENKUlT_T0_E_clISt17integral_constantIbLb1EESX_IbLb0EEEEDaST_SU_EUlST_E0_NS1_11comp_targetILNS1_3genE10ELNS1_11target_archE1201ELNS1_3gpuE5ELNS1_3repE0EEENS1_30default_config_static_selectorELNS0_4arch9wavefront6targetE1EEEvT1_.numbered_sgpr, 0
	.set _ZN7rocprim17ROCPRIM_400000_NS6detail17trampoline_kernelINS0_14default_configENS1_20scan_config_selectorIN3c108BFloat16EEEZZNS1_9scan_implILNS1_25lookback_scan_determinismE0ELb0ELb0ES3_PKS6_PS6_S6_ZZZN2at6native31launch_logcumsumexp_cuda_kernelERKNSD_10TensorBaseESH_lENKUlvE_clEvENKUlvE4_clEvEUlS6_S6_E_S6_EEDaPvRmT3_T4_T5_mT6_P12ihipStream_tbENKUlT_T0_E_clISt17integral_constantIbLb1EESX_IbLb0EEEEDaST_SU_EUlST_E0_NS1_11comp_targetILNS1_3genE10ELNS1_11target_archE1201ELNS1_3gpuE5ELNS1_3repE0EEENS1_30default_config_static_selectorELNS0_4arch9wavefront6targetE1EEEvT1_.num_named_barrier, 0
	.set _ZN7rocprim17ROCPRIM_400000_NS6detail17trampoline_kernelINS0_14default_configENS1_20scan_config_selectorIN3c108BFloat16EEEZZNS1_9scan_implILNS1_25lookback_scan_determinismE0ELb0ELb0ES3_PKS6_PS6_S6_ZZZN2at6native31launch_logcumsumexp_cuda_kernelERKNSD_10TensorBaseESH_lENKUlvE_clEvENKUlvE4_clEvEUlS6_S6_E_S6_EEDaPvRmT3_T4_T5_mT6_P12ihipStream_tbENKUlT_T0_E_clISt17integral_constantIbLb1EESX_IbLb0EEEEDaST_SU_EUlST_E0_NS1_11comp_targetILNS1_3genE10ELNS1_11target_archE1201ELNS1_3gpuE5ELNS1_3repE0EEENS1_30default_config_static_selectorELNS0_4arch9wavefront6targetE1EEEvT1_.private_seg_size, 0
	.set _ZN7rocprim17ROCPRIM_400000_NS6detail17trampoline_kernelINS0_14default_configENS1_20scan_config_selectorIN3c108BFloat16EEEZZNS1_9scan_implILNS1_25lookback_scan_determinismE0ELb0ELb0ES3_PKS6_PS6_S6_ZZZN2at6native31launch_logcumsumexp_cuda_kernelERKNSD_10TensorBaseESH_lENKUlvE_clEvENKUlvE4_clEvEUlS6_S6_E_S6_EEDaPvRmT3_T4_T5_mT6_P12ihipStream_tbENKUlT_T0_E_clISt17integral_constantIbLb1EESX_IbLb0EEEEDaST_SU_EUlST_E0_NS1_11comp_targetILNS1_3genE10ELNS1_11target_archE1201ELNS1_3gpuE5ELNS1_3repE0EEENS1_30default_config_static_selectorELNS0_4arch9wavefront6targetE1EEEvT1_.uses_vcc, 0
	.set _ZN7rocprim17ROCPRIM_400000_NS6detail17trampoline_kernelINS0_14default_configENS1_20scan_config_selectorIN3c108BFloat16EEEZZNS1_9scan_implILNS1_25lookback_scan_determinismE0ELb0ELb0ES3_PKS6_PS6_S6_ZZZN2at6native31launch_logcumsumexp_cuda_kernelERKNSD_10TensorBaseESH_lENKUlvE_clEvENKUlvE4_clEvEUlS6_S6_E_S6_EEDaPvRmT3_T4_T5_mT6_P12ihipStream_tbENKUlT_T0_E_clISt17integral_constantIbLb1EESX_IbLb0EEEEDaST_SU_EUlST_E0_NS1_11comp_targetILNS1_3genE10ELNS1_11target_archE1201ELNS1_3gpuE5ELNS1_3repE0EEENS1_30default_config_static_selectorELNS0_4arch9wavefront6targetE1EEEvT1_.uses_flat_scratch, 0
	.set _ZN7rocprim17ROCPRIM_400000_NS6detail17trampoline_kernelINS0_14default_configENS1_20scan_config_selectorIN3c108BFloat16EEEZZNS1_9scan_implILNS1_25lookback_scan_determinismE0ELb0ELb0ES3_PKS6_PS6_S6_ZZZN2at6native31launch_logcumsumexp_cuda_kernelERKNSD_10TensorBaseESH_lENKUlvE_clEvENKUlvE4_clEvEUlS6_S6_E_S6_EEDaPvRmT3_T4_T5_mT6_P12ihipStream_tbENKUlT_T0_E_clISt17integral_constantIbLb1EESX_IbLb0EEEEDaST_SU_EUlST_E0_NS1_11comp_targetILNS1_3genE10ELNS1_11target_archE1201ELNS1_3gpuE5ELNS1_3repE0EEENS1_30default_config_static_selectorELNS0_4arch9wavefront6targetE1EEEvT1_.has_dyn_sized_stack, 0
	.set _ZN7rocprim17ROCPRIM_400000_NS6detail17trampoline_kernelINS0_14default_configENS1_20scan_config_selectorIN3c108BFloat16EEEZZNS1_9scan_implILNS1_25lookback_scan_determinismE0ELb0ELb0ES3_PKS6_PS6_S6_ZZZN2at6native31launch_logcumsumexp_cuda_kernelERKNSD_10TensorBaseESH_lENKUlvE_clEvENKUlvE4_clEvEUlS6_S6_E_S6_EEDaPvRmT3_T4_T5_mT6_P12ihipStream_tbENKUlT_T0_E_clISt17integral_constantIbLb1EESX_IbLb0EEEEDaST_SU_EUlST_E0_NS1_11comp_targetILNS1_3genE10ELNS1_11target_archE1201ELNS1_3gpuE5ELNS1_3repE0EEENS1_30default_config_static_selectorELNS0_4arch9wavefront6targetE1EEEvT1_.has_recursion, 0
	.set _ZN7rocprim17ROCPRIM_400000_NS6detail17trampoline_kernelINS0_14default_configENS1_20scan_config_selectorIN3c108BFloat16EEEZZNS1_9scan_implILNS1_25lookback_scan_determinismE0ELb0ELb0ES3_PKS6_PS6_S6_ZZZN2at6native31launch_logcumsumexp_cuda_kernelERKNSD_10TensorBaseESH_lENKUlvE_clEvENKUlvE4_clEvEUlS6_S6_E_S6_EEDaPvRmT3_T4_T5_mT6_P12ihipStream_tbENKUlT_T0_E_clISt17integral_constantIbLb1EESX_IbLb0EEEEDaST_SU_EUlST_E0_NS1_11comp_targetILNS1_3genE10ELNS1_11target_archE1201ELNS1_3gpuE5ELNS1_3repE0EEENS1_30default_config_static_selectorELNS0_4arch9wavefront6targetE1EEEvT1_.has_indirect_call, 0
	.section	.AMDGPU.csdata,"",@progbits
; Kernel info:
; codeLenInByte = 0
; TotalNumSgprs: 4
; NumVgprs: 0
; ScratchSize: 0
; MemoryBound: 0
; FloatMode: 240
; IeeeMode: 1
; LDSByteSize: 0 bytes/workgroup (compile time only)
; SGPRBlocks: 0
; VGPRBlocks: 0
; NumSGPRsForWavesPerEU: 4
; NumVGPRsForWavesPerEU: 1
; Occupancy: 10
; WaveLimiterHint : 0
; COMPUTE_PGM_RSRC2:SCRATCH_EN: 0
; COMPUTE_PGM_RSRC2:USER_SGPR: 6
; COMPUTE_PGM_RSRC2:TRAP_HANDLER: 0
; COMPUTE_PGM_RSRC2:TGID_X_EN: 1
; COMPUTE_PGM_RSRC2:TGID_Y_EN: 0
; COMPUTE_PGM_RSRC2:TGID_Z_EN: 0
; COMPUTE_PGM_RSRC2:TIDIG_COMP_CNT: 0
	.section	.text._ZN7rocprim17ROCPRIM_400000_NS6detail17trampoline_kernelINS0_14default_configENS1_20scan_config_selectorIN3c108BFloat16EEEZZNS1_9scan_implILNS1_25lookback_scan_determinismE0ELb0ELb0ES3_PKS6_PS6_S6_ZZZN2at6native31launch_logcumsumexp_cuda_kernelERKNSD_10TensorBaseESH_lENKUlvE_clEvENKUlvE4_clEvEUlS6_S6_E_S6_EEDaPvRmT3_T4_T5_mT6_P12ihipStream_tbENKUlT_T0_E_clISt17integral_constantIbLb1EESX_IbLb0EEEEDaST_SU_EUlST_E0_NS1_11comp_targetILNS1_3genE10ELNS1_11target_archE1200ELNS1_3gpuE4ELNS1_3repE0EEENS1_30default_config_static_selectorELNS0_4arch9wavefront6targetE1EEEvT1_,"axG",@progbits,_ZN7rocprim17ROCPRIM_400000_NS6detail17trampoline_kernelINS0_14default_configENS1_20scan_config_selectorIN3c108BFloat16EEEZZNS1_9scan_implILNS1_25lookback_scan_determinismE0ELb0ELb0ES3_PKS6_PS6_S6_ZZZN2at6native31launch_logcumsumexp_cuda_kernelERKNSD_10TensorBaseESH_lENKUlvE_clEvENKUlvE4_clEvEUlS6_S6_E_S6_EEDaPvRmT3_T4_T5_mT6_P12ihipStream_tbENKUlT_T0_E_clISt17integral_constantIbLb1EESX_IbLb0EEEEDaST_SU_EUlST_E0_NS1_11comp_targetILNS1_3genE10ELNS1_11target_archE1200ELNS1_3gpuE4ELNS1_3repE0EEENS1_30default_config_static_selectorELNS0_4arch9wavefront6targetE1EEEvT1_,comdat
	.globl	_ZN7rocprim17ROCPRIM_400000_NS6detail17trampoline_kernelINS0_14default_configENS1_20scan_config_selectorIN3c108BFloat16EEEZZNS1_9scan_implILNS1_25lookback_scan_determinismE0ELb0ELb0ES3_PKS6_PS6_S6_ZZZN2at6native31launch_logcumsumexp_cuda_kernelERKNSD_10TensorBaseESH_lENKUlvE_clEvENKUlvE4_clEvEUlS6_S6_E_S6_EEDaPvRmT3_T4_T5_mT6_P12ihipStream_tbENKUlT_T0_E_clISt17integral_constantIbLb1EESX_IbLb0EEEEDaST_SU_EUlST_E0_NS1_11comp_targetILNS1_3genE10ELNS1_11target_archE1200ELNS1_3gpuE4ELNS1_3repE0EEENS1_30default_config_static_selectorELNS0_4arch9wavefront6targetE1EEEvT1_ ; -- Begin function _ZN7rocprim17ROCPRIM_400000_NS6detail17trampoline_kernelINS0_14default_configENS1_20scan_config_selectorIN3c108BFloat16EEEZZNS1_9scan_implILNS1_25lookback_scan_determinismE0ELb0ELb0ES3_PKS6_PS6_S6_ZZZN2at6native31launch_logcumsumexp_cuda_kernelERKNSD_10TensorBaseESH_lENKUlvE_clEvENKUlvE4_clEvEUlS6_S6_E_S6_EEDaPvRmT3_T4_T5_mT6_P12ihipStream_tbENKUlT_T0_E_clISt17integral_constantIbLb1EESX_IbLb0EEEEDaST_SU_EUlST_E0_NS1_11comp_targetILNS1_3genE10ELNS1_11target_archE1200ELNS1_3gpuE4ELNS1_3repE0EEENS1_30default_config_static_selectorELNS0_4arch9wavefront6targetE1EEEvT1_
	.p2align	8
	.type	_ZN7rocprim17ROCPRIM_400000_NS6detail17trampoline_kernelINS0_14default_configENS1_20scan_config_selectorIN3c108BFloat16EEEZZNS1_9scan_implILNS1_25lookback_scan_determinismE0ELb0ELb0ES3_PKS6_PS6_S6_ZZZN2at6native31launch_logcumsumexp_cuda_kernelERKNSD_10TensorBaseESH_lENKUlvE_clEvENKUlvE4_clEvEUlS6_S6_E_S6_EEDaPvRmT3_T4_T5_mT6_P12ihipStream_tbENKUlT_T0_E_clISt17integral_constantIbLb1EESX_IbLb0EEEEDaST_SU_EUlST_E0_NS1_11comp_targetILNS1_3genE10ELNS1_11target_archE1200ELNS1_3gpuE4ELNS1_3repE0EEENS1_30default_config_static_selectorELNS0_4arch9wavefront6targetE1EEEvT1_,@function
_ZN7rocprim17ROCPRIM_400000_NS6detail17trampoline_kernelINS0_14default_configENS1_20scan_config_selectorIN3c108BFloat16EEEZZNS1_9scan_implILNS1_25lookback_scan_determinismE0ELb0ELb0ES3_PKS6_PS6_S6_ZZZN2at6native31launch_logcumsumexp_cuda_kernelERKNSD_10TensorBaseESH_lENKUlvE_clEvENKUlvE4_clEvEUlS6_S6_E_S6_EEDaPvRmT3_T4_T5_mT6_P12ihipStream_tbENKUlT_T0_E_clISt17integral_constantIbLb1EESX_IbLb0EEEEDaST_SU_EUlST_E0_NS1_11comp_targetILNS1_3genE10ELNS1_11target_archE1200ELNS1_3gpuE4ELNS1_3repE0EEENS1_30default_config_static_selectorELNS0_4arch9wavefront6targetE1EEEvT1_: ; @_ZN7rocprim17ROCPRIM_400000_NS6detail17trampoline_kernelINS0_14default_configENS1_20scan_config_selectorIN3c108BFloat16EEEZZNS1_9scan_implILNS1_25lookback_scan_determinismE0ELb0ELb0ES3_PKS6_PS6_S6_ZZZN2at6native31launch_logcumsumexp_cuda_kernelERKNSD_10TensorBaseESH_lENKUlvE_clEvENKUlvE4_clEvEUlS6_S6_E_S6_EEDaPvRmT3_T4_T5_mT6_P12ihipStream_tbENKUlT_T0_E_clISt17integral_constantIbLb1EESX_IbLb0EEEEDaST_SU_EUlST_E0_NS1_11comp_targetILNS1_3genE10ELNS1_11target_archE1200ELNS1_3gpuE4ELNS1_3repE0EEENS1_30default_config_static_selectorELNS0_4arch9wavefront6targetE1EEEvT1_
; %bb.0:
	.section	.rodata,"a",@progbits
	.p2align	6, 0x0
	.amdhsa_kernel _ZN7rocprim17ROCPRIM_400000_NS6detail17trampoline_kernelINS0_14default_configENS1_20scan_config_selectorIN3c108BFloat16EEEZZNS1_9scan_implILNS1_25lookback_scan_determinismE0ELb0ELb0ES3_PKS6_PS6_S6_ZZZN2at6native31launch_logcumsumexp_cuda_kernelERKNSD_10TensorBaseESH_lENKUlvE_clEvENKUlvE4_clEvEUlS6_S6_E_S6_EEDaPvRmT3_T4_T5_mT6_P12ihipStream_tbENKUlT_T0_E_clISt17integral_constantIbLb1EESX_IbLb0EEEEDaST_SU_EUlST_E0_NS1_11comp_targetILNS1_3genE10ELNS1_11target_archE1200ELNS1_3gpuE4ELNS1_3repE0EEENS1_30default_config_static_selectorELNS0_4arch9wavefront6targetE1EEEvT1_
		.amdhsa_group_segment_fixed_size 0
		.amdhsa_private_segment_fixed_size 0
		.amdhsa_kernarg_size 32
		.amdhsa_user_sgpr_count 6
		.amdhsa_user_sgpr_private_segment_buffer 1
		.amdhsa_user_sgpr_dispatch_ptr 0
		.amdhsa_user_sgpr_queue_ptr 0
		.amdhsa_user_sgpr_kernarg_segment_ptr 1
		.amdhsa_user_sgpr_dispatch_id 0
		.amdhsa_user_sgpr_flat_scratch_init 0
		.amdhsa_user_sgpr_private_segment_size 0
		.amdhsa_uses_dynamic_stack 0
		.amdhsa_system_sgpr_private_segment_wavefront_offset 0
		.amdhsa_system_sgpr_workgroup_id_x 1
		.amdhsa_system_sgpr_workgroup_id_y 0
		.amdhsa_system_sgpr_workgroup_id_z 0
		.amdhsa_system_sgpr_workgroup_info 0
		.amdhsa_system_vgpr_workitem_id 0
		.amdhsa_next_free_vgpr 1
		.amdhsa_next_free_sgpr 0
		.amdhsa_reserve_vcc 0
		.amdhsa_reserve_flat_scratch 0
		.amdhsa_float_round_mode_32 0
		.amdhsa_float_round_mode_16_64 0
		.amdhsa_float_denorm_mode_32 3
		.amdhsa_float_denorm_mode_16_64 3
		.amdhsa_dx10_clamp 1
		.amdhsa_ieee_mode 1
		.amdhsa_fp16_overflow 0
		.amdhsa_exception_fp_ieee_invalid_op 0
		.amdhsa_exception_fp_denorm_src 0
		.amdhsa_exception_fp_ieee_div_zero 0
		.amdhsa_exception_fp_ieee_overflow 0
		.amdhsa_exception_fp_ieee_underflow 0
		.amdhsa_exception_fp_ieee_inexact 0
		.amdhsa_exception_int_div_zero 0
	.end_amdhsa_kernel
	.section	.text._ZN7rocprim17ROCPRIM_400000_NS6detail17trampoline_kernelINS0_14default_configENS1_20scan_config_selectorIN3c108BFloat16EEEZZNS1_9scan_implILNS1_25lookback_scan_determinismE0ELb0ELb0ES3_PKS6_PS6_S6_ZZZN2at6native31launch_logcumsumexp_cuda_kernelERKNSD_10TensorBaseESH_lENKUlvE_clEvENKUlvE4_clEvEUlS6_S6_E_S6_EEDaPvRmT3_T4_T5_mT6_P12ihipStream_tbENKUlT_T0_E_clISt17integral_constantIbLb1EESX_IbLb0EEEEDaST_SU_EUlST_E0_NS1_11comp_targetILNS1_3genE10ELNS1_11target_archE1200ELNS1_3gpuE4ELNS1_3repE0EEENS1_30default_config_static_selectorELNS0_4arch9wavefront6targetE1EEEvT1_,"axG",@progbits,_ZN7rocprim17ROCPRIM_400000_NS6detail17trampoline_kernelINS0_14default_configENS1_20scan_config_selectorIN3c108BFloat16EEEZZNS1_9scan_implILNS1_25lookback_scan_determinismE0ELb0ELb0ES3_PKS6_PS6_S6_ZZZN2at6native31launch_logcumsumexp_cuda_kernelERKNSD_10TensorBaseESH_lENKUlvE_clEvENKUlvE4_clEvEUlS6_S6_E_S6_EEDaPvRmT3_T4_T5_mT6_P12ihipStream_tbENKUlT_T0_E_clISt17integral_constantIbLb1EESX_IbLb0EEEEDaST_SU_EUlST_E0_NS1_11comp_targetILNS1_3genE10ELNS1_11target_archE1200ELNS1_3gpuE4ELNS1_3repE0EEENS1_30default_config_static_selectorELNS0_4arch9wavefront6targetE1EEEvT1_,comdat
.Lfunc_end499:
	.size	_ZN7rocprim17ROCPRIM_400000_NS6detail17trampoline_kernelINS0_14default_configENS1_20scan_config_selectorIN3c108BFloat16EEEZZNS1_9scan_implILNS1_25lookback_scan_determinismE0ELb0ELb0ES3_PKS6_PS6_S6_ZZZN2at6native31launch_logcumsumexp_cuda_kernelERKNSD_10TensorBaseESH_lENKUlvE_clEvENKUlvE4_clEvEUlS6_S6_E_S6_EEDaPvRmT3_T4_T5_mT6_P12ihipStream_tbENKUlT_T0_E_clISt17integral_constantIbLb1EESX_IbLb0EEEEDaST_SU_EUlST_E0_NS1_11comp_targetILNS1_3genE10ELNS1_11target_archE1200ELNS1_3gpuE4ELNS1_3repE0EEENS1_30default_config_static_selectorELNS0_4arch9wavefront6targetE1EEEvT1_, .Lfunc_end499-_ZN7rocprim17ROCPRIM_400000_NS6detail17trampoline_kernelINS0_14default_configENS1_20scan_config_selectorIN3c108BFloat16EEEZZNS1_9scan_implILNS1_25lookback_scan_determinismE0ELb0ELb0ES3_PKS6_PS6_S6_ZZZN2at6native31launch_logcumsumexp_cuda_kernelERKNSD_10TensorBaseESH_lENKUlvE_clEvENKUlvE4_clEvEUlS6_S6_E_S6_EEDaPvRmT3_T4_T5_mT6_P12ihipStream_tbENKUlT_T0_E_clISt17integral_constantIbLb1EESX_IbLb0EEEEDaST_SU_EUlST_E0_NS1_11comp_targetILNS1_3genE10ELNS1_11target_archE1200ELNS1_3gpuE4ELNS1_3repE0EEENS1_30default_config_static_selectorELNS0_4arch9wavefront6targetE1EEEvT1_
                                        ; -- End function
	.set _ZN7rocprim17ROCPRIM_400000_NS6detail17trampoline_kernelINS0_14default_configENS1_20scan_config_selectorIN3c108BFloat16EEEZZNS1_9scan_implILNS1_25lookback_scan_determinismE0ELb0ELb0ES3_PKS6_PS6_S6_ZZZN2at6native31launch_logcumsumexp_cuda_kernelERKNSD_10TensorBaseESH_lENKUlvE_clEvENKUlvE4_clEvEUlS6_S6_E_S6_EEDaPvRmT3_T4_T5_mT6_P12ihipStream_tbENKUlT_T0_E_clISt17integral_constantIbLb1EESX_IbLb0EEEEDaST_SU_EUlST_E0_NS1_11comp_targetILNS1_3genE10ELNS1_11target_archE1200ELNS1_3gpuE4ELNS1_3repE0EEENS1_30default_config_static_selectorELNS0_4arch9wavefront6targetE1EEEvT1_.num_vgpr, 0
	.set _ZN7rocprim17ROCPRIM_400000_NS6detail17trampoline_kernelINS0_14default_configENS1_20scan_config_selectorIN3c108BFloat16EEEZZNS1_9scan_implILNS1_25lookback_scan_determinismE0ELb0ELb0ES3_PKS6_PS6_S6_ZZZN2at6native31launch_logcumsumexp_cuda_kernelERKNSD_10TensorBaseESH_lENKUlvE_clEvENKUlvE4_clEvEUlS6_S6_E_S6_EEDaPvRmT3_T4_T5_mT6_P12ihipStream_tbENKUlT_T0_E_clISt17integral_constantIbLb1EESX_IbLb0EEEEDaST_SU_EUlST_E0_NS1_11comp_targetILNS1_3genE10ELNS1_11target_archE1200ELNS1_3gpuE4ELNS1_3repE0EEENS1_30default_config_static_selectorELNS0_4arch9wavefront6targetE1EEEvT1_.num_agpr, 0
	.set _ZN7rocprim17ROCPRIM_400000_NS6detail17trampoline_kernelINS0_14default_configENS1_20scan_config_selectorIN3c108BFloat16EEEZZNS1_9scan_implILNS1_25lookback_scan_determinismE0ELb0ELb0ES3_PKS6_PS6_S6_ZZZN2at6native31launch_logcumsumexp_cuda_kernelERKNSD_10TensorBaseESH_lENKUlvE_clEvENKUlvE4_clEvEUlS6_S6_E_S6_EEDaPvRmT3_T4_T5_mT6_P12ihipStream_tbENKUlT_T0_E_clISt17integral_constantIbLb1EESX_IbLb0EEEEDaST_SU_EUlST_E0_NS1_11comp_targetILNS1_3genE10ELNS1_11target_archE1200ELNS1_3gpuE4ELNS1_3repE0EEENS1_30default_config_static_selectorELNS0_4arch9wavefront6targetE1EEEvT1_.numbered_sgpr, 0
	.set _ZN7rocprim17ROCPRIM_400000_NS6detail17trampoline_kernelINS0_14default_configENS1_20scan_config_selectorIN3c108BFloat16EEEZZNS1_9scan_implILNS1_25lookback_scan_determinismE0ELb0ELb0ES3_PKS6_PS6_S6_ZZZN2at6native31launch_logcumsumexp_cuda_kernelERKNSD_10TensorBaseESH_lENKUlvE_clEvENKUlvE4_clEvEUlS6_S6_E_S6_EEDaPvRmT3_T4_T5_mT6_P12ihipStream_tbENKUlT_T0_E_clISt17integral_constantIbLb1EESX_IbLb0EEEEDaST_SU_EUlST_E0_NS1_11comp_targetILNS1_3genE10ELNS1_11target_archE1200ELNS1_3gpuE4ELNS1_3repE0EEENS1_30default_config_static_selectorELNS0_4arch9wavefront6targetE1EEEvT1_.num_named_barrier, 0
	.set _ZN7rocprim17ROCPRIM_400000_NS6detail17trampoline_kernelINS0_14default_configENS1_20scan_config_selectorIN3c108BFloat16EEEZZNS1_9scan_implILNS1_25lookback_scan_determinismE0ELb0ELb0ES3_PKS6_PS6_S6_ZZZN2at6native31launch_logcumsumexp_cuda_kernelERKNSD_10TensorBaseESH_lENKUlvE_clEvENKUlvE4_clEvEUlS6_S6_E_S6_EEDaPvRmT3_T4_T5_mT6_P12ihipStream_tbENKUlT_T0_E_clISt17integral_constantIbLb1EESX_IbLb0EEEEDaST_SU_EUlST_E0_NS1_11comp_targetILNS1_3genE10ELNS1_11target_archE1200ELNS1_3gpuE4ELNS1_3repE0EEENS1_30default_config_static_selectorELNS0_4arch9wavefront6targetE1EEEvT1_.private_seg_size, 0
	.set _ZN7rocprim17ROCPRIM_400000_NS6detail17trampoline_kernelINS0_14default_configENS1_20scan_config_selectorIN3c108BFloat16EEEZZNS1_9scan_implILNS1_25lookback_scan_determinismE0ELb0ELb0ES3_PKS6_PS6_S6_ZZZN2at6native31launch_logcumsumexp_cuda_kernelERKNSD_10TensorBaseESH_lENKUlvE_clEvENKUlvE4_clEvEUlS6_S6_E_S6_EEDaPvRmT3_T4_T5_mT6_P12ihipStream_tbENKUlT_T0_E_clISt17integral_constantIbLb1EESX_IbLb0EEEEDaST_SU_EUlST_E0_NS1_11comp_targetILNS1_3genE10ELNS1_11target_archE1200ELNS1_3gpuE4ELNS1_3repE0EEENS1_30default_config_static_selectorELNS0_4arch9wavefront6targetE1EEEvT1_.uses_vcc, 0
	.set _ZN7rocprim17ROCPRIM_400000_NS6detail17trampoline_kernelINS0_14default_configENS1_20scan_config_selectorIN3c108BFloat16EEEZZNS1_9scan_implILNS1_25lookback_scan_determinismE0ELb0ELb0ES3_PKS6_PS6_S6_ZZZN2at6native31launch_logcumsumexp_cuda_kernelERKNSD_10TensorBaseESH_lENKUlvE_clEvENKUlvE4_clEvEUlS6_S6_E_S6_EEDaPvRmT3_T4_T5_mT6_P12ihipStream_tbENKUlT_T0_E_clISt17integral_constantIbLb1EESX_IbLb0EEEEDaST_SU_EUlST_E0_NS1_11comp_targetILNS1_3genE10ELNS1_11target_archE1200ELNS1_3gpuE4ELNS1_3repE0EEENS1_30default_config_static_selectorELNS0_4arch9wavefront6targetE1EEEvT1_.uses_flat_scratch, 0
	.set _ZN7rocprim17ROCPRIM_400000_NS6detail17trampoline_kernelINS0_14default_configENS1_20scan_config_selectorIN3c108BFloat16EEEZZNS1_9scan_implILNS1_25lookback_scan_determinismE0ELb0ELb0ES3_PKS6_PS6_S6_ZZZN2at6native31launch_logcumsumexp_cuda_kernelERKNSD_10TensorBaseESH_lENKUlvE_clEvENKUlvE4_clEvEUlS6_S6_E_S6_EEDaPvRmT3_T4_T5_mT6_P12ihipStream_tbENKUlT_T0_E_clISt17integral_constantIbLb1EESX_IbLb0EEEEDaST_SU_EUlST_E0_NS1_11comp_targetILNS1_3genE10ELNS1_11target_archE1200ELNS1_3gpuE4ELNS1_3repE0EEENS1_30default_config_static_selectorELNS0_4arch9wavefront6targetE1EEEvT1_.has_dyn_sized_stack, 0
	.set _ZN7rocprim17ROCPRIM_400000_NS6detail17trampoline_kernelINS0_14default_configENS1_20scan_config_selectorIN3c108BFloat16EEEZZNS1_9scan_implILNS1_25lookback_scan_determinismE0ELb0ELb0ES3_PKS6_PS6_S6_ZZZN2at6native31launch_logcumsumexp_cuda_kernelERKNSD_10TensorBaseESH_lENKUlvE_clEvENKUlvE4_clEvEUlS6_S6_E_S6_EEDaPvRmT3_T4_T5_mT6_P12ihipStream_tbENKUlT_T0_E_clISt17integral_constantIbLb1EESX_IbLb0EEEEDaST_SU_EUlST_E0_NS1_11comp_targetILNS1_3genE10ELNS1_11target_archE1200ELNS1_3gpuE4ELNS1_3repE0EEENS1_30default_config_static_selectorELNS0_4arch9wavefront6targetE1EEEvT1_.has_recursion, 0
	.set _ZN7rocprim17ROCPRIM_400000_NS6detail17trampoline_kernelINS0_14default_configENS1_20scan_config_selectorIN3c108BFloat16EEEZZNS1_9scan_implILNS1_25lookback_scan_determinismE0ELb0ELb0ES3_PKS6_PS6_S6_ZZZN2at6native31launch_logcumsumexp_cuda_kernelERKNSD_10TensorBaseESH_lENKUlvE_clEvENKUlvE4_clEvEUlS6_S6_E_S6_EEDaPvRmT3_T4_T5_mT6_P12ihipStream_tbENKUlT_T0_E_clISt17integral_constantIbLb1EESX_IbLb0EEEEDaST_SU_EUlST_E0_NS1_11comp_targetILNS1_3genE10ELNS1_11target_archE1200ELNS1_3gpuE4ELNS1_3repE0EEENS1_30default_config_static_selectorELNS0_4arch9wavefront6targetE1EEEvT1_.has_indirect_call, 0
	.section	.AMDGPU.csdata,"",@progbits
; Kernel info:
; codeLenInByte = 0
; TotalNumSgprs: 4
; NumVgprs: 0
; ScratchSize: 0
; MemoryBound: 0
; FloatMode: 240
; IeeeMode: 1
; LDSByteSize: 0 bytes/workgroup (compile time only)
; SGPRBlocks: 0
; VGPRBlocks: 0
; NumSGPRsForWavesPerEU: 4
; NumVGPRsForWavesPerEU: 1
; Occupancy: 10
; WaveLimiterHint : 0
; COMPUTE_PGM_RSRC2:SCRATCH_EN: 0
; COMPUTE_PGM_RSRC2:USER_SGPR: 6
; COMPUTE_PGM_RSRC2:TRAP_HANDLER: 0
; COMPUTE_PGM_RSRC2:TGID_X_EN: 1
; COMPUTE_PGM_RSRC2:TGID_Y_EN: 0
; COMPUTE_PGM_RSRC2:TGID_Z_EN: 0
; COMPUTE_PGM_RSRC2:TIDIG_COMP_CNT: 0
	.section	.text._ZN7rocprim17ROCPRIM_400000_NS6detail17trampoline_kernelINS0_14default_configENS1_20scan_config_selectorIN3c108BFloat16EEEZZNS1_9scan_implILNS1_25lookback_scan_determinismE0ELb0ELb0ES3_PKS6_PS6_S6_ZZZN2at6native31launch_logcumsumexp_cuda_kernelERKNSD_10TensorBaseESH_lENKUlvE_clEvENKUlvE4_clEvEUlS6_S6_E_S6_EEDaPvRmT3_T4_T5_mT6_P12ihipStream_tbENKUlT_T0_E_clISt17integral_constantIbLb1EESX_IbLb0EEEEDaST_SU_EUlST_E0_NS1_11comp_targetILNS1_3genE9ELNS1_11target_archE1100ELNS1_3gpuE3ELNS1_3repE0EEENS1_30default_config_static_selectorELNS0_4arch9wavefront6targetE1EEEvT1_,"axG",@progbits,_ZN7rocprim17ROCPRIM_400000_NS6detail17trampoline_kernelINS0_14default_configENS1_20scan_config_selectorIN3c108BFloat16EEEZZNS1_9scan_implILNS1_25lookback_scan_determinismE0ELb0ELb0ES3_PKS6_PS6_S6_ZZZN2at6native31launch_logcumsumexp_cuda_kernelERKNSD_10TensorBaseESH_lENKUlvE_clEvENKUlvE4_clEvEUlS6_S6_E_S6_EEDaPvRmT3_T4_T5_mT6_P12ihipStream_tbENKUlT_T0_E_clISt17integral_constantIbLb1EESX_IbLb0EEEEDaST_SU_EUlST_E0_NS1_11comp_targetILNS1_3genE9ELNS1_11target_archE1100ELNS1_3gpuE3ELNS1_3repE0EEENS1_30default_config_static_selectorELNS0_4arch9wavefront6targetE1EEEvT1_,comdat
	.globl	_ZN7rocprim17ROCPRIM_400000_NS6detail17trampoline_kernelINS0_14default_configENS1_20scan_config_selectorIN3c108BFloat16EEEZZNS1_9scan_implILNS1_25lookback_scan_determinismE0ELb0ELb0ES3_PKS6_PS6_S6_ZZZN2at6native31launch_logcumsumexp_cuda_kernelERKNSD_10TensorBaseESH_lENKUlvE_clEvENKUlvE4_clEvEUlS6_S6_E_S6_EEDaPvRmT3_T4_T5_mT6_P12ihipStream_tbENKUlT_T0_E_clISt17integral_constantIbLb1EESX_IbLb0EEEEDaST_SU_EUlST_E0_NS1_11comp_targetILNS1_3genE9ELNS1_11target_archE1100ELNS1_3gpuE3ELNS1_3repE0EEENS1_30default_config_static_selectorELNS0_4arch9wavefront6targetE1EEEvT1_ ; -- Begin function _ZN7rocprim17ROCPRIM_400000_NS6detail17trampoline_kernelINS0_14default_configENS1_20scan_config_selectorIN3c108BFloat16EEEZZNS1_9scan_implILNS1_25lookback_scan_determinismE0ELb0ELb0ES3_PKS6_PS6_S6_ZZZN2at6native31launch_logcumsumexp_cuda_kernelERKNSD_10TensorBaseESH_lENKUlvE_clEvENKUlvE4_clEvEUlS6_S6_E_S6_EEDaPvRmT3_T4_T5_mT6_P12ihipStream_tbENKUlT_T0_E_clISt17integral_constantIbLb1EESX_IbLb0EEEEDaST_SU_EUlST_E0_NS1_11comp_targetILNS1_3genE9ELNS1_11target_archE1100ELNS1_3gpuE3ELNS1_3repE0EEENS1_30default_config_static_selectorELNS0_4arch9wavefront6targetE1EEEvT1_
	.p2align	8
	.type	_ZN7rocprim17ROCPRIM_400000_NS6detail17trampoline_kernelINS0_14default_configENS1_20scan_config_selectorIN3c108BFloat16EEEZZNS1_9scan_implILNS1_25lookback_scan_determinismE0ELb0ELb0ES3_PKS6_PS6_S6_ZZZN2at6native31launch_logcumsumexp_cuda_kernelERKNSD_10TensorBaseESH_lENKUlvE_clEvENKUlvE4_clEvEUlS6_S6_E_S6_EEDaPvRmT3_T4_T5_mT6_P12ihipStream_tbENKUlT_T0_E_clISt17integral_constantIbLb1EESX_IbLb0EEEEDaST_SU_EUlST_E0_NS1_11comp_targetILNS1_3genE9ELNS1_11target_archE1100ELNS1_3gpuE3ELNS1_3repE0EEENS1_30default_config_static_selectorELNS0_4arch9wavefront6targetE1EEEvT1_,@function
_ZN7rocprim17ROCPRIM_400000_NS6detail17trampoline_kernelINS0_14default_configENS1_20scan_config_selectorIN3c108BFloat16EEEZZNS1_9scan_implILNS1_25lookback_scan_determinismE0ELb0ELb0ES3_PKS6_PS6_S6_ZZZN2at6native31launch_logcumsumexp_cuda_kernelERKNSD_10TensorBaseESH_lENKUlvE_clEvENKUlvE4_clEvEUlS6_S6_E_S6_EEDaPvRmT3_T4_T5_mT6_P12ihipStream_tbENKUlT_T0_E_clISt17integral_constantIbLb1EESX_IbLb0EEEEDaST_SU_EUlST_E0_NS1_11comp_targetILNS1_3genE9ELNS1_11target_archE1100ELNS1_3gpuE3ELNS1_3repE0EEENS1_30default_config_static_selectorELNS0_4arch9wavefront6targetE1EEEvT1_: ; @_ZN7rocprim17ROCPRIM_400000_NS6detail17trampoline_kernelINS0_14default_configENS1_20scan_config_selectorIN3c108BFloat16EEEZZNS1_9scan_implILNS1_25lookback_scan_determinismE0ELb0ELb0ES3_PKS6_PS6_S6_ZZZN2at6native31launch_logcumsumexp_cuda_kernelERKNSD_10TensorBaseESH_lENKUlvE_clEvENKUlvE4_clEvEUlS6_S6_E_S6_EEDaPvRmT3_T4_T5_mT6_P12ihipStream_tbENKUlT_T0_E_clISt17integral_constantIbLb1EESX_IbLb0EEEEDaST_SU_EUlST_E0_NS1_11comp_targetILNS1_3genE9ELNS1_11target_archE1100ELNS1_3gpuE3ELNS1_3repE0EEENS1_30default_config_static_selectorELNS0_4arch9wavefront6targetE1EEEvT1_
; %bb.0:
	.section	.rodata,"a",@progbits
	.p2align	6, 0x0
	.amdhsa_kernel _ZN7rocprim17ROCPRIM_400000_NS6detail17trampoline_kernelINS0_14default_configENS1_20scan_config_selectorIN3c108BFloat16EEEZZNS1_9scan_implILNS1_25lookback_scan_determinismE0ELb0ELb0ES3_PKS6_PS6_S6_ZZZN2at6native31launch_logcumsumexp_cuda_kernelERKNSD_10TensorBaseESH_lENKUlvE_clEvENKUlvE4_clEvEUlS6_S6_E_S6_EEDaPvRmT3_T4_T5_mT6_P12ihipStream_tbENKUlT_T0_E_clISt17integral_constantIbLb1EESX_IbLb0EEEEDaST_SU_EUlST_E0_NS1_11comp_targetILNS1_3genE9ELNS1_11target_archE1100ELNS1_3gpuE3ELNS1_3repE0EEENS1_30default_config_static_selectorELNS0_4arch9wavefront6targetE1EEEvT1_
		.amdhsa_group_segment_fixed_size 0
		.amdhsa_private_segment_fixed_size 0
		.amdhsa_kernarg_size 32
		.amdhsa_user_sgpr_count 6
		.amdhsa_user_sgpr_private_segment_buffer 1
		.amdhsa_user_sgpr_dispatch_ptr 0
		.amdhsa_user_sgpr_queue_ptr 0
		.amdhsa_user_sgpr_kernarg_segment_ptr 1
		.amdhsa_user_sgpr_dispatch_id 0
		.amdhsa_user_sgpr_flat_scratch_init 0
		.amdhsa_user_sgpr_private_segment_size 0
		.amdhsa_uses_dynamic_stack 0
		.amdhsa_system_sgpr_private_segment_wavefront_offset 0
		.amdhsa_system_sgpr_workgroup_id_x 1
		.amdhsa_system_sgpr_workgroup_id_y 0
		.amdhsa_system_sgpr_workgroup_id_z 0
		.amdhsa_system_sgpr_workgroup_info 0
		.amdhsa_system_vgpr_workitem_id 0
		.amdhsa_next_free_vgpr 1
		.amdhsa_next_free_sgpr 0
		.amdhsa_reserve_vcc 0
		.amdhsa_reserve_flat_scratch 0
		.amdhsa_float_round_mode_32 0
		.amdhsa_float_round_mode_16_64 0
		.amdhsa_float_denorm_mode_32 3
		.amdhsa_float_denorm_mode_16_64 3
		.amdhsa_dx10_clamp 1
		.amdhsa_ieee_mode 1
		.amdhsa_fp16_overflow 0
		.amdhsa_exception_fp_ieee_invalid_op 0
		.amdhsa_exception_fp_denorm_src 0
		.amdhsa_exception_fp_ieee_div_zero 0
		.amdhsa_exception_fp_ieee_overflow 0
		.amdhsa_exception_fp_ieee_underflow 0
		.amdhsa_exception_fp_ieee_inexact 0
		.amdhsa_exception_int_div_zero 0
	.end_amdhsa_kernel
	.section	.text._ZN7rocprim17ROCPRIM_400000_NS6detail17trampoline_kernelINS0_14default_configENS1_20scan_config_selectorIN3c108BFloat16EEEZZNS1_9scan_implILNS1_25lookback_scan_determinismE0ELb0ELb0ES3_PKS6_PS6_S6_ZZZN2at6native31launch_logcumsumexp_cuda_kernelERKNSD_10TensorBaseESH_lENKUlvE_clEvENKUlvE4_clEvEUlS6_S6_E_S6_EEDaPvRmT3_T4_T5_mT6_P12ihipStream_tbENKUlT_T0_E_clISt17integral_constantIbLb1EESX_IbLb0EEEEDaST_SU_EUlST_E0_NS1_11comp_targetILNS1_3genE9ELNS1_11target_archE1100ELNS1_3gpuE3ELNS1_3repE0EEENS1_30default_config_static_selectorELNS0_4arch9wavefront6targetE1EEEvT1_,"axG",@progbits,_ZN7rocprim17ROCPRIM_400000_NS6detail17trampoline_kernelINS0_14default_configENS1_20scan_config_selectorIN3c108BFloat16EEEZZNS1_9scan_implILNS1_25lookback_scan_determinismE0ELb0ELb0ES3_PKS6_PS6_S6_ZZZN2at6native31launch_logcumsumexp_cuda_kernelERKNSD_10TensorBaseESH_lENKUlvE_clEvENKUlvE4_clEvEUlS6_S6_E_S6_EEDaPvRmT3_T4_T5_mT6_P12ihipStream_tbENKUlT_T0_E_clISt17integral_constantIbLb1EESX_IbLb0EEEEDaST_SU_EUlST_E0_NS1_11comp_targetILNS1_3genE9ELNS1_11target_archE1100ELNS1_3gpuE3ELNS1_3repE0EEENS1_30default_config_static_selectorELNS0_4arch9wavefront6targetE1EEEvT1_,comdat
.Lfunc_end500:
	.size	_ZN7rocprim17ROCPRIM_400000_NS6detail17trampoline_kernelINS0_14default_configENS1_20scan_config_selectorIN3c108BFloat16EEEZZNS1_9scan_implILNS1_25lookback_scan_determinismE0ELb0ELb0ES3_PKS6_PS6_S6_ZZZN2at6native31launch_logcumsumexp_cuda_kernelERKNSD_10TensorBaseESH_lENKUlvE_clEvENKUlvE4_clEvEUlS6_S6_E_S6_EEDaPvRmT3_T4_T5_mT6_P12ihipStream_tbENKUlT_T0_E_clISt17integral_constantIbLb1EESX_IbLb0EEEEDaST_SU_EUlST_E0_NS1_11comp_targetILNS1_3genE9ELNS1_11target_archE1100ELNS1_3gpuE3ELNS1_3repE0EEENS1_30default_config_static_selectorELNS0_4arch9wavefront6targetE1EEEvT1_, .Lfunc_end500-_ZN7rocprim17ROCPRIM_400000_NS6detail17trampoline_kernelINS0_14default_configENS1_20scan_config_selectorIN3c108BFloat16EEEZZNS1_9scan_implILNS1_25lookback_scan_determinismE0ELb0ELb0ES3_PKS6_PS6_S6_ZZZN2at6native31launch_logcumsumexp_cuda_kernelERKNSD_10TensorBaseESH_lENKUlvE_clEvENKUlvE4_clEvEUlS6_S6_E_S6_EEDaPvRmT3_T4_T5_mT6_P12ihipStream_tbENKUlT_T0_E_clISt17integral_constantIbLb1EESX_IbLb0EEEEDaST_SU_EUlST_E0_NS1_11comp_targetILNS1_3genE9ELNS1_11target_archE1100ELNS1_3gpuE3ELNS1_3repE0EEENS1_30default_config_static_selectorELNS0_4arch9wavefront6targetE1EEEvT1_
                                        ; -- End function
	.set _ZN7rocprim17ROCPRIM_400000_NS6detail17trampoline_kernelINS0_14default_configENS1_20scan_config_selectorIN3c108BFloat16EEEZZNS1_9scan_implILNS1_25lookback_scan_determinismE0ELb0ELb0ES3_PKS6_PS6_S6_ZZZN2at6native31launch_logcumsumexp_cuda_kernelERKNSD_10TensorBaseESH_lENKUlvE_clEvENKUlvE4_clEvEUlS6_S6_E_S6_EEDaPvRmT3_T4_T5_mT6_P12ihipStream_tbENKUlT_T0_E_clISt17integral_constantIbLb1EESX_IbLb0EEEEDaST_SU_EUlST_E0_NS1_11comp_targetILNS1_3genE9ELNS1_11target_archE1100ELNS1_3gpuE3ELNS1_3repE0EEENS1_30default_config_static_selectorELNS0_4arch9wavefront6targetE1EEEvT1_.num_vgpr, 0
	.set _ZN7rocprim17ROCPRIM_400000_NS6detail17trampoline_kernelINS0_14default_configENS1_20scan_config_selectorIN3c108BFloat16EEEZZNS1_9scan_implILNS1_25lookback_scan_determinismE0ELb0ELb0ES3_PKS6_PS6_S6_ZZZN2at6native31launch_logcumsumexp_cuda_kernelERKNSD_10TensorBaseESH_lENKUlvE_clEvENKUlvE4_clEvEUlS6_S6_E_S6_EEDaPvRmT3_T4_T5_mT6_P12ihipStream_tbENKUlT_T0_E_clISt17integral_constantIbLb1EESX_IbLb0EEEEDaST_SU_EUlST_E0_NS1_11comp_targetILNS1_3genE9ELNS1_11target_archE1100ELNS1_3gpuE3ELNS1_3repE0EEENS1_30default_config_static_selectorELNS0_4arch9wavefront6targetE1EEEvT1_.num_agpr, 0
	.set _ZN7rocprim17ROCPRIM_400000_NS6detail17trampoline_kernelINS0_14default_configENS1_20scan_config_selectorIN3c108BFloat16EEEZZNS1_9scan_implILNS1_25lookback_scan_determinismE0ELb0ELb0ES3_PKS6_PS6_S6_ZZZN2at6native31launch_logcumsumexp_cuda_kernelERKNSD_10TensorBaseESH_lENKUlvE_clEvENKUlvE4_clEvEUlS6_S6_E_S6_EEDaPvRmT3_T4_T5_mT6_P12ihipStream_tbENKUlT_T0_E_clISt17integral_constantIbLb1EESX_IbLb0EEEEDaST_SU_EUlST_E0_NS1_11comp_targetILNS1_3genE9ELNS1_11target_archE1100ELNS1_3gpuE3ELNS1_3repE0EEENS1_30default_config_static_selectorELNS0_4arch9wavefront6targetE1EEEvT1_.numbered_sgpr, 0
	.set _ZN7rocprim17ROCPRIM_400000_NS6detail17trampoline_kernelINS0_14default_configENS1_20scan_config_selectorIN3c108BFloat16EEEZZNS1_9scan_implILNS1_25lookback_scan_determinismE0ELb0ELb0ES3_PKS6_PS6_S6_ZZZN2at6native31launch_logcumsumexp_cuda_kernelERKNSD_10TensorBaseESH_lENKUlvE_clEvENKUlvE4_clEvEUlS6_S6_E_S6_EEDaPvRmT3_T4_T5_mT6_P12ihipStream_tbENKUlT_T0_E_clISt17integral_constantIbLb1EESX_IbLb0EEEEDaST_SU_EUlST_E0_NS1_11comp_targetILNS1_3genE9ELNS1_11target_archE1100ELNS1_3gpuE3ELNS1_3repE0EEENS1_30default_config_static_selectorELNS0_4arch9wavefront6targetE1EEEvT1_.num_named_barrier, 0
	.set _ZN7rocprim17ROCPRIM_400000_NS6detail17trampoline_kernelINS0_14default_configENS1_20scan_config_selectorIN3c108BFloat16EEEZZNS1_9scan_implILNS1_25lookback_scan_determinismE0ELb0ELb0ES3_PKS6_PS6_S6_ZZZN2at6native31launch_logcumsumexp_cuda_kernelERKNSD_10TensorBaseESH_lENKUlvE_clEvENKUlvE4_clEvEUlS6_S6_E_S6_EEDaPvRmT3_T4_T5_mT6_P12ihipStream_tbENKUlT_T0_E_clISt17integral_constantIbLb1EESX_IbLb0EEEEDaST_SU_EUlST_E0_NS1_11comp_targetILNS1_3genE9ELNS1_11target_archE1100ELNS1_3gpuE3ELNS1_3repE0EEENS1_30default_config_static_selectorELNS0_4arch9wavefront6targetE1EEEvT1_.private_seg_size, 0
	.set _ZN7rocprim17ROCPRIM_400000_NS6detail17trampoline_kernelINS0_14default_configENS1_20scan_config_selectorIN3c108BFloat16EEEZZNS1_9scan_implILNS1_25lookback_scan_determinismE0ELb0ELb0ES3_PKS6_PS6_S6_ZZZN2at6native31launch_logcumsumexp_cuda_kernelERKNSD_10TensorBaseESH_lENKUlvE_clEvENKUlvE4_clEvEUlS6_S6_E_S6_EEDaPvRmT3_T4_T5_mT6_P12ihipStream_tbENKUlT_T0_E_clISt17integral_constantIbLb1EESX_IbLb0EEEEDaST_SU_EUlST_E0_NS1_11comp_targetILNS1_3genE9ELNS1_11target_archE1100ELNS1_3gpuE3ELNS1_3repE0EEENS1_30default_config_static_selectorELNS0_4arch9wavefront6targetE1EEEvT1_.uses_vcc, 0
	.set _ZN7rocprim17ROCPRIM_400000_NS6detail17trampoline_kernelINS0_14default_configENS1_20scan_config_selectorIN3c108BFloat16EEEZZNS1_9scan_implILNS1_25lookback_scan_determinismE0ELb0ELb0ES3_PKS6_PS6_S6_ZZZN2at6native31launch_logcumsumexp_cuda_kernelERKNSD_10TensorBaseESH_lENKUlvE_clEvENKUlvE4_clEvEUlS6_S6_E_S6_EEDaPvRmT3_T4_T5_mT6_P12ihipStream_tbENKUlT_T0_E_clISt17integral_constantIbLb1EESX_IbLb0EEEEDaST_SU_EUlST_E0_NS1_11comp_targetILNS1_3genE9ELNS1_11target_archE1100ELNS1_3gpuE3ELNS1_3repE0EEENS1_30default_config_static_selectorELNS0_4arch9wavefront6targetE1EEEvT1_.uses_flat_scratch, 0
	.set _ZN7rocprim17ROCPRIM_400000_NS6detail17trampoline_kernelINS0_14default_configENS1_20scan_config_selectorIN3c108BFloat16EEEZZNS1_9scan_implILNS1_25lookback_scan_determinismE0ELb0ELb0ES3_PKS6_PS6_S6_ZZZN2at6native31launch_logcumsumexp_cuda_kernelERKNSD_10TensorBaseESH_lENKUlvE_clEvENKUlvE4_clEvEUlS6_S6_E_S6_EEDaPvRmT3_T4_T5_mT6_P12ihipStream_tbENKUlT_T0_E_clISt17integral_constantIbLb1EESX_IbLb0EEEEDaST_SU_EUlST_E0_NS1_11comp_targetILNS1_3genE9ELNS1_11target_archE1100ELNS1_3gpuE3ELNS1_3repE0EEENS1_30default_config_static_selectorELNS0_4arch9wavefront6targetE1EEEvT1_.has_dyn_sized_stack, 0
	.set _ZN7rocprim17ROCPRIM_400000_NS6detail17trampoline_kernelINS0_14default_configENS1_20scan_config_selectorIN3c108BFloat16EEEZZNS1_9scan_implILNS1_25lookback_scan_determinismE0ELb0ELb0ES3_PKS6_PS6_S6_ZZZN2at6native31launch_logcumsumexp_cuda_kernelERKNSD_10TensorBaseESH_lENKUlvE_clEvENKUlvE4_clEvEUlS6_S6_E_S6_EEDaPvRmT3_T4_T5_mT6_P12ihipStream_tbENKUlT_T0_E_clISt17integral_constantIbLb1EESX_IbLb0EEEEDaST_SU_EUlST_E0_NS1_11comp_targetILNS1_3genE9ELNS1_11target_archE1100ELNS1_3gpuE3ELNS1_3repE0EEENS1_30default_config_static_selectorELNS0_4arch9wavefront6targetE1EEEvT1_.has_recursion, 0
	.set _ZN7rocprim17ROCPRIM_400000_NS6detail17trampoline_kernelINS0_14default_configENS1_20scan_config_selectorIN3c108BFloat16EEEZZNS1_9scan_implILNS1_25lookback_scan_determinismE0ELb0ELb0ES3_PKS6_PS6_S6_ZZZN2at6native31launch_logcumsumexp_cuda_kernelERKNSD_10TensorBaseESH_lENKUlvE_clEvENKUlvE4_clEvEUlS6_S6_E_S6_EEDaPvRmT3_T4_T5_mT6_P12ihipStream_tbENKUlT_T0_E_clISt17integral_constantIbLb1EESX_IbLb0EEEEDaST_SU_EUlST_E0_NS1_11comp_targetILNS1_3genE9ELNS1_11target_archE1100ELNS1_3gpuE3ELNS1_3repE0EEENS1_30default_config_static_selectorELNS0_4arch9wavefront6targetE1EEEvT1_.has_indirect_call, 0
	.section	.AMDGPU.csdata,"",@progbits
; Kernel info:
; codeLenInByte = 0
; TotalNumSgprs: 4
; NumVgprs: 0
; ScratchSize: 0
; MemoryBound: 0
; FloatMode: 240
; IeeeMode: 1
; LDSByteSize: 0 bytes/workgroup (compile time only)
; SGPRBlocks: 0
; VGPRBlocks: 0
; NumSGPRsForWavesPerEU: 4
; NumVGPRsForWavesPerEU: 1
; Occupancy: 10
; WaveLimiterHint : 0
; COMPUTE_PGM_RSRC2:SCRATCH_EN: 0
; COMPUTE_PGM_RSRC2:USER_SGPR: 6
; COMPUTE_PGM_RSRC2:TRAP_HANDLER: 0
; COMPUTE_PGM_RSRC2:TGID_X_EN: 1
; COMPUTE_PGM_RSRC2:TGID_Y_EN: 0
; COMPUTE_PGM_RSRC2:TGID_Z_EN: 0
; COMPUTE_PGM_RSRC2:TIDIG_COMP_CNT: 0
	.section	.text._ZN7rocprim17ROCPRIM_400000_NS6detail17trampoline_kernelINS0_14default_configENS1_20scan_config_selectorIN3c108BFloat16EEEZZNS1_9scan_implILNS1_25lookback_scan_determinismE0ELb0ELb0ES3_PKS6_PS6_S6_ZZZN2at6native31launch_logcumsumexp_cuda_kernelERKNSD_10TensorBaseESH_lENKUlvE_clEvENKUlvE4_clEvEUlS6_S6_E_S6_EEDaPvRmT3_T4_T5_mT6_P12ihipStream_tbENKUlT_T0_E_clISt17integral_constantIbLb1EESX_IbLb0EEEEDaST_SU_EUlST_E0_NS1_11comp_targetILNS1_3genE8ELNS1_11target_archE1030ELNS1_3gpuE2ELNS1_3repE0EEENS1_30default_config_static_selectorELNS0_4arch9wavefront6targetE1EEEvT1_,"axG",@progbits,_ZN7rocprim17ROCPRIM_400000_NS6detail17trampoline_kernelINS0_14default_configENS1_20scan_config_selectorIN3c108BFloat16EEEZZNS1_9scan_implILNS1_25lookback_scan_determinismE0ELb0ELb0ES3_PKS6_PS6_S6_ZZZN2at6native31launch_logcumsumexp_cuda_kernelERKNSD_10TensorBaseESH_lENKUlvE_clEvENKUlvE4_clEvEUlS6_S6_E_S6_EEDaPvRmT3_T4_T5_mT6_P12ihipStream_tbENKUlT_T0_E_clISt17integral_constantIbLb1EESX_IbLb0EEEEDaST_SU_EUlST_E0_NS1_11comp_targetILNS1_3genE8ELNS1_11target_archE1030ELNS1_3gpuE2ELNS1_3repE0EEENS1_30default_config_static_selectorELNS0_4arch9wavefront6targetE1EEEvT1_,comdat
	.globl	_ZN7rocprim17ROCPRIM_400000_NS6detail17trampoline_kernelINS0_14default_configENS1_20scan_config_selectorIN3c108BFloat16EEEZZNS1_9scan_implILNS1_25lookback_scan_determinismE0ELb0ELb0ES3_PKS6_PS6_S6_ZZZN2at6native31launch_logcumsumexp_cuda_kernelERKNSD_10TensorBaseESH_lENKUlvE_clEvENKUlvE4_clEvEUlS6_S6_E_S6_EEDaPvRmT3_T4_T5_mT6_P12ihipStream_tbENKUlT_T0_E_clISt17integral_constantIbLb1EESX_IbLb0EEEEDaST_SU_EUlST_E0_NS1_11comp_targetILNS1_3genE8ELNS1_11target_archE1030ELNS1_3gpuE2ELNS1_3repE0EEENS1_30default_config_static_selectorELNS0_4arch9wavefront6targetE1EEEvT1_ ; -- Begin function _ZN7rocprim17ROCPRIM_400000_NS6detail17trampoline_kernelINS0_14default_configENS1_20scan_config_selectorIN3c108BFloat16EEEZZNS1_9scan_implILNS1_25lookback_scan_determinismE0ELb0ELb0ES3_PKS6_PS6_S6_ZZZN2at6native31launch_logcumsumexp_cuda_kernelERKNSD_10TensorBaseESH_lENKUlvE_clEvENKUlvE4_clEvEUlS6_S6_E_S6_EEDaPvRmT3_T4_T5_mT6_P12ihipStream_tbENKUlT_T0_E_clISt17integral_constantIbLb1EESX_IbLb0EEEEDaST_SU_EUlST_E0_NS1_11comp_targetILNS1_3genE8ELNS1_11target_archE1030ELNS1_3gpuE2ELNS1_3repE0EEENS1_30default_config_static_selectorELNS0_4arch9wavefront6targetE1EEEvT1_
	.p2align	8
	.type	_ZN7rocprim17ROCPRIM_400000_NS6detail17trampoline_kernelINS0_14default_configENS1_20scan_config_selectorIN3c108BFloat16EEEZZNS1_9scan_implILNS1_25lookback_scan_determinismE0ELb0ELb0ES3_PKS6_PS6_S6_ZZZN2at6native31launch_logcumsumexp_cuda_kernelERKNSD_10TensorBaseESH_lENKUlvE_clEvENKUlvE4_clEvEUlS6_S6_E_S6_EEDaPvRmT3_T4_T5_mT6_P12ihipStream_tbENKUlT_T0_E_clISt17integral_constantIbLb1EESX_IbLb0EEEEDaST_SU_EUlST_E0_NS1_11comp_targetILNS1_3genE8ELNS1_11target_archE1030ELNS1_3gpuE2ELNS1_3repE0EEENS1_30default_config_static_selectorELNS0_4arch9wavefront6targetE1EEEvT1_,@function
_ZN7rocprim17ROCPRIM_400000_NS6detail17trampoline_kernelINS0_14default_configENS1_20scan_config_selectorIN3c108BFloat16EEEZZNS1_9scan_implILNS1_25lookback_scan_determinismE0ELb0ELb0ES3_PKS6_PS6_S6_ZZZN2at6native31launch_logcumsumexp_cuda_kernelERKNSD_10TensorBaseESH_lENKUlvE_clEvENKUlvE4_clEvEUlS6_S6_E_S6_EEDaPvRmT3_T4_T5_mT6_P12ihipStream_tbENKUlT_T0_E_clISt17integral_constantIbLb1EESX_IbLb0EEEEDaST_SU_EUlST_E0_NS1_11comp_targetILNS1_3genE8ELNS1_11target_archE1030ELNS1_3gpuE2ELNS1_3repE0EEENS1_30default_config_static_selectorELNS0_4arch9wavefront6targetE1EEEvT1_: ; @_ZN7rocprim17ROCPRIM_400000_NS6detail17trampoline_kernelINS0_14default_configENS1_20scan_config_selectorIN3c108BFloat16EEEZZNS1_9scan_implILNS1_25lookback_scan_determinismE0ELb0ELb0ES3_PKS6_PS6_S6_ZZZN2at6native31launch_logcumsumexp_cuda_kernelERKNSD_10TensorBaseESH_lENKUlvE_clEvENKUlvE4_clEvEUlS6_S6_E_S6_EEDaPvRmT3_T4_T5_mT6_P12ihipStream_tbENKUlT_T0_E_clISt17integral_constantIbLb1EESX_IbLb0EEEEDaST_SU_EUlST_E0_NS1_11comp_targetILNS1_3genE8ELNS1_11target_archE1030ELNS1_3gpuE2ELNS1_3repE0EEENS1_30default_config_static_selectorELNS0_4arch9wavefront6targetE1EEEvT1_
; %bb.0:
	.section	.rodata,"a",@progbits
	.p2align	6, 0x0
	.amdhsa_kernel _ZN7rocprim17ROCPRIM_400000_NS6detail17trampoline_kernelINS0_14default_configENS1_20scan_config_selectorIN3c108BFloat16EEEZZNS1_9scan_implILNS1_25lookback_scan_determinismE0ELb0ELb0ES3_PKS6_PS6_S6_ZZZN2at6native31launch_logcumsumexp_cuda_kernelERKNSD_10TensorBaseESH_lENKUlvE_clEvENKUlvE4_clEvEUlS6_S6_E_S6_EEDaPvRmT3_T4_T5_mT6_P12ihipStream_tbENKUlT_T0_E_clISt17integral_constantIbLb1EESX_IbLb0EEEEDaST_SU_EUlST_E0_NS1_11comp_targetILNS1_3genE8ELNS1_11target_archE1030ELNS1_3gpuE2ELNS1_3repE0EEENS1_30default_config_static_selectorELNS0_4arch9wavefront6targetE1EEEvT1_
		.amdhsa_group_segment_fixed_size 0
		.amdhsa_private_segment_fixed_size 0
		.amdhsa_kernarg_size 32
		.amdhsa_user_sgpr_count 6
		.amdhsa_user_sgpr_private_segment_buffer 1
		.amdhsa_user_sgpr_dispatch_ptr 0
		.amdhsa_user_sgpr_queue_ptr 0
		.amdhsa_user_sgpr_kernarg_segment_ptr 1
		.amdhsa_user_sgpr_dispatch_id 0
		.amdhsa_user_sgpr_flat_scratch_init 0
		.amdhsa_user_sgpr_private_segment_size 0
		.amdhsa_uses_dynamic_stack 0
		.amdhsa_system_sgpr_private_segment_wavefront_offset 0
		.amdhsa_system_sgpr_workgroup_id_x 1
		.amdhsa_system_sgpr_workgroup_id_y 0
		.amdhsa_system_sgpr_workgroup_id_z 0
		.amdhsa_system_sgpr_workgroup_info 0
		.amdhsa_system_vgpr_workitem_id 0
		.amdhsa_next_free_vgpr 1
		.amdhsa_next_free_sgpr 0
		.amdhsa_reserve_vcc 0
		.amdhsa_reserve_flat_scratch 0
		.amdhsa_float_round_mode_32 0
		.amdhsa_float_round_mode_16_64 0
		.amdhsa_float_denorm_mode_32 3
		.amdhsa_float_denorm_mode_16_64 3
		.amdhsa_dx10_clamp 1
		.amdhsa_ieee_mode 1
		.amdhsa_fp16_overflow 0
		.amdhsa_exception_fp_ieee_invalid_op 0
		.amdhsa_exception_fp_denorm_src 0
		.amdhsa_exception_fp_ieee_div_zero 0
		.amdhsa_exception_fp_ieee_overflow 0
		.amdhsa_exception_fp_ieee_underflow 0
		.amdhsa_exception_fp_ieee_inexact 0
		.amdhsa_exception_int_div_zero 0
	.end_amdhsa_kernel
	.section	.text._ZN7rocprim17ROCPRIM_400000_NS6detail17trampoline_kernelINS0_14default_configENS1_20scan_config_selectorIN3c108BFloat16EEEZZNS1_9scan_implILNS1_25lookback_scan_determinismE0ELb0ELb0ES3_PKS6_PS6_S6_ZZZN2at6native31launch_logcumsumexp_cuda_kernelERKNSD_10TensorBaseESH_lENKUlvE_clEvENKUlvE4_clEvEUlS6_S6_E_S6_EEDaPvRmT3_T4_T5_mT6_P12ihipStream_tbENKUlT_T0_E_clISt17integral_constantIbLb1EESX_IbLb0EEEEDaST_SU_EUlST_E0_NS1_11comp_targetILNS1_3genE8ELNS1_11target_archE1030ELNS1_3gpuE2ELNS1_3repE0EEENS1_30default_config_static_selectorELNS0_4arch9wavefront6targetE1EEEvT1_,"axG",@progbits,_ZN7rocprim17ROCPRIM_400000_NS6detail17trampoline_kernelINS0_14default_configENS1_20scan_config_selectorIN3c108BFloat16EEEZZNS1_9scan_implILNS1_25lookback_scan_determinismE0ELb0ELb0ES3_PKS6_PS6_S6_ZZZN2at6native31launch_logcumsumexp_cuda_kernelERKNSD_10TensorBaseESH_lENKUlvE_clEvENKUlvE4_clEvEUlS6_S6_E_S6_EEDaPvRmT3_T4_T5_mT6_P12ihipStream_tbENKUlT_T0_E_clISt17integral_constantIbLb1EESX_IbLb0EEEEDaST_SU_EUlST_E0_NS1_11comp_targetILNS1_3genE8ELNS1_11target_archE1030ELNS1_3gpuE2ELNS1_3repE0EEENS1_30default_config_static_selectorELNS0_4arch9wavefront6targetE1EEEvT1_,comdat
.Lfunc_end501:
	.size	_ZN7rocprim17ROCPRIM_400000_NS6detail17trampoline_kernelINS0_14default_configENS1_20scan_config_selectorIN3c108BFloat16EEEZZNS1_9scan_implILNS1_25lookback_scan_determinismE0ELb0ELb0ES3_PKS6_PS6_S6_ZZZN2at6native31launch_logcumsumexp_cuda_kernelERKNSD_10TensorBaseESH_lENKUlvE_clEvENKUlvE4_clEvEUlS6_S6_E_S6_EEDaPvRmT3_T4_T5_mT6_P12ihipStream_tbENKUlT_T0_E_clISt17integral_constantIbLb1EESX_IbLb0EEEEDaST_SU_EUlST_E0_NS1_11comp_targetILNS1_3genE8ELNS1_11target_archE1030ELNS1_3gpuE2ELNS1_3repE0EEENS1_30default_config_static_selectorELNS0_4arch9wavefront6targetE1EEEvT1_, .Lfunc_end501-_ZN7rocprim17ROCPRIM_400000_NS6detail17trampoline_kernelINS0_14default_configENS1_20scan_config_selectorIN3c108BFloat16EEEZZNS1_9scan_implILNS1_25lookback_scan_determinismE0ELb0ELb0ES3_PKS6_PS6_S6_ZZZN2at6native31launch_logcumsumexp_cuda_kernelERKNSD_10TensorBaseESH_lENKUlvE_clEvENKUlvE4_clEvEUlS6_S6_E_S6_EEDaPvRmT3_T4_T5_mT6_P12ihipStream_tbENKUlT_T0_E_clISt17integral_constantIbLb1EESX_IbLb0EEEEDaST_SU_EUlST_E0_NS1_11comp_targetILNS1_3genE8ELNS1_11target_archE1030ELNS1_3gpuE2ELNS1_3repE0EEENS1_30default_config_static_selectorELNS0_4arch9wavefront6targetE1EEEvT1_
                                        ; -- End function
	.set _ZN7rocprim17ROCPRIM_400000_NS6detail17trampoline_kernelINS0_14default_configENS1_20scan_config_selectorIN3c108BFloat16EEEZZNS1_9scan_implILNS1_25lookback_scan_determinismE0ELb0ELb0ES3_PKS6_PS6_S6_ZZZN2at6native31launch_logcumsumexp_cuda_kernelERKNSD_10TensorBaseESH_lENKUlvE_clEvENKUlvE4_clEvEUlS6_S6_E_S6_EEDaPvRmT3_T4_T5_mT6_P12ihipStream_tbENKUlT_T0_E_clISt17integral_constantIbLb1EESX_IbLb0EEEEDaST_SU_EUlST_E0_NS1_11comp_targetILNS1_3genE8ELNS1_11target_archE1030ELNS1_3gpuE2ELNS1_3repE0EEENS1_30default_config_static_selectorELNS0_4arch9wavefront6targetE1EEEvT1_.num_vgpr, 0
	.set _ZN7rocprim17ROCPRIM_400000_NS6detail17trampoline_kernelINS0_14default_configENS1_20scan_config_selectorIN3c108BFloat16EEEZZNS1_9scan_implILNS1_25lookback_scan_determinismE0ELb0ELb0ES3_PKS6_PS6_S6_ZZZN2at6native31launch_logcumsumexp_cuda_kernelERKNSD_10TensorBaseESH_lENKUlvE_clEvENKUlvE4_clEvEUlS6_S6_E_S6_EEDaPvRmT3_T4_T5_mT6_P12ihipStream_tbENKUlT_T0_E_clISt17integral_constantIbLb1EESX_IbLb0EEEEDaST_SU_EUlST_E0_NS1_11comp_targetILNS1_3genE8ELNS1_11target_archE1030ELNS1_3gpuE2ELNS1_3repE0EEENS1_30default_config_static_selectorELNS0_4arch9wavefront6targetE1EEEvT1_.num_agpr, 0
	.set _ZN7rocprim17ROCPRIM_400000_NS6detail17trampoline_kernelINS0_14default_configENS1_20scan_config_selectorIN3c108BFloat16EEEZZNS1_9scan_implILNS1_25lookback_scan_determinismE0ELb0ELb0ES3_PKS6_PS6_S6_ZZZN2at6native31launch_logcumsumexp_cuda_kernelERKNSD_10TensorBaseESH_lENKUlvE_clEvENKUlvE4_clEvEUlS6_S6_E_S6_EEDaPvRmT3_T4_T5_mT6_P12ihipStream_tbENKUlT_T0_E_clISt17integral_constantIbLb1EESX_IbLb0EEEEDaST_SU_EUlST_E0_NS1_11comp_targetILNS1_3genE8ELNS1_11target_archE1030ELNS1_3gpuE2ELNS1_3repE0EEENS1_30default_config_static_selectorELNS0_4arch9wavefront6targetE1EEEvT1_.numbered_sgpr, 0
	.set _ZN7rocprim17ROCPRIM_400000_NS6detail17trampoline_kernelINS0_14default_configENS1_20scan_config_selectorIN3c108BFloat16EEEZZNS1_9scan_implILNS1_25lookback_scan_determinismE0ELb0ELb0ES3_PKS6_PS6_S6_ZZZN2at6native31launch_logcumsumexp_cuda_kernelERKNSD_10TensorBaseESH_lENKUlvE_clEvENKUlvE4_clEvEUlS6_S6_E_S6_EEDaPvRmT3_T4_T5_mT6_P12ihipStream_tbENKUlT_T0_E_clISt17integral_constantIbLb1EESX_IbLb0EEEEDaST_SU_EUlST_E0_NS1_11comp_targetILNS1_3genE8ELNS1_11target_archE1030ELNS1_3gpuE2ELNS1_3repE0EEENS1_30default_config_static_selectorELNS0_4arch9wavefront6targetE1EEEvT1_.num_named_barrier, 0
	.set _ZN7rocprim17ROCPRIM_400000_NS6detail17trampoline_kernelINS0_14default_configENS1_20scan_config_selectorIN3c108BFloat16EEEZZNS1_9scan_implILNS1_25lookback_scan_determinismE0ELb0ELb0ES3_PKS6_PS6_S6_ZZZN2at6native31launch_logcumsumexp_cuda_kernelERKNSD_10TensorBaseESH_lENKUlvE_clEvENKUlvE4_clEvEUlS6_S6_E_S6_EEDaPvRmT3_T4_T5_mT6_P12ihipStream_tbENKUlT_T0_E_clISt17integral_constantIbLb1EESX_IbLb0EEEEDaST_SU_EUlST_E0_NS1_11comp_targetILNS1_3genE8ELNS1_11target_archE1030ELNS1_3gpuE2ELNS1_3repE0EEENS1_30default_config_static_selectorELNS0_4arch9wavefront6targetE1EEEvT1_.private_seg_size, 0
	.set _ZN7rocprim17ROCPRIM_400000_NS6detail17trampoline_kernelINS0_14default_configENS1_20scan_config_selectorIN3c108BFloat16EEEZZNS1_9scan_implILNS1_25lookback_scan_determinismE0ELb0ELb0ES3_PKS6_PS6_S6_ZZZN2at6native31launch_logcumsumexp_cuda_kernelERKNSD_10TensorBaseESH_lENKUlvE_clEvENKUlvE4_clEvEUlS6_S6_E_S6_EEDaPvRmT3_T4_T5_mT6_P12ihipStream_tbENKUlT_T0_E_clISt17integral_constantIbLb1EESX_IbLb0EEEEDaST_SU_EUlST_E0_NS1_11comp_targetILNS1_3genE8ELNS1_11target_archE1030ELNS1_3gpuE2ELNS1_3repE0EEENS1_30default_config_static_selectorELNS0_4arch9wavefront6targetE1EEEvT1_.uses_vcc, 0
	.set _ZN7rocprim17ROCPRIM_400000_NS6detail17trampoline_kernelINS0_14default_configENS1_20scan_config_selectorIN3c108BFloat16EEEZZNS1_9scan_implILNS1_25lookback_scan_determinismE0ELb0ELb0ES3_PKS6_PS6_S6_ZZZN2at6native31launch_logcumsumexp_cuda_kernelERKNSD_10TensorBaseESH_lENKUlvE_clEvENKUlvE4_clEvEUlS6_S6_E_S6_EEDaPvRmT3_T4_T5_mT6_P12ihipStream_tbENKUlT_T0_E_clISt17integral_constantIbLb1EESX_IbLb0EEEEDaST_SU_EUlST_E0_NS1_11comp_targetILNS1_3genE8ELNS1_11target_archE1030ELNS1_3gpuE2ELNS1_3repE0EEENS1_30default_config_static_selectorELNS0_4arch9wavefront6targetE1EEEvT1_.uses_flat_scratch, 0
	.set _ZN7rocprim17ROCPRIM_400000_NS6detail17trampoline_kernelINS0_14default_configENS1_20scan_config_selectorIN3c108BFloat16EEEZZNS1_9scan_implILNS1_25lookback_scan_determinismE0ELb0ELb0ES3_PKS6_PS6_S6_ZZZN2at6native31launch_logcumsumexp_cuda_kernelERKNSD_10TensorBaseESH_lENKUlvE_clEvENKUlvE4_clEvEUlS6_S6_E_S6_EEDaPvRmT3_T4_T5_mT6_P12ihipStream_tbENKUlT_T0_E_clISt17integral_constantIbLb1EESX_IbLb0EEEEDaST_SU_EUlST_E0_NS1_11comp_targetILNS1_3genE8ELNS1_11target_archE1030ELNS1_3gpuE2ELNS1_3repE0EEENS1_30default_config_static_selectorELNS0_4arch9wavefront6targetE1EEEvT1_.has_dyn_sized_stack, 0
	.set _ZN7rocprim17ROCPRIM_400000_NS6detail17trampoline_kernelINS0_14default_configENS1_20scan_config_selectorIN3c108BFloat16EEEZZNS1_9scan_implILNS1_25lookback_scan_determinismE0ELb0ELb0ES3_PKS6_PS6_S6_ZZZN2at6native31launch_logcumsumexp_cuda_kernelERKNSD_10TensorBaseESH_lENKUlvE_clEvENKUlvE4_clEvEUlS6_S6_E_S6_EEDaPvRmT3_T4_T5_mT6_P12ihipStream_tbENKUlT_T0_E_clISt17integral_constantIbLb1EESX_IbLb0EEEEDaST_SU_EUlST_E0_NS1_11comp_targetILNS1_3genE8ELNS1_11target_archE1030ELNS1_3gpuE2ELNS1_3repE0EEENS1_30default_config_static_selectorELNS0_4arch9wavefront6targetE1EEEvT1_.has_recursion, 0
	.set _ZN7rocprim17ROCPRIM_400000_NS6detail17trampoline_kernelINS0_14default_configENS1_20scan_config_selectorIN3c108BFloat16EEEZZNS1_9scan_implILNS1_25lookback_scan_determinismE0ELb0ELb0ES3_PKS6_PS6_S6_ZZZN2at6native31launch_logcumsumexp_cuda_kernelERKNSD_10TensorBaseESH_lENKUlvE_clEvENKUlvE4_clEvEUlS6_S6_E_S6_EEDaPvRmT3_T4_T5_mT6_P12ihipStream_tbENKUlT_T0_E_clISt17integral_constantIbLb1EESX_IbLb0EEEEDaST_SU_EUlST_E0_NS1_11comp_targetILNS1_3genE8ELNS1_11target_archE1030ELNS1_3gpuE2ELNS1_3repE0EEENS1_30default_config_static_selectorELNS0_4arch9wavefront6targetE1EEEvT1_.has_indirect_call, 0
	.section	.AMDGPU.csdata,"",@progbits
; Kernel info:
; codeLenInByte = 0
; TotalNumSgprs: 4
; NumVgprs: 0
; ScratchSize: 0
; MemoryBound: 0
; FloatMode: 240
; IeeeMode: 1
; LDSByteSize: 0 bytes/workgroup (compile time only)
; SGPRBlocks: 0
; VGPRBlocks: 0
; NumSGPRsForWavesPerEU: 4
; NumVGPRsForWavesPerEU: 1
; Occupancy: 10
; WaveLimiterHint : 0
; COMPUTE_PGM_RSRC2:SCRATCH_EN: 0
; COMPUTE_PGM_RSRC2:USER_SGPR: 6
; COMPUTE_PGM_RSRC2:TRAP_HANDLER: 0
; COMPUTE_PGM_RSRC2:TGID_X_EN: 1
; COMPUTE_PGM_RSRC2:TGID_Y_EN: 0
; COMPUTE_PGM_RSRC2:TGID_Z_EN: 0
; COMPUTE_PGM_RSRC2:TIDIG_COMP_CNT: 0
	.section	.text._ZN7rocprim17ROCPRIM_400000_NS6detail31init_lookback_scan_state_kernelINS1_19lookback_scan_stateIN3c108BFloat16ELb0ELb1EEENS1_16block_id_wrapperIjLb1EEEEEvT_jT0_jPNS9_10value_typeE,"axG",@progbits,_ZN7rocprim17ROCPRIM_400000_NS6detail31init_lookback_scan_state_kernelINS1_19lookback_scan_stateIN3c108BFloat16ELb0ELb1EEENS1_16block_id_wrapperIjLb1EEEEEvT_jT0_jPNS9_10value_typeE,comdat
	.protected	_ZN7rocprim17ROCPRIM_400000_NS6detail31init_lookback_scan_state_kernelINS1_19lookback_scan_stateIN3c108BFloat16ELb0ELb1EEENS1_16block_id_wrapperIjLb1EEEEEvT_jT0_jPNS9_10value_typeE ; -- Begin function _ZN7rocprim17ROCPRIM_400000_NS6detail31init_lookback_scan_state_kernelINS1_19lookback_scan_stateIN3c108BFloat16ELb0ELb1EEENS1_16block_id_wrapperIjLb1EEEEEvT_jT0_jPNS9_10value_typeE
	.globl	_ZN7rocprim17ROCPRIM_400000_NS6detail31init_lookback_scan_state_kernelINS1_19lookback_scan_stateIN3c108BFloat16ELb0ELb1EEENS1_16block_id_wrapperIjLb1EEEEEvT_jT0_jPNS9_10value_typeE
	.p2align	8
	.type	_ZN7rocprim17ROCPRIM_400000_NS6detail31init_lookback_scan_state_kernelINS1_19lookback_scan_stateIN3c108BFloat16ELb0ELb1EEENS1_16block_id_wrapperIjLb1EEEEEvT_jT0_jPNS9_10value_typeE,@function
_ZN7rocprim17ROCPRIM_400000_NS6detail31init_lookback_scan_state_kernelINS1_19lookback_scan_stateIN3c108BFloat16ELb0ELb1EEENS1_16block_id_wrapperIjLb1EEEEEvT_jT0_jPNS9_10value_typeE: ; @_ZN7rocprim17ROCPRIM_400000_NS6detail31init_lookback_scan_state_kernelINS1_19lookback_scan_stateIN3c108BFloat16ELb0ELb1EEENS1_16block_id_wrapperIjLb1EEEEEvT_jT0_jPNS9_10value_typeE
; %bb.0:
	s_load_dword s7, s[4:5], 0x34
	s_load_dwordx2 s[2:3], s[4:5], 0x20
	s_load_dwordx2 s[0:1], s[4:5], 0x0
	s_load_dword s10, s[4:5], 0x8
	s_waitcnt lgkmcnt(0)
	s_and_b32 s7, s7, 0xffff
	s_mul_i32 s6, s6, s7
	s_cmp_eq_u64 s[2:3], 0
	v_add_u32_e32 v0, s6, v0
	s_cbranch_scc1 .LBB502_6
; %bb.1:
	s_load_dword s8, s[4:5], 0x18
	s_mov_b32 s9, 0
	s_waitcnt lgkmcnt(0)
	s_cmp_lt_u32 s8, s10
	s_cselect_b32 s6, s8, 0
	v_cmp_eq_u32_e32 vcc, s6, v0
	s_and_saveexec_b64 s[6:7], vcc
	s_cbranch_execz .LBB502_5
; %bb.2:
	s_add_i32 s8, s8, 64
	s_lshl_b64 s[8:9], s[8:9], 2
	s_add_u32 s8, s0, s8
	s_addc_u32 s9, s1, s9
	v_mov_b32_e32 v2, 0
	global_load_dword v1, v2, s[8:9] glc
	s_waitcnt vmcnt(0)
	v_and_b32_e32 v3, 0xff0000, v1
	v_cmp_ne_u32_e32 vcc, 0, v3
	s_cbranch_vccnz .LBB502_4
.LBB502_3:                              ; =>This Inner Loop Header: Depth=1
	global_load_dword v1, v2, s[8:9] glc
	s_waitcnt vmcnt(0)
	v_and_b32_e32 v3, 0xff0000, v1
	v_cmp_eq_u32_e32 vcc, 0, v3
	s_cbranch_vccnz .LBB502_3
.LBB502_4:
	v_mov_b32_e32 v2, 0
	global_store_short v2, v1, s[2:3]
.LBB502_5:
	s_or_b64 exec, exec, s[6:7]
.LBB502_6:
	v_cmp_eq_u32_e32 vcc, 0, v0
	s_and_saveexec_b64 s[2:3], vcc
	s_cbranch_execnz .LBB502_10
; %bb.7:
	s_or_b64 exec, exec, s[2:3]
	v_cmp_gt_u32_e32 vcc, s10, v0
	s_and_saveexec_b64 s[2:3], vcc
	s_cbranch_execnz .LBB502_11
.LBB502_8:
	s_or_b64 exec, exec, s[2:3]
	v_cmp_gt_u32_e32 vcc, 64, v0
	s_and_saveexec_b64 s[2:3], vcc
	s_cbranch_execnz .LBB502_12
.LBB502_9:
	s_endpgm
.LBB502_10:
	s_load_dwordx2 s[4:5], s[4:5], 0x10
	v_mov_b32_e32 v1, 0
	s_waitcnt lgkmcnt(0)
	global_store_dword v1, v1, s[4:5]
	s_or_b64 exec, exec, s[2:3]
	v_cmp_gt_u32_e32 vcc, s10, v0
	s_and_saveexec_b64 s[2:3], vcc
	s_cbranch_execz .LBB502_8
.LBB502_11:
	v_add_u32_e32 v1, 64, v0
	v_mov_b32_e32 v2, 0
	v_lshlrev_b64 v[3:4], 2, v[1:2]
	v_mov_b32_e32 v1, s1
	v_add_co_u32_e32 v3, vcc, s0, v3
	v_addc_co_u32_e32 v4, vcc, v1, v4, vcc
	global_store_dword v[3:4], v2, off
	s_or_b64 exec, exec, s[2:3]
	v_cmp_gt_u32_e32 vcc, 64, v0
	s_and_saveexec_b64 s[2:3], vcc
	s_cbranch_execz .LBB502_9
.LBB502_12:
	v_mov_b32_e32 v1, 0
	v_lshlrev_b64 v[0:1], 2, v[0:1]
	v_mov_b32_e32 v2, s1
	v_add_co_u32_e32 v0, vcc, s0, v0
	v_addc_co_u32_e32 v1, vcc, v2, v1, vcc
	v_mov_b32_e32 v2, 0xff0000
	global_store_dword v[0:1], v2, off
	s_endpgm
	.section	.rodata,"a",@progbits
	.p2align	6, 0x0
	.amdhsa_kernel _ZN7rocprim17ROCPRIM_400000_NS6detail31init_lookback_scan_state_kernelINS1_19lookback_scan_stateIN3c108BFloat16ELb0ELb1EEENS1_16block_id_wrapperIjLb1EEEEEvT_jT0_jPNS9_10value_typeE
		.amdhsa_group_segment_fixed_size 0
		.amdhsa_private_segment_fixed_size 0
		.amdhsa_kernarg_size 296
		.amdhsa_user_sgpr_count 6
		.amdhsa_user_sgpr_private_segment_buffer 1
		.amdhsa_user_sgpr_dispatch_ptr 0
		.amdhsa_user_sgpr_queue_ptr 0
		.amdhsa_user_sgpr_kernarg_segment_ptr 1
		.amdhsa_user_sgpr_dispatch_id 0
		.amdhsa_user_sgpr_flat_scratch_init 0
		.amdhsa_user_sgpr_private_segment_size 0
		.amdhsa_uses_dynamic_stack 0
		.amdhsa_system_sgpr_private_segment_wavefront_offset 0
		.amdhsa_system_sgpr_workgroup_id_x 1
		.amdhsa_system_sgpr_workgroup_id_y 0
		.amdhsa_system_sgpr_workgroup_id_z 0
		.amdhsa_system_sgpr_workgroup_info 0
		.amdhsa_system_vgpr_workitem_id 0
		.amdhsa_next_free_vgpr 5
		.amdhsa_next_free_sgpr 11
		.amdhsa_reserve_vcc 1
		.amdhsa_reserve_flat_scratch 0
		.amdhsa_float_round_mode_32 0
		.amdhsa_float_round_mode_16_64 0
		.amdhsa_float_denorm_mode_32 3
		.amdhsa_float_denorm_mode_16_64 3
		.amdhsa_dx10_clamp 1
		.amdhsa_ieee_mode 1
		.amdhsa_fp16_overflow 0
		.amdhsa_exception_fp_ieee_invalid_op 0
		.amdhsa_exception_fp_denorm_src 0
		.amdhsa_exception_fp_ieee_div_zero 0
		.amdhsa_exception_fp_ieee_overflow 0
		.amdhsa_exception_fp_ieee_underflow 0
		.amdhsa_exception_fp_ieee_inexact 0
		.amdhsa_exception_int_div_zero 0
	.end_amdhsa_kernel
	.section	.text._ZN7rocprim17ROCPRIM_400000_NS6detail31init_lookback_scan_state_kernelINS1_19lookback_scan_stateIN3c108BFloat16ELb0ELb1EEENS1_16block_id_wrapperIjLb1EEEEEvT_jT0_jPNS9_10value_typeE,"axG",@progbits,_ZN7rocprim17ROCPRIM_400000_NS6detail31init_lookback_scan_state_kernelINS1_19lookback_scan_stateIN3c108BFloat16ELb0ELb1EEENS1_16block_id_wrapperIjLb1EEEEEvT_jT0_jPNS9_10value_typeE,comdat
.Lfunc_end502:
	.size	_ZN7rocprim17ROCPRIM_400000_NS6detail31init_lookback_scan_state_kernelINS1_19lookback_scan_stateIN3c108BFloat16ELb0ELb1EEENS1_16block_id_wrapperIjLb1EEEEEvT_jT0_jPNS9_10value_typeE, .Lfunc_end502-_ZN7rocprim17ROCPRIM_400000_NS6detail31init_lookback_scan_state_kernelINS1_19lookback_scan_stateIN3c108BFloat16ELb0ELb1EEENS1_16block_id_wrapperIjLb1EEEEEvT_jT0_jPNS9_10value_typeE
                                        ; -- End function
	.set _ZN7rocprim17ROCPRIM_400000_NS6detail31init_lookback_scan_state_kernelINS1_19lookback_scan_stateIN3c108BFloat16ELb0ELb1EEENS1_16block_id_wrapperIjLb1EEEEEvT_jT0_jPNS9_10value_typeE.num_vgpr, 5
	.set _ZN7rocprim17ROCPRIM_400000_NS6detail31init_lookback_scan_state_kernelINS1_19lookback_scan_stateIN3c108BFloat16ELb0ELb1EEENS1_16block_id_wrapperIjLb1EEEEEvT_jT0_jPNS9_10value_typeE.num_agpr, 0
	.set _ZN7rocprim17ROCPRIM_400000_NS6detail31init_lookback_scan_state_kernelINS1_19lookback_scan_stateIN3c108BFloat16ELb0ELb1EEENS1_16block_id_wrapperIjLb1EEEEEvT_jT0_jPNS9_10value_typeE.numbered_sgpr, 11
	.set _ZN7rocprim17ROCPRIM_400000_NS6detail31init_lookback_scan_state_kernelINS1_19lookback_scan_stateIN3c108BFloat16ELb0ELb1EEENS1_16block_id_wrapperIjLb1EEEEEvT_jT0_jPNS9_10value_typeE.num_named_barrier, 0
	.set _ZN7rocprim17ROCPRIM_400000_NS6detail31init_lookback_scan_state_kernelINS1_19lookback_scan_stateIN3c108BFloat16ELb0ELb1EEENS1_16block_id_wrapperIjLb1EEEEEvT_jT0_jPNS9_10value_typeE.private_seg_size, 0
	.set _ZN7rocprim17ROCPRIM_400000_NS6detail31init_lookback_scan_state_kernelINS1_19lookback_scan_stateIN3c108BFloat16ELb0ELb1EEENS1_16block_id_wrapperIjLb1EEEEEvT_jT0_jPNS9_10value_typeE.uses_vcc, 1
	.set _ZN7rocprim17ROCPRIM_400000_NS6detail31init_lookback_scan_state_kernelINS1_19lookback_scan_stateIN3c108BFloat16ELb0ELb1EEENS1_16block_id_wrapperIjLb1EEEEEvT_jT0_jPNS9_10value_typeE.uses_flat_scratch, 0
	.set _ZN7rocprim17ROCPRIM_400000_NS6detail31init_lookback_scan_state_kernelINS1_19lookback_scan_stateIN3c108BFloat16ELb0ELb1EEENS1_16block_id_wrapperIjLb1EEEEEvT_jT0_jPNS9_10value_typeE.has_dyn_sized_stack, 0
	.set _ZN7rocprim17ROCPRIM_400000_NS6detail31init_lookback_scan_state_kernelINS1_19lookback_scan_stateIN3c108BFloat16ELb0ELb1EEENS1_16block_id_wrapperIjLb1EEEEEvT_jT0_jPNS9_10value_typeE.has_recursion, 0
	.set _ZN7rocprim17ROCPRIM_400000_NS6detail31init_lookback_scan_state_kernelINS1_19lookback_scan_stateIN3c108BFloat16ELb0ELb1EEENS1_16block_id_wrapperIjLb1EEEEEvT_jT0_jPNS9_10value_typeE.has_indirect_call, 0
	.section	.AMDGPU.csdata,"",@progbits
; Kernel info:
; codeLenInByte = 372
; TotalNumSgprs: 15
; NumVgprs: 5
; ScratchSize: 0
; MemoryBound: 0
; FloatMode: 240
; IeeeMode: 1
; LDSByteSize: 0 bytes/workgroup (compile time only)
; SGPRBlocks: 1
; VGPRBlocks: 1
; NumSGPRsForWavesPerEU: 15
; NumVGPRsForWavesPerEU: 5
; Occupancy: 10
; WaveLimiterHint : 0
; COMPUTE_PGM_RSRC2:SCRATCH_EN: 0
; COMPUTE_PGM_RSRC2:USER_SGPR: 6
; COMPUTE_PGM_RSRC2:TRAP_HANDLER: 0
; COMPUTE_PGM_RSRC2:TGID_X_EN: 1
; COMPUTE_PGM_RSRC2:TGID_Y_EN: 0
; COMPUTE_PGM_RSRC2:TGID_Z_EN: 0
; COMPUTE_PGM_RSRC2:TIDIG_COMP_CNT: 0
	.section	.text._ZN7rocprim17ROCPRIM_400000_NS6detail17trampoline_kernelINS0_14default_configENS1_20scan_config_selectorIN3c108BFloat16EEEZZNS1_9scan_implILNS1_25lookback_scan_determinismE0ELb0ELb0ES3_PKS6_PS6_S6_ZZZN2at6native31launch_logcumsumexp_cuda_kernelERKNSD_10TensorBaseESH_lENKUlvE_clEvENKUlvE4_clEvEUlS6_S6_E_S6_EEDaPvRmT3_T4_T5_mT6_P12ihipStream_tbENKUlT_T0_E_clISt17integral_constantIbLb0EESX_IbLb1EEEEDaST_SU_EUlST_E_NS1_11comp_targetILNS1_3genE0ELNS1_11target_archE4294967295ELNS1_3gpuE0ELNS1_3repE0EEENS1_30default_config_static_selectorELNS0_4arch9wavefront6targetE1EEEvT1_,"axG",@progbits,_ZN7rocprim17ROCPRIM_400000_NS6detail17trampoline_kernelINS0_14default_configENS1_20scan_config_selectorIN3c108BFloat16EEEZZNS1_9scan_implILNS1_25lookback_scan_determinismE0ELb0ELb0ES3_PKS6_PS6_S6_ZZZN2at6native31launch_logcumsumexp_cuda_kernelERKNSD_10TensorBaseESH_lENKUlvE_clEvENKUlvE4_clEvEUlS6_S6_E_S6_EEDaPvRmT3_T4_T5_mT6_P12ihipStream_tbENKUlT_T0_E_clISt17integral_constantIbLb0EESX_IbLb1EEEEDaST_SU_EUlST_E_NS1_11comp_targetILNS1_3genE0ELNS1_11target_archE4294967295ELNS1_3gpuE0ELNS1_3repE0EEENS1_30default_config_static_selectorELNS0_4arch9wavefront6targetE1EEEvT1_,comdat
	.globl	_ZN7rocprim17ROCPRIM_400000_NS6detail17trampoline_kernelINS0_14default_configENS1_20scan_config_selectorIN3c108BFloat16EEEZZNS1_9scan_implILNS1_25lookback_scan_determinismE0ELb0ELb0ES3_PKS6_PS6_S6_ZZZN2at6native31launch_logcumsumexp_cuda_kernelERKNSD_10TensorBaseESH_lENKUlvE_clEvENKUlvE4_clEvEUlS6_S6_E_S6_EEDaPvRmT3_T4_T5_mT6_P12ihipStream_tbENKUlT_T0_E_clISt17integral_constantIbLb0EESX_IbLb1EEEEDaST_SU_EUlST_E_NS1_11comp_targetILNS1_3genE0ELNS1_11target_archE4294967295ELNS1_3gpuE0ELNS1_3repE0EEENS1_30default_config_static_selectorELNS0_4arch9wavefront6targetE1EEEvT1_ ; -- Begin function _ZN7rocprim17ROCPRIM_400000_NS6detail17trampoline_kernelINS0_14default_configENS1_20scan_config_selectorIN3c108BFloat16EEEZZNS1_9scan_implILNS1_25lookback_scan_determinismE0ELb0ELb0ES3_PKS6_PS6_S6_ZZZN2at6native31launch_logcumsumexp_cuda_kernelERKNSD_10TensorBaseESH_lENKUlvE_clEvENKUlvE4_clEvEUlS6_S6_E_S6_EEDaPvRmT3_T4_T5_mT6_P12ihipStream_tbENKUlT_T0_E_clISt17integral_constantIbLb0EESX_IbLb1EEEEDaST_SU_EUlST_E_NS1_11comp_targetILNS1_3genE0ELNS1_11target_archE4294967295ELNS1_3gpuE0ELNS1_3repE0EEENS1_30default_config_static_selectorELNS0_4arch9wavefront6targetE1EEEvT1_
	.p2align	8
	.type	_ZN7rocprim17ROCPRIM_400000_NS6detail17trampoline_kernelINS0_14default_configENS1_20scan_config_selectorIN3c108BFloat16EEEZZNS1_9scan_implILNS1_25lookback_scan_determinismE0ELb0ELb0ES3_PKS6_PS6_S6_ZZZN2at6native31launch_logcumsumexp_cuda_kernelERKNSD_10TensorBaseESH_lENKUlvE_clEvENKUlvE4_clEvEUlS6_S6_E_S6_EEDaPvRmT3_T4_T5_mT6_P12ihipStream_tbENKUlT_T0_E_clISt17integral_constantIbLb0EESX_IbLb1EEEEDaST_SU_EUlST_E_NS1_11comp_targetILNS1_3genE0ELNS1_11target_archE4294967295ELNS1_3gpuE0ELNS1_3repE0EEENS1_30default_config_static_selectorELNS0_4arch9wavefront6targetE1EEEvT1_,@function
_ZN7rocprim17ROCPRIM_400000_NS6detail17trampoline_kernelINS0_14default_configENS1_20scan_config_selectorIN3c108BFloat16EEEZZNS1_9scan_implILNS1_25lookback_scan_determinismE0ELb0ELb0ES3_PKS6_PS6_S6_ZZZN2at6native31launch_logcumsumexp_cuda_kernelERKNSD_10TensorBaseESH_lENKUlvE_clEvENKUlvE4_clEvEUlS6_S6_E_S6_EEDaPvRmT3_T4_T5_mT6_P12ihipStream_tbENKUlT_T0_E_clISt17integral_constantIbLb0EESX_IbLb1EEEEDaST_SU_EUlST_E_NS1_11comp_targetILNS1_3genE0ELNS1_11target_archE4294967295ELNS1_3gpuE0ELNS1_3repE0EEENS1_30default_config_static_selectorELNS0_4arch9wavefront6targetE1EEEvT1_: ; @_ZN7rocprim17ROCPRIM_400000_NS6detail17trampoline_kernelINS0_14default_configENS1_20scan_config_selectorIN3c108BFloat16EEEZZNS1_9scan_implILNS1_25lookback_scan_determinismE0ELb0ELb0ES3_PKS6_PS6_S6_ZZZN2at6native31launch_logcumsumexp_cuda_kernelERKNSD_10TensorBaseESH_lENKUlvE_clEvENKUlvE4_clEvEUlS6_S6_E_S6_EEDaPvRmT3_T4_T5_mT6_P12ihipStream_tbENKUlT_T0_E_clISt17integral_constantIbLb0EESX_IbLb1EEEEDaST_SU_EUlST_E_NS1_11comp_targetILNS1_3genE0ELNS1_11target_archE4294967295ELNS1_3gpuE0ELNS1_3repE0EEENS1_30default_config_static_selectorELNS0_4arch9wavefront6targetE1EEEvT1_
; %bb.0:
	.section	.rodata,"a",@progbits
	.p2align	6, 0x0
	.amdhsa_kernel _ZN7rocprim17ROCPRIM_400000_NS6detail17trampoline_kernelINS0_14default_configENS1_20scan_config_selectorIN3c108BFloat16EEEZZNS1_9scan_implILNS1_25lookback_scan_determinismE0ELb0ELb0ES3_PKS6_PS6_S6_ZZZN2at6native31launch_logcumsumexp_cuda_kernelERKNSD_10TensorBaseESH_lENKUlvE_clEvENKUlvE4_clEvEUlS6_S6_E_S6_EEDaPvRmT3_T4_T5_mT6_P12ihipStream_tbENKUlT_T0_E_clISt17integral_constantIbLb0EESX_IbLb1EEEEDaST_SU_EUlST_E_NS1_11comp_targetILNS1_3genE0ELNS1_11target_archE4294967295ELNS1_3gpuE0ELNS1_3repE0EEENS1_30default_config_static_selectorELNS0_4arch9wavefront6targetE1EEEvT1_
		.amdhsa_group_segment_fixed_size 0
		.amdhsa_private_segment_fixed_size 0
		.amdhsa_kernarg_size 96
		.amdhsa_user_sgpr_count 6
		.amdhsa_user_sgpr_private_segment_buffer 1
		.amdhsa_user_sgpr_dispatch_ptr 0
		.amdhsa_user_sgpr_queue_ptr 0
		.amdhsa_user_sgpr_kernarg_segment_ptr 1
		.amdhsa_user_sgpr_dispatch_id 0
		.amdhsa_user_sgpr_flat_scratch_init 0
		.amdhsa_user_sgpr_private_segment_size 0
		.amdhsa_uses_dynamic_stack 0
		.amdhsa_system_sgpr_private_segment_wavefront_offset 0
		.amdhsa_system_sgpr_workgroup_id_x 1
		.amdhsa_system_sgpr_workgroup_id_y 0
		.amdhsa_system_sgpr_workgroup_id_z 0
		.amdhsa_system_sgpr_workgroup_info 0
		.amdhsa_system_vgpr_workitem_id 0
		.amdhsa_next_free_vgpr 1
		.amdhsa_next_free_sgpr 0
		.amdhsa_reserve_vcc 0
		.amdhsa_reserve_flat_scratch 0
		.amdhsa_float_round_mode_32 0
		.amdhsa_float_round_mode_16_64 0
		.amdhsa_float_denorm_mode_32 3
		.amdhsa_float_denorm_mode_16_64 3
		.amdhsa_dx10_clamp 1
		.amdhsa_ieee_mode 1
		.amdhsa_fp16_overflow 0
		.amdhsa_exception_fp_ieee_invalid_op 0
		.amdhsa_exception_fp_denorm_src 0
		.amdhsa_exception_fp_ieee_div_zero 0
		.amdhsa_exception_fp_ieee_overflow 0
		.amdhsa_exception_fp_ieee_underflow 0
		.amdhsa_exception_fp_ieee_inexact 0
		.amdhsa_exception_int_div_zero 0
	.end_amdhsa_kernel
	.section	.text._ZN7rocprim17ROCPRIM_400000_NS6detail17trampoline_kernelINS0_14default_configENS1_20scan_config_selectorIN3c108BFloat16EEEZZNS1_9scan_implILNS1_25lookback_scan_determinismE0ELb0ELb0ES3_PKS6_PS6_S6_ZZZN2at6native31launch_logcumsumexp_cuda_kernelERKNSD_10TensorBaseESH_lENKUlvE_clEvENKUlvE4_clEvEUlS6_S6_E_S6_EEDaPvRmT3_T4_T5_mT6_P12ihipStream_tbENKUlT_T0_E_clISt17integral_constantIbLb0EESX_IbLb1EEEEDaST_SU_EUlST_E_NS1_11comp_targetILNS1_3genE0ELNS1_11target_archE4294967295ELNS1_3gpuE0ELNS1_3repE0EEENS1_30default_config_static_selectorELNS0_4arch9wavefront6targetE1EEEvT1_,"axG",@progbits,_ZN7rocprim17ROCPRIM_400000_NS6detail17trampoline_kernelINS0_14default_configENS1_20scan_config_selectorIN3c108BFloat16EEEZZNS1_9scan_implILNS1_25lookback_scan_determinismE0ELb0ELb0ES3_PKS6_PS6_S6_ZZZN2at6native31launch_logcumsumexp_cuda_kernelERKNSD_10TensorBaseESH_lENKUlvE_clEvENKUlvE4_clEvEUlS6_S6_E_S6_EEDaPvRmT3_T4_T5_mT6_P12ihipStream_tbENKUlT_T0_E_clISt17integral_constantIbLb0EESX_IbLb1EEEEDaST_SU_EUlST_E_NS1_11comp_targetILNS1_3genE0ELNS1_11target_archE4294967295ELNS1_3gpuE0ELNS1_3repE0EEENS1_30default_config_static_selectorELNS0_4arch9wavefront6targetE1EEEvT1_,comdat
.Lfunc_end503:
	.size	_ZN7rocprim17ROCPRIM_400000_NS6detail17trampoline_kernelINS0_14default_configENS1_20scan_config_selectorIN3c108BFloat16EEEZZNS1_9scan_implILNS1_25lookback_scan_determinismE0ELb0ELb0ES3_PKS6_PS6_S6_ZZZN2at6native31launch_logcumsumexp_cuda_kernelERKNSD_10TensorBaseESH_lENKUlvE_clEvENKUlvE4_clEvEUlS6_S6_E_S6_EEDaPvRmT3_T4_T5_mT6_P12ihipStream_tbENKUlT_T0_E_clISt17integral_constantIbLb0EESX_IbLb1EEEEDaST_SU_EUlST_E_NS1_11comp_targetILNS1_3genE0ELNS1_11target_archE4294967295ELNS1_3gpuE0ELNS1_3repE0EEENS1_30default_config_static_selectorELNS0_4arch9wavefront6targetE1EEEvT1_, .Lfunc_end503-_ZN7rocprim17ROCPRIM_400000_NS6detail17trampoline_kernelINS0_14default_configENS1_20scan_config_selectorIN3c108BFloat16EEEZZNS1_9scan_implILNS1_25lookback_scan_determinismE0ELb0ELb0ES3_PKS6_PS6_S6_ZZZN2at6native31launch_logcumsumexp_cuda_kernelERKNSD_10TensorBaseESH_lENKUlvE_clEvENKUlvE4_clEvEUlS6_S6_E_S6_EEDaPvRmT3_T4_T5_mT6_P12ihipStream_tbENKUlT_T0_E_clISt17integral_constantIbLb0EESX_IbLb1EEEEDaST_SU_EUlST_E_NS1_11comp_targetILNS1_3genE0ELNS1_11target_archE4294967295ELNS1_3gpuE0ELNS1_3repE0EEENS1_30default_config_static_selectorELNS0_4arch9wavefront6targetE1EEEvT1_
                                        ; -- End function
	.set _ZN7rocprim17ROCPRIM_400000_NS6detail17trampoline_kernelINS0_14default_configENS1_20scan_config_selectorIN3c108BFloat16EEEZZNS1_9scan_implILNS1_25lookback_scan_determinismE0ELb0ELb0ES3_PKS6_PS6_S6_ZZZN2at6native31launch_logcumsumexp_cuda_kernelERKNSD_10TensorBaseESH_lENKUlvE_clEvENKUlvE4_clEvEUlS6_S6_E_S6_EEDaPvRmT3_T4_T5_mT6_P12ihipStream_tbENKUlT_T0_E_clISt17integral_constantIbLb0EESX_IbLb1EEEEDaST_SU_EUlST_E_NS1_11comp_targetILNS1_3genE0ELNS1_11target_archE4294967295ELNS1_3gpuE0ELNS1_3repE0EEENS1_30default_config_static_selectorELNS0_4arch9wavefront6targetE1EEEvT1_.num_vgpr, 0
	.set _ZN7rocprim17ROCPRIM_400000_NS6detail17trampoline_kernelINS0_14default_configENS1_20scan_config_selectorIN3c108BFloat16EEEZZNS1_9scan_implILNS1_25lookback_scan_determinismE0ELb0ELb0ES3_PKS6_PS6_S6_ZZZN2at6native31launch_logcumsumexp_cuda_kernelERKNSD_10TensorBaseESH_lENKUlvE_clEvENKUlvE4_clEvEUlS6_S6_E_S6_EEDaPvRmT3_T4_T5_mT6_P12ihipStream_tbENKUlT_T0_E_clISt17integral_constantIbLb0EESX_IbLb1EEEEDaST_SU_EUlST_E_NS1_11comp_targetILNS1_3genE0ELNS1_11target_archE4294967295ELNS1_3gpuE0ELNS1_3repE0EEENS1_30default_config_static_selectorELNS0_4arch9wavefront6targetE1EEEvT1_.num_agpr, 0
	.set _ZN7rocprim17ROCPRIM_400000_NS6detail17trampoline_kernelINS0_14default_configENS1_20scan_config_selectorIN3c108BFloat16EEEZZNS1_9scan_implILNS1_25lookback_scan_determinismE0ELb0ELb0ES3_PKS6_PS6_S6_ZZZN2at6native31launch_logcumsumexp_cuda_kernelERKNSD_10TensorBaseESH_lENKUlvE_clEvENKUlvE4_clEvEUlS6_S6_E_S6_EEDaPvRmT3_T4_T5_mT6_P12ihipStream_tbENKUlT_T0_E_clISt17integral_constantIbLb0EESX_IbLb1EEEEDaST_SU_EUlST_E_NS1_11comp_targetILNS1_3genE0ELNS1_11target_archE4294967295ELNS1_3gpuE0ELNS1_3repE0EEENS1_30default_config_static_selectorELNS0_4arch9wavefront6targetE1EEEvT1_.numbered_sgpr, 0
	.set _ZN7rocprim17ROCPRIM_400000_NS6detail17trampoline_kernelINS0_14default_configENS1_20scan_config_selectorIN3c108BFloat16EEEZZNS1_9scan_implILNS1_25lookback_scan_determinismE0ELb0ELb0ES3_PKS6_PS6_S6_ZZZN2at6native31launch_logcumsumexp_cuda_kernelERKNSD_10TensorBaseESH_lENKUlvE_clEvENKUlvE4_clEvEUlS6_S6_E_S6_EEDaPvRmT3_T4_T5_mT6_P12ihipStream_tbENKUlT_T0_E_clISt17integral_constantIbLb0EESX_IbLb1EEEEDaST_SU_EUlST_E_NS1_11comp_targetILNS1_3genE0ELNS1_11target_archE4294967295ELNS1_3gpuE0ELNS1_3repE0EEENS1_30default_config_static_selectorELNS0_4arch9wavefront6targetE1EEEvT1_.num_named_barrier, 0
	.set _ZN7rocprim17ROCPRIM_400000_NS6detail17trampoline_kernelINS0_14default_configENS1_20scan_config_selectorIN3c108BFloat16EEEZZNS1_9scan_implILNS1_25lookback_scan_determinismE0ELb0ELb0ES3_PKS6_PS6_S6_ZZZN2at6native31launch_logcumsumexp_cuda_kernelERKNSD_10TensorBaseESH_lENKUlvE_clEvENKUlvE4_clEvEUlS6_S6_E_S6_EEDaPvRmT3_T4_T5_mT6_P12ihipStream_tbENKUlT_T0_E_clISt17integral_constantIbLb0EESX_IbLb1EEEEDaST_SU_EUlST_E_NS1_11comp_targetILNS1_3genE0ELNS1_11target_archE4294967295ELNS1_3gpuE0ELNS1_3repE0EEENS1_30default_config_static_selectorELNS0_4arch9wavefront6targetE1EEEvT1_.private_seg_size, 0
	.set _ZN7rocprim17ROCPRIM_400000_NS6detail17trampoline_kernelINS0_14default_configENS1_20scan_config_selectorIN3c108BFloat16EEEZZNS1_9scan_implILNS1_25lookback_scan_determinismE0ELb0ELb0ES3_PKS6_PS6_S6_ZZZN2at6native31launch_logcumsumexp_cuda_kernelERKNSD_10TensorBaseESH_lENKUlvE_clEvENKUlvE4_clEvEUlS6_S6_E_S6_EEDaPvRmT3_T4_T5_mT6_P12ihipStream_tbENKUlT_T0_E_clISt17integral_constantIbLb0EESX_IbLb1EEEEDaST_SU_EUlST_E_NS1_11comp_targetILNS1_3genE0ELNS1_11target_archE4294967295ELNS1_3gpuE0ELNS1_3repE0EEENS1_30default_config_static_selectorELNS0_4arch9wavefront6targetE1EEEvT1_.uses_vcc, 0
	.set _ZN7rocprim17ROCPRIM_400000_NS6detail17trampoline_kernelINS0_14default_configENS1_20scan_config_selectorIN3c108BFloat16EEEZZNS1_9scan_implILNS1_25lookback_scan_determinismE0ELb0ELb0ES3_PKS6_PS6_S6_ZZZN2at6native31launch_logcumsumexp_cuda_kernelERKNSD_10TensorBaseESH_lENKUlvE_clEvENKUlvE4_clEvEUlS6_S6_E_S6_EEDaPvRmT3_T4_T5_mT6_P12ihipStream_tbENKUlT_T0_E_clISt17integral_constantIbLb0EESX_IbLb1EEEEDaST_SU_EUlST_E_NS1_11comp_targetILNS1_3genE0ELNS1_11target_archE4294967295ELNS1_3gpuE0ELNS1_3repE0EEENS1_30default_config_static_selectorELNS0_4arch9wavefront6targetE1EEEvT1_.uses_flat_scratch, 0
	.set _ZN7rocprim17ROCPRIM_400000_NS6detail17trampoline_kernelINS0_14default_configENS1_20scan_config_selectorIN3c108BFloat16EEEZZNS1_9scan_implILNS1_25lookback_scan_determinismE0ELb0ELb0ES3_PKS6_PS6_S6_ZZZN2at6native31launch_logcumsumexp_cuda_kernelERKNSD_10TensorBaseESH_lENKUlvE_clEvENKUlvE4_clEvEUlS6_S6_E_S6_EEDaPvRmT3_T4_T5_mT6_P12ihipStream_tbENKUlT_T0_E_clISt17integral_constantIbLb0EESX_IbLb1EEEEDaST_SU_EUlST_E_NS1_11comp_targetILNS1_3genE0ELNS1_11target_archE4294967295ELNS1_3gpuE0ELNS1_3repE0EEENS1_30default_config_static_selectorELNS0_4arch9wavefront6targetE1EEEvT1_.has_dyn_sized_stack, 0
	.set _ZN7rocprim17ROCPRIM_400000_NS6detail17trampoline_kernelINS0_14default_configENS1_20scan_config_selectorIN3c108BFloat16EEEZZNS1_9scan_implILNS1_25lookback_scan_determinismE0ELb0ELb0ES3_PKS6_PS6_S6_ZZZN2at6native31launch_logcumsumexp_cuda_kernelERKNSD_10TensorBaseESH_lENKUlvE_clEvENKUlvE4_clEvEUlS6_S6_E_S6_EEDaPvRmT3_T4_T5_mT6_P12ihipStream_tbENKUlT_T0_E_clISt17integral_constantIbLb0EESX_IbLb1EEEEDaST_SU_EUlST_E_NS1_11comp_targetILNS1_3genE0ELNS1_11target_archE4294967295ELNS1_3gpuE0ELNS1_3repE0EEENS1_30default_config_static_selectorELNS0_4arch9wavefront6targetE1EEEvT1_.has_recursion, 0
	.set _ZN7rocprim17ROCPRIM_400000_NS6detail17trampoline_kernelINS0_14default_configENS1_20scan_config_selectorIN3c108BFloat16EEEZZNS1_9scan_implILNS1_25lookback_scan_determinismE0ELb0ELb0ES3_PKS6_PS6_S6_ZZZN2at6native31launch_logcumsumexp_cuda_kernelERKNSD_10TensorBaseESH_lENKUlvE_clEvENKUlvE4_clEvEUlS6_S6_E_S6_EEDaPvRmT3_T4_T5_mT6_P12ihipStream_tbENKUlT_T0_E_clISt17integral_constantIbLb0EESX_IbLb1EEEEDaST_SU_EUlST_E_NS1_11comp_targetILNS1_3genE0ELNS1_11target_archE4294967295ELNS1_3gpuE0ELNS1_3repE0EEENS1_30default_config_static_selectorELNS0_4arch9wavefront6targetE1EEEvT1_.has_indirect_call, 0
	.section	.AMDGPU.csdata,"",@progbits
; Kernel info:
; codeLenInByte = 0
; TotalNumSgprs: 4
; NumVgprs: 0
; ScratchSize: 0
; MemoryBound: 0
; FloatMode: 240
; IeeeMode: 1
; LDSByteSize: 0 bytes/workgroup (compile time only)
; SGPRBlocks: 0
; VGPRBlocks: 0
; NumSGPRsForWavesPerEU: 4
; NumVGPRsForWavesPerEU: 1
; Occupancy: 10
; WaveLimiterHint : 0
; COMPUTE_PGM_RSRC2:SCRATCH_EN: 0
; COMPUTE_PGM_RSRC2:USER_SGPR: 6
; COMPUTE_PGM_RSRC2:TRAP_HANDLER: 0
; COMPUTE_PGM_RSRC2:TGID_X_EN: 1
; COMPUTE_PGM_RSRC2:TGID_Y_EN: 0
; COMPUTE_PGM_RSRC2:TGID_Z_EN: 0
; COMPUTE_PGM_RSRC2:TIDIG_COMP_CNT: 0
	.section	.text._ZN7rocprim17ROCPRIM_400000_NS6detail17trampoline_kernelINS0_14default_configENS1_20scan_config_selectorIN3c108BFloat16EEEZZNS1_9scan_implILNS1_25lookback_scan_determinismE0ELb0ELb0ES3_PKS6_PS6_S6_ZZZN2at6native31launch_logcumsumexp_cuda_kernelERKNSD_10TensorBaseESH_lENKUlvE_clEvENKUlvE4_clEvEUlS6_S6_E_S6_EEDaPvRmT3_T4_T5_mT6_P12ihipStream_tbENKUlT_T0_E_clISt17integral_constantIbLb0EESX_IbLb1EEEEDaST_SU_EUlST_E_NS1_11comp_targetILNS1_3genE5ELNS1_11target_archE942ELNS1_3gpuE9ELNS1_3repE0EEENS1_30default_config_static_selectorELNS0_4arch9wavefront6targetE1EEEvT1_,"axG",@progbits,_ZN7rocprim17ROCPRIM_400000_NS6detail17trampoline_kernelINS0_14default_configENS1_20scan_config_selectorIN3c108BFloat16EEEZZNS1_9scan_implILNS1_25lookback_scan_determinismE0ELb0ELb0ES3_PKS6_PS6_S6_ZZZN2at6native31launch_logcumsumexp_cuda_kernelERKNSD_10TensorBaseESH_lENKUlvE_clEvENKUlvE4_clEvEUlS6_S6_E_S6_EEDaPvRmT3_T4_T5_mT6_P12ihipStream_tbENKUlT_T0_E_clISt17integral_constantIbLb0EESX_IbLb1EEEEDaST_SU_EUlST_E_NS1_11comp_targetILNS1_3genE5ELNS1_11target_archE942ELNS1_3gpuE9ELNS1_3repE0EEENS1_30default_config_static_selectorELNS0_4arch9wavefront6targetE1EEEvT1_,comdat
	.globl	_ZN7rocprim17ROCPRIM_400000_NS6detail17trampoline_kernelINS0_14default_configENS1_20scan_config_selectorIN3c108BFloat16EEEZZNS1_9scan_implILNS1_25lookback_scan_determinismE0ELb0ELb0ES3_PKS6_PS6_S6_ZZZN2at6native31launch_logcumsumexp_cuda_kernelERKNSD_10TensorBaseESH_lENKUlvE_clEvENKUlvE4_clEvEUlS6_S6_E_S6_EEDaPvRmT3_T4_T5_mT6_P12ihipStream_tbENKUlT_T0_E_clISt17integral_constantIbLb0EESX_IbLb1EEEEDaST_SU_EUlST_E_NS1_11comp_targetILNS1_3genE5ELNS1_11target_archE942ELNS1_3gpuE9ELNS1_3repE0EEENS1_30default_config_static_selectorELNS0_4arch9wavefront6targetE1EEEvT1_ ; -- Begin function _ZN7rocprim17ROCPRIM_400000_NS6detail17trampoline_kernelINS0_14default_configENS1_20scan_config_selectorIN3c108BFloat16EEEZZNS1_9scan_implILNS1_25lookback_scan_determinismE0ELb0ELb0ES3_PKS6_PS6_S6_ZZZN2at6native31launch_logcumsumexp_cuda_kernelERKNSD_10TensorBaseESH_lENKUlvE_clEvENKUlvE4_clEvEUlS6_S6_E_S6_EEDaPvRmT3_T4_T5_mT6_P12ihipStream_tbENKUlT_T0_E_clISt17integral_constantIbLb0EESX_IbLb1EEEEDaST_SU_EUlST_E_NS1_11comp_targetILNS1_3genE5ELNS1_11target_archE942ELNS1_3gpuE9ELNS1_3repE0EEENS1_30default_config_static_selectorELNS0_4arch9wavefront6targetE1EEEvT1_
	.p2align	8
	.type	_ZN7rocprim17ROCPRIM_400000_NS6detail17trampoline_kernelINS0_14default_configENS1_20scan_config_selectorIN3c108BFloat16EEEZZNS1_9scan_implILNS1_25lookback_scan_determinismE0ELb0ELb0ES3_PKS6_PS6_S6_ZZZN2at6native31launch_logcumsumexp_cuda_kernelERKNSD_10TensorBaseESH_lENKUlvE_clEvENKUlvE4_clEvEUlS6_S6_E_S6_EEDaPvRmT3_T4_T5_mT6_P12ihipStream_tbENKUlT_T0_E_clISt17integral_constantIbLb0EESX_IbLb1EEEEDaST_SU_EUlST_E_NS1_11comp_targetILNS1_3genE5ELNS1_11target_archE942ELNS1_3gpuE9ELNS1_3repE0EEENS1_30default_config_static_selectorELNS0_4arch9wavefront6targetE1EEEvT1_,@function
_ZN7rocprim17ROCPRIM_400000_NS6detail17trampoline_kernelINS0_14default_configENS1_20scan_config_selectorIN3c108BFloat16EEEZZNS1_9scan_implILNS1_25lookback_scan_determinismE0ELb0ELb0ES3_PKS6_PS6_S6_ZZZN2at6native31launch_logcumsumexp_cuda_kernelERKNSD_10TensorBaseESH_lENKUlvE_clEvENKUlvE4_clEvEUlS6_S6_E_S6_EEDaPvRmT3_T4_T5_mT6_P12ihipStream_tbENKUlT_T0_E_clISt17integral_constantIbLb0EESX_IbLb1EEEEDaST_SU_EUlST_E_NS1_11comp_targetILNS1_3genE5ELNS1_11target_archE942ELNS1_3gpuE9ELNS1_3repE0EEENS1_30default_config_static_selectorELNS0_4arch9wavefront6targetE1EEEvT1_: ; @_ZN7rocprim17ROCPRIM_400000_NS6detail17trampoline_kernelINS0_14default_configENS1_20scan_config_selectorIN3c108BFloat16EEEZZNS1_9scan_implILNS1_25lookback_scan_determinismE0ELb0ELb0ES3_PKS6_PS6_S6_ZZZN2at6native31launch_logcumsumexp_cuda_kernelERKNSD_10TensorBaseESH_lENKUlvE_clEvENKUlvE4_clEvEUlS6_S6_E_S6_EEDaPvRmT3_T4_T5_mT6_P12ihipStream_tbENKUlT_T0_E_clISt17integral_constantIbLb0EESX_IbLb1EEEEDaST_SU_EUlST_E_NS1_11comp_targetILNS1_3genE5ELNS1_11target_archE942ELNS1_3gpuE9ELNS1_3repE0EEENS1_30default_config_static_selectorELNS0_4arch9wavefront6targetE1EEEvT1_
; %bb.0:
	.section	.rodata,"a",@progbits
	.p2align	6, 0x0
	.amdhsa_kernel _ZN7rocprim17ROCPRIM_400000_NS6detail17trampoline_kernelINS0_14default_configENS1_20scan_config_selectorIN3c108BFloat16EEEZZNS1_9scan_implILNS1_25lookback_scan_determinismE0ELb0ELb0ES3_PKS6_PS6_S6_ZZZN2at6native31launch_logcumsumexp_cuda_kernelERKNSD_10TensorBaseESH_lENKUlvE_clEvENKUlvE4_clEvEUlS6_S6_E_S6_EEDaPvRmT3_T4_T5_mT6_P12ihipStream_tbENKUlT_T0_E_clISt17integral_constantIbLb0EESX_IbLb1EEEEDaST_SU_EUlST_E_NS1_11comp_targetILNS1_3genE5ELNS1_11target_archE942ELNS1_3gpuE9ELNS1_3repE0EEENS1_30default_config_static_selectorELNS0_4arch9wavefront6targetE1EEEvT1_
		.amdhsa_group_segment_fixed_size 0
		.amdhsa_private_segment_fixed_size 0
		.amdhsa_kernarg_size 96
		.amdhsa_user_sgpr_count 6
		.amdhsa_user_sgpr_private_segment_buffer 1
		.amdhsa_user_sgpr_dispatch_ptr 0
		.amdhsa_user_sgpr_queue_ptr 0
		.amdhsa_user_sgpr_kernarg_segment_ptr 1
		.amdhsa_user_sgpr_dispatch_id 0
		.amdhsa_user_sgpr_flat_scratch_init 0
		.amdhsa_user_sgpr_private_segment_size 0
		.amdhsa_uses_dynamic_stack 0
		.amdhsa_system_sgpr_private_segment_wavefront_offset 0
		.amdhsa_system_sgpr_workgroup_id_x 1
		.amdhsa_system_sgpr_workgroup_id_y 0
		.amdhsa_system_sgpr_workgroup_id_z 0
		.amdhsa_system_sgpr_workgroup_info 0
		.amdhsa_system_vgpr_workitem_id 0
		.amdhsa_next_free_vgpr 1
		.amdhsa_next_free_sgpr 0
		.amdhsa_reserve_vcc 0
		.amdhsa_reserve_flat_scratch 0
		.amdhsa_float_round_mode_32 0
		.amdhsa_float_round_mode_16_64 0
		.amdhsa_float_denorm_mode_32 3
		.amdhsa_float_denorm_mode_16_64 3
		.amdhsa_dx10_clamp 1
		.amdhsa_ieee_mode 1
		.amdhsa_fp16_overflow 0
		.amdhsa_exception_fp_ieee_invalid_op 0
		.amdhsa_exception_fp_denorm_src 0
		.amdhsa_exception_fp_ieee_div_zero 0
		.amdhsa_exception_fp_ieee_overflow 0
		.amdhsa_exception_fp_ieee_underflow 0
		.amdhsa_exception_fp_ieee_inexact 0
		.amdhsa_exception_int_div_zero 0
	.end_amdhsa_kernel
	.section	.text._ZN7rocprim17ROCPRIM_400000_NS6detail17trampoline_kernelINS0_14default_configENS1_20scan_config_selectorIN3c108BFloat16EEEZZNS1_9scan_implILNS1_25lookback_scan_determinismE0ELb0ELb0ES3_PKS6_PS6_S6_ZZZN2at6native31launch_logcumsumexp_cuda_kernelERKNSD_10TensorBaseESH_lENKUlvE_clEvENKUlvE4_clEvEUlS6_S6_E_S6_EEDaPvRmT3_T4_T5_mT6_P12ihipStream_tbENKUlT_T0_E_clISt17integral_constantIbLb0EESX_IbLb1EEEEDaST_SU_EUlST_E_NS1_11comp_targetILNS1_3genE5ELNS1_11target_archE942ELNS1_3gpuE9ELNS1_3repE0EEENS1_30default_config_static_selectorELNS0_4arch9wavefront6targetE1EEEvT1_,"axG",@progbits,_ZN7rocprim17ROCPRIM_400000_NS6detail17trampoline_kernelINS0_14default_configENS1_20scan_config_selectorIN3c108BFloat16EEEZZNS1_9scan_implILNS1_25lookback_scan_determinismE0ELb0ELb0ES3_PKS6_PS6_S6_ZZZN2at6native31launch_logcumsumexp_cuda_kernelERKNSD_10TensorBaseESH_lENKUlvE_clEvENKUlvE4_clEvEUlS6_S6_E_S6_EEDaPvRmT3_T4_T5_mT6_P12ihipStream_tbENKUlT_T0_E_clISt17integral_constantIbLb0EESX_IbLb1EEEEDaST_SU_EUlST_E_NS1_11comp_targetILNS1_3genE5ELNS1_11target_archE942ELNS1_3gpuE9ELNS1_3repE0EEENS1_30default_config_static_selectorELNS0_4arch9wavefront6targetE1EEEvT1_,comdat
.Lfunc_end504:
	.size	_ZN7rocprim17ROCPRIM_400000_NS6detail17trampoline_kernelINS0_14default_configENS1_20scan_config_selectorIN3c108BFloat16EEEZZNS1_9scan_implILNS1_25lookback_scan_determinismE0ELb0ELb0ES3_PKS6_PS6_S6_ZZZN2at6native31launch_logcumsumexp_cuda_kernelERKNSD_10TensorBaseESH_lENKUlvE_clEvENKUlvE4_clEvEUlS6_S6_E_S6_EEDaPvRmT3_T4_T5_mT6_P12ihipStream_tbENKUlT_T0_E_clISt17integral_constantIbLb0EESX_IbLb1EEEEDaST_SU_EUlST_E_NS1_11comp_targetILNS1_3genE5ELNS1_11target_archE942ELNS1_3gpuE9ELNS1_3repE0EEENS1_30default_config_static_selectorELNS0_4arch9wavefront6targetE1EEEvT1_, .Lfunc_end504-_ZN7rocprim17ROCPRIM_400000_NS6detail17trampoline_kernelINS0_14default_configENS1_20scan_config_selectorIN3c108BFloat16EEEZZNS1_9scan_implILNS1_25lookback_scan_determinismE0ELb0ELb0ES3_PKS6_PS6_S6_ZZZN2at6native31launch_logcumsumexp_cuda_kernelERKNSD_10TensorBaseESH_lENKUlvE_clEvENKUlvE4_clEvEUlS6_S6_E_S6_EEDaPvRmT3_T4_T5_mT6_P12ihipStream_tbENKUlT_T0_E_clISt17integral_constantIbLb0EESX_IbLb1EEEEDaST_SU_EUlST_E_NS1_11comp_targetILNS1_3genE5ELNS1_11target_archE942ELNS1_3gpuE9ELNS1_3repE0EEENS1_30default_config_static_selectorELNS0_4arch9wavefront6targetE1EEEvT1_
                                        ; -- End function
	.set _ZN7rocprim17ROCPRIM_400000_NS6detail17trampoline_kernelINS0_14default_configENS1_20scan_config_selectorIN3c108BFloat16EEEZZNS1_9scan_implILNS1_25lookback_scan_determinismE0ELb0ELb0ES3_PKS6_PS6_S6_ZZZN2at6native31launch_logcumsumexp_cuda_kernelERKNSD_10TensorBaseESH_lENKUlvE_clEvENKUlvE4_clEvEUlS6_S6_E_S6_EEDaPvRmT3_T4_T5_mT6_P12ihipStream_tbENKUlT_T0_E_clISt17integral_constantIbLb0EESX_IbLb1EEEEDaST_SU_EUlST_E_NS1_11comp_targetILNS1_3genE5ELNS1_11target_archE942ELNS1_3gpuE9ELNS1_3repE0EEENS1_30default_config_static_selectorELNS0_4arch9wavefront6targetE1EEEvT1_.num_vgpr, 0
	.set _ZN7rocprim17ROCPRIM_400000_NS6detail17trampoline_kernelINS0_14default_configENS1_20scan_config_selectorIN3c108BFloat16EEEZZNS1_9scan_implILNS1_25lookback_scan_determinismE0ELb0ELb0ES3_PKS6_PS6_S6_ZZZN2at6native31launch_logcumsumexp_cuda_kernelERKNSD_10TensorBaseESH_lENKUlvE_clEvENKUlvE4_clEvEUlS6_S6_E_S6_EEDaPvRmT3_T4_T5_mT6_P12ihipStream_tbENKUlT_T0_E_clISt17integral_constantIbLb0EESX_IbLb1EEEEDaST_SU_EUlST_E_NS1_11comp_targetILNS1_3genE5ELNS1_11target_archE942ELNS1_3gpuE9ELNS1_3repE0EEENS1_30default_config_static_selectorELNS0_4arch9wavefront6targetE1EEEvT1_.num_agpr, 0
	.set _ZN7rocprim17ROCPRIM_400000_NS6detail17trampoline_kernelINS0_14default_configENS1_20scan_config_selectorIN3c108BFloat16EEEZZNS1_9scan_implILNS1_25lookback_scan_determinismE0ELb0ELb0ES3_PKS6_PS6_S6_ZZZN2at6native31launch_logcumsumexp_cuda_kernelERKNSD_10TensorBaseESH_lENKUlvE_clEvENKUlvE4_clEvEUlS6_S6_E_S6_EEDaPvRmT3_T4_T5_mT6_P12ihipStream_tbENKUlT_T0_E_clISt17integral_constantIbLb0EESX_IbLb1EEEEDaST_SU_EUlST_E_NS1_11comp_targetILNS1_3genE5ELNS1_11target_archE942ELNS1_3gpuE9ELNS1_3repE0EEENS1_30default_config_static_selectorELNS0_4arch9wavefront6targetE1EEEvT1_.numbered_sgpr, 0
	.set _ZN7rocprim17ROCPRIM_400000_NS6detail17trampoline_kernelINS0_14default_configENS1_20scan_config_selectorIN3c108BFloat16EEEZZNS1_9scan_implILNS1_25lookback_scan_determinismE0ELb0ELb0ES3_PKS6_PS6_S6_ZZZN2at6native31launch_logcumsumexp_cuda_kernelERKNSD_10TensorBaseESH_lENKUlvE_clEvENKUlvE4_clEvEUlS6_S6_E_S6_EEDaPvRmT3_T4_T5_mT6_P12ihipStream_tbENKUlT_T0_E_clISt17integral_constantIbLb0EESX_IbLb1EEEEDaST_SU_EUlST_E_NS1_11comp_targetILNS1_3genE5ELNS1_11target_archE942ELNS1_3gpuE9ELNS1_3repE0EEENS1_30default_config_static_selectorELNS0_4arch9wavefront6targetE1EEEvT1_.num_named_barrier, 0
	.set _ZN7rocprim17ROCPRIM_400000_NS6detail17trampoline_kernelINS0_14default_configENS1_20scan_config_selectorIN3c108BFloat16EEEZZNS1_9scan_implILNS1_25lookback_scan_determinismE0ELb0ELb0ES3_PKS6_PS6_S6_ZZZN2at6native31launch_logcumsumexp_cuda_kernelERKNSD_10TensorBaseESH_lENKUlvE_clEvENKUlvE4_clEvEUlS6_S6_E_S6_EEDaPvRmT3_T4_T5_mT6_P12ihipStream_tbENKUlT_T0_E_clISt17integral_constantIbLb0EESX_IbLb1EEEEDaST_SU_EUlST_E_NS1_11comp_targetILNS1_3genE5ELNS1_11target_archE942ELNS1_3gpuE9ELNS1_3repE0EEENS1_30default_config_static_selectorELNS0_4arch9wavefront6targetE1EEEvT1_.private_seg_size, 0
	.set _ZN7rocprim17ROCPRIM_400000_NS6detail17trampoline_kernelINS0_14default_configENS1_20scan_config_selectorIN3c108BFloat16EEEZZNS1_9scan_implILNS1_25lookback_scan_determinismE0ELb0ELb0ES3_PKS6_PS6_S6_ZZZN2at6native31launch_logcumsumexp_cuda_kernelERKNSD_10TensorBaseESH_lENKUlvE_clEvENKUlvE4_clEvEUlS6_S6_E_S6_EEDaPvRmT3_T4_T5_mT6_P12ihipStream_tbENKUlT_T0_E_clISt17integral_constantIbLb0EESX_IbLb1EEEEDaST_SU_EUlST_E_NS1_11comp_targetILNS1_3genE5ELNS1_11target_archE942ELNS1_3gpuE9ELNS1_3repE0EEENS1_30default_config_static_selectorELNS0_4arch9wavefront6targetE1EEEvT1_.uses_vcc, 0
	.set _ZN7rocprim17ROCPRIM_400000_NS6detail17trampoline_kernelINS0_14default_configENS1_20scan_config_selectorIN3c108BFloat16EEEZZNS1_9scan_implILNS1_25lookback_scan_determinismE0ELb0ELb0ES3_PKS6_PS6_S6_ZZZN2at6native31launch_logcumsumexp_cuda_kernelERKNSD_10TensorBaseESH_lENKUlvE_clEvENKUlvE4_clEvEUlS6_S6_E_S6_EEDaPvRmT3_T4_T5_mT6_P12ihipStream_tbENKUlT_T0_E_clISt17integral_constantIbLb0EESX_IbLb1EEEEDaST_SU_EUlST_E_NS1_11comp_targetILNS1_3genE5ELNS1_11target_archE942ELNS1_3gpuE9ELNS1_3repE0EEENS1_30default_config_static_selectorELNS0_4arch9wavefront6targetE1EEEvT1_.uses_flat_scratch, 0
	.set _ZN7rocprim17ROCPRIM_400000_NS6detail17trampoline_kernelINS0_14default_configENS1_20scan_config_selectorIN3c108BFloat16EEEZZNS1_9scan_implILNS1_25lookback_scan_determinismE0ELb0ELb0ES3_PKS6_PS6_S6_ZZZN2at6native31launch_logcumsumexp_cuda_kernelERKNSD_10TensorBaseESH_lENKUlvE_clEvENKUlvE4_clEvEUlS6_S6_E_S6_EEDaPvRmT3_T4_T5_mT6_P12ihipStream_tbENKUlT_T0_E_clISt17integral_constantIbLb0EESX_IbLb1EEEEDaST_SU_EUlST_E_NS1_11comp_targetILNS1_3genE5ELNS1_11target_archE942ELNS1_3gpuE9ELNS1_3repE0EEENS1_30default_config_static_selectorELNS0_4arch9wavefront6targetE1EEEvT1_.has_dyn_sized_stack, 0
	.set _ZN7rocprim17ROCPRIM_400000_NS6detail17trampoline_kernelINS0_14default_configENS1_20scan_config_selectorIN3c108BFloat16EEEZZNS1_9scan_implILNS1_25lookback_scan_determinismE0ELb0ELb0ES3_PKS6_PS6_S6_ZZZN2at6native31launch_logcumsumexp_cuda_kernelERKNSD_10TensorBaseESH_lENKUlvE_clEvENKUlvE4_clEvEUlS6_S6_E_S6_EEDaPvRmT3_T4_T5_mT6_P12ihipStream_tbENKUlT_T0_E_clISt17integral_constantIbLb0EESX_IbLb1EEEEDaST_SU_EUlST_E_NS1_11comp_targetILNS1_3genE5ELNS1_11target_archE942ELNS1_3gpuE9ELNS1_3repE0EEENS1_30default_config_static_selectorELNS0_4arch9wavefront6targetE1EEEvT1_.has_recursion, 0
	.set _ZN7rocprim17ROCPRIM_400000_NS6detail17trampoline_kernelINS0_14default_configENS1_20scan_config_selectorIN3c108BFloat16EEEZZNS1_9scan_implILNS1_25lookback_scan_determinismE0ELb0ELb0ES3_PKS6_PS6_S6_ZZZN2at6native31launch_logcumsumexp_cuda_kernelERKNSD_10TensorBaseESH_lENKUlvE_clEvENKUlvE4_clEvEUlS6_S6_E_S6_EEDaPvRmT3_T4_T5_mT6_P12ihipStream_tbENKUlT_T0_E_clISt17integral_constantIbLb0EESX_IbLb1EEEEDaST_SU_EUlST_E_NS1_11comp_targetILNS1_3genE5ELNS1_11target_archE942ELNS1_3gpuE9ELNS1_3repE0EEENS1_30default_config_static_selectorELNS0_4arch9wavefront6targetE1EEEvT1_.has_indirect_call, 0
	.section	.AMDGPU.csdata,"",@progbits
; Kernel info:
; codeLenInByte = 0
; TotalNumSgprs: 4
; NumVgprs: 0
; ScratchSize: 0
; MemoryBound: 0
; FloatMode: 240
; IeeeMode: 1
; LDSByteSize: 0 bytes/workgroup (compile time only)
; SGPRBlocks: 0
; VGPRBlocks: 0
; NumSGPRsForWavesPerEU: 4
; NumVGPRsForWavesPerEU: 1
; Occupancy: 10
; WaveLimiterHint : 0
; COMPUTE_PGM_RSRC2:SCRATCH_EN: 0
; COMPUTE_PGM_RSRC2:USER_SGPR: 6
; COMPUTE_PGM_RSRC2:TRAP_HANDLER: 0
; COMPUTE_PGM_RSRC2:TGID_X_EN: 1
; COMPUTE_PGM_RSRC2:TGID_Y_EN: 0
; COMPUTE_PGM_RSRC2:TGID_Z_EN: 0
; COMPUTE_PGM_RSRC2:TIDIG_COMP_CNT: 0
	.section	.text._ZN7rocprim17ROCPRIM_400000_NS6detail17trampoline_kernelINS0_14default_configENS1_20scan_config_selectorIN3c108BFloat16EEEZZNS1_9scan_implILNS1_25lookback_scan_determinismE0ELb0ELb0ES3_PKS6_PS6_S6_ZZZN2at6native31launch_logcumsumexp_cuda_kernelERKNSD_10TensorBaseESH_lENKUlvE_clEvENKUlvE4_clEvEUlS6_S6_E_S6_EEDaPvRmT3_T4_T5_mT6_P12ihipStream_tbENKUlT_T0_E_clISt17integral_constantIbLb0EESX_IbLb1EEEEDaST_SU_EUlST_E_NS1_11comp_targetILNS1_3genE4ELNS1_11target_archE910ELNS1_3gpuE8ELNS1_3repE0EEENS1_30default_config_static_selectorELNS0_4arch9wavefront6targetE1EEEvT1_,"axG",@progbits,_ZN7rocprim17ROCPRIM_400000_NS6detail17trampoline_kernelINS0_14default_configENS1_20scan_config_selectorIN3c108BFloat16EEEZZNS1_9scan_implILNS1_25lookback_scan_determinismE0ELb0ELb0ES3_PKS6_PS6_S6_ZZZN2at6native31launch_logcumsumexp_cuda_kernelERKNSD_10TensorBaseESH_lENKUlvE_clEvENKUlvE4_clEvEUlS6_S6_E_S6_EEDaPvRmT3_T4_T5_mT6_P12ihipStream_tbENKUlT_T0_E_clISt17integral_constantIbLb0EESX_IbLb1EEEEDaST_SU_EUlST_E_NS1_11comp_targetILNS1_3genE4ELNS1_11target_archE910ELNS1_3gpuE8ELNS1_3repE0EEENS1_30default_config_static_selectorELNS0_4arch9wavefront6targetE1EEEvT1_,comdat
	.globl	_ZN7rocprim17ROCPRIM_400000_NS6detail17trampoline_kernelINS0_14default_configENS1_20scan_config_selectorIN3c108BFloat16EEEZZNS1_9scan_implILNS1_25lookback_scan_determinismE0ELb0ELb0ES3_PKS6_PS6_S6_ZZZN2at6native31launch_logcumsumexp_cuda_kernelERKNSD_10TensorBaseESH_lENKUlvE_clEvENKUlvE4_clEvEUlS6_S6_E_S6_EEDaPvRmT3_T4_T5_mT6_P12ihipStream_tbENKUlT_T0_E_clISt17integral_constantIbLb0EESX_IbLb1EEEEDaST_SU_EUlST_E_NS1_11comp_targetILNS1_3genE4ELNS1_11target_archE910ELNS1_3gpuE8ELNS1_3repE0EEENS1_30default_config_static_selectorELNS0_4arch9wavefront6targetE1EEEvT1_ ; -- Begin function _ZN7rocprim17ROCPRIM_400000_NS6detail17trampoline_kernelINS0_14default_configENS1_20scan_config_selectorIN3c108BFloat16EEEZZNS1_9scan_implILNS1_25lookback_scan_determinismE0ELb0ELb0ES3_PKS6_PS6_S6_ZZZN2at6native31launch_logcumsumexp_cuda_kernelERKNSD_10TensorBaseESH_lENKUlvE_clEvENKUlvE4_clEvEUlS6_S6_E_S6_EEDaPvRmT3_T4_T5_mT6_P12ihipStream_tbENKUlT_T0_E_clISt17integral_constantIbLb0EESX_IbLb1EEEEDaST_SU_EUlST_E_NS1_11comp_targetILNS1_3genE4ELNS1_11target_archE910ELNS1_3gpuE8ELNS1_3repE0EEENS1_30default_config_static_selectorELNS0_4arch9wavefront6targetE1EEEvT1_
	.p2align	8
	.type	_ZN7rocprim17ROCPRIM_400000_NS6detail17trampoline_kernelINS0_14default_configENS1_20scan_config_selectorIN3c108BFloat16EEEZZNS1_9scan_implILNS1_25lookback_scan_determinismE0ELb0ELb0ES3_PKS6_PS6_S6_ZZZN2at6native31launch_logcumsumexp_cuda_kernelERKNSD_10TensorBaseESH_lENKUlvE_clEvENKUlvE4_clEvEUlS6_S6_E_S6_EEDaPvRmT3_T4_T5_mT6_P12ihipStream_tbENKUlT_T0_E_clISt17integral_constantIbLb0EESX_IbLb1EEEEDaST_SU_EUlST_E_NS1_11comp_targetILNS1_3genE4ELNS1_11target_archE910ELNS1_3gpuE8ELNS1_3repE0EEENS1_30default_config_static_selectorELNS0_4arch9wavefront6targetE1EEEvT1_,@function
_ZN7rocprim17ROCPRIM_400000_NS6detail17trampoline_kernelINS0_14default_configENS1_20scan_config_selectorIN3c108BFloat16EEEZZNS1_9scan_implILNS1_25lookback_scan_determinismE0ELb0ELb0ES3_PKS6_PS6_S6_ZZZN2at6native31launch_logcumsumexp_cuda_kernelERKNSD_10TensorBaseESH_lENKUlvE_clEvENKUlvE4_clEvEUlS6_S6_E_S6_EEDaPvRmT3_T4_T5_mT6_P12ihipStream_tbENKUlT_T0_E_clISt17integral_constantIbLb0EESX_IbLb1EEEEDaST_SU_EUlST_E_NS1_11comp_targetILNS1_3genE4ELNS1_11target_archE910ELNS1_3gpuE8ELNS1_3repE0EEENS1_30default_config_static_selectorELNS0_4arch9wavefront6targetE1EEEvT1_: ; @_ZN7rocprim17ROCPRIM_400000_NS6detail17trampoline_kernelINS0_14default_configENS1_20scan_config_selectorIN3c108BFloat16EEEZZNS1_9scan_implILNS1_25lookback_scan_determinismE0ELb0ELb0ES3_PKS6_PS6_S6_ZZZN2at6native31launch_logcumsumexp_cuda_kernelERKNSD_10TensorBaseESH_lENKUlvE_clEvENKUlvE4_clEvEUlS6_S6_E_S6_EEDaPvRmT3_T4_T5_mT6_P12ihipStream_tbENKUlT_T0_E_clISt17integral_constantIbLb0EESX_IbLb1EEEEDaST_SU_EUlST_E_NS1_11comp_targetILNS1_3genE4ELNS1_11target_archE910ELNS1_3gpuE8ELNS1_3repE0EEENS1_30default_config_static_selectorELNS0_4arch9wavefront6targetE1EEEvT1_
; %bb.0:
	.section	.rodata,"a",@progbits
	.p2align	6, 0x0
	.amdhsa_kernel _ZN7rocprim17ROCPRIM_400000_NS6detail17trampoline_kernelINS0_14default_configENS1_20scan_config_selectorIN3c108BFloat16EEEZZNS1_9scan_implILNS1_25lookback_scan_determinismE0ELb0ELb0ES3_PKS6_PS6_S6_ZZZN2at6native31launch_logcumsumexp_cuda_kernelERKNSD_10TensorBaseESH_lENKUlvE_clEvENKUlvE4_clEvEUlS6_S6_E_S6_EEDaPvRmT3_T4_T5_mT6_P12ihipStream_tbENKUlT_T0_E_clISt17integral_constantIbLb0EESX_IbLb1EEEEDaST_SU_EUlST_E_NS1_11comp_targetILNS1_3genE4ELNS1_11target_archE910ELNS1_3gpuE8ELNS1_3repE0EEENS1_30default_config_static_selectorELNS0_4arch9wavefront6targetE1EEEvT1_
		.amdhsa_group_segment_fixed_size 0
		.amdhsa_private_segment_fixed_size 0
		.amdhsa_kernarg_size 96
		.amdhsa_user_sgpr_count 6
		.amdhsa_user_sgpr_private_segment_buffer 1
		.amdhsa_user_sgpr_dispatch_ptr 0
		.amdhsa_user_sgpr_queue_ptr 0
		.amdhsa_user_sgpr_kernarg_segment_ptr 1
		.amdhsa_user_sgpr_dispatch_id 0
		.amdhsa_user_sgpr_flat_scratch_init 0
		.amdhsa_user_sgpr_private_segment_size 0
		.amdhsa_uses_dynamic_stack 0
		.amdhsa_system_sgpr_private_segment_wavefront_offset 0
		.amdhsa_system_sgpr_workgroup_id_x 1
		.amdhsa_system_sgpr_workgroup_id_y 0
		.amdhsa_system_sgpr_workgroup_id_z 0
		.amdhsa_system_sgpr_workgroup_info 0
		.amdhsa_system_vgpr_workitem_id 0
		.amdhsa_next_free_vgpr 1
		.amdhsa_next_free_sgpr 0
		.amdhsa_reserve_vcc 0
		.amdhsa_reserve_flat_scratch 0
		.amdhsa_float_round_mode_32 0
		.amdhsa_float_round_mode_16_64 0
		.amdhsa_float_denorm_mode_32 3
		.amdhsa_float_denorm_mode_16_64 3
		.amdhsa_dx10_clamp 1
		.amdhsa_ieee_mode 1
		.amdhsa_fp16_overflow 0
		.amdhsa_exception_fp_ieee_invalid_op 0
		.amdhsa_exception_fp_denorm_src 0
		.amdhsa_exception_fp_ieee_div_zero 0
		.amdhsa_exception_fp_ieee_overflow 0
		.amdhsa_exception_fp_ieee_underflow 0
		.amdhsa_exception_fp_ieee_inexact 0
		.amdhsa_exception_int_div_zero 0
	.end_amdhsa_kernel
	.section	.text._ZN7rocprim17ROCPRIM_400000_NS6detail17trampoline_kernelINS0_14default_configENS1_20scan_config_selectorIN3c108BFloat16EEEZZNS1_9scan_implILNS1_25lookback_scan_determinismE0ELb0ELb0ES3_PKS6_PS6_S6_ZZZN2at6native31launch_logcumsumexp_cuda_kernelERKNSD_10TensorBaseESH_lENKUlvE_clEvENKUlvE4_clEvEUlS6_S6_E_S6_EEDaPvRmT3_T4_T5_mT6_P12ihipStream_tbENKUlT_T0_E_clISt17integral_constantIbLb0EESX_IbLb1EEEEDaST_SU_EUlST_E_NS1_11comp_targetILNS1_3genE4ELNS1_11target_archE910ELNS1_3gpuE8ELNS1_3repE0EEENS1_30default_config_static_selectorELNS0_4arch9wavefront6targetE1EEEvT1_,"axG",@progbits,_ZN7rocprim17ROCPRIM_400000_NS6detail17trampoline_kernelINS0_14default_configENS1_20scan_config_selectorIN3c108BFloat16EEEZZNS1_9scan_implILNS1_25lookback_scan_determinismE0ELb0ELb0ES3_PKS6_PS6_S6_ZZZN2at6native31launch_logcumsumexp_cuda_kernelERKNSD_10TensorBaseESH_lENKUlvE_clEvENKUlvE4_clEvEUlS6_S6_E_S6_EEDaPvRmT3_T4_T5_mT6_P12ihipStream_tbENKUlT_T0_E_clISt17integral_constantIbLb0EESX_IbLb1EEEEDaST_SU_EUlST_E_NS1_11comp_targetILNS1_3genE4ELNS1_11target_archE910ELNS1_3gpuE8ELNS1_3repE0EEENS1_30default_config_static_selectorELNS0_4arch9wavefront6targetE1EEEvT1_,comdat
.Lfunc_end505:
	.size	_ZN7rocprim17ROCPRIM_400000_NS6detail17trampoline_kernelINS0_14default_configENS1_20scan_config_selectorIN3c108BFloat16EEEZZNS1_9scan_implILNS1_25lookback_scan_determinismE0ELb0ELb0ES3_PKS6_PS6_S6_ZZZN2at6native31launch_logcumsumexp_cuda_kernelERKNSD_10TensorBaseESH_lENKUlvE_clEvENKUlvE4_clEvEUlS6_S6_E_S6_EEDaPvRmT3_T4_T5_mT6_P12ihipStream_tbENKUlT_T0_E_clISt17integral_constantIbLb0EESX_IbLb1EEEEDaST_SU_EUlST_E_NS1_11comp_targetILNS1_3genE4ELNS1_11target_archE910ELNS1_3gpuE8ELNS1_3repE0EEENS1_30default_config_static_selectorELNS0_4arch9wavefront6targetE1EEEvT1_, .Lfunc_end505-_ZN7rocprim17ROCPRIM_400000_NS6detail17trampoline_kernelINS0_14default_configENS1_20scan_config_selectorIN3c108BFloat16EEEZZNS1_9scan_implILNS1_25lookback_scan_determinismE0ELb0ELb0ES3_PKS6_PS6_S6_ZZZN2at6native31launch_logcumsumexp_cuda_kernelERKNSD_10TensorBaseESH_lENKUlvE_clEvENKUlvE4_clEvEUlS6_S6_E_S6_EEDaPvRmT3_T4_T5_mT6_P12ihipStream_tbENKUlT_T0_E_clISt17integral_constantIbLb0EESX_IbLb1EEEEDaST_SU_EUlST_E_NS1_11comp_targetILNS1_3genE4ELNS1_11target_archE910ELNS1_3gpuE8ELNS1_3repE0EEENS1_30default_config_static_selectorELNS0_4arch9wavefront6targetE1EEEvT1_
                                        ; -- End function
	.set _ZN7rocprim17ROCPRIM_400000_NS6detail17trampoline_kernelINS0_14default_configENS1_20scan_config_selectorIN3c108BFloat16EEEZZNS1_9scan_implILNS1_25lookback_scan_determinismE0ELb0ELb0ES3_PKS6_PS6_S6_ZZZN2at6native31launch_logcumsumexp_cuda_kernelERKNSD_10TensorBaseESH_lENKUlvE_clEvENKUlvE4_clEvEUlS6_S6_E_S6_EEDaPvRmT3_T4_T5_mT6_P12ihipStream_tbENKUlT_T0_E_clISt17integral_constantIbLb0EESX_IbLb1EEEEDaST_SU_EUlST_E_NS1_11comp_targetILNS1_3genE4ELNS1_11target_archE910ELNS1_3gpuE8ELNS1_3repE0EEENS1_30default_config_static_selectorELNS0_4arch9wavefront6targetE1EEEvT1_.num_vgpr, 0
	.set _ZN7rocprim17ROCPRIM_400000_NS6detail17trampoline_kernelINS0_14default_configENS1_20scan_config_selectorIN3c108BFloat16EEEZZNS1_9scan_implILNS1_25lookback_scan_determinismE0ELb0ELb0ES3_PKS6_PS6_S6_ZZZN2at6native31launch_logcumsumexp_cuda_kernelERKNSD_10TensorBaseESH_lENKUlvE_clEvENKUlvE4_clEvEUlS6_S6_E_S6_EEDaPvRmT3_T4_T5_mT6_P12ihipStream_tbENKUlT_T0_E_clISt17integral_constantIbLb0EESX_IbLb1EEEEDaST_SU_EUlST_E_NS1_11comp_targetILNS1_3genE4ELNS1_11target_archE910ELNS1_3gpuE8ELNS1_3repE0EEENS1_30default_config_static_selectorELNS0_4arch9wavefront6targetE1EEEvT1_.num_agpr, 0
	.set _ZN7rocprim17ROCPRIM_400000_NS6detail17trampoline_kernelINS0_14default_configENS1_20scan_config_selectorIN3c108BFloat16EEEZZNS1_9scan_implILNS1_25lookback_scan_determinismE0ELb0ELb0ES3_PKS6_PS6_S6_ZZZN2at6native31launch_logcumsumexp_cuda_kernelERKNSD_10TensorBaseESH_lENKUlvE_clEvENKUlvE4_clEvEUlS6_S6_E_S6_EEDaPvRmT3_T4_T5_mT6_P12ihipStream_tbENKUlT_T0_E_clISt17integral_constantIbLb0EESX_IbLb1EEEEDaST_SU_EUlST_E_NS1_11comp_targetILNS1_3genE4ELNS1_11target_archE910ELNS1_3gpuE8ELNS1_3repE0EEENS1_30default_config_static_selectorELNS0_4arch9wavefront6targetE1EEEvT1_.numbered_sgpr, 0
	.set _ZN7rocprim17ROCPRIM_400000_NS6detail17trampoline_kernelINS0_14default_configENS1_20scan_config_selectorIN3c108BFloat16EEEZZNS1_9scan_implILNS1_25lookback_scan_determinismE0ELb0ELb0ES3_PKS6_PS6_S6_ZZZN2at6native31launch_logcumsumexp_cuda_kernelERKNSD_10TensorBaseESH_lENKUlvE_clEvENKUlvE4_clEvEUlS6_S6_E_S6_EEDaPvRmT3_T4_T5_mT6_P12ihipStream_tbENKUlT_T0_E_clISt17integral_constantIbLb0EESX_IbLb1EEEEDaST_SU_EUlST_E_NS1_11comp_targetILNS1_3genE4ELNS1_11target_archE910ELNS1_3gpuE8ELNS1_3repE0EEENS1_30default_config_static_selectorELNS0_4arch9wavefront6targetE1EEEvT1_.num_named_barrier, 0
	.set _ZN7rocprim17ROCPRIM_400000_NS6detail17trampoline_kernelINS0_14default_configENS1_20scan_config_selectorIN3c108BFloat16EEEZZNS1_9scan_implILNS1_25lookback_scan_determinismE0ELb0ELb0ES3_PKS6_PS6_S6_ZZZN2at6native31launch_logcumsumexp_cuda_kernelERKNSD_10TensorBaseESH_lENKUlvE_clEvENKUlvE4_clEvEUlS6_S6_E_S6_EEDaPvRmT3_T4_T5_mT6_P12ihipStream_tbENKUlT_T0_E_clISt17integral_constantIbLb0EESX_IbLb1EEEEDaST_SU_EUlST_E_NS1_11comp_targetILNS1_3genE4ELNS1_11target_archE910ELNS1_3gpuE8ELNS1_3repE0EEENS1_30default_config_static_selectorELNS0_4arch9wavefront6targetE1EEEvT1_.private_seg_size, 0
	.set _ZN7rocprim17ROCPRIM_400000_NS6detail17trampoline_kernelINS0_14default_configENS1_20scan_config_selectorIN3c108BFloat16EEEZZNS1_9scan_implILNS1_25lookback_scan_determinismE0ELb0ELb0ES3_PKS6_PS6_S6_ZZZN2at6native31launch_logcumsumexp_cuda_kernelERKNSD_10TensorBaseESH_lENKUlvE_clEvENKUlvE4_clEvEUlS6_S6_E_S6_EEDaPvRmT3_T4_T5_mT6_P12ihipStream_tbENKUlT_T0_E_clISt17integral_constantIbLb0EESX_IbLb1EEEEDaST_SU_EUlST_E_NS1_11comp_targetILNS1_3genE4ELNS1_11target_archE910ELNS1_3gpuE8ELNS1_3repE0EEENS1_30default_config_static_selectorELNS0_4arch9wavefront6targetE1EEEvT1_.uses_vcc, 0
	.set _ZN7rocprim17ROCPRIM_400000_NS6detail17trampoline_kernelINS0_14default_configENS1_20scan_config_selectorIN3c108BFloat16EEEZZNS1_9scan_implILNS1_25lookback_scan_determinismE0ELb0ELb0ES3_PKS6_PS6_S6_ZZZN2at6native31launch_logcumsumexp_cuda_kernelERKNSD_10TensorBaseESH_lENKUlvE_clEvENKUlvE4_clEvEUlS6_S6_E_S6_EEDaPvRmT3_T4_T5_mT6_P12ihipStream_tbENKUlT_T0_E_clISt17integral_constantIbLb0EESX_IbLb1EEEEDaST_SU_EUlST_E_NS1_11comp_targetILNS1_3genE4ELNS1_11target_archE910ELNS1_3gpuE8ELNS1_3repE0EEENS1_30default_config_static_selectorELNS0_4arch9wavefront6targetE1EEEvT1_.uses_flat_scratch, 0
	.set _ZN7rocprim17ROCPRIM_400000_NS6detail17trampoline_kernelINS0_14default_configENS1_20scan_config_selectorIN3c108BFloat16EEEZZNS1_9scan_implILNS1_25lookback_scan_determinismE0ELb0ELb0ES3_PKS6_PS6_S6_ZZZN2at6native31launch_logcumsumexp_cuda_kernelERKNSD_10TensorBaseESH_lENKUlvE_clEvENKUlvE4_clEvEUlS6_S6_E_S6_EEDaPvRmT3_T4_T5_mT6_P12ihipStream_tbENKUlT_T0_E_clISt17integral_constantIbLb0EESX_IbLb1EEEEDaST_SU_EUlST_E_NS1_11comp_targetILNS1_3genE4ELNS1_11target_archE910ELNS1_3gpuE8ELNS1_3repE0EEENS1_30default_config_static_selectorELNS0_4arch9wavefront6targetE1EEEvT1_.has_dyn_sized_stack, 0
	.set _ZN7rocprim17ROCPRIM_400000_NS6detail17trampoline_kernelINS0_14default_configENS1_20scan_config_selectorIN3c108BFloat16EEEZZNS1_9scan_implILNS1_25lookback_scan_determinismE0ELb0ELb0ES3_PKS6_PS6_S6_ZZZN2at6native31launch_logcumsumexp_cuda_kernelERKNSD_10TensorBaseESH_lENKUlvE_clEvENKUlvE4_clEvEUlS6_S6_E_S6_EEDaPvRmT3_T4_T5_mT6_P12ihipStream_tbENKUlT_T0_E_clISt17integral_constantIbLb0EESX_IbLb1EEEEDaST_SU_EUlST_E_NS1_11comp_targetILNS1_3genE4ELNS1_11target_archE910ELNS1_3gpuE8ELNS1_3repE0EEENS1_30default_config_static_selectorELNS0_4arch9wavefront6targetE1EEEvT1_.has_recursion, 0
	.set _ZN7rocprim17ROCPRIM_400000_NS6detail17trampoline_kernelINS0_14default_configENS1_20scan_config_selectorIN3c108BFloat16EEEZZNS1_9scan_implILNS1_25lookback_scan_determinismE0ELb0ELb0ES3_PKS6_PS6_S6_ZZZN2at6native31launch_logcumsumexp_cuda_kernelERKNSD_10TensorBaseESH_lENKUlvE_clEvENKUlvE4_clEvEUlS6_S6_E_S6_EEDaPvRmT3_T4_T5_mT6_P12ihipStream_tbENKUlT_T0_E_clISt17integral_constantIbLb0EESX_IbLb1EEEEDaST_SU_EUlST_E_NS1_11comp_targetILNS1_3genE4ELNS1_11target_archE910ELNS1_3gpuE8ELNS1_3repE0EEENS1_30default_config_static_selectorELNS0_4arch9wavefront6targetE1EEEvT1_.has_indirect_call, 0
	.section	.AMDGPU.csdata,"",@progbits
; Kernel info:
; codeLenInByte = 0
; TotalNumSgprs: 4
; NumVgprs: 0
; ScratchSize: 0
; MemoryBound: 0
; FloatMode: 240
; IeeeMode: 1
; LDSByteSize: 0 bytes/workgroup (compile time only)
; SGPRBlocks: 0
; VGPRBlocks: 0
; NumSGPRsForWavesPerEU: 4
; NumVGPRsForWavesPerEU: 1
; Occupancy: 10
; WaveLimiterHint : 0
; COMPUTE_PGM_RSRC2:SCRATCH_EN: 0
; COMPUTE_PGM_RSRC2:USER_SGPR: 6
; COMPUTE_PGM_RSRC2:TRAP_HANDLER: 0
; COMPUTE_PGM_RSRC2:TGID_X_EN: 1
; COMPUTE_PGM_RSRC2:TGID_Y_EN: 0
; COMPUTE_PGM_RSRC2:TGID_Z_EN: 0
; COMPUTE_PGM_RSRC2:TIDIG_COMP_CNT: 0
	.section	.text._ZN7rocprim17ROCPRIM_400000_NS6detail17trampoline_kernelINS0_14default_configENS1_20scan_config_selectorIN3c108BFloat16EEEZZNS1_9scan_implILNS1_25lookback_scan_determinismE0ELb0ELb0ES3_PKS6_PS6_S6_ZZZN2at6native31launch_logcumsumexp_cuda_kernelERKNSD_10TensorBaseESH_lENKUlvE_clEvENKUlvE4_clEvEUlS6_S6_E_S6_EEDaPvRmT3_T4_T5_mT6_P12ihipStream_tbENKUlT_T0_E_clISt17integral_constantIbLb0EESX_IbLb1EEEEDaST_SU_EUlST_E_NS1_11comp_targetILNS1_3genE3ELNS1_11target_archE908ELNS1_3gpuE7ELNS1_3repE0EEENS1_30default_config_static_selectorELNS0_4arch9wavefront6targetE1EEEvT1_,"axG",@progbits,_ZN7rocprim17ROCPRIM_400000_NS6detail17trampoline_kernelINS0_14default_configENS1_20scan_config_selectorIN3c108BFloat16EEEZZNS1_9scan_implILNS1_25lookback_scan_determinismE0ELb0ELb0ES3_PKS6_PS6_S6_ZZZN2at6native31launch_logcumsumexp_cuda_kernelERKNSD_10TensorBaseESH_lENKUlvE_clEvENKUlvE4_clEvEUlS6_S6_E_S6_EEDaPvRmT3_T4_T5_mT6_P12ihipStream_tbENKUlT_T0_E_clISt17integral_constantIbLb0EESX_IbLb1EEEEDaST_SU_EUlST_E_NS1_11comp_targetILNS1_3genE3ELNS1_11target_archE908ELNS1_3gpuE7ELNS1_3repE0EEENS1_30default_config_static_selectorELNS0_4arch9wavefront6targetE1EEEvT1_,comdat
	.globl	_ZN7rocprim17ROCPRIM_400000_NS6detail17trampoline_kernelINS0_14default_configENS1_20scan_config_selectorIN3c108BFloat16EEEZZNS1_9scan_implILNS1_25lookback_scan_determinismE0ELb0ELb0ES3_PKS6_PS6_S6_ZZZN2at6native31launch_logcumsumexp_cuda_kernelERKNSD_10TensorBaseESH_lENKUlvE_clEvENKUlvE4_clEvEUlS6_S6_E_S6_EEDaPvRmT3_T4_T5_mT6_P12ihipStream_tbENKUlT_T0_E_clISt17integral_constantIbLb0EESX_IbLb1EEEEDaST_SU_EUlST_E_NS1_11comp_targetILNS1_3genE3ELNS1_11target_archE908ELNS1_3gpuE7ELNS1_3repE0EEENS1_30default_config_static_selectorELNS0_4arch9wavefront6targetE1EEEvT1_ ; -- Begin function _ZN7rocprim17ROCPRIM_400000_NS6detail17trampoline_kernelINS0_14default_configENS1_20scan_config_selectorIN3c108BFloat16EEEZZNS1_9scan_implILNS1_25lookback_scan_determinismE0ELb0ELb0ES3_PKS6_PS6_S6_ZZZN2at6native31launch_logcumsumexp_cuda_kernelERKNSD_10TensorBaseESH_lENKUlvE_clEvENKUlvE4_clEvEUlS6_S6_E_S6_EEDaPvRmT3_T4_T5_mT6_P12ihipStream_tbENKUlT_T0_E_clISt17integral_constantIbLb0EESX_IbLb1EEEEDaST_SU_EUlST_E_NS1_11comp_targetILNS1_3genE3ELNS1_11target_archE908ELNS1_3gpuE7ELNS1_3repE0EEENS1_30default_config_static_selectorELNS0_4arch9wavefront6targetE1EEEvT1_
	.p2align	8
	.type	_ZN7rocprim17ROCPRIM_400000_NS6detail17trampoline_kernelINS0_14default_configENS1_20scan_config_selectorIN3c108BFloat16EEEZZNS1_9scan_implILNS1_25lookback_scan_determinismE0ELb0ELb0ES3_PKS6_PS6_S6_ZZZN2at6native31launch_logcumsumexp_cuda_kernelERKNSD_10TensorBaseESH_lENKUlvE_clEvENKUlvE4_clEvEUlS6_S6_E_S6_EEDaPvRmT3_T4_T5_mT6_P12ihipStream_tbENKUlT_T0_E_clISt17integral_constantIbLb0EESX_IbLb1EEEEDaST_SU_EUlST_E_NS1_11comp_targetILNS1_3genE3ELNS1_11target_archE908ELNS1_3gpuE7ELNS1_3repE0EEENS1_30default_config_static_selectorELNS0_4arch9wavefront6targetE1EEEvT1_,@function
_ZN7rocprim17ROCPRIM_400000_NS6detail17trampoline_kernelINS0_14default_configENS1_20scan_config_selectorIN3c108BFloat16EEEZZNS1_9scan_implILNS1_25lookback_scan_determinismE0ELb0ELb0ES3_PKS6_PS6_S6_ZZZN2at6native31launch_logcumsumexp_cuda_kernelERKNSD_10TensorBaseESH_lENKUlvE_clEvENKUlvE4_clEvEUlS6_S6_E_S6_EEDaPvRmT3_T4_T5_mT6_P12ihipStream_tbENKUlT_T0_E_clISt17integral_constantIbLb0EESX_IbLb1EEEEDaST_SU_EUlST_E_NS1_11comp_targetILNS1_3genE3ELNS1_11target_archE908ELNS1_3gpuE7ELNS1_3repE0EEENS1_30default_config_static_selectorELNS0_4arch9wavefront6targetE1EEEvT1_: ; @_ZN7rocprim17ROCPRIM_400000_NS6detail17trampoline_kernelINS0_14default_configENS1_20scan_config_selectorIN3c108BFloat16EEEZZNS1_9scan_implILNS1_25lookback_scan_determinismE0ELb0ELb0ES3_PKS6_PS6_S6_ZZZN2at6native31launch_logcumsumexp_cuda_kernelERKNSD_10TensorBaseESH_lENKUlvE_clEvENKUlvE4_clEvEUlS6_S6_E_S6_EEDaPvRmT3_T4_T5_mT6_P12ihipStream_tbENKUlT_T0_E_clISt17integral_constantIbLb0EESX_IbLb1EEEEDaST_SU_EUlST_E_NS1_11comp_targetILNS1_3genE3ELNS1_11target_archE908ELNS1_3gpuE7ELNS1_3repE0EEENS1_30default_config_static_selectorELNS0_4arch9wavefront6targetE1EEEvT1_
; %bb.0:
	.section	.rodata,"a",@progbits
	.p2align	6, 0x0
	.amdhsa_kernel _ZN7rocprim17ROCPRIM_400000_NS6detail17trampoline_kernelINS0_14default_configENS1_20scan_config_selectorIN3c108BFloat16EEEZZNS1_9scan_implILNS1_25lookback_scan_determinismE0ELb0ELb0ES3_PKS6_PS6_S6_ZZZN2at6native31launch_logcumsumexp_cuda_kernelERKNSD_10TensorBaseESH_lENKUlvE_clEvENKUlvE4_clEvEUlS6_S6_E_S6_EEDaPvRmT3_T4_T5_mT6_P12ihipStream_tbENKUlT_T0_E_clISt17integral_constantIbLb0EESX_IbLb1EEEEDaST_SU_EUlST_E_NS1_11comp_targetILNS1_3genE3ELNS1_11target_archE908ELNS1_3gpuE7ELNS1_3repE0EEENS1_30default_config_static_selectorELNS0_4arch9wavefront6targetE1EEEvT1_
		.amdhsa_group_segment_fixed_size 0
		.amdhsa_private_segment_fixed_size 0
		.amdhsa_kernarg_size 96
		.amdhsa_user_sgpr_count 6
		.amdhsa_user_sgpr_private_segment_buffer 1
		.amdhsa_user_sgpr_dispatch_ptr 0
		.amdhsa_user_sgpr_queue_ptr 0
		.amdhsa_user_sgpr_kernarg_segment_ptr 1
		.amdhsa_user_sgpr_dispatch_id 0
		.amdhsa_user_sgpr_flat_scratch_init 0
		.amdhsa_user_sgpr_private_segment_size 0
		.amdhsa_uses_dynamic_stack 0
		.amdhsa_system_sgpr_private_segment_wavefront_offset 0
		.amdhsa_system_sgpr_workgroup_id_x 1
		.amdhsa_system_sgpr_workgroup_id_y 0
		.amdhsa_system_sgpr_workgroup_id_z 0
		.amdhsa_system_sgpr_workgroup_info 0
		.amdhsa_system_vgpr_workitem_id 0
		.amdhsa_next_free_vgpr 1
		.amdhsa_next_free_sgpr 0
		.amdhsa_reserve_vcc 0
		.amdhsa_reserve_flat_scratch 0
		.amdhsa_float_round_mode_32 0
		.amdhsa_float_round_mode_16_64 0
		.amdhsa_float_denorm_mode_32 3
		.amdhsa_float_denorm_mode_16_64 3
		.amdhsa_dx10_clamp 1
		.amdhsa_ieee_mode 1
		.amdhsa_fp16_overflow 0
		.amdhsa_exception_fp_ieee_invalid_op 0
		.amdhsa_exception_fp_denorm_src 0
		.amdhsa_exception_fp_ieee_div_zero 0
		.amdhsa_exception_fp_ieee_overflow 0
		.amdhsa_exception_fp_ieee_underflow 0
		.amdhsa_exception_fp_ieee_inexact 0
		.amdhsa_exception_int_div_zero 0
	.end_amdhsa_kernel
	.section	.text._ZN7rocprim17ROCPRIM_400000_NS6detail17trampoline_kernelINS0_14default_configENS1_20scan_config_selectorIN3c108BFloat16EEEZZNS1_9scan_implILNS1_25lookback_scan_determinismE0ELb0ELb0ES3_PKS6_PS6_S6_ZZZN2at6native31launch_logcumsumexp_cuda_kernelERKNSD_10TensorBaseESH_lENKUlvE_clEvENKUlvE4_clEvEUlS6_S6_E_S6_EEDaPvRmT3_T4_T5_mT6_P12ihipStream_tbENKUlT_T0_E_clISt17integral_constantIbLb0EESX_IbLb1EEEEDaST_SU_EUlST_E_NS1_11comp_targetILNS1_3genE3ELNS1_11target_archE908ELNS1_3gpuE7ELNS1_3repE0EEENS1_30default_config_static_selectorELNS0_4arch9wavefront6targetE1EEEvT1_,"axG",@progbits,_ZN7rocprim17ROCPRIM_400000_NS6detail17trampoline_kernelINS0_14default_configENS1_20scan_config_selectorIN3c108BFloat16EEEZZNS1_9scan_implILNS1_25lookback_scan_determinismE0ELb0ELb0ES3_PKS6_PS6_S6_ZZZN2at6native31launch_logcumsumexp_cuda_kernelERKNSD_10TensorBaseESH_lENKUlvE_clEvENKUlvE4_clEvEUlS6_S6_E_S6_EEDaPvRmT3_T4_T5_mT6_P12ihipStream_tbENKUlT_T0_E_clISt17integral_constantIbLb0EESX_IbLb1EEEEDaST_SU_EUlST_E_NS1_11comp_targetILNS1_3genE3ELNS1_11target_archE908ELNS1_3gpuE7ELNS1_3repE0EEENS1_30default_config_static_selectorELNS0_4arch9wavefront6targetE1EEEvT1_,comdat
.Lfunc_end506:
	.size	_ZN7rocprim17ROCPRIM_400000_NS6detail17trampoline_kernelINS0_14default_configENS1_20scan_config_selectorIN3c108BFloat16EEEZZNS1_9scan_implILNS1_25lookback_scan_determinismE0ELb0ELb0ES3_PKS6_PS6_S6_ZZZN2at6native31launch_logcumsumexp_cuda_kernelERKNSD_10TensorBaseESH_lENKUlvE_clEvENKUlvE4_clEvEUlS6_S6_E_S6_EEDaPvRmT3_T4_T5_mT6_P12ihipStream_tbENKUlT_T0_E_clISt17integral_constantIbLb0EESX_IbLb1EEEEDaST_SU_EUlST_E_NS1_11comp_targetILNS1_3genE3ELNS1_11target_archE908ELNS1_3gpuE7ELNS1_3repE0EEENS1_30default_config_static_selectorELNS0_4arch9wavefront6targetE1EEEvT1_, .Lfunc_end506-_ZN7rocprim17ROCPRIM_400000_NS6detail17trampoline_kernelINS0_14default_configENS1_20scan_config_selectorIN3c108BFloat16EEEZZNS1_9scan_implILNS1_25lookback_scan_determinismE0ELb0ELb0ES3_PKS6_PS6_S6_ZZZN2at6native31launch_logcumsumexp_cuda_kernelERKNSD_10TensorBaseESH_lENKUlvE_clEvENKUlvE4_clEvEUlS6_S6_E_S6_EEDaPvRmT3_T4_T5_mT6_P12ihipStream_tbENKUlT_T0_E_clISt17integral_constantIbLb0EESX_IbLb1EEEEDaST_SU_EUlST_E_NS1_11comp_targetILNS1_3genE3ELNS1_11target_archE908ELNS1_3gpuE7ELNS1_3repE0EEENS1_30default_config_static_selectorELNS0_4arch9wavefront6targetE1EEEvT1_
                                        ; -- End function
	.set _ZN7rocprim17ROCPRIM_400000_NS6detail17trampoline_kernelINS0_14default_configENS1_20scan_config_selectorIN3c108BFloat16EEEZZNS1_9scan_implILNS1_25lookback_scan_determinismE0ELb0ELb0ES3_PKS6_PS6_S6_ZZZN2at6native31launch_logcumsumexp_cuda_kernelERKNSD_10TensorBaseESH_lENKUlvE_clEvENKUlvE4_clEvEUlS6_S6_E_S6_EEDaPvRmT3_T4_T5_mT6_P12ihipStream_tbENKUlT_T0_E_clISt17integral_constantIbLb0EESX_IbLb1EEEEDaST_SU_EUlST_E_NS1_11comp_targetILNS1_3genE3ELNS1_11target_archE908ELNS1_3gpuE7ELNS1_3repE0EEENS1_30default_config_static_selectorELNS0_4arch9wavefront6targetE1EEEvT1_.num_vgpr, 0
	.set _ZN7rocprim17ROCPRIM_400000_NS6detail17trampoline_kernelINS0_14default_configENS1_20scan_config_selectorIN3c108BFloat16EEEZZNS1_9scan_implILNS1_25lookback_scan_determinismE0ELb0ELb0ES3_PKS6_PS6_S6_ZZZN2at6native31launch_logcumsumexp_cuda_kernelERKNSD_10TensorBaseESH_lENKUlvE_clEvENKUlvE4_clEvEUlS6_S6_E_S6_EEDaPvRmT3_T4_T5_mT6_P12ihipStream_tbENKUlT_T0_E_clISt17integral_constantIbLb0EESX_IbLb1EEEEDaST_SU_EUlST_E_NS1_11comp_targetILNS1_3genE3ELNS1_11target_archE908ELNS1_3gpuE7ELNS1_3repE0EEENS1_30default_config_static_selectorELNS0_4arch9wavefront6targetE1EEEvT1_.num_agpr, 0
	.set _ZN7rocprim17ROCPRIM_400000_NS6detail17trampoline_kernelINS0_14default_configENS1_20scan_config_selectorIN3c108BFloat16EEEZZNS1_9scan_implILNS1_25lookback_scan_determinismE0ELb0ELb0ES3_PKS6_PS6_S6_ZZZN2at6native31launch_logcumsumexp_cuda_kernelERKNSD_10TensorBaseESH_lENKUlvE_clEvENKUlvE4_clEvEUlS6_S6_E_S6_EEDaPvRmT3_T4_T5_mT6_P12ihipStream_tbENKUlT_T0_E_clISt17integral_constantIbLb0EESX_IbLb1EEEEDaST_SU_EUlST_E_NS1_11comp_targetILNS1_3genE3ELNS1_11target_archE908ELNS1_3gpuE7ELNS1_3repE0EEENS1_30default_config_static_selectorELNS0_4arch9wavefront6targetE1EEEvT1_.numbered_sgpr, 0
	.set _ZN7rocprim17ROCPRIM_400000_NS6detail17trampoline_kernelINS0_14default_configENS1_20scan_config_selectorIN3c108BFloat16EEEZZNS1_9scan_implILNS1_25lookback_scan_determinismE0ELb0ELb0ES3_PKS6_PS6_S6_ZZZN2at6native31launch_logcumsumexp_cuda_kernelERKNSD_10TensorBaseESH_lENKUlvE_clEvENKUlvE4_clEvEUlS6_S6_E_S6_EEDaPvRmT3_T4_T5_mT6_P12ihipStream_tbENKUlT_T0_E_clISt17integral_constantIbLb0EESX_IbLb1EEEEDaST_SU_EUlST_E_NS1_11comp_targetILNS1_3genE3ELNS1_11target_archE908ELNS1_3gpuE7ELNS1_3repE0EEENS1_30default_config_static_selectorELNS0_4arch9wavefront6targetE1EEEvT1_.num_named_barrier, 0
	.set _ZN7rocprim17ROCPRIM_400000_NS6detail17trampoline_kernelINS0_14default_configENS1_20scan_config_selectorIN3c108BFloat16EEEZZNS1_9scan_implILNS1_25lookback_scan_determinismE0ELb0ELb0ES3_PKS6_PS6_S6_ZZZN2at6native31launch_logcumsumexp_cuda_kernelERKNSD_10TensorBaseESH_lENKUlvE_clEvENKUlvE4_clEvEUlS6_S6_E_S6_EEDaPvRmT3_T4_T5_mT6_P12ihipStream_tbENKUlT_T0_E_clISt17integral_constantIbLb0EESX_IbLb1EEEEDaST_SU_EUlST_E_NS1_11comp_targetILNS1_3genE3ELNS1_11target_archE908ELNS1_3gpuE7ELNS1_3repE0EEENS1_30default_config_static_selectorELNS0_4arch9wavefront6targetE1EEEvT1_.private_seg_size, 0
	.set _ZN7rocprim17ROCPRIM_400000_NS6detail17trampoline_kernelINS0_14default_configENS1_20scan_config_selectorIN3c108BFloat16EEEZZNS1_9scan_implILNS1_25lookback_scan_determinismE0ELb0ELb0ES3_PKS6_PS6_S6_ZZZN2at6native31launch_logcumsumexp_cuda_kernelERKNSD_10TensorBaseESH_lENKUlvE_clEvENKUlvE4_clEvEUlS6_S6_E_S6_EEDaPvRmT3_T4_T5_mT6_P12ihipStream_tbENKUlT_T0_E_clISt17integral_constantIbLb0EESX_IbLb1EEEEDaST_SU_EUlST_E_NS1_11comp_targetILNS1_3genE3ELNS1_11target_archE908ELNS1_3gpuE7ELNS1_3repE0EEENS1_30default_config_static_selectorELNS0_4arch9wavefront6targetE1EEEvT1_.uses_vcc, 0
	.set _ZN7rocprim17ROCPRIM_400000_NS6detail17trampoline_kernelINS0_14default_configENS1_20scan_config_selectorIN3c108BFloat16EEEZZNS1_9scan_implILNS1_25lookback_scan_determinismE0ELb0ELb0ES3_PKS6_PS6_S6_ZZZN2at6native31launch_logcumsumexp_cuda_kernelERKNSD_10TensorBaseESH_lENKUlvE_clEvENKUlvE4_clEvEUlS6_S6_E_S6_EEDaPvRmT3_T4_T5_mT6_P12ihipStream_tbENKUlT_T0_E_clISt17integral_constantIbLb0EESX_IbLb1EEEEDaST_SU_EUlST_E_NS1_11comp_targetILNS1_3genE3ELNS1_11target_archE908ELNS1_3gpuE7ELNS1_3repE0EEENS1_30default_config_static_selectorELNS0_4arch9wavefront6targetE1EEEvT1_.uses_flat_scratch, 0
	.set _ZN7rocprim17ROCPRIM_400000_NS6detail17trampoline_kernelINS0_14default_configENS1_20scan_config_selectorIN3c108BFloat16EEEZZNS1_9scan_implILNS1_25lookback_scan_determinismE0ELb0ELb0ES3_PKS6_PS6_S6_ZZZN2at6native31launch_logcumsumexp_cuda_kernelERKNSD_10TensorBaseESH_lENKUlvE_clEvENKUlvE4_clEvEUlS6_S6_E_S6_EEDaPvRmT3_T4_T5_mT6_P12ihipStream_tbENKUlT_T0_E_clISt17integral_constantIbLb0EESX_IbLb1EEEEDaST_SU_EUlST_E_NS1_11comp_targetILNS1_3genE3ELNS1_11target_archE908ELNS1_3gpuE7ELNS1_3repE0EEENS1_30default_config_static_selectorELNS0_4arch9wavefront6targetE1EEEvT1_.has_dyn_sized_stack, 0
	.set _ZN7rocprim17ROCPRIM_400000_NS6detail17trampoline_kernelINS0_14default_configENS1_20scan_config_selectorIN3c108BFloat16EEEZZNS1_9scan_implILNS1_25lookback_scan_determinismE0ELb0ELb0ES3_PKS6_PS6_S6_ZZZN2at6native31launch_logcumsumexp_cuda_kernelERKNSD_10TensorBaseESH_lENKUlvE_clEvENKUlvE4_clEvEUlS6_S6_E_S6_EEDaPvRmT3_T4_T5_mT6_P12ihipStream_tbENKUlT_T0_E_clISt17integral_constantIbLb0EESX_IbLb1EEEEDaST_SU_EUlST_E_NS1_11comp_targetILNS1_3genE3ELNS1_11target_archE908ELNS1_3gpuE7ELNS1_3repE0EEENS1_30default_config_static_selectorELNS0_4arch9wavefront6targetE1EEEvT1_.has_recursion, 0
	.set _ZN7rocprim17ROCPRIM_400000_NS6detail17trampoline_kernelINS0_14default_configENS1_20scan_config_selectorIN3c108BFloat16EEEZZNS1_9scan_implILNS1_25lookback_scan_determinismE0ELb0ELb0ES3_PKS6_PS6_S6_ZZZN2at6native31launch_logcumsumexp_cuda_kernelERKNSD_10TensorBaseESH_lENKUlvE_clEvENKUlvE4_clEvEUlS6_S6_E_S6_EEDaPvRmT3_T4_T5_mT6_P12ihipStream_tbENKUlT_T0_E_clISt17integral_constantIbLb0EESX_IbLb1EEEEDaST_SU_EUlST_E_NS1_11comp_targetILNS1_3genE3ELNS1_11target_archE908ELNS1_3gpuE7ELNS1_3repE0EEENS1_30default_config_static_selectorELNS0_4arch9wavefront6targetE1EEEvT1_.has_indirect_call, 0
	.section	.AMDGPU.csdata,"",@progbits
; Kernel info:
; codeLenInByte = 0
; TotalNumSgprs: 4
; NumVgprs: 0
; ScratchSize: 0
; MemoryBound: 0
; FloatMode: 240
; IeeeMode: 1
; LDSByteSize: 0 bytes/workgroup (compile time only)
; SGPRBlocks: 0
; VGPRBlocks: 0
; NumSGPRsForWavesPerEU: 4
; NumVGPRsForWavesPerEU: 1
; Occupancy: 10
; WaveLimiterHint : 0
; COMPUTE_PGM_RSRC2:SCRATCH_EN: 0
; COMPUTE_PGM_RSRC2:USER_SGPR: 6
; COMPUTE_PGM_RSRC2:TRAP_HANDLER: 0
; COMPUTE_PGM_RSRC2:TGID_X_EN: 1
; COMPUTE_PGM_RSRC2:TGID_Y_EN: 0
; COMPUTE_PGM_RSRC2:TGID_Z_EN: 0
; COMPUTE_PGM_RSRC2:TIDIG_COMP_CNT: 0
	.section	.text._ZN7rocprim17ROCPRIM_400000_NS6detail17trampoline_kernelINS0_14default_configENS1_20scan_config_selectorIN3c108BFloat16EEEZZNS1_9scan_implILNS1_25lookback_scan_determinismE0ELb0ELb0ES3_PKS6_PS6_S6_ZZZN2at6native31launch_logcumsumexp_cuda_kernelERKNSD_10TensorBaseESH_lENKUlvE_clEvENKUlvE4_clEvEUlS6_S6_E_S6_EEDaPvRmT3_T4_T5_mT6_P12ihipStream_tbENKUlT_T0_E_clISt17integral_constantIbLb0EESX_IbLb1EEEEDaST_SU_EUlST_E_NS1_11comp_targetILNS1_3genE2ELNS1_11target_archE906ELNS1_3gpuE6ELNS1_3repE0EEENS1_30default_config_static_selectorELNS0_4arch9wavefront6targetE1EEEvT1_,"axG",@progbits,_ZN7rocprim17ROCPRIM_400000_NS6detail17trampoline_kernelINS0_14default_configENS1_20scan_config_selectorIN3c108BFloat16EEEZZNS1_9scan_implILNS1_25lookback_scan_determinismE0ELb0ELb0ES3_PKS6_PS6_S6_ZZZN2at6native31launch_logcumsumexp_cuda_kernelERKNSD_10TensorBaseESH_lENKUlvE_clEvENKUlvE4_clEvEUlS6_S6_E_S6_EEDaPvRmT3_T4_T5_mT6_P12ihipStream_tbENKUlT_T0_E_clISt17integral_constantIbLb0EESX_IbLb1EEEEDaST_SU_EUlST_E_NS1_11comp_targetILNS1_3genE2ELNS1_11target_archE906ELNS1_3gpuE6ELNS1_3repE0EEENS1_30default_config_static_selectorELNS0_4arch9wavefront6targetE1EEEvT1_,comdat
	.globl	_ZN7rocprim17ROCPRIM_400000_NS6detail17trampoline_kernelINS0_14default_configENS1_20scan_config_selectorIN3c108BFloat16EEEZZNS1_9scan_implILNS1_25lookback_scan_determinismE0ELb0ELb0ES3_PKS6_PS6_S6_ZZZN2at6native31launch_logcumsumexp_cuda_kernelERKNSD_10TensorBaseESH_lENKUlvE_clEvENKUlvE4_clEvEUlS6_S6_E_S6_EEDaPvRmT3_T4_T5_mT6_P12ihipStream_tbENKUlT_T0_E_clISt17integral_constantIbLb0EESX_IbLb1EEEEDaST_SU_EUlST_E_NS1_11comp_targetILNS1_3genE2ELNS1_11target_archE906ELNS1_3gpuE6ELNS1_3repE0EEENS1_30default_config_static_selectorELNS0_4arch9wavefront6targetE1EEEvT1_ ; -- Begin function _ZN7rocprim17ROCPRIM_400000_NS6detail17trampoline_kernelINS0_14default_configENS1_20scan_config_selectorIN3c108BFloat16EEEZZNS1_9scan_implILNS1_25lookback_scan_determinismE0ELb0ELb0ES3_PKS6_PS6_S6_ZZZN2at6native31launch_logcumsumexp_cuda_kernelERKNSD_10TensorBaseESH_lENKUlvE_clEvENKUlvE4_clEvEUlS6_S6_E_S6_EEDaPvRmT3_T4_T5_mT6_P12ihipStream_tbENKUlT_T0_E_clISt17integral_constantIbLb0EESX_IbLb1EEEEDaST_SU_EUlST_E_NS1_11comp_targetILNS1_3genE2ELNS1_11target_archE906ELNS1_3gpuE6ELNS1_3repE0EEENS1_30default_config_static_selectorELNS0_4arch9wavefront6targetE1EEEvT1_
	.p2align	8
	.type	_ZN7rocprim17ROCPRIM_400000_NS6detail17trampoline_kernelINS0_14default_configENS1_20scan_config_selectorIN3c108BFloat16EEEZZNS1_9scan_implILNS1_25lookback_scan_determinismE0ELb0ELb0ES3_PKS6_PS6_S6_ZZZN2at6native31launch_logcumsumexp_cuda_kernelERKNSD_10TensorBaseESH_lENKUlvE_clEvENKUlvE4_clEvEUlS6_S6_E_S6_EEDaPvRmT3_T4_T5_mT6_P12ihipStream_tbENKUlT_T0_E_clISt17integral_constantIbLb0EESX_IbLb1EEEEDaST_SU_EUlST_E_NS1_11comp_targetILNS1_3genE2ELNS1_11target_archE906ELNS1_3gpuE6ELNS1_3repE0EEENS1_30default_config_static_selectorELNS0_4arch9wavefront6targetE1EEEvT1_,@function
_ZN7rocprim17ROCPRIM_400000_NS6detail17trampoline_kernelINS0_14default_configENS1_20scan_config_selectorIN3c108BFloat16EEEZZNS1_9scan_implILNS1_25lookback_scan_determinismE0ELb0ELb0ES3_PKS6_PS6_S6_ZZZN2at6native31launch_logcumsumexp_cuda_kernelERKNSD_10TensorBaseESH_lENKUlvE_clEvENKUlvE4_clEvEUlS6_S6_E_S6_EEDaPvRmT3_T4_T5_mT6_P12ihipStream_tbENKUlT_T0_E_clISt17integral_constantIbLb0EESX_IbLb1EEEEDaST_SU_EUlST_E_NS1_11comp_targetILNS1_3genE2ELNS1_11target_archE906ELNS1_3gpuE6ELNS1_3repE0EEENS1_30default_config_static_selectorELNS0_4arch9wavefront6targetE1EEEvT1_: ; @_ZN7rocprim17ROCPRIM_400000_NS6detail17trampoline_kernelINS0_14default_configENS1_20scan_config_selectorIN3c108BFloat16EEEZZNS1_9scan_implILNS1_25lookback_scan_determinismE0ELb0ELb0ES3_PKS6_PS6_S6_ZZZN2at6native31launch_logcumsumexp_cuda_kernelERKNSD_10TensorBaseESH_lENKUlvE_clEvENKUlvE4_clEvEUlS6_S6_E_S6_EEDaPvRmT3_T4_T5_mT6_P12ihipStream_tbENKUlT_T0_E_clISt17integral_constantIbLb0EESX_IbLb1EEEEDaST_SU_EUlST_E_NS1_11comp_targetILNS1_3genE2ELNS1_11target_archE906ELNS1_3gpuE6ELNS1_3repE0EEENS1_30default_config_static_selectorELNS0_4arch9wavefront6targetE1EEEvT1_
; %bb.0:
	s_load_dwordx2 s[80:81], s[4:5], 0x28
	v_cmp_ne_u32_e64 s[2:3], 0, v0
	v_cmp_eq_u32_e64 s[60:61], 0, v0
	s_and_saveexec_b64 s[0:1], s[60:61]
	s_cbranch_execz .LBB507_4
; %bb.1:
	s_mov_b64 s[8:9], exec
	v_mbcnt_lo_u32_b32 v1, s8, 0
	v_mbcnt_hi_u32_b32 v1, s9, v1
	v_cmp_eq_u32_e32 vcc, 0, v1
                                        ; implicit-def: $vgpr2
	s_and_saveexec_b64 s[6:7], vcc
	s_cbranch_execz .LBB507_3
; %bb.2:
	s_load_dwordx2 s[10:11], s[4:5], 0x58
	s_bcnt1_i32_b64 s8, s[8:9]
	v_mov_b32_e32 v2, 0
	v_mov_b32_e32 v3, s8
	s_waitcnt lgkmcnt(0)
	global_atomic_add v2, v2, v3, s[10:11] glc
.LBB507_3:
	s_or_b64 exec, exec, s[6:7]
	s_waitcnt vmcnt(0)
	v_readfirstlane_b32 s6, v2
	v_add_u32_e32 v1, s6, v1
	v_mov_b32_e32 v2, 0
	ds_write_b32 v2, v1
.LBB507_4:
	s_or_b64 exec, exec, s[0:1]
	s_load_dwordx8 s[72:79], s[4:5], 0x0
	s_load_dword s0, s[4:5], 0x30
	s_load_dwordx8 s[64:71], s[4:5], 0x38
	v_mov_b32_e32 v1, 0
	s_waitcnt lgkmcnt(0)
	s_barrier
	ds_read_b32 v1, v1
	s_lshl_b64 s[62:63], s[74:75], 1
	s_add_u32 s6, s72, s62
	s_addc_u32 s7, s73, s63
	s_add_i32 s0, s0, -1
	s_waitcnt lgkmcnt(0)
	v_readfirstlane_b32 s83, v1
	s_mul_i32 s1, s0, 0x1800
	s_mul_i32 s4, s83, 0x1800
	s_mov_b32 s5, 0
	s_sub_u32 s33, s78, s1
	s_subb_u32 s82, s79, 0
	s_lshl_b64 s[72:73], s[4:5], 1
	v_cmp_ne_u32_e64 s[0:1], s0, v1
	s_add_u32 s6, s6, s72
	s_addc_u32 s7, s7, s73
	s_mov_b64 s[4:5], -1
	s_and_b64 vcc, exec, s[0:1]
	v_lshlrev_b32_e32 v19, 1, v0
	s_barrier
	s_cbranch_vccz .LBB507_6
; %bb.5:
	v_mov_b32_e32 v1, s7
	v_add_co_u32_e32 v3, vcc, s6, v19
	v_addc_co_u32_e32 v4, vcc, 0, v1, vcc
	v_add_co_u32_e32 v1, vcc, 0x1000, v3
	v_addc_co_u32_e32 v2, vcc, 0, v4, vcc
	global_load_ushort v5, v19, s[6:7]
	global_load_ushort v6, v19, s[6:7] offset:512
	global_load_ushort v7, v19, s[6:7] offset:1024
	;; [unrolled: 1-line block ×7, first 2 shown]
	global_load_ushort v13, v[1:2], off
	global_load_ushort v14, v[1:2], off offset:512
	global_load_ushort v15, v[1:2], off offset:1024
	;; [unrolled: 1-line block ×7, first 2 shown]
	v_add_co_u32_e32 v1, vcc, 0x2000, v3
	v_addc_co_u32_e32 v2, vcc, 0, v4, vcc
	global_load_ushort v3, v[1:2], off
	global_load_ushort v4, v[1:2], off offset:512
	global_load_ushort v22, v[1:2], off offset:1024
	;; [unrolled: 1-line block ×7, first 2 shown]
	s_mov_b64 s[4:5], 0
	s_waitcnt vmcnt(23)
	ds_write_b16 v19, v5
	s_waitcnt vmcnt(22)
	ds_write_b16 v19, v6 offset:512
	s_waitcnt vmcnt(21)
	ds_write_b16 v19, v7 offset:1024
	;; [unrolled: 2-line block ×23, first 2 shown]
	s_waitcnt lgkmcnt(0)
	s_barrier
.LBB507_6:
	s_andn2_b64 vcc, exec, s[4:5]
	v_cmp_gt_u32_e64 s[4:5], s33, v0
	s_cbranch_vccnz .LBB507_56
; %bb.7:
	v_mov_b32_e32 v1, 0
	global_load_ushort v1, v1, s[6:7]
	s_waitcnt vmcnt(0)
	v_mov_b32_e32 v2, v1
	s_and_saveexec_b64 s[8:9], s[4:5]
	s_cbranch_execz .LBB507_9
; %bb.8:
	global_load_ushort v2, v19, s[6:7]
.LBB507_9:
	s_or_b64 exec, exec, s[8:9]
	v_or_b32_e32 v3, 0x100, v0
	v_cmp_gt_u32_e32 vcc, s33, v3
	v_mov_b32_e32 v3, v1
	s_and_saveexec_b64 s[4:5], vcc
	s_cbranch_execz .LBB507_11
; %bb.10:
	global_load_ushort v3, v19, s[6:7] offset:512
.LBB507_11:
	s_or_b64 exec, exec, s[4:5]
	v_or_b32_e32 v4, 0x200, v0
	v_cmp_gt_u32_e32 vcc, s33, v4
	v_mov_b32_e32 v4, v1
	s_and_saveexec_b64 s[4:5], vcc
	s_cbranch_execz .LBB507_13
; %bb.12:
	global_load_ushort v4, v19, s[6:7] offset:1024
.LBB507_13:
	s_or_b64 exec, exec, s[4:5]
	v_or_b32_e32 v5, 0x300, v0
	v_cmp_gt_u32_e32 vcc, s33, v5
	v_mov_b32_e32 v5, v1
	s_and_saveexec_b64 s[4:5], vcc
	s_cbranch_execz .LBB507_15
; %bb.14:
	global_load_ushort v5, v19, s[6:7] offset:1536
.LBB507_15:
	s_or_b64 exec, exec, s[4:5]
	v_or_b32_e32 v6, 0x400, v0
	v_cmp_gt_u32_e32 vcc, s33, v6
	v_mov_b32_e32 v6, v1
	s_and_saveexec_b64 s[4:5], vcc
	s_cbranch_execz .LBB507_17
; %bb.16:
	global_load_ushort v6, v19, s[6:7] offset:2048
.LBB507_17:
	s_or_b64 exec, exec, s[4:5]
	v_or_b32_e32 v7, 0x500, v0
	v_cmp_gt_u32_e32 vcc, s33, v7
	v_mov_b32_e32 v7, v1
	s_and_saveexec_b64 s[4:5], vcc
	s_cbranch_execz .LBB507_19
; %bb.18:
	global_load_ushort v7, v19, s[6:7] offset:2560
.LBB507_19:
	s_or_b64 exec, exec, s[4:5]
	v_or_b32_e32 v8, 0x600, v0
	v_cmp_gt_u32_e32 vcc, s33, v8
	v_mov_b32_e32 v8, v1
	s_and_saveexec_b64 s[4:5], vcc
	s_cbranch_execz .LBB507_21
; %bb.20:
	global_load_ushort v8, v19, s[6:7] offset:3072
.LBB507_21:
	s_or_b64 exec, exec, s[4:5]
	v_or_b32_e32 v9, 0x700, v0
	v_cmp_gt_u32_e32 vcc, s33, v9
	v_mov_b32_e32 v9, v1
	s_and_saveexec_b64 s[4:5], vcc
	s_cbranch_execz .LBB507_23
; %bb.22:
	global_load_ushort v9, v19, s[6:7] offset:3584
.LBB507_23:
	s_or_b64 exec, exec, s[4:5]
	v_or_b32_e32 v11, 0x800, v0
	v_cmp_gt_u32_e32 vcc, s33, v11
	v_mov_b32_e32 v10, v1
	s_and_saveexec_b64 s[4:5], vcc
	s_cbranch_execz .LBB507_25
; %bb.24:
	v_lshlrev_b32_e32 v10, 1, v11
	global_load_ushort v10, v10, s[6:7]
.LBB507_25:
	s_or_b64 exec, exec, s[4:5]
	v_or_b32_e32 v12, 0x900, v0
	v_cmp_gt_u32_e32 vcc, s33, v12
	v_mov_b32_e32 v11, v1
	s_and_saveexec_b64 s[4:5], vcc
	s_cbranch_execz .LBB507_27
; %bb.26:
	v_lshlrev_b32_e32 v11, 1, v12
	global_load_ushort v11, v11, s[6:7]
.LBB507_27:
	;; [unrolled: 10-line block ×15, first 2 shown]
	s_or_b64 exec, exec, s[4:5]
	v_or_b32_e32 v26, 0x1700, v0
	v_cmp_gt_u32_e32 vcc, s33, v26
	s_and_saveexec_b64 s[4:5], vcc
	s_cbranch_execz .LBB507_55
; %bb.54:
	v_lshlrev_b32_e32 v1, 1, v26
	global_load_ushort v1, v1, s[6:7]
.LBB507_55:
	s_or_b64 exec, exec, s[4:5]
	s_waitcnt vmcnt(0)
	ds_write_b16 v19, v2
	ds_write_b16 v19, v3 offset:512
	ds_write_b16 v19, v4 offset:1024
	ds_write_b16 v19, v5 offset:1536
	ds_write_b16 v19, v6 offset:2048
	ds_write_b16 v19, v7 offset:2560
	ds_write_b16 v19, v8 offset:3072
	ds_write_b16 v19, v9 offset:3584
	ds_write_b16 v19, v10 offset:4096
	ds_write_b16 v19, v11 offset:4608
	ds_write_b16 v19, v12 offset:5120
	ds_write_b16 v19, v13 offset:5632
	ds_write_b16 v19, v14 offset:6144
	ds_write_b16 v19, v15 offset:6656
	ds_write_b16 v19, v16 offset:7168
	ds_write_b16 v19, v17 offset:7680
	ds_write_b16 v19, v18 offset:8192
	ds_write_b16 v19, v20 offset:8704
	ds_write_b16 v19, v21 offset:9216
	ds_write_b16 v19, v22 offset:9728
	ds_write_b16 v19, v23 offset:10240
	ds_write_b16 v19, v24 offset:10752
	ds_write_b16 v19, v25 offset:11264
	ds_write_b16 v19, v1 offset:11776
	s_waitcnt lgkmcnt(0)
	s_barrier
.LBB507_56:
	v_mul_u32_u24_e32 v20, 48, v0
	ds_read_b128 v[9:12], v20
	ds_read_b128 v[5:8], v20 offset:16
	ds_read_b128 v[1:4], v20 offset:32
	s_cmp_lg_u32 s83, 0
	s_waitcnt lgkmcnt(0)
	s_barrier
	s_cbranch_scc0 .LBB507_210
; %bb.57:
	v_mov_b32_e32 v13, 16
	v_lshlrev_b32_e32 v67, 16, v9
	v_lshlrev_b32_sdwa v21, v13, v9 dst_sel:DWORD dst_unused:UNUSED_PAD src0_sel:DWORD src1_sel:WORD_1
	v_max_f32_e32 v22, v21, v21
	v_max_f32_e32 v68, v67, v67
	v_min_f32_e32 v14, v68, v22
	v_cmp_u_f32_e64 s[54:55], v67, v67
	v_cndmask_b32_e64 v14, v14, v67, s[54:55]
	v_cmp_u_f32_e64 s[6:7], v21, v21
	v_cndmask_b32_e64 v16, v14, v21, s[6:7]
	v_max_f32_e32 v14, v68, v22
	v_cndmask_b32_e64 v14, v14, v67, s[54:55]
	v_cndmask_b32_e64 v14, v14, v21, s[6:7]
	s_movk_i32 s10, 0x1f8
	v_cmp_neq_f32_e32 vcc, v16, v14
	v_cmp_class_f32_e64 s[4:5], v16, s10
	s_or_b64 s[8:9], vcc, s[4:5]
	v_mov_b32_e32 v15, v67
	s_and_saveexec_b64 s[4:5], s[8:9]
	s_cbranch_execz .LBB507_59
; %bb.58:
	v_sub_f32_e32 v15, v16, v14
	s_mov_b32 s8, 0x3fb8aa3b
	v_mul_f32_e32 v16, 0x3fb8aa3b, v15
	v_fma_f32 v17, v15, s8, -v16
	v_rndne_f32_e32 v18, v16
	v_fmac_f32_e32 v17, 0x32a5705f, v15
	v_sub_f32_e32 v16, v16, v18
	v_add_f32_e32 v16, v16, v17
	v_exp_f32_e32 v16, v16
	v_cvt_i32_f32_e32 v17, v18
	s_mov_b32 s8, 0xc2ce8ed0
	v_cmp_ngt_f32_e32 vcc, s8, v15
	s_mov_b32 s8, 0x42b17218
	v_ldexp_f32 v16, v16, v17
	v_cndmask_b32_e32 v16, 0, v16, vcc
	v_mov_b32_e32 v17, 0x7f800000
	v_cmp_nlt_f32_e32 vcc, s8, v15
	v_cndmask_b32_e32 v18, v17, v16, vcc
	v_add_f32_e32 v23, 1.0, v18
	v_cvt_f64_f32_e32 v[15:16], v23
	v_add_f32_e32 v24, -1.0, v23
	v_sub_f32_e32 v25, v24, v23
	v_sub_f32_e32 v24, v18, v24
	v_frexp_exp_i32_f64_e32 v15, v[15:16]
	v_add_f32_e32 v16, 1.0, v25
	v_add_f32_e32 v16, v24, v16
	v_frexp_mant_f32_e32 v24, v23
	s_mov_b32 s9, 0x3f2aaaab
	v_cmp_gt_f32_e32 vcc, s9, v24
	s_mov_b32 s9, 0x3f317218
	s_mov_b32 s8, 0x7f800000
	v_subbrev_co_u32_e32 v15, vcc, 0, v15, vcc
	v_sub_u32_e32 v24, 0, v15
	v_ldexp_f32 v23, v23, v24
	v_ldexp_f32 v16, v16, v24
	v_add_f32_e32 v24, -1.0, v23
	v_add_f32_e32 v27, 1.0, v23
	v_add_f32_e32 v25, 1.0, v24
	v_add_f32_e32 v28, -1.0, v27
	v_sub_f32_e32 v25, v23, v25
	v_sub_f32_e32 v23, v23, v28
	v_add_f32_e32 v25, v16, v25
	v_add_f32_e32 v16, v16, v23
	;; [unrolled: 1-line block ×3, first 2 shown]
	v_rcp_f32_e32 v28, v23
	v_add_f32_e32 v26, v24, v25
	v_sub_f32_e32 v24, v24, v26
	v_add_f32_e32 v24, v25, v24
	v_sub_f32_e32 v25, v27, v23
	v_add_f32_e32 v16, v16, v25
	v_mul_f32_e32 v25, v26, v28
	v_mul_f32_e32 v27, v23, v25
	v_fma_f32 v29, v25, v23, -v27
	v_fmac_f32_e32 v29, v25, v16
	v_add_f32_e32 v30, v27, v29
	v_sub_f32_e32 v31, v26, v30
	v_sub_f32_e32 v26, v26, v31
	;; [unrolled: 1-line block ×4, first 2 shown]
	v_add_f32_e32 v24, v24, v26
	v_sub_f32_e32 v26, v27, v29
	v_add_f32_e32 v24, v26, v24
	v_add_f32_e32 v26, v31, v24
	v_mul_f32_e32 v27, v28, v26
	v_mul_f32_e32 v29, v23, v27
	v_fma_f32 v23, v27, v23, -v29
	v_fmac_f32_e32 v23, v27, v16
	v_sub_f32_e32 v16, v31, v26
	v_add_f32_e32 v16, v24, v16
	v_add_f32_e32 v24, v29, v23
	v_sub_f32_e32 v30, v26, v24
	v_sub_f32_e32 v26, v26, v30
	;; [unrolled: 1-line block ×4, first 2 shown]
	v_add_f32_e32 v16, v16, v24
	v_sub_f32_e32 v23, v29, v23
	v_add_f32_e32 v16, v23, v16
	v_add_f32_e32 v23, v25, v27
	;; [unrolled: 1-line block ×3, first 2 shown]
	v_sub_f32_e32 v24, v23, v25
	v_mul_f32_e32 v16, v28, v16
	v_sub_f32_e32 v24, v27, v24
	v_add_f32_e32 v16, v24, v16
	v_cvt_f32_i32_e32 v15, v15
	v_add_f32_e32 v24, v23, v16
	v_mul_f32_e32 v25, v24, v24
	v_mov_b32_e32 v26, 0x3ecc95a3
	v_fmac_f32_e32 v26, 0x3e9b6dac, v25
	v_mov_b32_e32 v27, 0x3f2aaada
	v_fmac_f32_e32 v27, v25, v26
	v_mul_f32_e32 v26, 0x3f317218, v15
	v_fma_f32 v28, v15, s9, -v26
	v_fmac_f32_e32 v28, 0xb102e308, v15
	v_sub_f32_e32 v15, v24, v23
	v_sub_f32_e32 v15, v16, v15
	v_add_f32_e32 v16, v26, v28
	v_sub_f32_e32 v23, v16, v26
	v_ldexp_f32 v26, v24, 1
	v_mul_f32_e32 v24, v24, v25
	v_mul_f32_e32 v24, v24, v27
	v_add_f32_e32 v25, v26, v24
	v_sub_f32_e32 v26, v25, v26
	v_ldexp_f32 v15, v15, 1
	v_sub_f32_e32 v24, v24, v26
	v_add_f32_e32 v15, v15, v24
	v_add_f32_e32 v24, v25, v15
	v_sub_f32_e32 v25, v24, v25
	v_sub_f32_e32 v15, v15, v25
	v_add_f32_e32 v25, v16, v24
	v_sub_f32_e32 v26, v25, v16
	v_sub_f32_e32 v27, v25, v26
	;; [unrolled: 1-line block ×5, first 2 shown]
	v_add_f32_e32 v16, v24, v16
	v_add_f32_e32 v24, v23, v15
	v_sub_f32_e32 v26, v24, v23
	v_sub_f32_e32 v27, v24, v26
	v_sub_f32_e32 v23, v23, v27
	v_sub_f32_e32 v15, v15, v26
	v_add_f32_e32 v16, v24, v16
	v_add_f32_e32 v15, v15, v23
	;; [unrolled: 1-line block ×3, first 2 shown]
	v_sub_f32_e32 v24, v23, v25
	v_sub_f32_e32 v16, v16, v24
	v_add_f32_e32 v15, v15, v16
	v_add_f32_e32 v15, v23, v15
	v_cmp_neq_f32_e32 vcc, s8, v18
	s_mov_b32 s8, 0x33800000
	v_cndmask_b32_e32 v15, v17, v15, vcc
	v_cmp_lt_f32_e64 vcc, |v18|, s8
	v_cndmask_b32_e32 v15, v15, v18, vcc
	v_add_f32_e32 v15, v14, v15
.LBB507_59:
	s_or_b64 exec, exec, s[4:5]
	v_bfe_u32 v14, v15, 16, 1
	s_movk_i32 s11, 0x7fff
	v_add3_u32 v14, v15, v14, s11
	v_and_b32_e32 v16, 0xffff0000, v14
	v_mov_b32_e32 v14, 0x7fc00000
	v_cmp_o_f32_e32 vcc, v15, v15
	v_cndmask_b32_e32 v15, v14, v16, vcc
	v_lshlrev_b32_sdwa v23, v13, v10 dst_sel:DWORD dst_unused:UNUSED_PAD src0_sel:DWORD src1_sel:WORD_0
	v_max_f32_e32 v13, v15, v15
	v_max_f32_e32 v25, v23, v23
	v_min_f32_e32 v16, v13, v25
	v_cmp_u_f32_e32 vcc, v15, v15
	v_max_f32_e32 v13, v13, v25
	v_cndmask_b32_e32 v16, v16, v15, vcc
	v_cmp_u_f32_e64 s[8:9], v23, v23
	v_cndmask_b32_e32 v13, v13, v15, vcc
	v_cndmask_b32_e64 v16, v16, v23, s[8:9]
	v_cndmask_b32_e64 v13, v13, v23, s[8:9]
	v_cmp_neq_f32_e32 vcc, v16, v13
	v_cmp_class_f32_e64 s[4:5], v16, s10
	s_or_b64 s[12:13], vcc, s[4:5]
	s_and_saveexec_b64 s[4:5], s[12:13]
	s_cbranch_execz .LBB507_61
; %bb.60:
	v_sub_f32_e32 v15, v16, v13
	s_mov_b32 s10, 0x3fb8aa3b
	v_mul_f32_e32 v16, 0x3fb8aa3b, v15
	v_fma_f32 v17, v15, s10, -v16
	v_rndne_f32_e32 v18, v16
	v_fmac_f32_e32 v17, 0x32a5705f, v15
	v_sub_f32_e32 v16, v16, v18
	v_add_f32_e32 v16, v16, v17
	v_exp_f32_e32 v16, v16
	v_cvt_i32_f32_e32 v17, v18
	s_mov_b32 s10, 0xc2ce8ed0
	v_cmp_ngt_f32_e32 vcc, s10, v15
	s_mov_b32 s10, 0x42b17218
	v_ldexp_f32 v16, v16, v17
	v_cndmask_b32_e32 v16, 0, v16, vcc
	v_mov_b32_e32 v17, 0x7f800000
	v_cmp_nlt_f32_e32 vcc, s10, v15
	v_cndmask_b32_e32 v18, v17, v16, vcc
	v_add_f32_e32 v24, 1.0, v18
	v_cvt_f64_f32_e32 v[15:16], v24
	v_add_f32_e32 v26, -1.0, v24
	v_sub_f32_e32 v27, v26, v24
	v_sub_f32_e32 v26, v18, v26
	v_frexp_exp_i32_f64_e32 v15, v[15:16]
	v_add_f32_e32 v16, 1.0, v27
	v_add_f32_e32 v16, v26, v16
	v_frexp_mant_f32_e32 v26, v24
	s_mov_b32 s12, 0x3f2aaaab
	v_cmp_gt_f32_e32 vcc, s12, v26
	s_mov_b32 s12, 0x3f317218
	s_mov_b32 s10, 0x7f800000
	v_subbrev_co_u32_e32 v15, vcc, 0, v15, vcc
	v_sub_u32_e32 v26, 0, v15
	v_ldexp_f32 v24, v24, v26
	v_ldexp_f32 v16, v16, v26
	v_add_f32_e32 v26, -1.0, v24
	v_add_f32_e32 v29, 1.0, v24
	v_add_f32_e32 v27, 1.0, v26
	v_add_f32_e32 v30, -1.0, v29
	v_sub_f32_e32 v27, v24, v27
	v_sub_f32_e32 v24, v24, v30
	v_add_f32_e32 v27, v16, v27
	v_add_f32_e32 v16, v16, v24
	;; [unrolled: 1-line block ×3, first 2 shown]
	v_rcp_f32_e32 v30, v24
	v_add_f32_e32 v28, v26, v27
	v_sub_f32_e32 v26, v26, v28
	v_add_f32_e32 v26, v27, v26
	v_sub_f32_e32 v27, v29, v24
	v_add_f32_e32 v16, v16, v27
	v_mul_f32_e32 v27, v28, v30
	v_mul_f32_e32 v29, v24, v27
	v_fma_f32 v31, v27, v24, -v29
	v_fmac_f32_e32 v31, v27, v16
	v_add_f32_e32 v32, v29, v31
	v_sub_f32_e32 v33, v28, v32
	v_sub_f32_e32 v28, v28, v33
	;; [unrolled: 1-line block ×4, first 2 shown]
	v_add_f32_e32 v26, v26, v28
	v_sub_f32_e32 v28, v29, v31
	v_add_f32_e32 v26, v28, v26
	v_add_f32_e32 v28, v33, v26
	v_mul_f32_e32 v29, v30, v28
	v_mul_f32_e32 v31, v24, v29
	v_fma_f32 v24, v29, v24, -v31
	v_fmac_f32_e32 v24, v29, v16
	v_sub_f32_e32 v16, v33, v28
	v_add_f32_e32 v16, v26, v16
	v_add_f32_e32 v26, v31, v24
	v_sub_f32_e32 v32, v28, v26
	v_sub_f32_e32 v28, v28, v32
	;; [unrolled: 1-line block ×4, first 2 shown]
	v_add_f32_e32 v16, v16, v26
	v_sub_f32_e32 v24, v31, v24
	v_add_f32_e32 v16, v24, v16
	v_add_f32_e32 v24, v27, v29
	;; [unrolled: 1-line block ×3, first 2 shown]
	v_sub_f32_e32 v26, v24, v27
	v_mul_f32_e32 v16, v30, v16
	v_sub_f32_e32 v26, v29, v26
	v_add_f32_e32 v16, v26, v16
	v_cvt_f32_i32_e32 v15, v15
	v_add_f32_e32 v26, v24, v16
	v_mul_f32_e32 v27, v26, v26
	v_mov_b32_e32 v28, 0x3ecc95a3
	v_fmac_f32_e32 v28, 0x3e9b6dac, v27
	v_mov_b32_e32 v29, 0x3f2aaada
	v_fmac_f32_e32 v29, v27, v28
	v_mul_f32_e32 v28, 0x3f317218, v15
	v_fma_f32 v30, v15, s12, -v28
	v_fmac_f32_e32 v30, 0xb102e308, v15
	v_sub_f32_e32 v15, v26, v24
	v_sub_f32_e32 v15, v16, v15
	v_add_f32_e32 v16, v28, v30
	v_sub_f32_e32 v24, v16, v28
	v_ldexp_f32 v28, v26, 1
	v_mul_f32_e32 v26, v26, v27
	v_mul_f32_e32 v26, v26, v29
	v_add_f32_e32 v27, v28, v26
	v_sub_f32_e32 v28, v27, v28
	v_ldexp_f32 v15, v15, 1
	v_sub_f32_e32 v26, v26, v28
	v_add_f32_e32 v15, v15, v26
	v_add_f32_e32 v26, v27, v15
	v_sub_f32_e32 v27, v26, v27
	v_sub_f32_e32 v15, v15, v27
	v_add_f32_e32 v27, v16, v26
	v_sub_f32_e32 v28, v27, v16
	v_sub_f32_e32 v29, v27, v28
	v_sub_f32_e32 v24, v30, v24
	v_sub_f32_e32 v16, v16, v29
	v_sub_f32_e32 v26, v26, v28
	v_add_f32_e32 v16, v26, v16
	v_add_f32_e32 v26, v24, v15
	v_sub_f32_e32 v28, v26, v24
	v_sub_f32_e32 v29, v26, v28
	;; [unrolled: 1-line block ×4, first 2 shown]
	v_add_f32_e32 v16, v26, v16
	v_add_f32_e32 v15, v15, v24
	;; [unrolled: 1-line block ×3, first 2 shown]
	v_sub_f32_e32 v26, v24, v27
	v_sub_f32_e32 v16, v16, v26
	v_add_f32_e32 v15, v15, v16
	v_add_f32_e32 v15, v24, v15
	v_cmp_neq_f32_e32 vcc, s10, v18
	s_mov_b32 s10, 0x33800000
	v_cndmask_b32_e32 v15, v17, v15, vcc
	v_cmp_lt_f32_e64 vcc, |v18|, s10
	v_cndmask_b32_e32 v15, v15, v18, vcc
	v_add_f32_e32 v15, v13, v15
.LBB507_61:
	s_or_b64 exec, exec, s[4:5]
	v_bfe_u32 v13, v15, 16, 1
	v_add3_u32 v13, v15, v13, s11
	v_and_b32_e32 v13, 0xffff0000, v13
	v_cmp_o_f32_e32 vcc, v15, v15
	v_cndmask_b32_e32 v15, v14, v13, vcc
	v_mov_b32_e32 v13, 16
	v_lshlrev_b32_sdwa v24, v13, v10 dst_sel:DWORD dst_unused:UNUSED_PAD src0_sel:DWORD src1_sel:WORD_1
	v_max_f32_e32 v14, v15, v15
	v_max_f32_e32 v26, v24, v24
	v_min_f32_e32 v16, v14, v26
	v_cmp_u_f32_e32 vcc, v15, v15
	v_max_f32_e32 v14, v14, v26
	v_cndmask_b32_e32 v16, v16, v15, vcc
	v_cmp_u_f32_e64 s[10:11], v24, v24
	v_cndmask_b32_e32 v14, v14, v15, vcc
	v_cndmask_b32_e64 v16, v16, v24, s[10:11]
	v_cndmask_b32_e64 v14, v14, v24, s[10:11]
	s_movk_i32 s14, 0x1f8
	v_cmp_neq_f32_e32 vcc, v16, v14
	v_cmp_class_f32_e64 s[4:5], v16, s14
	s_or_b64 s[12:13], vcc, s[4:5]
	s_and_saveexec_b64 s[4:5], s[12:13]
	s_cbranch_execz .LBB507_63
; %bb.62:
	v_sub_f32_e32 v15, v16, v14
	s_mov_b32 s12, 0x3fb8aa3b
	v_mul_f32_e32 v16, 0x3fb8aa3b, v15
	v_fma_f32 v17, v15, s12, -v16
	v_rndne_f32_e32 v18, v16
	v_fmac_f32_e32 v17, 0x32a5705f, v15
	v_sub_f32_e32 v16, v16, v18
	v_add_f32_e32 v16, v16, v17
	v_exp_f32_e32 v16, v16
	v_cvt_i32_f32_e32 v17, v18
	s_mov_b32 s12, 0xc2ce8ed0
	v_cmp_ngt_f32_e32 vcc, s12, v15
	s_mov_b32 s12, 0x42b17218
	v_ldexp_f32 v16, v16, v17
	v_cndmask_b32_e32 v16, 0, v16, vcc
	v_mov_b32_e32 v17, 0x7f800000
	v_cmp_nlt_f32_e32 vcc, s12, v15
	v_cndmask_b32_e32 v18, v17, v16, vcc
	v_add_f32_e32 v27, 1.0, v18
	v_cvt_f64_f32_e32 v[15:16], v27
	v_add_f32_e32 v28, -1.0, v27
	v_sub_f32_e32 v29, v28, v27
	v_sub_f32_e32 v28, v18, v28
	v_frexp_exp_i32_f64_e32 v15, v[15:16]
	v_add_f32_e32 v16, 1.0, v29
	v_add_f32_e32 v16, v28, v16
	v_frexp_mant_f32_e32 v28, v27
	s_mov_b32 s13, 0x3f2aaaab
	v_cmp_gt_f32_e32 vcc, s13, v28
	s_mov_b32 s13, 0x3f317218
	s_mov_b32 s12, 0x7f800000
	v_subbrev_co_u32_e32 v15, vcc, 0, v15, vcc
	v_sub_u32_e32 v28, 0, v15
	v_ldexp_f32 v27, v27, v28
	v_ldexp_f32 v16, v16, v28
	v_add_f32_e32 v28, -1.0, v27
	v_add_f32_e32 v31, 1.0, v27
	v_add_f32_e32 v29, 1.0, v28
	v_add_f32_e32 v32, -1.0, v31
	v_sub_f32_e32 v29, v27, v29
	v_sub_f32_e32 v27, v27, v32
	v_add_f32_e32 v29, v16, v29
	v_add_f32_e32 v16, v16, v27
	;; [unrolled: 1-line block ×3, first 2 shown]
	v_rcp_f32_e32 v32, v27
	v_add_f32_e32 v30, v28, v29
	v_sub_f32_e32 v28, v28, v30
	v_add_f32_e32 v28, v29, v28
	v_sub_f32_e32 v29, v31, v27
	v_add_f32_e32 v16, v16, v29
	v_mul_f32_e32 v29, v30, v32
	v_mul_f32_e32 v31, v27, v29
	v_fma_f32 v33, v29, v27, -v31
	v_fmac_f32_e32 v33, v29, v16
	v_add_f32_e32 v34, v31, v33
	v_sub_f32_e32 v35, v30, v34
	v_sub_f32_e32 v30, v30, v35
	;; [unrolled: 1-line block ×4, first 2 shown]
	v_add_f32_e32 v28, v28, v30
	v_sub_f32_e32 v30, v31, v33
	v_add_f32_e32 v28, v30, v28
	v_add_f32_e32 v30, v35, v28
	v_mul_f32_e32 v31, v32, v30
	v_mul_f32_e32 v33, v27, v31
	v_fma_f32 v27, v31, v27, -v33
	v_fmac_f32_e32 v27, v31, v16
	v_sub_f32_e32 v16, v35, v30
	v_add_f32_e32 v16, v28, v16
	v_add_f32_e32 v28, v33, v27
	v_sub_f32_e32 v34, v30, v28
	v_sub_f32_e32 v30, v30, v34
	;; [unrolled: 1-line block ×4, first 2 shown]
	v_add_f32_e32 v16, v16, v28
	v_sub_f32_e32 v27, v33, v27
	v_add_f32_e32 v16, v27, v16
	v_add_f32_e32 v27, v29, v31
	;; [unrolled: 1-line block ×3, first 2 shown]
	v_sub_f32_e32 v28, v27, v29
	v_mul_f32_e32 v16, v32, v16
	v_sub_f32_e32 v28, v31, v28
	v_add_f32_e32 v16, v28, v16
	v_cvt_f32_i32_e32 v15, v15
	v_add_f32_e32 v28, v27, v16
	v_mul_f32_e32 v29, v28, v28
	v_mov_b32_e32 v30, 0x3ecc95a3
	v_fmac_f32_e32 v30, 0x3e9b6dac, v29
	v_mov_b32_e32 v31, 0x3f2aaada
	v_fmac_f32_e32 v31, v29, v30
	v_mul_f32_e32 v30, 0x3f317218, v15
	v_fma_f32 v32, v15, s13, -v30
	v_fmac_f32_e32 v32, 0xb102e308, v15
	v_sub_f32_e32 v15, v28, v27
	v_sub_f32_e32 v15, v16, v15
	v_add_f32_e32 v16, v30, v32
	v_sub_f32_e32 v27, v16, v30
	v_ldexp_f32 v30, v28, 1
	v_mul_f32_e32 v28, v28, v29
	v_mul_f32_e32 v28, v28, v31
	v_add_f32_e32 v29, v30, v28
	v_sub_f32_e32 v30, v29, v30
	v_ldexp_f32 v15, v15, 1
	v_sub_f32_e32 v28, v28, v30
	v_add_f32_e32 v15, v15, v28
	v_add_f32_e32 v28, v29, v15
	v_sub_f32_e32 v29, v28, v29
	v_sub_f32_e32 v15, v15, v29
	v_add_f32_e32 v29, v16, v28
	v_sub_f32_e32 v30, v29, v16
	v_sub_f32_e32 v31, v29, v30
	;; [unrolled: 1-line block ×5, first 2 shown]
	v_add_f32_e32 v16, v28, v16
	v_add_f32_e32 v28, v27, v15
	v_sub_f32_e32 v30, v28, v27
	v_sub_f32_e32 v31, v28, v30
	;; [unrolled: 1-line block ×4, first 2 shown]
	v_add_f32_e32 v16, v28, v16
	v_add_f32_e32 v15, v15, v27
	;; [unrolled: 1-line block ×3, first 2 shown]
	v_sub_f32_e32 v28, v27, v29
	v_sub_f32_e32 v16, v16, v28
	v_add_f32_e32 v15, v15, v16
	v_add_f32_e32 v15, v27, v15
	v_cmp_neq_f32_e32 vcc, s12, v18
	s_mov_b32 s12, 0x33800000
	v_cndmask_b32_e32 v15, v17, v15, vcc
	v_cmp_lt_f32_e64 vcc, |v18|, s12
	v_cndmask_b32_e32 v15, v15, v18, vcc
	v_add_f32_e32 v15, v14, v15
.LBB507_63:
	s_or_b64 exec, exec, s[4:5]
	v_bfe_u32 v14, v15, 16, 1
	s_movk_i32 s15, 0x7fff
	v_add3_u32 v14, v15, v14, s15
	v_and_b32_e32 v16, 0xffff0000, v14
	v_mov_b32_e32 v14, 0x7fc00000
	v_cmp_o_f32_e32 vcc, v15, v15
	v_cndmask_b32_e32 v15, v14, v16, vcc
	v_lshlrev_b32_sdwa v27, v13, v11 dst_sel:DWORD dst_unused:UNUSED_PAD src0_sel:DWORD src1_sel:WORD_0
	v_max_f32_e32 v13, v15, v15
	v_max_f32_e32 v29, v27, v27
	v_min_f32_e32 v16, v13, v29
	v_cmp_u_f32_e32 vcc, v15, v15
	v_max_f32_e32 v13, v13, v29
	v_cndmask_b32_e32 v16, v16, v15, vcc
	v_cmp_u_f32_e64 s[12:13], v27, v27
	v_cndmask_b32_e32 v13, v13, v15, vcc
	v_cndmask_b32_e64 v16, v16, v27, s[12:13]
	v_cndmask_b32_e64 v13, v13, v27, s[12:13]
	v_cmp_neq_f32_e32 vcc, v16, v13
	v_cmp_class_f32_e64 s[4:5], v16, s14
	s_or_b64 s[16:17], vcc, s[4:5]
	s_and_saveexec_b64 s[4:5], s[16:17]
	s_cbranch_execz .LBB507_65
; %bb.64:
	v_sub_f32_e32 v15, v16, v13
	s_mov_b32 s14, 0x3fb8aa3b
	v_mul_f32_e32 v16, 0x3fb8aa3b, v15
	v_fma_f32 v17, v15, s14, -v16
	v_rndne_f32_e32 v18, v16
	v_fmac_f32_e32 v17, 0x32a5705f, v15
	v_sub_f32_e32 v16, v16, v18
	v_add_f32_e32 v16, v16, v17
	v_exp_f32_e32 v16, v16
	v_cvt_i32_f32_e32 v17, v18
	s_mov_b32 s14, 0xc2ce8ed0
	v_cmp_ngt_f32_e32 vcc, s14, v15
	s_mov_b32 s14, 0x42b17218
	v_ldexp_f32 v16, v16, v17
	v_cndmask_b32_e32 v16, 0, v16, vcc
	v_mov_b32_e32 v17, 0x7f800000
	v_cmp_nlt_f32_e32 vcc, s14, v15
	v_cndmask_b32_e32 v18, v17, v16, vcc
	v_add_f32_e32 v28, 1.0, v18
	v_cvt_f64_f32_e32 v[15:16], v28
	v_add_f32_e32 v30, -1.0, v28
	v_sub_f32_e32 v31, v30, v28
	v_sub_f32_e32 v30, v18, v30
	v_frexp_exp_i32_f64_e32 v15, v[15:16]
	v_add_f32_e32 v16, 1.0, v31
	v_add_f32_e32 v16, v30, v16
	v_frexp_mant_f32_e32 v30, v28
	s_mov_b32 s16, 0x3f2aaaab
	v_cmp_gt_f32_e32 vcc, s16, v30
	s_mov_b32 s16, 0x3f317218
	s_mov_b32 s14, 0x7f800000
	v_subbrev_co_u32_e32 v15, vcc, 0, v15, vcc
	v_sub_u32_e32 v30, 0, v15
	v_ldexp_f32 v28, v28, v30
	v_ldexp_f32 v16, v16, v30
	v_add_f32_e32 v30, -1.0, v28
	v_add_f32_e32 v33, 1.0, v28
	v_add_f32_e32 v31, 1.0, v30
	v_add_f32_e32 v34, -1.0, v33
	v_sub_f32_e32 v31, v28, v31
	v_sub_f32_e32 v28, v28, v34
	v_add_f32_e32 v31, v16, v31
	v_add_f32_e32 v16, v16, v28
	;; [unrolled: 1-line block ×3, first 2 shown]
	v_rcp_f32_e32 v34, v28
	v_add_f32_e32 v32, v30, v31
	v_sub_f32_e32 v30, v30, v32
	v_add_f32_e32 v30, v31, v30
	v_sub_f32_e32 v31, v33, v28
	v_add_f32_e32 v16, v16, v31
	v_mul_f32_e32 v31, v32, v34
	v_mul_f32_e32 v33, v28, v31
	v_fma_f32 v35, v31, v28, -v33
	v_fmac_f32_e32 v35, v31, v16
	v_add_f32_e32 v36, v33, v35
	v_sub_f32_e32 v37, v32, v36
	v_sub_f32_e32 v32, v32, v37
	;; [unrolled: 1-line block ×4, first 2 shown]
	v_add_f32_e32 v30, v30, v32
	v_sub_f32_e32 v32, v33, v35
	v_add_f32_e32 v30, v32, v30
	v_add_f32_e32 v32, v37, v30
	v_mul_f32_e32 v33, v34, v32
	v_mul_f32_e32 v35, v28, v33
	v_fma_f32 v28, v33, v28, -v35
	v_fmac_f32_e32 v28, v33, v16
	v_sub_f32_e32 v16, v37, v32
	v_add_f32_e32 v16, v30, v16
	v_add_f32_e32 v30, v35, v28
	v_sub_f32_e32 v36, v32, v30
	v_sub_f32_e32 v32, v32, v36
	;; [unrolled: 1-line block ×4, first 2 shown]
	v_add_f32_e32 v16, v16, v30
	v_sub_f32_e32 v28, v35, v28
	v_add_f32_e32 v16, v28, v16
	v_add_f32_e32 v28, v31, v33
	;; [unrolled: 1-line block ×3, first 2 shown]
	v_sub_f32_e32 v30, v28, v31
	v_mul_f32_e32 v16, v34, v16
	v_sub_f32_e32 v30, v33, v30
	v_add_f32_e32 v16, v30, v16
	v_cvt_f32_i32_e32 v15, v15
	v_add_f32_e32 v30, v28, v16
	v_mul_f32_e32 v31, v30, v30
	v_mov_b32_e32 v32, 0x3ecc95a3
	v_fmac_f32_e32 v32, 0x3e9b6dac, v31
	v_mov_b32_e32 v33, 0x3f2aaada
	v_fmac_f32_e32 v33, v31, v32
	v_mul_f32_e32 v32, 0x3f317218, v15
	v_fma_f32 v34, v15, s16, -v32
	v_fmac_f32_e32 v34, 0xb102e308, v15
	v_sub_f32_e32 v15, v30, v28
	v_sub_f32_e32 v15, v16, v15
	v_add_f32_e32 v16, v32, v34
	v_sub_f32_e32 v28, v16, v32
	v_ldexp_f32 v32, v30, 1
	v_mul_f32_e32 v30, v30, v31
	v_mul_f32_e32 v30, v30, v33
	v_add_f32_e32 v31, v32, v30
	v_sub_f32_e32 v32, v31, v32
	v_ldexp_f32 v15, v15, 1
	v_sub_f32_e32 v30, v30, v32
	v_add_f32_e32 v15, v15, v30
	v_add_f32_e32 v30, v31, v15
	v_sub_f32_e32 v31, v30, v31
	v_sub_f32_e32 v15, v15, v31
	v_add_f32_e32 v31, v16, v30
	v_sub_f32_e32 v32, v31, v16
	v_sub_f32_e32 v33, v31, v32
	v_sub_f32_e32 v28, v34, v28
	v_sub_f32_e32 v16, v16, v33
	v_sub_f32_e32 v30, v30, v32
	v_add_f32_e32 v16, v30, v16
	v_add_f32_e32 v30, v28, v15
	v_sub_f32_e32 v32, v30, v28
	v_sub_f32_e32 v33, v30, v32
	;; [unrolled: 1-line block ×4, first 2 shown]
	v_add_f32_e32 v16, v30, v16
	v_add_f32_e32 v15, v15, v28
	;; [unrolled: 1-line block ×3, first 2 shown]
	v_sub_f32_e32 v30, v28, v31
	v_sub_f32_e32 v16, v16, v30
	v_add_f32_e32 v15, v15, v16
	v_add_f32_e32 v15, v28, v15
	v_cmp_neq_f32_e32 vcc, s14, v18
	s_mov_b32 s14, 0x33800000
	v_cndmask_b32_e32 v15, v17, v15, vcc
	v_cmp_lt_f32_e64 vcc, |v18|, s14
	v_cndmask_b32_e32 v15, v15, v18, vcc
	v_add_f32_e32 v15, v13, v15
.LBB507_65:
	s_or_b64 exec, exec, s[4:5]
	v_bfe_u32 v13, v15, 16, 1
	v_add3_u32 v13, v15, v13, s15
	v_and_b32_e32 v13, 0xffff0000, v13
	v_cmp_o_f32_e32 vcc, v15, v15
	v_cndmask_b32_e32 v15, v14, v13, vcc
	v_mov_b32_e32 v13, 16
	v_lshlrev_b32_sdwa v28, v13, v11 dst_sel:DWORD dst_unused:UNUSED_PAD src0_sel:DWORD src1_sel:WORD_1
	v_max_f32_e32 v14, v15, v15
	v_max_f32_e32 v30, v28, v28
	v_min_f32_e32 v16, v14, v30
	v_cmp_u_f32_e32 vcc, v15, v15
	v_max_f32_e32 v14, v14, v30
	v_cndmask_b32_e32 v16, v16, v15, vcc
	v_cmp_u_f32_e64 s[14:15], v28, v28
	v_cndmask_b32_e32 v14, v14, v15, vcc
	v_cndmask_b32_e64 v16, v16, v28, s[14:15]
	v_cndmask_b32_e64 v14, v14, v28, s[14:15]
	s_movk_i32 s18, 0x1f8
	v_cmp_neq_f32_e32 vcc, v16, v14
	v_cmp_class_f32_e64 s[4:5], v16, s18
	s_or_b64 s[16:17], vcc, s[4:5]
	s_and_saveexec_b64 s[4:5], s[16:17]
	s_cbranch_execz .LBB507_67
; %bb.66:
	v_sub_f32_e32 v15, v16, v14
	s_mov_b32 s16, 0x3fb8aa3b
	v_mul_f32_e32 v16, 0x3fb8aa3b, v15
	v_fma_f32 v17, v15, s16, -v16
	v_rndne_f32_e32 v18, v16
	v_fmac_f32_e32 v17, 0x32a5705f, v15
	v_sub_f32_e32 v16, v16, v18
	v_add_f32_e32 v16, v16, v17
	v_exp_f32_e32 v16, v16
	v_cvt_i32_f32_e32 v17, v18
	s_mov_b32 s16, 0xc2ce8ed0
	v_cmp_ngt_f32_e32 vcc, s16, v15
	s_mov_b32 s16, 0x42b17218
	v_ldexp_f32 v16, v16, v17
	v_cndmask_b32_e32 v16, 0, v16, vcc
	v_mov_b32_e32 v17, 0x7f800000
	v_cmp_nlt_f32_e32 vcc, s16, v15
	v_cndmask_b32_e32 v18, v17, v16, vcc
	v_add_f32_e32 v31, 1.0, v18
	v_cvt_f64_f32_e32 v[15:16], v31
	v_add_f32_e32 v32, -1.0, v31
	v_sub_f32_e32 v33, v32, v31
	v_sub_f32_e32 v32, v18, v32
	v_frexp_exp_i32_f64_e32 v15, v[15:16]
	v_add_f32_e32 v16, 1.0, v33
	v_add_f32_e32 v16, v32, v16
	v_frexp_mant_f32_e32 v32, v31
	s_mov_b32 s17, 0x3f2aaaab
	v_cmp_gt_f32_e32 vcc, s17, v32
	s_mov_b32 s17, 0x3f317218
	s_mov_b32 s16, 0x7f800000
	v_subbrev_co_u32_e32 v15, vcc, 0, v15, vcc
	v_sub_u32_e32 v32, 0, v15
	v_ldexp_f32 v31, v31, v32
	v_ldexp_f32 v16, v16, v32
	v_add_f32_e32 v32, -1.0, v31
	v_add_f32_e32 v35, 1.0, v31
	v_add_f32_e32 v33, 1.0, v32
	v_add_f32_e32 v36, -1.0, v35
	v_sub_f32_e32 v33, v31, v33
	v_sub_f32_e32 v31, v31, v36
	v_add_f32_e32 v33, v16, v33
	v_add_f32_e32 v16, v16, v31
	;; [unrolled: 1-line block ×3, first 2 shown]
	v_rcp_f32_e32 v36, v31
	v_add_f32_e32 v34, v32, v33
	v_sub_f32_e32 v32, v32, v34
	v_add_f32_e32 v32, v33, v32
	v_sub_f32_e32 v33, v35, v31
	v_add_f32_e32 v16, v16, v33
	v_mul_f32_e32 v33, v34, v36
	v_mul_f32_e32 v35, v31, v33
	v_fma_f32 v37, v33, v31, -v35
	v_fmac_f32_e32 v37, v33, v16
	v_add_f32_e32 v38, v35, v37
	v_sub_f32_e32 v39, v34, v38
	v_sub_f32_e32 v34, v34, v39
	;; [unrolled: 1-line block ×4, first 2 shown]
	v_add_f32_e32 v32, v32, v34
	v_sub_f32_e32 v34, v35, v37
	v_add_f32_e32 v32, v34, v32
	v_add_f32_e32 v34, v39, v32
	v_mul_f32_e32 v35, v36, v34
	v_mul_f32_e32 v37, v31, v35
	v_fma_f32 v31, v35, v31, -v37
	v_fmac_f32_e32 v31, v35, v16
	v_sub_f32_e32 v16, v39, v34
	v_add_f32_e32 v16, v32, v16
	v_add_f32_e32 v32, v37, v31
	v_sub_f32_e32 v38, v34, v32
	v_sub_f32_e32 v34, v34, v38
	v_sub_f32_e32 v37, v32, v37
	v_sub_f32_e32 v32, v34, v32
	v_add_f32_e32 v16, v16, v32
	v_sub_f32_e32 v31, v37, v31
	v_add_f32_e32 v16, v31, v16
	v_add_f32_e32 v31, v33, v35
	;; [unrolled: 1-line block ×3, first 2 shown]
	v_sub_f32_e32 v32, v31, v33
	v_mul_f32_e32 v16, v36, v16
	v_sub_f32_e32 v32, v35, v32
	v_add_f32_e32 v16, v32, v16
	v_cvt_f32_i32_e32 v15, v15
	v_add_f32_e32 v32, v31, v16
	v_mul_f32_e32 v33, v32, v32
	v_mov_b32_e32 v34, 0x3ecc95a3
	v_fmac_f32_e32 v34, 0x3e9b6dac, v33
	v_mov_b32_e32 v35, 0x3f2aaada
	v_fmac_f32_e32 v35, v33, v34
	v_mul_f32_e32 v34, 0x3f317218, v15
	v_fma_f32 v36, v15, s17, -v34
	v_fmac_f32_e32 v36, 0xb102e308, v15
	v_sub_f32_e32 v15, v32, v31
	v_sub_f32_e32 v15, v16, v15
	v_add_f32_e32 v16, v34, v36
	v_sub_f32_e32 v31, v16, v34
	v_ldexp_f32 v34, v32, 1
	v_mul_f32_e32 v32, v32, v33
	v_mul_f32_e32 v32, v32, v35
	v_add_f32_e32 v33, v34, v32
	v_sub_f32_e32 v34, v33, v34
	v_ldexp_f32 v15, v15, 1
	v_sub_f32_e32 v32, v32, v34
	v_add_f32_e32 v15, v15, v32
	v_add_f32_e32 v32, v33, v15
	v_sub_f32_e32 v33, v32, v33
	v_sub_f32_e32 v15, v15, v33
	v_add_f32_e32 v33, v16, v32
	v_sub_f32_e32 v34, v33, v16
	v_sub_f32_e32 v35, v33, v34
	v_sub_f32_e32 v31, v36, v31
	v_sub_f32_e32 v16, v16, v35
	v_sub_f32_e32 v32, v32, v34
	v_add_f32_e32 v16, v32, v16
	v_add_f32_e32 v32, v31, v15
	v_sub_f32_e32 v34, v32, v31
	v_sub_f32_e32 v35, v32, v34
	;; [unrolled: 1-line block ×4, first 2 shown]
	v_add_f32_e32 v16, v32, v16
	v_add_f32_e32 v15, v15, v31
	;; [unrolled: 1-line block ×3, first 2 shown]
	v_sub_f32_e32 v32, v31, v33
	v_sub_f32_e32 v16, v16, v32
	v_add_f32_e32 v15, v15, v16
	v_add_f32_e32 v15, v31, v15
	v_cmp_neq_f32_e32 vcc, s16, v18
	s_mov_b32 s16, 0x33800000
	v_cndmask_b32_e32 v15, v17, v15, vcc
	v_cmp_lt_f32_e64 vcc, |v18|, s16
	v_cndmask_b32_e32 v15, v15, v18, vcc
	v_add_f32_e32 v15, v14, v15
.LBB507_67:
	s_or_b64 exec, exec, s[4:5]
	v_bfe_u32 v14, v15, 16, 1
	s_movk_i32 s19, 0x7fff
	v_add3_u32 v14, v15, v14, s19
	v_and_b32_e32 v16, 0xffff0000, v14
	v_mov_b32_e32 v14, 0x7fc00000
	v_cmp_o_f32_e32 vcc, v15, v15
	v_cndmask_b32_e32 v15, v14, v16, vcc
	v_lshlrev_b32_sdwa v31, v13, v12 dst_sel:DWORD dst_unused:UNUSED_PAD src0_sel:DWORD src1_sel:WORD_0
	v_max_f32_e32 v13, v15, v15
	v_max_f32_e32 v33, v31, v31
	v_min_f32_e32 v16, v13, v33
	v_cmp_u_f32_e32 vcc, v15, v15
	v_max_f32_e32 v13, v13, v33
	v_cndmask_b32_e32 v16, v16, v15, vcc
	v_cmp_u_f32_e64 s[16:17], v31, v31
	v_cndmask_b32_e32 v13, v13, v15, vcc
	v_cndmask_b32_e64 v16, v16, v31, s[16:17]
	v_cndmask_b32_e64 v13, v13, v31, s[16:17]
	v_cmp_neq_f32_e32 vcc, v16, v13
	v_cmp_class_f32_e64 s[4:5], v16, s18
	s_or_b64 s[20:21], vcc, s[4:5]
	s_and_saveexec_b64 s[4:5], s[20:21]
	s_cbranch_execz .LBB507_69
; %bb.68:
	v_sub_f32_e32 v15, v16, v13
	s_mov_b32 s18, 0x3fb8aa3b
	v_mul_f32_e32 v16, 0x3fb8aa3b, v15
	v_fma_f32 v17, v15, s18, -v16
	v_rndne_f32_e32 v18, v16
	v_fmac_f32_e32 v17, 0x32a5705f, v15
	v_sub_f32_e32 v16, v16, v18
	v_add_f32_e32 v16, v16, v17
	v_exp_f32_e32 v16, v16
	v_cvt_i32_f32_e32 v17, v18
	s_mov_b32 s18, 0xc2ce8ed0
	v_cmp_ngt_f32_e32 vcc, s18, v15
	s_mov_b32 s18, 0x42b17218
	v_ldexp_f32 v16, v16, v17
	v_cndmask_b32_e32 v16, 0, v16, vcc
	v_mov_b32_e32 v17, 0x7f800000
	v_cmp_nlt_f32_e32 vcc, s18, v15
	v_cndmask_b32_e32 v18, v17, v16, vcc
	v_add_f32_e32 v32, 1.0, v18
	v_cvt_f64_f32_e32 v[15:16], v32
	v_add_f32_e32 v34, -1.0, v32
	v_sub_f32_e32 v35, v34, v32
	v_sub_f32_e32 v34, v18, v34
	v_frexp_exp_i32_f64_e32 v15, v[15:16]
	v_add_f32_e32 v16, 1.0, v35
	v_add_f32_e32 v16, v34, v16
	v_frexp_mant_f32_e32 v34, v32
	s_mov_b32 s20, 0x3f2aaaab
	v_cmp_gt_f32_e32 vcc, s20, v34
	s_mov_b32 s20, 0x3f317218
	s_mov_b32 s18, 0x7f800000
	v_subbrev_co_u32_e32 v15, vcc, 0, v15, vcc
	v_sub_u32_e32 v34, 0, v15
	v_ldexp_f32 v32, v32, v34
	v_ldexp_f32 v16, v16, v34
	v_add_f32_e32 v34, -1.0, v32
	v_add_f32_e32 v37, 1.0, v32
	v_add_f32_e32 v35, 1.0, v34
	v_add_f32_e32 v38, -1.0, v37
	v_sub_f32_e32 v35, v32, v35
	v_sub_f32_e32 v32, v32, v38
	v_add_f32_e32 v35, v16, v35
	v_add_f32_e32 v16, v16, v32
	;; [unrolled: 1-line block ×3, first 2 shown]
	v_rcp_f32_e32 v38, v32
	v_add_f32_e32 v36, v34, v35
	v_sub_f32_e32 v34, v34, v36
	v_add_f32_e32 v34, v35, v34
	v_sub_f32_e32 v35, v37, v32
	v_add_f32_e32 v16, v16, v35
	v_mul_f32_e32 v35, v36, v38
	v_mul_f32_e32 v37, v32, v35
	v_fma_f32 v39, v35, v32, -v37
	v_fmac_f32_e32 v39, v35, v16
	v_add_f32_e32 v40, v37, v39
	v_sub_f32_e32 v41, v36, v40
	v_sub_f32_e32 v36, v36, v41
	;; [unrolled: 1-line block ×4, first 2 shown]
	v_add_f32_e32 v34, v34, v36
	v_sub_f32_e32 v36, v37, v39
	v_add_f32_e32 v34, v36, v34
	v_add_f32_e32 v36, v41, v34
	v_mul_f32_e32 v37, v38, v36
	v_mul_f32_e32 v39, v32, v37
	v_fma_f32 v32, v37, v32, -v39
	v_fmac_f32_e32 v32, v37, v16
	v_sub_f32_e32 v16, v41, v36
	v_add_f32_e32 v16, v34, v16
	v_add_f32_e32 v34, v39, v32
	v_sub_f32_e32 v40, v36, v34
	v_sub_f32_e32 v36, v36, v40
	v_sub_f32_e32 v39, v34, v39
	v_sub_f32_e32 v34, v36, v34
	v_add_f32_e32 v16, v16, v34
	v_sub_f32_e32 v32, v39, v32
	v_add_f32_e32 v16, v32, v16
	v_add_f32_e32 v32, v35, v37
	;; [unrolled: 1-line block ×3, first 2 shown]
	v_sub_f32_e32 v34, v32, v35
	v_mul_f32_e32 v16, v38, v16
	v_sub_f32_e32 v34, v37, v34
	v_add_f32_e32 v16, v34, v16
	v_cvt_f32_i32_e32 v15, v15
	v_add_f32_e32 v34, v32, v16
	v_mul_f32_e32 v35, v34, v34
	v_mov_b32_e32 v36, 0x3ecc95a3
	v_fmac_f32_e32 v36, 0x3e9b6dac, v35
	v_mov_b32_e32 v37, 0x3f2aaada
	v_fmac_f32_e32 v37, v35, v36
	v_mul_f32_e32 v36, 0x3f317218, v15
	v_fma_f32 v38, v15, s20, -v36
	v_fmac_f32_e32 v38, 0xb102e308, v15
	v_sub_f32_e32 v15, v34, v32
	v_sub_f32_e32 v15, v16, v15
	v_add_f32_e32 v16, v36, v38
	v_sub_f32_e32 v32, v16, v36
	v_ldexp_f32 v36, v34, 1
	v_mul_f32_e32 v34, v34, v35
	v_mul_f32_e32 v34, v34, v37
	v_add_f32_e32 v35, v36, v34
	v_sub_f32_e32 v36, v35, v36
	v_ldexp_f32 v15, v15, 1
	v_sub_f32_e32 v34, v34, v36
	v_add_f32_e32 v15, v15, v34
	v_add_f32_e32 v34, v35, v15
	v_sub_f32_e32 v35, v34, v35
	v_sub_f32_e32 v15, v15, v35
	v_add_f32_e32 v35, v16, v34
	v_sub_f32_e32 v36, v35, v16
	v_sub_f32_e32 v37, v35, v36
	v_sub_f32_e32 v32, v38, v32
	v_sub_f32_e32 v16, v16, v37
	v_sub_f32_e32 v34, v34, v36
	v_add_f32_e32 v16, v34, v16
	v_add_f32_e32 v34, v32, v15
	v_sub_f32_e32 v36, v34, v32
	v_sub_f32_e32 v37, v34, v36
	;; [unrolled: 1-line block ×4, first 2 shown]
	v_add_f32_e32 v16, v34, v16
	v_add_f32_e32 v15, v15, v32
	;; [unrolled: 1-line block ×3, first 2 shown]
	v_sub_f32_e32 v34, v32, v35
	v_sub_f32_e32 v16, v16, v34
	v_add_f32_e32 v15, v15, v16
	v_add_f32_e32 v15, v32, v15
	v_cmp_neq_f32_e32 vcc, s18, v18
	s_mov_b32 s18, 0x33800000
	v_cndmask_b32_e32 v15, v17, v15, vcc
	v_cmp_lt_f32_e64 vcc, |v18|, s18
	v_cndmask_b32_e32 v15, v15, v18, vcc
	v_add_f32_e32 v15, v13, v15
.LBB507_69:
	s_or_b64 exec, exec, s[4:5]
	v_bfe_u32 v13, v15, 16, 1
	v_add3_u32 v13, v15, v13, s19
	v_and_b32_e32 v13, 0xffff0000, v13
	v_cmp_o_f32_e32 vcc, v15, v15
	v_cndmask_b32_e32 v15, v14, v13, vcc
	v_mov_b32_e32 v13, 16
	v_lshlrev_b32_sdwa v32, v13, v12 dst_sel:DWORD dst_unused:UNUSED_PAD src0_sel:DWORD src1_sel:WORD_1
	v_max_f32_e32 v14, v15, v15
	v_max_f32_e32 v34, v32, v32
	v_min_f32_e32 v16, v14, v34
	v_cmp_u_f32_e32 vcc, v15, v15
	v_max_f32_e32 v14, v14, v34
	v_cndmask_b32_e32 v16, v16, v15, vcc
	v_cmp_u_f32_e64 s[18:19], v32, v32
	v_cndmask_b32_e32 v14, v14, v15, vcc
	v_cndmask_b32_e64 v16, v16, v32, s[18:19]
	v_cndmask_b32_e64 v14, v14, v32, s[18:19]
	s_movk_i32 s22, 0x1f8
	v_cmp_neq_f32_e32 vcc, v16, v14
	v_cmp_class_f32_e64 s[4:5], v16, s22
	s_or_b64 s[20:21], vcc, s[4:5]
	s_and_saveexec_b64 s[4:5], s[20:21]
	s_cbranch_execz .LBB507_71
; %bb.70:
	v_sub_f32_e32 v15, v16, v14
	s_mov_b32 s20, 0x3fb8aa3b
	v_mul_f32_e32 v16, 0x3fb8aa3b, v15
	v_fma_f32 v17, v15, s20, -v16
	v_rndne_f32_e32 v18, v16
	v_fmac_f32_e32 v17, 0x32a5705f, v15
	v_sub_f32_e32 v16, v16, v18
	v_add_f32_e32 v16, v16, v17
	v_exp_f32_e32 v16, v16
	v_cvt_i32_f32_e32 v17, v18
	s_mov_b32 s20, 0xc2ce8ed0
	v_cmp_ngt_f32_e32 vcc, s20, v15
	s_mov_b32 s20, 0x42b17218
	v_ldexp_f32 v16, v16, v17
	v_cndmask_b32_e32 v16, 0, v16, vcc
	v_mov_b32_e32 v17, 0x7f800000
	v_cmp_nlt_f32_e32 vcc, s20, v15
	v_cndmask_b32_e32 v18, v17, v16, vcc
	v_add_f32_e32 v35, 1.0, v18
	v_cvt_f64_f32_e32 v[15:16], v35
	v_add_f32_e32 v36, -1.0, v35
	v_sub_f32_e32 v37, v36, v35
	v_sub_f32_e32 v36, v18, v36
	v_frexp_exp_i32_f64_e32 v15, v[15:16]
	v_add_f32_e32 v16, 1.0, v37
	v_add_f32_e32 v16, v36, v16
	v_frexp_mant_f32_e32 v36, v35
	s_mov_b32 s21, 0x3f2aaaab
	v_cmp_gt_f32_e32 vcc, s21, v36
	s_mov_b32 s21, 0x3f317218
	s_mov_b32 s20, 0x7f800000
	v_subbrev_co_u32_e32 v15, vcc, 0, v15, vcc
	v_sub_u32_e32 v36, 0, v15
	v_ldexp_f32 v35, v35, v36
	v_ldexp_f32 v16, v16, v36
	v_add_f32_e32 v36, -1.0, v35
	v_add_f32_e32 v39, 1.0, v35
	v_add_f32_e32 v37, 1.0, v36
	v_add_f32_e32 v40, -1.0, v39
	v_sub_f32_e32 v37, v35, v37
	v_sub_f32_e32 v35, v35, v40
	v_add_f32_e32 v37, v16, v37
	v_add_f32_e32 v16, v16, v35
	;; [unrolled: 1-line block ×3, first 2 shown]
	v_rcp_f32_e32 v40, v35
	v_add_f32_e32 v38, v36, v37
	v_sub_f32_e32 v36, v36, v38
	v_add_f32_e32 v36, v37, v36
	v_sub_f32_e32 v37, v39, v35
	v_add_f32_e32 v16, v16, v37
	v_mul_f32_e32 v37, v38, v40
	v_mul_f32_e32 v39, v35, v37
	v_fma_f32 v41, v37, v35, -v39
	v_fmac_f32_e32 v41, v37, v16
	v_add_f32_e32 v42, v39, v41
	v_sub_f32_e32 v43, v38, v42
	v_sub_f32_e32 v38, v38, v43
	;; [unrolled: 1-line block ×4, first 2 shown]
	v_add_f32_e32 v36, v36, v38
	v_sub_f32_e32 v38, v39, v41
	v_add_f32_e32 v36, v38, v36
	v_add_f32_e32 v38, v43, v36
	v_mul_f32_e32 v39, v40, v38
	v_mul_f32_e32 v41, v35, v39
	v_fma_f32 v35, v39, v35, -v41
	v_fmac_f32_e32 v35, v39, v16
	v_sub_f32_e32 v16, v43, v38
	v_add_f32_e32 v16, v36, v16
	v_add_f32_e32 v36, v41, v35
	v_sub_f32_e32 v42, v38, v36
	v_sub_f32_e32 v38, v38, v42
	;; [unrolled: 1-line block ×4, first 2 shown]
	v_add_f32_e32 v16, v16, v36
	v_sub_f32_e32 v35, v41, v35
	v_add_f32_e32 v16, v35, v16
	v_add_f32_e32 v35, v37, v39
	;; [unrolled: 1-line block ×3, first 2 shown]
	v_sub_f32_e32 v36, v35, v37
	v_mul_f32_e32 v16, v40, v16
	v_sub_f32_e32 v36, v39, v36
	v_add_f32_e32 v16, v36, v16
	v_cvt_f32_i32_e32 v15, v15
	v_add_f32_e32 v36, v35, v16
	v_mul_f32_e32 v37, v36, v36
	v_mov_b32_e32 v38, 0x3ecc95a3
	v_fmac_f32_e32 v38, 0x3e9b6dac, v37
	v_mov_b32_e32 v39, 0x3f2aaada
	v_fmac_f32_e32 v39, v37, v38
	v_mul_f32_e32 v38, 0x3f317218, v15
	v_fma_f32 v40, v15, s21, -v38
	v_fmac_f32_e32 v40, 0xb102e308, v15
	v_sub_f32_e32 v15, v36, v35
	v_sub_f32_e32 v15, v16, v15
	v_add_f32_e32 v16, v38, v40
	v_sub_f32_e32 v35, v16, v38
	v_ldexp_f32 v38, v36, 1
	v_mul_f32_e32 v36, v36, v37
	v_mul_f32_e32 v36, v36, v39
	v_add_f32_e32 v37, v38, v36
	v_sub_f32_e32 v38, v37, v38
	v_ldexp_f32 v15, v15, 1
	v_sub_f32_e32 v36, v36, v38
	v_add_f32_e32 v15, v15, v36
	v_add_f32_e32 v36, v37, v15
	v_sub_f32_e32 v37, v36, v37
	v_sub_f32_e32 v15, v15, v37
	v_add_f32_e32 v37, v16, v36
	v_sub_f32_e32 v38, v37, v16
	v_sub_f32_e32 v39, v37, v38
	;; [unrolled: 1-line block ×5, first 2 shown]
	v_add_f32_e32 v16, v36, v16
	v_add_f32_e32 v36, v35, v15
	v_sub_f32_e32 v38, v36, v35
	v_sub_f32_e32 v39, v36, v38
	;; [unrolled: 1-line block ×4, first 2 shown]
	v_add_f32_e32 v16, v36, v16
	v_add_f32_e32 v15, v15, v35
	;; [unrolled: 1-line block ×3, first 2 shown]
	v_sub_f32_e32 v36, v35, v37
	v_sub_f32_e32 v16, v16, v36
	v_add_f32_e32 v15, v15, v16
	v_add_f32_e32 v15, v35, v15
	v_cmp_neq_f32_e32 vcc, s20, v18
	s_mov_b32 s20, 0x33800000
	v_cndmask_b32_e32 v15, v17, v15, vcc
	v_cmp_lt_f32_e64 vcc, |v18|, s20
	v_cndmask_b32_e32 v15, v15, v18, vcc
	v_add_f32_e32 v15, v14, v15
.LBB507_71:
	s_or_b64 exec, exec, s[4:5]
	v_bfe_u32 v14, v15, 16, 1
	s_movk_i32 s23, 0x7fff
	v_add3_u32 v14, v15, v14, s23
	v_and_b32_e32 v16, 0xffff0000, v14
	v_mov_b32_e32 v14, 0x7fc00000
	v_cmp_o_f32_e32 vcc, v15, v15
	v_cndmask_b32_e32 v15, v14, v16, vcc
	v_lshlrev_b32_sdwa v35, v13, v5 dst_sel:DWORD dst_unused:UNUSED_PAD src0_sel:DWORD src1_sel:WORD_0
	v_max_f32_e32 v13, v15, v15
	v_max_f32_e32 v37, v35, v35
	v_min_f32_e32 v16, v13, v37
	v_cmp_u_f32_e32 vcc, v15, v15
	v_max_f32_e32 v13, v13, v37
	v_cndmask_b32_e32 v16, v16, v15, vcc
	v_cmp_u_f32_e64 s[20:21], v35, v35
	v_cndmask_b32_e32 v13, v13, v15, vcc
	v_cndmask_b32_e64 v16, v16, v35, s[20:21]
	v_cndmask_b32_e64 v13, v13, v35, s[20:21]
	v_cmp_neq_f32_e32 vcc, v16, v13
	v_cmp_class_f32_e64 s[4:5], v16, s22
	s_or_b64 s[24:25], vcc, s[4:5]
	s_and_saveexec_b64 s[4:5], s[24:25]
	s_cbranch_execz .LBB507_73
; %bb.72:
	v_sub_f32_e32 v15, v16, v13
	s_mov_b32 s22, 0x3fb8aa3b
	v_mul_f32_e32 v16, 0x3fb8aa3b, v15
	v_fma_f32 v17, v15, s22, -v16
	v_rndne_f32_e32 v18, v16
	v_fmac_f32_e32 v17, 0x32a5705f, v15
	v_sub_f32_e32 v16, v16, v18
	v_add_f32_e32 v16, v16, v17
	v_exp_f32_e32 v16, v16
	v_cvt_i32_f32_e32 v17, v18
	s_mov_b32 s22, 0xc2ce8ed0
	v_cmp_ngt_f32_e32 vcc, s22, v15
	s_mov_b32 s22, 0x42b17218
	v_ldexp_f32 v16, v16, v17
	v_cndmask_b32_e32 v16, 0, v16, vcc
	v_mov_b32_e32 v17, 0x7f800000
	v_cmp_nlt_f32_e32 vcc, s22, v15
	v_cndmask_b32_e32 v18, v17, v16, vcc
	v_add_f32_e32 v36, 1.0, v18
	v_cvt_f64_f32_e32 v[15:16], v36
	v_add_f32_e32 v38, -1.0, v36
	v_sub_f32_e32 v39, v38, v36
	v_sub_f32_e32 v38, v18, v38
	v_frexp_exp_i32_f64_e32 v15, v[15:16]
	v_add_f32_e32 v16, 1.0, v39
	v_add_f32_e32 v16, v38, v16
	v_frexp_mant_f32_e32 v38, v36
	s_mov_b32 s24, 0x3f2aaaab
	v_cmp_gt_f32_e32 vcc, s24, v38
	s_mov_b32 s24, 0x3f317218
	s_mov_b32 s22, 0x7f800000
	v_subbrev_co_u32_e32 v15, vcc, 0, v15, vcc
	v_sub_u32_e32 v38, 0, v15
	v_ldexp_f32 v36, v36, v38
	v_ldexp_f32 v16, v16, v38
	v_add_f32_e32 v38, -1.0, v36
	v_add_f32_e32 v41, 1.0, v36
	v_add_f32_e32 v39, 1.0, v38
	v_add_f32_e32 v42, -1.0, v41
	v_sub_f32_e32 v39, v36, v39
	v_sub_f32_e32 v36, v36, v42
	v_add_f32_e32 v39, v16, v39
	v_add_f32_e32 v16, v16, v36
	;; [unrolled: 1-line block ×3, first 2 shown]
	v_rcp_f32_e32 v42, v36
	v_add_f32_e32 v40, v38, v39
	v_sub_f32_e32 v38, v38, v40
	v_add_f32_e32 v38, v39, v38
	v_sub_f32_e32 v39, v41, v36
	v_add_f32_e32 v16, v16, v39
	v_mul_f32_e32 v39, v40, v42
	v_mul_f32_e32 v41, v36, v39
	v_fma_f32 v43, v39, v36, -v41
	v_fmac_f32_e32 v43, v39, v16
	v_add_f32_e32 v44, v41, v43
	v_sub_f32_e32 v45, v40, v44
	v_sub_f32_e32 v40, v40, v45
	;; [unrolled: 1-line block ×4, first 2 shown]
	v_add_f32_e32 v38, v38, v40
	v_sub_f32_e32 v40, v41, v43
	v_add_f32_e32 v38, v40, v38
	v_add_f32_e32 v40, v45, v38
	v_mul_f32_e32 v41, v42, v40
	v_mul_f32_e32 v43, v36, v41
	v_fma_f32 v36, v41, v36, -v43
	v_fmac_f32_e32 v36, v41, v16
	v_sub_f32_e32 v16, v45, v40
	v_add_f32_e32 v16, v38, v16
	v_add_f32_e32 v38, v43, v36
	v_sub_f32_e32 v44, v40, v38
	v_sub_f32_e32 v40, v40, v44
	;; [unrolled: 1-line block ×4, first 2 shown]
	v_add_f32_e32 v16, v16, v38
	v_sub_f32_e32 v36, v43, v36
	v_add_f32_e32 v16, v36, v16
	v_add_f32_e32 v36, v39, v41
	;; [unrolled: 1-line block ×3, first 2 shown]
	v_sub_f32_e32 v38, v36, v39
	v_mul_f32_e32 v16, v42, v16
	v_sub_f32_e32 v38, v41, v38
	v_add_f32_e32 v16, v38, v16
	v_cvt_f32_i32_e32 v15, v15
	v_add_f32_e32 v38, v36, v16
	v_mul_f32_e32 v39, v38, v38
	v_mov_b32_e32 v40, 0x3ecc95a3
	v_fmac_f32_e32 v40, 0x3e9b6dac, v39
	v_mov_b32_e32 v41, 0x3f2aaada
	v_fmac_f32_e32 v41, v39, v40
	v_mul_f32_e32 v40, 0x3f317218, v15
	v_fma_f32 v42, v15, s24, -v40
	v_fmac_f32_e32 v42, 0xb102e308, v15
	v_sub_f32_e32 v15, v38, v36
	v_sub_f32_e32 v15, v16, v15
	v_add_f32_e32 v16, v40, v42
	v_sub_f32_e32 v36, v16, v40
	v_ldexp_f32 v40, v38, 1
	v_mul_f32_e32 v38, v38, v39
	v_mul_f32_e32 v38, v38, v41
	v_add_f32_e32 v39, v40, v38
	v_sub_f32_e32 v40, v39, v40
	v_ldexp_f32 v15, v15, 1
	v_sub_f32_e32 v38, v38, v40
	v_add_f32_e32 v15, v15, v38
	v_add_f32_e32 v38, v39, v15
	v_sub_f32_e32 v39, v38, v39
	v_sub_f32_e32 v15, v15, v39
	v_add_f32_e32 v39, v16, v38
	v_sub_f32_e32 v40, v39, v16
	v_sub_f32_e32 v41, v39, v40
	v_sub_f32_e32 v36, v42, v36
	v_sub_f32_e32 v16, v16, v41
	v_sub_f32_e32 v38, v38, v40
	v_add_f32_e32 v16, v38, v16
	v_add_f32_e32 v38, v36, v15
	v_sub_f32_e32 v40, v38, v36
	v_sub_f32_e32 v41, v38, v40
	;; [unrolled: 1-line block ×4, first 2 shown]
	v_add_f32_e32 v16, v38, v16
	v_add_f32_e32 v15, v15, v36
	;; [unrolled: 1-line block ×3, first 2 shown]
	v_sub_f32_e32 v38, v36, v39
	v_sub_f32_e32 v16, v16, v38
	v_add_f32_e32 v15, v15, v16
	v_add_f32_e32 v15, v36, v15
	v_cmp_neq_f32_e32 vcc, s22, v18
	s_mov_b32 s22, 0x33800000
	v_cndmask_b32_e32 v15, v17, v15, vcc
	v_cmp_lt_f32_e64 vcc, |v18|, s22
	v_cndmask_b32_e32 v15, v15, v18, vcc
	v_add_f32_e32 v15, v13, v15
.LBB507_73:
	s_or_b64 exec, exec, s[4:5]
	v_bfe_u32 v13, v15, 16, 1
	v_add3_u32 v13, v15, v13, s23
	v_and_b32_e32 v13, 0xffff0000, v13
	v_cmp_o_f32_e32 vcc, v15, v15
	v_cndmask_b32_e32 v15, v14, v13, vcc
	v_mov_b32_e32 v13, 16
	v_lshlrev_b32_sdwa v36, v13, v5 dst_sel:DWORD dst_unused:UNUSED_PAD src0_sel:DWORD src1_sel:WORD_1
	v_max_f32_e32 v14, v15, v15
	v_max_f32_e32 v38, v36, v36
	v_min_f32_e32 v16, v14, v38
	v_cmp_u_f32_e32 vcc, v15, v15
	v_max_f32_e32 v14, v14, v38
	v_cndmask_b32_e32 v16, v16, v15, vcc
	v_cmp_u_f32_e64 s[22:23], v36, v36
	v_cndmask_b32_e32 v14, v14, v15, vcc
	v_cndmask_b32_e64 v16, v16, v36, s[22:23]
	v_cndmask_b32_e64 v14, v14, v36, s[22:23]
	s_movk_i32 s26, 0x1f8
	v_cmp_neq_f32_e32 vcc, v16, v14
	v_cmp_class_f32_e64 s[4:5], v16, s26
	s_or_b64 s[24:25], vcc, s[4:5]
	s_and_saveexec_b64 s[4:5], s[24:25]
	s_cbranch_execz .LBB507_75
; %bb.74:
	v_sub_f32_e32 v15, v16, v14
	s_mov_b32 s24, 0x3fb8aa3b
	v_mul_f32_e32 v16, 0x3fb8aa3b, v15
	v_fma_f32 v17, v15, s24, -v16
	v_rndne_f32_e32 v18, v16
	v_fmac_f32_e32 v17, 0x32a5705f, v15
	v_sub_f32_e32 v16, v16, v18
	v_add_f32_e32 v16, v16, v17
	v_exp_f32_e32 v16, v16
	v_cvt_i32_f32_e32 v17, v18
	s_mov_b32 s24, 0xc2ce8ed0
	v_cmp_ngt_f32_e32 vcc, s24, v15
	s_mov_b32 s24, 0x42b17218
	v_ldexp_f32 v16, v16, v17
	v_cndmask_b32_e32 v16, 0, v16, vcc
	v_mov_b32_e32 v17, 0x7f800000
	v_cmp_nlt_f32_e32 vcc, s24, v15
	v_cndmask_b32_e32 v18, v17, v16, vcc
	v_add_f32_e32 v39, 1.0, v18
	v_cvt_f64_f32_e32 v[15:16], v39
	v_add_f32_e32 v40, -1.0, v39
	v_sub_f32_e32 v41, v40, v39
	v_sub_f32_e32 v40, v18, v40
	v_frexp_exp_i32_f64_e32 v15, v[15:16]
	v_add_f32_e32 v16, 1.0, v41
	v_add_f32_e32 v16, v40, v16
	v_frexp_mant_f32_e32 v40, v39
	s_mov_b32 s25, 0x3f2aaaab
	v_cmp_gt_f32_e32 vcc, s25, v40
	s_mov_b32 s25, 0x3f317218
	s_mov_b32 s24, 0x7f800000
	v_subbrev_co_u32_e32 v15, vcc, 0, v15, vcc
	v_sub_u32_e32 v40, 0, v15
	v_ldexp_f32 v39, v39, v40
	v_ldexp_f32 v16, v16, v40
	v_add_f32_e32 v40, -1.0, v39
	v_add_f32_e32 v43, 1.0, v39
	v_add_f32_e32 v41, 1.0, v40
	v_add_f32_e32 v44, -1.0, v43
	v_sub_f32_e32 v41, v39, v41
	v_sub_f32_e32 v39, v39, v44
	v_add_f32_e32 v41, v16, v41
	v_add_f32_e32 v16, v16, v39
	v_add_f32_e32 v39, v43, v16
	v_rcp_f32_e32 v44, v39
	v_add_f32_e32 v42, v40, v41
	v_sub_f32_e32 v40, v40, v42
	v_add_f32_e32 v40, v41, v40
	v_sub_f32_e32 v41, v43, v39
	v_add_f32_e32 v16, v16, v41
	v_mul_f32_e32 v41, v42, v44
	v_mul_f32_e32 v43, v39, v41
	v_fma_f32 v45, v41, v39, -v43
	v_fmac_f32_e32 v45, v41, v16
	v_add_f32_e32 v46, v43, v45
	v_sub_f32_e32 v47, v42, v46
	v_sub_f32_e32 v42, v42, v47
	;; [unrolled: 1-line block ×4, first 2 shown]
	v_add_f32_e32 v40, v40, v42
	v_sub_f32_e32 v42, v43, v45
	v_add_f32_e32 v40, v42, v40
	v_add_f32_e32 v42, v47, v40
	v_mul_f32_e32 v43, v44, v42
	v_mul_f32_e32 v45, v39, v43
	v_fma_f32 v39, v43, v39, -v45
	v_fmac_f32_e32 v39, v43, v16
	v_sub_f32_e32 v16, v47, v42
	v_add_f32_e32 v16, v40, v16
	v_add_f32_e32 v40, v45, v39
	v_sub_f32_e32 v46, v42, v40
	v_sub_f32_e32 v42, v42, v46
	;; [unrolled: 1-line block ×4, first 2 shown]
	v_add_f32_e32 v16, v16, v40
	v_sub_f32_e32 v39, v45, v39
	v_add_f32_e32 v16, v39, v16
	v_add_f32_e32 v39, v41, v43
	;; [unrolled: 1-line block ×3, first 2 shown]
	v_sub_f32_e32 v40, v39, v41
	v_mul_f32_e32 v16, v44, v16
	v_sub_f32_e32 v40, v43, v40
	v_add_f32_e32 v16, v40, v16
	v_cvt_f32_i32_e32 v15, v15
	v_add_f32_e32 v40, v39, v16
	v_mul_f32_e32 v41, v40, v40
	v_mov_b32_e32 v42, 0x3ecc95a3
	v_fmac_f32_e32 v42, 0x3e9b6dac, v41
	v_mov_b32_e32 v43, 0x3f2aaada
	v_fmac_f32_e32 v43, v41, v42
	v_mul_f32_e32 v42, 0x3f317218, v15
	v_fma_f32 v44, v15, s25, -v42
	v_fmac_f32_e32 v44, 0xb102e308, v15
	v_sub_f32_e32 v15, v40, v39
	v_sub_f32_e32 v15, v16, v15
	v_add_f32_e32 v16, v42, v44
	v_sub_f32_e32 v39, v16, v42
	v_ldexp_f32 v42, v40, 1
	v_mul_f32_e32 v40, v40, v41
	v_mul_f32_e32 v40, v40, v43
	v_add_f32_e32 v41, v42, v40
	v_sub_f32_e32 v42, v41, v42
	v_ldexp_f32 v15, v15, 1
	v_sub_f32_e32 v40, v40, v42
	v_add_f32_e32 v15, v15, v40
	v_add_f32_e32 v40, v41, v15
	v_sub_f32_e32 v41, v40, v41
	v_sub_f32_e32 v15, v15, v41
	v_add_f32_e32 v41, v16, v40
	v_sub_f32_e32 v42, v41, v16
	v_sub_f32_e32 v43, v41, v42
	;; [unrolled: 1-line block ×5, first 2 shown]
	v_add_f32_e32 v16, v40, v16
	v_add_f32_e32 v40, v39, v15
	v_sub_f32_e32 v42, v40, v39
	v_sub_f32_e32 v43, v40, v42
	;; [unrolled: 1-line block ×4, first 2 shown]
	v_add_f32_e32 v16, v40, v16
	v_add_f32_e32 v15, v15, v39
	;; [unrolled: 1-line block ×3, first 2 shown]
	v_sub_f32_e32 v40, v39, v41
	v_sub_f32_e32 v16, v16, v40
	v_add_f32_e32 v15, v15, v16
	v_add_f32_e32 v15, v39, v15
	v_cmp_neq_f32_e32 vcc, s24, v18
	s_mov_b32 s24, 0x33800000
	v_cndmask_b32_e32 v15, v17, v15, vcc
	v_cmp_lt_f32_e64 vcc, |v18|, s24
	v_cndmask_b32_e32 v15, v15, v18, vcc
	v_add_f32_e32 v15, v14, v15
.LBB507_75:
	s_or_b64 exec, exec, s[4:5]
	v_bfe_u32 v14, v15, 16, 1
	s_movk_i32 s27, 0x7fff
	v_add3_u32 v14, v15, v14, s27
	v_and_b32_e32 v16, 0xffff0000, v14
	v_mov_b32_e32 v14, 0x7fc00000
	v_cmp_o_f32_e32 vcc, v15, v15
	v_cndmask_b32_e32 v15, v14, v16, vcc
	v_lshlrev_b32_sdwa v39, v13, v6 dst_sel:DWORD dst_unused:UNUSED_PAD src0_sel:DWORD src1_sel:WORD_0
	v_max_f32_e32 v13, v15, v15
	v_max_f32_e32 v41, v39, v39
	v_min_f32_e32 v16, v13, v41
	v_cmp_u_f32_e32 vcc, v15, v15
	v_max_f32_e32 v13, v13, v41
	v_cndmask_b32_e32 v16, v16, v15, vcc
	v_cmp_u_f32_e64 s[24:25], v39, v39
	v_cndmask_b32_e32 v13, v13, v15, vcc
	v_cndmask_b32_e64 v16, v16, v39, s[24:25]
	v_cndmask_b32_e64 v13, v13, v39, s[24:25]
	v_cmp_neq_f32_e32 vcc, v16, v13
	v_cmp_class_f32_e64 s[4:5], v16, s26
	s_or_b64 s[28:29], vcc, s[4:5]
	s_and_saveexec_b64 s[4:5], s[28:29]
	s_cbranch_execz .LBB507_77
; %bb.76:
	v_sub_f32_e32 v15, v16, v13
	s_mov_b32 s26, 0x3fb8aa3b
	v_mul_f32_e32 v16, 0x3fb8aa3b, v15
	v_fma_f32 v17, v15, s26, -v16
	v_rndne_f32_e32 v18, v16
	v_fmac_f32_e32 v17, 0x32a5705f, v15
	v_sub_f32_e32 v16, v16, v18
	v_add_f32_e32 v16, v16, v17
	v_exp_f32_e32 v16, v16
	v_cvt_i32_f32_e32 v17, v18
	s_mov_b32 s26, 0xc2ce8ed0
	v_cmp_ngt_f32_e32 vcc, s26, v15
	s_mov_b32 s26, 0x42b17218
	v_ldexp_f32 v16, v16, v17
	v_cndmask_b32_e32 v16, 0, v16, vcc
	v_mov_b32_e32 v17, 0x7f800000
	v_cmp_nlt_f32_e32 vcc, s26, v15
	v_cndmask_b32_e32 v18, v17, v16, vcc
	v_add_f32_e32 v40, 1.0, v18
	v_cvt_f64_f32_e32 v[15:16], v40
	v_add_f32_e32 v42, -1.0, v40
	v_sub_f32_e32 v43, v42, v40
	v_sub_f32_e32 v42, v18, v42
	v_frexp_exp_i32_f64_e32 v15, v[15:16]
	v_add_f32_e32 v16, 1.0, v43
	v_add_f32_e32 v16, v42, v16
	v_frexp_mant_f32_e32 v42, v40
	s_mov_b32 s28, 0x3f2aaaab
	v_cmp_gt_f32_e32 vcc, s28, v42
	s_mov_b32 s28, 0x3f317218
	s_mov_b32 s26, 0x7f800000
	v_subbrev_co_u32_e32 v15, vcc, 0, v15, vcc
	v_sub_u32_e32 v42, 0, v15
	v_ldexp_f32 v40, v40, v42
	v_ldexp_f32 v16, v16, v42
	v_add_f32_e32 v42, -1.0, v40
	v_add_f32_e32 v45, 1.0, v40
	v_add_f32_e32 v43, 1.0, v42
	v_add_f32_e32 v46, -1.0, v45
	v_sub_f32_e32 v43, v40, v43
	v_sub_f32_e32 v40, v40, v46
	v_add_f32_e32 v43, v16, v43
	v_add_f32_e32 v16, v16, v40
	;; [unrolled: 1-line block ×3, first 2 shown]
	v_rcp_f32_e32 v46, v40
	v_add_f32_e32 v44, v42, v43
	v_sub_f32_e32 v42, v42, v44
	v_add_f32_e32 v42, v43, v42
	v_sub_f32_e32 v43, v45, v40
	v_add_f32_e32 v16, v16, v43
	v_mul_f32_e32 v43, v44, v46
	v_mul_f32_e32 v45, v40, v43
	v_fma_f32 v47, v43, v40, -v45
	v_fmac_f32_e32 v47, v43, v16
	v_add_f32_e32 v48, v45, v47
	v_sub_f32_e32 v49, v44, v48
	v_sub_f32_e32 v44, v44, v49
	;; [unrolled: 1-line block ×4, first 2 shown]
	v_add_f32_e32 v42, v42, v44
	v_sub_f32_e32 v44, v45, v47
	v_add_f32_e32 v42, v44, v42
	v_add_f32_e32 v44, v49, v42
	v_mul_f32_e32 v45, v46, v44
	v_mul_f32_e32 v47, v40, v45
	v_fma_f32 v40, v45, v40, -v47
	v_fmac_f32_e32 v40, v45, v16
	v_sub_f32_e32 v16, v49, v44
	v_add_f32_e32 v16, v42, v16
	v_add_f32_e32 v42, v47, v40
	v_sub_f32_e32 v48, v44, v42
	v_sub_f32_e32 v44, v44, v48
	;; [unrolled: 1-line block ×4, first 2 shown]
	v_add_f32_e32 v16, v16, v42
	v_sub_f32_e32 v40, v47, v40
	v_add_f32_e32 v16, v40, v16
	v_add_f32_e32 v40, v43, v45
	;; [unrolled: 1-line block ×3, first 2 shown]
	v_sub_f32_e32 v42, v40, v43
	v_mul_f32_e32 v16, v46, v16
	v_sub_f32_e32 v42, v45, v42
	v_add_f32_e32 v16, v42, v16
	v_cvt_f32_i32_e32 v15, v15
	v_add_f32_e32 v42, v40, v16
	v_mul_f32_e32 v43, v42, v42
	v_mov_b32_e32 v44, 0x3ecc95a3
	v_fmac_f32_e32 v44, 0x3e9b6dac, v43
	v_mov_b32_e32 v45, 0x3f2aaada
	v_fmac_f32_e32 v45, v43, v44
	v_mul_f32_e32 v44, 0x3f317218, v15
	v_fma_f32 v46, v15, s28, -v44
	v_fmac_f32_e32 v46, 0xb102e308, v15
	v_sub_f32_e32 v15, v42, v40
	v_sub_f32_e32 v15, v16, v15
	v_add_f32_e32 v16, v44, v46
	v_sub_f32_e32 v40, v16, v44
	v_ldexp_f32 v44, v42, 1
	v_mul_f32_e32 v42, v42, v43
	v_mul_f32_e32 v42, v42, v45
	v_add_f32_e32 v43, v44, v42
	v_sub_f32_e32 v44, v43, v44
	v_ldexp_f32 v15, v15, 1
	v_sub_f32_e32 v42, v42, v44
	v_add_f32_e32 v15, v15, v42
	v_add_f32_e32 v42, v43, v15
	v_sub_f32_e32 v43, v42, v43
	v_sub_f32_e32 v15, v15, v43
	v_add_f32_e32 v43, v16, v42
	v_sub_f32_e32 v44, v43, v16
	v_sub_f32_e32 v45, v43, v44
	;; [unrolled: 1-line block ×5, first 2 shown]
	v_add_f32_e32 v16, v42, v16
	v_add_f32_e32 v42, v40, v15
	v_sub_f32_e32 v44, v42, v40
	v_sub_f32_e32 v45, v42, v44
	;; [unrolled: 1-line block ×4, first 2 shown]
	v_add_f32_e32 v16, v42, v16
	v_add_f32_e32 v15, v15, v40
	;; [unrolled: 1-line block ×3, first 2 shown]
	v_sub_f32_e32 v42, v40, v43
	v_sub_f32_e32 v16, v16, v42
	v_add_f32_e32 v15, v15, v16
	v_add_f32_e32 v15, v40, v15
	v_cmp_neq_f32_e32 vcc, s26, v18
	s_mov_b32 s26, 0x33800000
	v_cndmask_b32_e32 v15, v17, v15, vcc
	v_cmp_lt_f32_e64 vcc, |v18|, s26
	v_cndmask_b32_e32 v15, v15, v18, vcc
	v_add_f32_e32 v15, v13, v15
.LBB507_77:
	s_or_b64 exec, exec, s[4:5]
	v_bfe_u32 v13, v15, 16, 1
	v_add3_u32 v13, v15, v13, s27
	v_and_b32_e32 v13, 0xffff0000, v13
	v_cmp_o_f32_e32 vcc, v15, v15
	v_cndmask_b32_e32 v15, v14, v13, vcc
	v_mov_b32_e32 v13, 16
	v_lshlrev_b32_sdwa v40, v13, v6 dst_sel:DWORD dst_unused:UNUSED_PAD src0_sel:DWORD src1_sel:WORD_1
	v_max_f32_e32 v14, v15, v15
	v_max_f32_e32 v42, v40, v40
	v_min_f32_e32 v16, v14, v42
	v_cmp_u_f32_e32 vcc, v15, v15
	v_max_f32_e32 v14, v14, v42
	v_cndmask_b32_e32 v16, v16, v15, vcc
	v_cmp_u_f32_e64 s[26:27], v40, v40
	v_cndmask_b32_e32 v14, v14, v15, vcc
	v_cndmask_b32_e64 v16, v16, v40, s[26:27]
	v_cndmask_b32_e64 v14, v14, v40, s[26:27]
	s_movk_i32 s30, 0x1f8
	v_cmp_neq_f32_e32 vcc, v16, v14
	v_cmp_class_f32_e64 s[4:5], v16, s30
	s_or_b64 s[28:29], vcc, s[4:5]
	s_and_saveexec_b64 s[4:5], s[28:29]
	s_cbranch_execz .LBB507_79
; %bb.78:
	v_sub_f32_e32 v15, v16, v14
	s_mov_b32 s28, 0x3fb8aa3b
	v_mul_f32_e32 v16, 0x3fb8aa3b, v15
	v_fma_f32 v17, v15, s28, -v16
	v_rndne_f32_e32 v18, v16
	v_fmac_f32_e32 v17, 0x32a5705f, v15
	v_sub_f32_e32 v16, v16, v18
	v_add_f32_e32 v16, v16, v17
	v_exp_f32_e32 v16, v16
	v_cvt_i32_f32_e32 v17, v18
	s_mov_b32 s28, 0xc2ce8ed0
	v_cmp_ngt_f32_e32 vcc, s28, v15
	s_mov_b32 s28, 0x42b17218
	v_ldexp_f32 v16, v16, v17
	v_cndmask_b32_e32 v16, 0, v16, vcc
	v_mov_b32_e32 v17, 0x7f800000
	v_cmp_nlt_f32_e32 vcc, s28, v15
	v_cndmask_b32_e32 v18, v17, v16, vcc
	v_add_f32_e32 v43, 1.0, v18
	v_cvt_f64_f32_e32 v[15:16], v43
	v_add_f32_e32 v44, -1.0, v43
	v_sub_f32_e32 v45, v44, v43
	v_sub_f32_e32 v44, v18, v44
	v_frexp_exp_i32_f64_e32 v15, v[15:16]
	v_add_f32_e32 v16, 1.0, v45
	v_add_f32_e32 v16, v44, v16
	v_frexp_mant_f32_e32 v44, v43
	s_mov_b32 s29, 0x3f2aaaab
	v_cmp_gt_f32_e32 vcc, s29, v44
	s_mov_b32 s29, 0x3f317218
	s_mov_b32 s28, 0x7f800000
	v_subbrev_co_u32_e32 v15, vcc, 0, v15, vcc
	v_sub_u32_e32 v44, 0, v15
	v_ldexp_f32 v43, v43, v44
	v_ldexp_f32 v16, v16, v44
	v_add_f32_e32 v44, -1.0, v43
	v_add_f32_e32 v47, 1.0, v43
	v_add_f32_e32 v45, 1.0, v44
	v_add_f32_e32 v48, -1.0, v47
	v_sub_f32_e32 v45, v43, v45
	v_sub_f32_e32 v43, v43, v48
	v_add_f32_e32 v45, v16, v45
	v_add_f32_e32 v16, v16, v43
	;; [unrolled: 1-line block ×3, first 2 shown]
	v_rcp_f32_e32 v48, v43
	v_add_f32_e32 v46, v44, v45
	v_sub_f32_e32 v44, v44, v46
	v_add_f32_e32 v44, v45, v44
	v_sub_f32_e32 v45, v47, v43
	v_add_f32_e32 v16, v16, v45
	v_mul_f32_e32 v45, v46, v48
	v_mul_f32_e32 v47, v43, v45
	v_fma_f32 v49, v45, v43, -v47
	v_fmac_f32_e32 v49, v45, v16
	v_add_f32_e32 v50, v47, v49
	v_sub_f32_e32 v51, v46, v50
	v_sub_f32_e32 v46, v46, v51
	;; [unrolled: 1-line block ×4, first 2 shown]
	v_add_f32_e32 v44, v44, v46
	v_sub_f32_e32 v46, v47, v49
	v_add_f32_e32 v44, v46, v44
	v_add_f32_e32 v46, v51, v44
	v_mul_f32_e32 v47, v48, v46
	v_mul_f32_e32 v49, v43, v47
	v_fma_f32 v43, v47, v43, -v49
	v_fmac_f32_e32 v43, v47, v16
	v_sub_f32_e32 v16, v51, v46
	v_add_f32_e32 v16, v44, v16
	v_add_f32_e32 v44, v49, v43
	v_sub_f32_e32 v50, v46, v44
	v_sub_f32_e32 v46, v46, v50
	;; [unrolled: 1-line block ×4, first 2 shown]
	v_add_f32_e32 v16, v16, v44
	v_sub_f32_e32 v43, v49, v43
	v_add_f32_e32 v16, v43, v16
	v_add_f32_e32 v43, v45, v47
	;; [unrolled: 1-line block ×3, first 2 shown]
	v_sub_f32_e32 v44, v43, v45
	v_mul_f32_e32 v16, v48, v16
	v_sub_f32_e32 v44, v47, v44
	v_add_f32_e32 v16, v44, v16
	v_cvt_f32_i32_e32 v15, v15
	v_add_f32_e32 v44, v43, v16
	v_mul_f32_e32 v45, v44, v44
	v_mov_b32_e32 v46, 0x3ecc95a3
	v_fmac_f32_e32 v46, 0x3e9b6dac, v45
	v_mov_b32_e32 v47, 0x3f2aaada
	v_fmac_f32_e32 v47, v45, v46
	v_mul_f32_e32 v46, 0x3f317218, v15
	v_fma_f32 v48, v15, s29, -v46
	v_fmac_f32_e32 v48, 0xb102e308, v15
	v_sub_f32_e32 v15, v44, v43
	v_sub_f32_e32 v15, v16, v15
	v_add_f32_e32 v16, v46, v48
	v_sub_f32_e32 v43, v16, v46
	v_ldexp_f32 v46, v44, 1
	v_mul_f32_e32 v44, v44, v45
	v_mul_f32_e32 v44, v44, v47
	v_add_f32_e32 v45, v46, v44
	v_sub_f32_e32 v46, v45, v46
	v_ldexp_f32 v15, v15, 1
	v_sub_f32_e32 v44, v44, v46
	v_add_f32_e32 v15, v15, v44
	v_add_f32_e32 v44, v45, v15
	v_sub_f32_e32 v45, v44, v45
	v_sub_f32_e32 v15, v15, v45
	v_add_f32_e32 v45, v16, v44
	v_sub_f32_e32 v46, v45, v16
	v_sub_f32_e32 v47, v45, v46
	;; [unrolled: 1-line block ×5, first 2 shown]
	v_add_f32_e32 v16, v44, v16
	v_add_f32_e32 v44, v43, v15
	v_sub_f32_e32 v46, v44, v43
	v_sub_f32_e32 v47, v44, v46
	;; [unrolled: 1-line block ×4, first 2 shown]
	v_add_f32_e32 v16, v44, v16
	v_add_f32_e32 v15, v15, v43
	;; [unrolled: 1-line block ×3, first 2 shown]
	v_sub_f32_e32 v44, v43, v45
	v_sub_f32_e32 v16, v16, v44
	v_add_f32_e32 v15, v15, v16
	v_add_f32_e32 v15, v43, v15
	v_cmp_neq_f32_e32 vcc, s28, v18
	s_mov_b32 s28, 0x33800000
	v_cndmask_b32_e32 v15, v17, v15, vcc
	v_cmp_lt_f32_e64 vcc, |v18|, s28
	v_cndmask_b32_e32 v15, v15, v18, vcc
	v_add_f32_e32 v15, v14, v15
.LBB507_79:
	s_or_b64 exec, exec, s[4:5]
	v_bfe_u32 v14, v15, 16, 1
	s_movk_i32 s31, 0x7fff
	v_add3_u32 v14, v15, v14, s31
	v_and_b32_e32 v16, 0xffff0000, v14
	v_mov_b32_e32 v14, 0x7fc00000
	v_cmp_o_f32_e32 vcc, v15, v15
	v_cndmask_b32_e32 v15, v14, v16, vcc
	v_lshlrev_b32_sdwa v43, v13, v7 dst_sel:DWORD dst_unused:UNUSED_PAD src0_sel:DWORD src1_sel:WORD_0
	v_max_f32_e32 v13, v15, v15
	v_max_f32_e32 v45, v43, v43
	v_min_f32_e32 v16, v13, v45
	v_cmp_u_f32_e32 vcc, v15, v15
	v_max_f32_e32 v13, v13, v45
	v_cndmask_b32_e32 v16, v16, v15, vcc
	v_cmp_u_f32_e64 s[28:29], v43, v43
	v_cndmask_b32_e32 v13, v13, v15, vcc
	v_cndmask_b32_e64 v16, v16, v43, s[28:29]
	v_cndmask_b32_e64 v13, v13, v43, s[28:29]
	v_cmp_neq_f32_e32 vcc, v16, v13
	v_cmp_class_f32_e64 s[4:5], v16, s30
	s_or_b64 s[34:35], vcc, s[4:5]
	s_and_saveexec_b64 s[4:5], s[34:35]
	s_cbranch_execz .LBB507_81
; %bb.80:
	v_sub_f32_e32 v15, v16, v13
	s_mov_b32 s30, 0x3fb8aa3b
	v_mul_f32_e32 v16, 0x3fb8aa3b, v15
	v_fma_f32 v17, v15, s30, -v16
	v_rndne_f32_e32 v18, v16
	v_fmac_f32_e32 v17, 0x32a5705f, v15
	v_sub_f32_e32 v16, v16, v18
	v_add_f32_e32 v16, v16, v17
	v_exp_f32_e32 v16, v16
	v_cvt_i32_f32_e32 v17, v18
	s_mov_b32 s30, 0xc2ce8ed0
	v_cmp_ngt_f32_e32 vcc, s30, v15
	s_mov_b32 s30, 0x42b17218
	v_ldexp_f32 v16, v16, v17
	v_cndmask_b32_e32 v16, 0, v16, vcc
	v_mov_b32_e32 v17, 0x7f800000
	v_cmp_nlt_f32_e32 vcc, s30, v15
	v_cndmask_b32_e32 v18, v17, v16, vcc
	v_add_f32_e32 v44, 1.0, v18
	v_cvt_f64_f32_e32 v[15:16], v44
	v_add_f32_e32 v46, -1.0, v44
	v_sub_f32_e32 v47, v46, v44
	v_sub_f32_e32 v46, v18, v46
	v_frexp_exp_i32_f64_e32 v15, v[15:16]
	v_add_f32_e32 v16, 1.0, v47
	v_add_f32_e32 v16, v46, v16
	v_frexp_mant_f32_e32 v46, v44
	s_mov_b32 s34, 0x3f2aaaab
	v_cmp_gt_f32_e32 vcc, s34, v46
	s_mov_b32 s34, 0x3f317218
	s_mov_b32 s30, 0x7f800000
	v_subbrev_co_u32_e32 v15, vcc, 0, v15, vcc
	v_sub_u32_e32 v46, 0, v15
	v_ldexp_f32 v44, v44, v46
	v_ldexp_f32 v16, v16, v46
	v_add_f32_e32 v46, -1.0, v44
	v_add_f32_e32 v49, 1.0, v44
	v_add_f32_e32 v47, 1.0, v46
	v_add_f32_e32 v50, -1.0, v49
	v_sub_f32_e32 v47, v44, v47
	v_sub_f32_e32 v44, v44, v50
	v_add_f32_e32 v47, v16, v47
	v_add_f32_e32 v16, v16, v44
	v_add_f32_e32 v44, v49, v16
	v_rcp_f32_e32 v50, v44
	v_add_f32_e32 v48, v46, v47
	v_sub_f32_e32 v46, v46, v48
	v_add_f32_e32 v46, v47, v46
	v_sub_f32_e32 v47, v49, v44
	v_add_f32_e32 v16, v16, v47
	v_mul_f32_e32 v47, v48, v50
	v_mul_f32_e32 v49, v44, v47
	v_fma_f32 v51, v47, v44, -v49
	v_fmac_f32_e32 v51, v47, v16
	v_add_f32_e32 v52, v49, v51
	v_sub_f32_e32 v53, v48, v52
	v_sub_f32_e32 v48, v48, v53
	;; [unrolled: 1-line block ×4, first 2 shown]
	v_add_f32_e32 v46, v46, v48
	v_sub_f32_e32 v48, v49, v51
	v_add_f32_e32 v46, v48, v46
	v_add_f32_e32 v48, v53, v46
	v_mul_f32_e32 v49, v50, v48
	v_mul_f32_e32 v51, v44, v49
	v_fma_f32 v44, v49, v44, -v51
	v_fmac_f32_e32 v44, v49, v16
	v_sub_f32_e32 v16, v53, v48
	v_add_f32_e32 v16, v46, v16
	v_add_f32_e32 v46, v51, v44
	v_sub_f32_e32 v52, v48, v46
	v_sub_f32_e32 v48, v48, v52
	;; [unrolled: 1-line block ×4, first 2 shown]
	v_add_f32_e32 v16, v16, v46
	v_sub_f32_e32 v44, v51, v44
	v_add_f32_e32 v16, v44, v16
	v_add_f32_e32 v44, v47, v49
	v_add_f32_e32 v16, v52, v16
	v_sub_f32_e32 v46, v44, v47
	v_mul_f32_e32 v16, v50, v16
	v_sub_f32_e32 v46, v49, v46
	v_add_f32_e32 v16, v46, v16
	v_cvt_f32_i32_e32 v15, v15
	v_add_f32_e32 v46, v44, v16
	v_mul_f32_e32 v47, v46, v46
	v_mov_b32_e32 v48, 0x3ecc95a3
	v_fmac_f32_e32 v48, 0x3e9b6dac, v47
	v_mov_b32_e32 v49, 0x3f2aaada
	v_fmac_f32_e32 v49, v47, v48
	v_mul_f32_e32 v48, 0x3f317218, v15
	v_fma_f32 v50, v15, s34, -v48
	v_fmac_f32_e32 v50, 0xb102e308, v15
	v_sub_f32_e32 v15, v46, v44
	v_sub_f32_e32 v15, v16, v15
	v_add_f32_e32 v16, v48, v50
	v_sub_f32_e32 v44, v16, v48
	v_ldexp_f32 v48, v46, 1
	v_mul_f32_e32 v46, v46, v47
	v_mul_f32_e32 v46, v46, v49
	v_add_f32_e32 v47, v48, v46
	v_sub_f32_e32 v48, v47, v48
	v_ldexp_f32 v15, v15, 1
	v_sub_f32_e32 v46, v46, v48
	v_add_f32_e32 v15, v15, v46
	v_add_f32_e32 v46, v47, v15
	v_sub_f32_e32 v47, v46, v47
	v_sub_f32_e32 v15, v15, v47
	v_add_f32_e32 v47, v16, v46
	v_sub_f32_e32 v48, v47, v16
	v_sub_f32_e32 v49, v47, v48
	;; [unrolled: 1-line block ×5, first 2 shown]
	v_add_f32_e32 v16, v46, v16
	v_add_f32_e32 v46, v44, v15
	v_sub_f32_e32 v48, v46, v44
	v_sub_f32_e32 v49, v46, v48
	;; [unrolled: 1-line block ×4, first 2 shown]
	v_add_f32_e32 v16, v46, v16
	v_add_f32_e32 v15, v15, v44
	;; [unrolled: 1-line block ×3, first 2 shown]
	v_sub_f32_e32 v46, v44, v47
	v_sub_f32_e32 v16, v16, v46
	v_add_f32_e32 v15, v15, v16
	v_add_f32_e32 v15, v44, v15
	v_cmp_neq_f32_e32 vcc, s30, v18
	s_mov_b32 s30, 0x33800000
	v_cndmask_b32_e32 v15, v17, v15, vcc
	v_cmp_lt_f32_e64 vcc, |v18|, s30
	v_cndmask_b32_e32 v15, v15, v18, vcc
	v_add_f32_e32 v15, v13, v15
.LBB507_81:
	s_or_b64 exec, exec, s[4:5]
	v_bfe_u32 v13, v15, 16, 1
	v_add3_u32 v13, v15, v13, s31
	v_and_b32_e32 v13, 0xffff0000, v13
	v_cmp_o_f32_e32 vcc, v15, v15
	v_cndmask_b32_e32 v15, v14, v13, vcc
	v_mov_b32_e32 v13, 16
	v_lshlrev_b32_sdwa v44, v13, v7 dst_sel:DWORD dst_unused:UNUSED_PAD src0_sel:DWORD src1_sel:WORD_1
	v_max_f32_e32 v14, v15, v15
	v_max_f32_e32 v46, v44, v44
	v_min_f32_e32 v16, v14, v46
	v_cmp_u_f32_e32 vcc, v15, v15
	v_max_f32_e32 v14, v14, v46
	v_cndmask_b32_e32 v16, v16, v15, vcc
	v_cmp_u_f32_e64 s[30:31], v44, v44
	v_cndmask_b32_e32 v14, v14, v15, vcc
	v_cndmask_b32_e64 v16, v16, v44, s[30:31]
	v_cndmask_b32_e64 v14, v14, v44, s[30:31]
	s_movk_i32 s36, 0x1f8
	v_cmp_neq_f32_e32 vcc, v16, v14
	v_cmp_class_f32_e64 s[4:5], v16, s36
	s_or_b64 s[34:35], vcc, s[4:5]
	s_and_saveexec_b64 s[4:5], s[34:35]
	s_cbranch_execz .LBB507_83
; %bb.82:
	v_sub_f32_e32 v15, v16, v14
	s_mov_b32 s34, 0x3fb8aa3b
	v_mul_f32_e32 v16, 0x3fb8aa3b, v15
	v_fma_f32 v17, v15, s34, -v16
	v_rndne_f32_e32 v18, v16
	v_fmac_f32_e32 v17, 0x32a5705f, v15
	v_sub_f32_e32 v16, v16, v18
	v_add_f32_e32 v16, v16, v17
	v_exp_f32_e32 v16, v16
	v_cvt_i32_f32_e32 v17, v18
	s_mov_b32 s34, 0xc2ce8ed0
	v_cmp_ngt_f32_e32 vcc, s34, v15
	s_mov_b32 s34, 0x42b17218
	v_ldexp_f32 v16, v16, v17
	v_cndmask_b32_e32 v16, 0, v16, vcc
	v_mov_b32_e32 v17, 0x7f800000
	v_cmp_nlt_f32_e32 vcc, s34, v15
	v_cndmask_b32_e32 v18, v17, v16, vcc
	v_add_f32_e32 v47, 1.0, v18
	v_cvt_f64_f32_e32 v[15:16], v47
	v_add_f32_e32 v48, -1.0, v47
	v_sub_f32_e32 v49, v48, v47
	v_sub_f32_e32 v48, v18, v48
	v_frexp_exp_i32_f64_e32 v15, v[15:16]
	v_add_f32_e32 v16, 1.0, v49
	v_add_f32_e32 v16, v48, v16
	v_frexp_mant_f32_e32 v48, v47
	s_mov_b32 s35, 0x3f2aaaab
	v_cmp_gt_f32_e32 vcc, s35, v48
	s_mov_b32 s35, 0x3f317218
	s_mov_b32 s34, 0x7f800000
	v_subbrev_co_u32_e32 v15, vcc, 0, v15, vcc
	v_sub_u32_e32 v48, 0, v15
	v_ldexp_f32 v47, v47, v48
	v_ldexp_f32 v16, v16, v48
	v_add_f32_e32 v48, -1.0, v47
	v_add_f32_e32 v51, 1.0, v47
	v_add_f32_e32 v49, 1.0, v48
	v_add_f32_e32 v52, -1.0, v51
	v_sub_f32_e32 v49, v47, v49
	v_sub_f32_e32 v47, v47, v52
	v_add_f32_e32 v49, v16, v49
	v_add_f32_e32 v16, v16, v47
	;; [unrolled: 1-line block ×3, first 2 shown]
	v_rcp_f32_e32 v52, v47
	v_add_f32_e32 v50, v48, v49
	v_sub_f32_e32 v48, v48, v50
	v_add_f32_e32 v48, v49, v48
	v_sub_f32_e32 v49, v51, v47
	v_add_f32_e32 v16, v16, v49
	v_mul_f32_e32 v49, v50, v52
	v_mul_f32_e32 v51, v47, v49
	v_fma_f32 v53, v49, v47, -v51
	v_fmac_f32_e32 v53, v49, v16
	v_add_f32_e32 v54, v51, v53
	v_sub_f32_e32 v55, v50, v54
	v_sub_f32_e32 v50, v50, v55
	;; [unrolled: 1-line block ×4, first 2 shown]
	v_add_f32_e32 v48, v48, v50
	v_sub_f32_e32 v50, v51, v53
	v_add_f32_e32 v48, v50, v48
	v_add_f32_e32 v50, v55, v48
	v_mul_f32_e32 v51, v52, v50
	v_mul_f32_e32 v53, v47, v51
	v_fma_f32 v47, v51, v47, -v53
	v_fmac_f32_e32 v47, v51, v16
	v_sub_f32_e32 v16, v55, v50
	v_add_f32_e32 v16, v48, v16
	v_add_f32_e32 v48, v53, v47
	v_sub_f32_e32 v54, v50, v48
	v_sub_f32_e32 v50, v50, v54
	;; [unrolled: 1-line block ×4, first 2 shown]
	v_add_f32_e32 v16, v16, v48
	v_sub_f32_e32 v47, v53, v47
	v_add_f32_e32 v16, v47, v16
	v_add_f32_e32 v47, v49, v51
	;; [unrolled: 1-line block ×3, first 2 shown]
	v_sub_f32_e32 v48, v47, v49
	v_mul_f32_e32 v16, v52, v16
	v_sub_f32_e32 v48, v51, v48
	v_add_f32_e32 v16, v48, v16
	v_cvt_f32_i32_e32 v15, v15
	v_add_f32_e32 v48, v47, v16
	v_mul_f32_e32 v49, v48, v48
	v_mov_b32_e32 v50, 0x3ecc95a3
	v_fmac_f32_e32 v50, 0x3e9b6dac, v49
	v_mov_b32_e32 v51, 0x3f2aaada
	v_fmac_f32_e32 v51, v49, v50
	v_mul_f32_e32 v50, 0x3f317218, v15
	v_fma_f32 v52, v15, s35, -v50
	v_fmac_f32_e32 v52, 0xb102e308, v15
	v_sub_f32_e32 v15, v48, v47
	v_sub_f32_e32 v15, v16, v15
	v_add_f32_e32 v16, v50, v52
	v_sub_f32_e32 v47, v16, v50
	v_ldexp_f32 v50, v48, 1
	v_mul_f32_e32 v48, v48, v49
	v_mul_f32_e32 v48, v48, v51
	v_add_f32_e32 v49, v50, v48
	v_sub_f32_e32 v50, v49, v50
	v_ldexp_f32 v15, v15, 1
	v_sub_f32_e32 v48, v48, v50
	v_add_f32_e32 v15, v15, v48
	v_add_f32_e32 v48, v49, v15
	v_sub_f32_e32 v49, v48, v49
	v_sub_f32_e32 v15, v15, v49
	v_add_f32_e32 v49, v16, v48
	v_sub_f32_e32 v50, v49, v16
	v_sub_f32_e32 v51, v49, v50
	;; [unrolled: 1-line block ×5, first 2 shown]
	v_add_f32_e32 v16, v48, v16
	v_add_f32_e32 v48, v47, v15
	v_sub_f32_e32 v50, v48, v47
	v_sub_f32_e32 v51, v48, v50
	;; [unrolled: 1-line block ×4, first 2 shown]
	v_add_f32_e32 v16, v48, v16
	v_add_f32_e32 v15, v15, v47
	;; [unrolled: 1-line block ×3, first 2 shown]
	v_sub_f32_e32 v48, v47, v49
	v_sub_f32_e32 v16, v16, v48
	v_add_f32_e32 v15, v15, v16
	v_add_f32_e32 v15, v47, v15
	v_cmp_neq_f32_e32 vcc, s34, v18
	s_mov_b32 s34, 0x33800000
	v_cndmask_b32_e32 v15, v17, v15, vcc
	v_cmp_lt_f32_e64 vcc, |v18|, s34
	v_cndmask_b32_e32 v15, v15, v18, vcc
	v_add_f32_e32 v15, v14, v15
.LBB507_83:
	s_or_b64 exec, exec, s[4:5]
	v_bfe_u32 v14, v15, 16, 1
	s_movk_i32 s37, 0x7fff
	v_add3_u32 v14, v15, v14, s37
	v_and_b32_e32 v16, 0xffff0000, v14
	v_mov_b32_e32 v14, 0x7fc00000
	v_cmp_o_f32_e32 vcc, v15, v15
	v_cndmask_b32_e32 v15, v14, v16, vcc
	v_lshlrev_b32_sdwa v47, v13, v8 dst_sel:DWORD dst_unused:UNUSED_PAD src0_sel:DWORD src1_sel:WORD_0
	v_max_f32_e32 v13, v15, v15
	v_max_f32_e32 v49, v47, v47
	v_min_f32_e32 v16, v13, v49
	v_cmp_u_f32_e32 vcc, v15, v15
	v_max_f32_e32 v13, v13, v49
	v_cndmask_b32_e32 v16, v16, v15, vcc
	v_cmp_u_f32_e64 s[34:35], v47, v47
	v_cndmask_b32_e32 v13, v13, v15, vcc
	v_cndmask_b32_e64 v16, v16, v47, s[34:35]
	v_cndmask_b32_e64 v13, v13, v47, s[34:35]
	v_cmp_neq_f32_e32 vcc, v16, v13
	v_cmp_class_f32_e64 s[4:5], v16, s36
	s_or_b64 s[38:39], vcc, s[4:5]
	s_and_saveexec_b64 s[4:5], s[38:39]
	s_cbranch_execz .LBB507_85
; %bb.84:
	v_sub_f32_e32 v15, v16, v13
	s_mov_b32 s36, 0x3fb8aa3b
	v_mul_f32_e32 v16, 0x3fb8aa3b, v15
	v_fma_f32 v17, v15, s36, -v16
	v_rndne_f32_e32 v18, v16
	v_fmac_f32_e32 v17, 0x32a5705f, v15
	v_sub_f32_e32 v16, v16, v18
	v_add_f32_e32 v16, v16, v17
	v_exp_f32_e32 v16, v16
	v_cvt_i32_f32_e32 v17, v18
	s_mov_b32 s36, 0xc2ce8ed0
	v_cmp_ngt_f32_e32 vcc, s36, v15
	s_mov_b32 s36, 0x42b17218
	v_ldexp_f32 v16, v16, v17
	v_cndmask_b32_e32 v16, 0, v16, vcc
	v_mov_b32_e32 v17, 0x7f800000
	v_cmp_nlt_f32_e32 vcc, s36, v15
	v_cndmask_b32_e32 v18, v17, v16, vcc
	v_add_f32_e32 v48, 1.0, v18
	v_cvt_f64_f32_e32 v[15:16], v48
	v_add_f32_e32 v50, -1.0, v48
	v_sub_f32_e32 v51, v50, v48
	v_sub_f32_e32 v50, v18, v50
	v_frexp_exp_i32_f64_e32 v15, v[15:16]
	v_add_f32_e32 v16, 1.0, v51
	v_add_f32_e32 v16, v50, v16
	v_frexp_mant_f32_e32 v50, v48
	s_mov_b32 s38, 0x3f2aaaab
	v_cmp_gt_f32_e32 vcc, s38, v50
	s_mov_b32 s38, 0x3f317218
	s_mov_b32 s36, 0x7f800000
	v_subbrev_co_u32_e32 v15, vcc, 0, v15, vcc
	v_sub_u32_e32 v50, 0, v15
	v_ldexp_f32 v48, v48, v50
	v_ldexp_f32 v16, v16, v50
	v_add_f32_e32 v50, -1.0, v48
	v_add_f32_e32 v53, 1.0, v48
	v_add_f32_e32 v51, 1.0, v50
	v_add_f32_e32 v54, -1.0, v53
	v_sub_f32_e32 v51, v48, v51
	v_sub_f32_e32 v48, v48, v54
	v_add_f32_e32 v51, v16, v51
	v_add_f32_e32 v16, v16, v48
	v_add_f32_e32 v48, v53, v16
	v_rcp_f32_e32 v54, v48
	v_add_f32_e32 v52, v50, v51
	v_sub_f32_e32 v50, v50, v52
	v_add_f32_e32 v50, v51, v50
	v_sub_f32_e32 v51, v53, v48
	v_add_f32_e32 v16, v16, v51
	v_mul_f32_e32 v51, v52, v54
	v_mul_f32_e32 v53, v48, v51
	v_fma_f32 v55, v51, v48, -v53
	v_fmac_f32_e32 v55, v51, v16
	v_add_f32_e32 v56, v53, v55
	v_sub_f32_e32 v57, v52, v56
	v_sub_f32_e32 v52, v52, v57
	;; [unrolled: 1-line block ×4, first 2 shown]
	v_add_f32_e32 v50, v50, v52
	v_sub_f32_e32 v52, v53, v55
	v_add_f32_e32 v50, v52, v50
	v_add_f32_e32 v52, v57, v50
	v_mul_f32_e32 v53, v54, v52
	v_mul_f32_e32 v55, v48, v53
	v_fma_f32 v48, v53, v48, -v55
	v_fmac_f32_e32 v48, v53, v16
	v_sub_f32_e32 v16, v57, v52
	v_add_f32_e32 v16, v50, v16
	v_add_f32_e32 v50, v55, v48
	v_sub_f32_e32 v56, v52, v50
	v_sub_f32_e32 v52, v52, v56
	v_sub_f32_e32 v55, v50, v55
	v_sub_f32_e32 v50, v52, v50
	v_add_f32_e32 v16, v16, v50
	v_sub_f32_e32 v48, v55, v48
	v_add_f32_e32 v16, v48, v16
	v_add_f32_e32 v48, v51, v53
	;; [unrolled: 1-line block ×3, first 2 shown]
	v_sub_f32_e32 v50, v48, v51
	v_mul_f32_e32 v16, v54, v16
	v_sub_f32_e32 v50, v53, v50
	v_add_f32_e32 v16, v50, v16
	v_cvt_f32_i32_e32 v15, v15
	v_add_f32_e32 v50, v48, v16
	v_mul_f32_e32 v51, v50, v50
	v_mov_b32_e32 v52, 0x3ecc95a3
	v_fmac_f32_e32 v52, 0x3e9b6dac, v51
	v_mov_b32_e32 v53, 0x3f2aaada
	v_fmac_f32_e32 v53, v51, v52
	v_mul_f32_e32 v52, 0x3f317218, v15
	v_fma_f32 v54, v15, s38, -v52
	v_fmac_f32_e32 v54, 0xb102e308, v15
	v_sub_f32_e32 v15, v50, v48
	v_sub_f32_e32 v15, v16, v15
	v_add_f32_e32 v16, v52, v54
	v_sub_f32_e32 v48, v16, v52
	v_ldexp_f32 v52, v50, 1
	v_mul_f32_e32 v50, v50, v51
	v_mul_f32_e32 v50, v50, v53
	v_add_f32_e32 v51, v52, v50
	v_sub_f32_e32 v52, v51, v52
	v_ldexp_f32 v15, v15, 1
	v_sub_f32_e32 v50, v50, v52
	v_add_f32_e32 v15, v15, v50
	v_add_f32_e32 v50, v51, v15
	v_sub_f32_e32 v51, v50, v51
	v_sub_f32_e32 v15, v15, v51
	v_add_f32_e32 v51, v16, v50
	v_sub_f32_e32 v52, v51, v16
	v_sub_f32_e32 v53, v51, v52
	;; [unrolled: 1-line block ×5, first 2 shown]
	v_add_f32_e32 v16, v50, v16
	v_add_f32_e32 v50, v48, v15
	v_sub_f32_e32 v52, v50, v48
	v_sub_f32_e32 v53, v50, v52
	;; [unrolled: 1-line block ×4, first 2 shown]
	v_add_f32_e32 v16, v50, v16
	v_add_f32_e32 v15, v15, v48
	;; [unrolled: 1-line block ×3, first 2 shown]
	v_sub_f32_e32 v50, v48, v51
	v_sub_f32_e32 v16, v16, v50
	v_add_f32_e32 v15, v15, v16
	v_add_f32_e32 v15, v48, v15
	v_cmp_neq_f32_e32 vcc, s36, v18
	s_mov_b32 s36, 0x33800000
	v_cndmask_b32_e32 v15, v17, v15, vcc
	v_cmp_lt_f32_e64 vcc, |v18|, s36
	v_cndmask_b32_e32 v15, v15, v18, vcc
	v_add_f32_e32 v15, v13, v15
.LBB507_85:
	s_or_b64 exec, exec, s[4:5]
	v_bfe_u32 v13, v15, 16, 1
	v_add3_u32 v13, v15, v13, s37
	v_and_b32_e32 v13, 0xffff0000, v13
	v_cmp_o_f32_e32 vcc, v15, v15
	v_cndmask_b32_e32 v15, v14, v13, vcc
	v_mov_b32_e32 v13, 16
	v_lshlrev_b32_sdwa v48, v13, v8 dst_sel:DWORD dst_unused:UNUSED_PAD src0_sel:DWORD src1_sel:WORD_1
	v_max_f32_e32 v14, v15, v15
	v_max_f32_e32 v50, v48, v48
	v_min_f32_e32 v16, v14, v50
	v_cmp_u_f32_e32 vcc, v15, v15
	v_max_f32_e32 v14, v14, v50
	v_cndmask_b32_e32 v16, v16, v15, vcc
	v_cmp_u_f32_e64 s[36:37], v48, v48
	v_cndmask_b32_e32 v14, v14, v15, vcc
	v_cndmask_b32_e64 v16, v16, v48, s[36:37]
	v_cndmask_b32_e64 v14, v14, v48, s[36:37]
	s_movk_i32 s40, 0x1f8
	v_cmp_neq_f32_e32 vcc, v16, v14
	v_cmp_class_f32_e64 s[4:5], v16, s40
	s_or_b64 s[38:39], vcc, s[4:5]
	s_and_saveexec_b64 s[4:5], s[38:39]
	s_cbranch_execz .LBB507_87
; %bb.86:
	v_sub_f32_e32 v15, v16, v14
	s_mov_b32 s38, 0x3fb8aa3b
	v_mul_f32_e32 v16, 0x3fb8aa3b, v15
	v_fma_f32 v17, v15, s38, -v16
	v_rndne_f32_e32 v18, v16
	v_fmac_f32_e32 v17, 0x32a5705f, v15
	v_sub_f32_e32 v16, v16, v18
	v_add_f32_e32 v16, v16, v17
	v_exp_f32_e32 v16, v16
	v_cvt_i32_f32_e32 v17, v18
	s_mov_b32 s38, 0xc2ce8ed0
	v_cmp_ngt_f32_e32 vcc, s38, v15
	s_mov_b32 s38, 0x42b17218
	v_ldexp_f32 v16, v16, v17
	v_cndmask_b32_e32 v16, 0, v16, vcc
	v_mov_b32_e32 v17, 0x7f800000
	v_cmp_nlt_f32_e32 vcc, s38, v15
	v_cndmask_b32_e32 v18, v17, v16, vcc
	v_add_f32_e32 v51, 1.0, v18
	v_cvt_f64_f32_e32 v[15:16], v51
	v_add_f32_e32 v52, -1.0, v51
	v_sub_f32_e32 v53, v52, v51
	v_sub_f32_e32 v52, v18, v52
	v_frexp_exp_i32_f64_e32 v15, v[15:16]
	v_add_f32_e32 v16, 1.0, v53
	v_add_f32_e32 v16, v52, v16
	v_frexp_mant_f32_e32 v52, v51
	s_mov_b32 s39, 0x3f2aaaab
	v_cmp_gt_f32_e32 vcc, s39, v52
	s_mov_b32 s39, 0x3f317218
	s_mov_b32 s38, 0x7f800000
	v_subbrev_co_u32_e32 v15, vcc, 0, v15, vcc
	v_sub_u32_e32 v52, 0, v15
	v_ldexp_f32 v51, v51, v52
	v_ldexp_f32 v16, v16, v52
	v_add_f32_e32 v52, -1.0, v51
	v_add_f32_e32 v55, 1.0, v51
	v_add_f32_e32 v53, 1.0, v52
	v_add_f32_e32 v56, -1.0, v55
	v_sub_f32_e32 v53, v51, v53
	v_sub_f32_e32 v51, v51, v56
	v_add_f32_e32 v53, v16, v53
	v_add_f32_e32 v16, v16, v51
	;; [unrolled: 1-line block ×3, first 2 shown]
	v_rcp_f32_e32 v56, v51
	v_add_f32_e32 v54, v52, v53
	v_sub_f32_e32 v52, v52, v54
	v_add_f32_e32 v52, v53, v52
	v_sub_f32_e32 v53, v55, v51
	v_add_f32_e32 v16, v16, v53
	v_mul_f32_e32 v53, v54, v56
	v_mul_f32_e32 v55, v51, v53
	v_fma_f32 v57, v53, v51, -v55
	v_fmac_f32_e32 v57, v53, v16
	v_add_f32_e32 v58, v55, v57
	v_sub_f32_e32 v59, v54, v58
	v_sub_f32_e32 v54, v54, v59
	v_sub_f32_e32 v55, v58, v55
	v_sub_f32_e32 v54, v54, v58
	v_add_f32_e32 v52, v52, v54
	v_sub_f32_e32 v54, v55, v57
	v_add_f32_e32 v52, v54, v52
	v_add_f32_e32 v54, v59, v52
	v_mul_f32_e32 v55, v56, v54
	v_mul_f32_e32 v57, v51, v55
	v_fma_f32 v51, v55, v51, -v57
	v_fmac_f32_e32 v51, v55, v16
	v_sub_f32_e32 v16, v59, v54
	v_add_f32_e32 v16, v52, v16
	v_add_f32_e32 v52, v57, v51
	v_sub_f32_e32 v58, v54, v52
	v_sub_f32_e32 v54, v54, v58
	;; [unrolled: 1-line block ×4, first 2 shown]
	v_add_f32_e32 v16, v16, v52
	v_sub_f32_e32 v51, v57, v51
	v_add_f32_e32 v16, v51, v16
	v_add_f32_e32 v51, v53, v55
	;; [unrolled: 1-line block ×3, first 2 shown]
	v_sub_f32_e32 v52, v51, v53
	v_mul_f32_e32 v16, v56, v16
	v_sub_f32_e32 v52, v55, v52
	v_add_f32_e32 v16, v52, v16
	v_cvt_f32_i32_e32 v15, v15
	v_add_f32_e32 v52, v51, v16
	v_mul_f32_e32 v53, v52, v52
	v_mov_b32_e32 v54, 0x3ecc95a3
	v_fmac_f32_e32 v54, 0x3e9b6dac, v53
	v_mov_b32_e32 v55, 0x3f2aaada
	v_fmac_f32_e32 v55, v53, v54
	v_mul_f32_e32 v54, 0x3f317218, v15
	v_fma_f32 v56, v15, s39, -v54
	v_fmac_f32_e32 v56, 0xb102e308, v15
	v_sub_f32_e32 v15, v52, v51
	v_sub_f32_e32 v15, v16, v15
	v_add_f32_e32 v16, v54, v56
	v_sub_f32_e32 v51, v16, v54
	v_ldexp_f32 v54, v52, 1
	v_mul_f32_e32 v52, v52, v53
	v_mul_f32_e32 v52, v52, v55
	v_add_f32_e32 v53, v54, v52
	v_sub_f32_e32 v54, v53, v54
	v_ldexp_f32 v15, v15, 1
	v_sub_f32_e32 v52, v52, v54
	v_add_f32_e32 v15, v15, v52
	v_add_f32_e32 v52, v53, v15
	v_sub_f32_e32 v53, v52, v53
	v_sub_f32_e32 v15, v15, v53
	v_add_f32_e32 v53, v16, v52
	v_sub_f32_e32 v54, v53, v16
	v_sub_f32_e32 v55, v53, v54
	;; [unrolled: 1-line block ×5, first 2 shown]
	v_add_f32_e32 v16, v52, v16
	v_add_f32_e32 v52, v51, v15
	v_sub_f32_e32 v54, v52, v51
	v_sub_f32_e32 v55, v52, v54
	;; [unrolled: 1-line block ×4, first 2 shown]
	v_add_f32_e32 v16, v52, v16
	v_add_f32_e32 v15, v15, v51
	v_add_f32_e32 v51, v53, v16
	v_sub_f32_e32 v52, v51, v53
	v_sub_f32_e32 v16, v16, v52
	v_add_f32_e32 v15, v15, v16
	v_add_f32_e32 v15, v51, v15
	v_cmp_neq_f32_e32 vcc, s38, v18
	s_mov_b32 s38, 0x33800000
	v_cndmask_b32_e32 v15, v17, v15, vcc
	v_cmp_lt_f32_e64 vcc, |v18|, s38
	v_cndmask_b32_e32 v15, v15, v18, vcc
	v_add_f32_e32 v15, v14, v15
.LBB507_87:
	s_or_b64 exec, exec, s[4:5]
	v_bfe_u32 v14, v15, 16, 1
	s_movk_i32 s41, 0x7fff
	v_add3_u32 v14, v15, v14, s41
	v_and_b32_e32 v16, 0xffff0000, v14
	v_mov_b32_e32 v14, 0x7fc00000
	v_cmp_o_f32_e32 vcc, v15, v15
	v_cndmask_b32_e32 v15, v14, v16, vcc
	v_lshlrev_b32_sdwa v51, v13, v1 dst_sel:DWORD dst_unused:UNUSED_PAD src0_sel:DWORD src1_sel:WORD_0
	v_max_f32_e32 v13, v15, v15
	v_max_f32_e32 v53, v51, v51
	v_min_f32_e32 v16, v13, v53
	v_cmp_u_f32_e32 vcc, v15, v15
	v_max_f32_e32 v13, v13, v53
	v_cndmask_b32_e32 v16, v16, v15, vcc
	v_cmp_u_f32_e64 s[38:39], v51, v51
	v_cndmask_b32_e32 v13, v13, v15, vcc
	v_cndmask_b32_e64 v16, v16, v51, s[38:39]
	v_cndmask_b32_e64 v13, v13, v51, s[38:39]
	v_cmp_neq_f32_e32 vcc, v16, v13
	v_cmp_class_f32_e64 s[4:5], v16, s40
	s_or_b64 s[42:43], vcc, s[4:5]
	s_and_saveexec_b64 s[4:5], s[42:43]
	s_cbranch_execz .LBB507_89
; %bb.88:
	v_sub_f32_e32 v15, v16, v13
	s_mov_b32 s40, 0x3fb8aa3b
	v_mul_f32_e32 v16, 0x3fb8aa3b, v15
	v_fma_f32 v17, v15, s40, -v16
	v_rndne_f32_e32 v18, v16
	v_fmac_f32_e32 v17, 0x32a5705f, v15
	v_sub_f32_e32 v16, v16, v18
	v_add_f32_e32 v16, v16, v17
	v_exp_f32_e32 v16, v16
	v_cvt_i32_f32_e32 v17, v18
	s_mov_b32 s40, 0xc2ce8ed0
	v_cmp_ngt_f32_e32 vcc, s40, v15
	s_mov_b32 s40, 0x42b17218
	v_ldexp_f32 v16, v16, v17
	v_cndmask_b32_e32 v16, 0, v16, vcc
	v_mov_b32_e32 v17, 0x7f800000
	v_cmp_nlt_f32_e32 vcc, s40, v15
	v_cndmask_b32_e32 v18, v17, v16, vcc
	v_add_f32_e32 v52, 1.0, v18
	v_cvt_f64_f32_e32 v[15:16], v52
	v_add_f32_e32 v54, -1.0, v52
	v_sub_f32_e32 v55, v54, v52
	v_sub_f32_e32 v54, v18, v54
	v_frexp_exp_i32_f64_e32 v15, v[15:16]
	v_add_f32_e32 v16, 1.0, v55
	v_add_f32_e32 v16, v54, v16
	v_frexp_mant_f32_e32 v54, v52
	s_mov_b32 s42, 0x3f2aaaab
	v_cmp_gt_f32_e32 vcc, s42, v54
	s_mov_b32 s42, 0x3f317218
	s_mov_b32 s40, 0x7f800000
	v_subbrev_co_u32_e32 v15, vcc, 0, v15, vcc
	v_sub_u32_e32 v54, 0, v15
	v_ldexp_f32 v52, v52, v54
	v_ldexp_f32 v16, v16, v54
	v_add_f32_e32 v54, -1.0, v52
	v_add_f32_e32 v57, 1.0, v52
	v_add_f32_e32 v55, 1.0, v54
	v_add_f32_e32 v58, -1.0, v57
	v_sub_f32_e32 v55, v52, v55
	v_sub_f32_e32 v52, v52, v58
	v_add_f32_e32 v55, v16, v55
	v_add_f32_e32 v16, v16, v52
	;; [unrolled: 1-line block ×3, first 2 shown]
	v_rcp_f32_e32 v58, v52
	v_add_f32_e32 v56, v54, v55
	v_sub_f32_e32 v54, v54, v56
	v_add_f32_e32 v54, v55, v54
	v_sub_f32_e32 v55, v57, v52
	v_add_f32_e32 v16, v16, v55
	v_mul_f32_e32 v55, v56, v58
	v_mul_f32_e32 v57, v52, v55
	v_fma_f32 v59, v55, v52, -v57
	v_fmac_f32_e32 v59, v55, v16
	v_add_f32_e32 v60, v57, v59
	v_sub_f32_e32 v61, v56, v60
	v_sub_f32_e32 v56, v56, v61
	;; [unrolled: 1-line block ×4, first 2 shown]
	v_add_f32_e32 v54, v54, v56
	v_sub_f32_e32 v56, v57, v59
	v_add_f32_e32 v54, v56, v54
	v_add_f32_e32 v56, v61, v54
	v_mul_f32_e32 v57, v58, v56
	v_mul_f32_e32 v59, v52, v57
	v_fma_f32 v52, v57, v52, -v59
	v_fmac_f32_e32 v52, v57, v16
	v_sub_f32_e32 v16, v61, v56
	v_add_f32_e32 v16, v54, v16
	v_add_f32_e32 v54, v59, v52
	v_sub_f32_e32 v60, v56, v54
	v_sub_f32_e32 v56, v56, v60
	;; [unrolled: 1-line block ×4, first 2 shown]
	v_add_f32_e32 v16, v16, v54
	v_sub_f32_e32 v52, v59, v52
	v_add_f32_e32 v16, v52, v16
	v_add_f32_e32 v52, v55, v57
	;; [unrolled: 1-line block ×3, first 2 shown]
	v_sub_f32_e32 v54, v52, v55
	v_mul_f32_e32 v16, v58, v16
	v_sub_f32_e32 v54, v57, v54
	v_add_f32_e32 v16, v54, v16
	v_cvt_f32_i32_e32 v15, v15
	v_add_f32_e32 v54, v52, v16
	v_mul_f32_e32 v55, v54, v54
	v_mov_b32_e32 v56, 0x3ecc95a3
	v_fmac_f32_e32 v56, 0x3e9b6dac, v55
	v_mov_b32_e32 v57, 0x3f2aaada
	v_fmac_f32_e32 v57, v55, v56
	v_mul_f32_e32 v56, 0x3f317218, v15
	v_fma_f32 v58, v15, s42, -v56
	v_fmac_f32_e32 v58, 0xb102e308, v15
	v_sub_f32_e32 v15, v54, v52
	v_sub_f32_e32 v15, v16, v15
	v_add_f32_e32 v16, v56, v58
	v_sub_f32_e32 v52, v16, v56
	v_ldexp_f32 v56, v54, 1
	v_mul_f32_e32 v54, v54, v55
	v_mul_f32_e32 v54, v54, v57
	v_add_f32_e32 v55, v56, v54
	v_sub_f32_e32 v56, v55, v56
	v_ldexp_f32 v15, v15, 1
	v_sub_f32_e32 v54, v54, v56
	v_add_f32_e32 v15, v15, v54
	v_add_f32_e32 v54, v55, v15
	v_sub_f32_e32 v55, v54, v55
	v_sub_f32_e32 v15, v15, v55
	v_add_f32_e32 v55, v16, v54
	v_sub_f32_e32 v56, v55, v16
	v_sub_f32_e32 v57, v55, v56
	;; [unrolled: 1-line block ×5, first 2 shown]
	v_add_f32_e32 v16, v54, v16
	v_add_f32_e32 v54, v52, v15
	v_sub_f32_e32 v56, v54, v52
	v_sub_f32_e32 v57, v54, v56
	;; [unrolled: 1-line block ×4, first 2 shown]
	v_add_f32_e32 v16, v54, v16
	v_add_f32_e32 v15, v15, v52
	;; [unrolled: 1-line block ×3, first 2 shown]
	v_sub_f32_e32 v54, v52, v55
	v_sub_f32_e32 v16, v16, v54
	v_add_f32_e32 v15, v15, v16
	v_add_f32_e32 v15, v52, v15
	v_cmp_neq_f32_e32 vcc, s40, v18
	s_mov_b32 s40, 0x33800000
	v_cndmask_b32_e32 v15, v17, v15, vcc
	v_cmp_lt_f32_e64 vcc, |v18|, s40
	v_cndmask_b32_e32 v15, v15, v18, vcc
	v_add_f32_e32 v15, v13, v15
.LBB507_89:
	s_or_b64 exec, exec, s[4:5]
	v_bfe_u32 v13, v15, 16, 1
	v_add3_u32 v13, v15, v13, s41
	v_and_b32_e32 v13, 0xffff0000, v13
	v_cmp_o_f32_e32 vcc, v15, v15
	v_cndmask_b32_e32 v15, v14, v13, vcc
	v_mov_b32_e32 v13, 16
	v_lshlrev_b32_sdwa v52, v13, v1 dst_sel:DWORD dst_unused:UNUSED_PAD src0_sel:DWORD src1_sel:WORD_1
	v_max_f32_e32 v14, v15, v15
	v_max_f32_e32 v54, v52, v52
	v_min_f32_e32 v16, v14, v54
	v_cmp_u_f32_e32 vcc, v15, v15
	v_max_f32_e32 v14, v14, v54
	v_cndmask_b32_e32 v16, v16, v15, vcc
	v_cmp_u_f32_e64 s[40:41], v52, v52
	v_cndmask_b32_e32 v14, v14, v15, vcc
	v_cndmask_b32_e64 v16, v16, v52, s[40:41]
	v_cndmask_b32_e64 v14, v14, v52, s[40:41]
	s_movk_i32 s44, 0x1f8
	v_cmp_neq_f32_e32 vcc, v16, v14
	v_cmp_class_f32_e64 s[4:5], v16, s44
	s_or_b64 s[42:43], vcc, s[4:5]
	s_and_saveexec_b64 s[4:5], s[42:43]
	s_cbranch_execz .LBB507_91
; %bb.90:
	v_sub_f32_e32 v15, v16, v14
	s_mov_b32 s42, 0x3fb8aa3b
	v_mul_f32_e32 v16, 0x3fb8aa3b, v15
	v_fma_f32 v17, v15, s42, -v16
	v_rndne_f32_e32 v18, v16
	v_fmac_f32_e32 v17, 0x32a5705f, v15
	v_sub_f32_e32 v16, v16, v18
	v_add_f32_e32 v16, v16, v17
	v_exp_f32_e32 v16, v16
	v_cvt_i32_f32_e32 v17, v18
	s_mov_b32 s42, 0xc2ce8ed0
	v_cmp_ngt_f32_e32 vcc, s42, v15
	s_mov_b32 s42, 0x42b17218
	v_ldexp_f32 v16, v16, v17
	v_cndmask_b32_e32 v16, 0, v16, vcc
	v_mov_b32_e32 v17, 0x7f800000
	v_cmp_nlt_f32_e32 vcc, s42, v15
	v_cndmask_b32_e32 v18, v17, v16, vcc
	v_add_f32_e32 v55, 1.0, v18
	v_cvt_f64_f32_e32 v[15:16], v55
	v_add_f32_e32 v56, -1.0, v55
	v_sub_f32_e32 v57, v56, v55
	v_sub_f32_e32 v56, v18, v56
	v_frexp_exp_i32_f64_e32 v15, v[15:16]
	v_add_f32_e32 v16, 1.0, v57
	v_add_f32_e32 v16, v56, v16
	v_frexp_mant_f32_e32 v56, v55
	s_mov_b32 s43, 0x3f2aaaab
	v_cmp_gt_f32_e32 vcc, s43, v56
	s_mov_b32 s43, 0x3f317218
	s_mov_b32 s42, 0x7f800000
	v_subbrev_co_u32_e32 v15, vcc, 0, v15, vcc
	v_sub_u32_e32 v56, 0, v15
	v_ldexp_f32 v55, v55, v56
	v_ldexp_f32 v16, v16, v56
	v_add_f32_e32 v56, -1.0, v55
	v_add_f32_e32 v59, 1.0, v55
	v_add_f32_e32 v57, 1.0, v56
	v_add_f32_e32 v60, -1.0, v59
	v_sub_f32_e32 v57, v55, v57
	v_sub_f32_e32 v55, v55, v60
	v_add_f32_e32 v57, v16, v57
	v_add_f32_e32 v16, v16, v55
	;; [unrolled: 1-line block ×3, first 2 shown]
	v_rcp_f32_e32 v60, v55
	v_add_f32_e32 v58, v56, v57
	v_sub_f32_e32 v56, v56, v58
	v_add_f32_e32 v56, v57, v56
	v_sub_f32_e32 v57, v59, v55
	v_add_f32_e32 v16, v16, v57
	v_mul_f32_e32 v57, v58, v60
	v_mul_f32_e32 v59, v55, v57
	v_fma_f32 v61, v57, v55, -v59
	v_fmac_f32_e32 v61, v57, v16
	v_add_f32_e32 v62, v59, v61
	v_sub_f32_e32 v63, v58, v62
	v_sub_f32_e32 v58, v58, v63
	;; [unrolled: 1-line block ×4, first 2 shown]
	v_add_f32_e32 v56, v56, v58
	v_sub_f32_e32 v58, v59, v61
	v_add_f32_e32 v56, v58, v56
	v_add_f32_e32 v58, v63, v56
	v_mul_f32_e32 v59, v60, v58
	v_mul_f32_e32 v61, v55, v59
	v_fma_f32 v55, v59, v55, -v61
	v_fmac_f32_e32 v55, v59, v16
	v_sub_f32_e32 v16, v63, v58
	v_add_f32_e32 v16, v56, v16
	v_add_f32_e32 v56, v61, v55
	v_sub_f32_e32 v62, v58, v56
	v_sub_f32_e32 v58, v58, v62
	;; [unrolled: 1-line block ×4, first 2 shown]
	v_add_f32_e32 v16, v16, v56
	v_sub_f32_e32 v55, v61, v55
	v_add_f32_e32 v16, v55, v16
	v_add_f32_e32 v55, v57, v59
	;; [unrolled: 1-line block ×3, first 2 shown]
	v_sub_f32_e32 v56, v55, v57
	v_mul_f32_e32 v16, v60, v16
	v_sub_f32_e32 v56, v59, v56
	v_add_f32_e32 v16, v56, v16
	v_cvt_f32_i32_e32 v15, v15
	v_add_f32_e32 v56, v55, v16
	v_mul_f32_e32 v57, v56, v56
	v_mov_b32_e32 v58, 0x3ecc95a3
	v_fmac_f32_e32 v58, 0x3e9b6dac, v57
	v_mov_b32_e32 v59, 0x3f2aaada
	v_fmac_f32_e32 v59, v57, v58
	v_mul_f32_e32 v58, 0x3f317218, v15
	v_fma_f32 v60, v15, s43, -v58
	v_fmac_f32_e32 v60, 0xb102e308, v15
	v_sub_f32_e32 v15, v56, v55
	v_sub_f32_e32 v15, v16, v15
	v_add_f32_e32 v16, v58, v60
	v_sub_f32_e32 v55, v16, v58
	v_ldexp_f32 v58, v56, 1
	v_mul_f32_e32 v56, v56, v57
	v_mul_f32_e32 v56, v56, v59
	v_add_f32_e32 v57, v58, v56
	v_sub_f32_e32 v58, v57, v58
	v_ldexp_f32 v15, v15, 1
	v_sub_f32_e32 v56, v56, v58
	v_add_f32_e32 v15, v15, v56
	v_add_f32_e32 v56, v57, v15
	v_sub_f32_e32 v57, v56, v57
	v_sub_f32_e32 v15, v15, v57
	v_add_f32_e32 v57, v16, v56
	v_sub_f32_e32 v58, v57, v16
	v_sub_f32_e32 v59, v57, v58
	;; [unrolled: 1-line block ×5, first 2 shown]
	v_add_f32_e32 v16, v56, v16
	v_add_f32_e32 v56, v55, v15
	v_sub_f32_e32 v58, v56, v55
	v_sub_f32_e32 v59, v56, v58
	;; [unrolled: 1-line block ×4, first 2 shown]
	v_add_f32_e32 v16, v56, v16
	v_add_f32_e32 v15, v15, v55
	;; [unrolled: 1-line block ×3, first 2 shown]
	v_sub_f32_e32 v56, v55, v57
	v_sub_f32_e32 v16, v16, v56
	v_add_f32_e32 v15, v15, v16
	v_add_f32_e32 v15, v55, v15
	v_cmp_neq_f32_e32 vcc, s42, v18
	s_mov_b32 s42, 0x33800000
	v_cndmask_b32_e32 v15, v17, v15, vcc
	v_cmp_lt_f32_e64 vcc, |v18|, s42
	v_cndmask_b32_e32 v15, v15, v18, vcc
	v_add_f32_e32 v15, v14, v15
.LBB507_91:
	s_or_b64 exec, exec, s[4:5]
	v_bfe_u32 v14, v15, 16, 1
	s_movk_i32 s45, 0x7fff
	v_add3_u32 v14, v15, v14, s45
	v_and_b32_e32 v16, 0xffff0000, v14
	v_mov_b32_e32 v14, 0x7fc00000
	v_cmp_o_f32_e32 vcc, v15, v15
	v_cndmask_b32_e32 v15, v14, v16, vcc
	v_lshlrev_b32_sdwa v55, v13, v2 dst_sel:DWORD dst_unused:UNUSED_PAD src0_sel:DWORD src1_sel:WORD_0
	v_max_f32_e32 v13, v15, v15
	v_max_f32_e32 v57, v55, v55
	v_min_f32_e32 v16, v13, v57
	v_cmp_u_f32_e32 vcc, v15, v15
	v_max_f32_e32 v13, v13, v57
	v_cndmask_b32_e32 v16, v16, v15, vcc
	v_cmp_u_f32_e64 s[42:43], v55, v55
	v_cndmask_b32_e32 v13, v13, v15, vcc
	v_cndmask_b32_e64 v16, v16, v55, s[42:43]
	v_cndmask_b32_e64 v13, v13, v55, s[42:43]
	v_cmp_neq_f32_e32 vcc, v16, v13
	v_cmp_class_f32_e64 s[4:5], v16, s44
	s_or_b64 s[46:47], vcc, s[4:5]
	s_and_saveexec_b64 s[4:5], s[46:47]
	s_cbranch_execz .LBB507_93
; %bb.92:
	v_sub_f32_e32 v15, v16, v13
	s_mov_b32 s44, 0x3fb8aa3b
	v_mul_f32_e32 v16, 0x3fb8aa3b, v15
	v_fma_f32 v17, v15, s44, -v16
	v_rndne_f32_e32 v18, v16
	v_fmac_f32_e32 v17, 0x32a5705f, v15
	v_sub_f32_e32 v16, v16, v18
	v_add_f32_e32 v16, v16, v17
	v_exp_f32_e32 v16, v16
	v_cvt_i32_f32_e32 v17, v18
	s_mov_b32 s44, 0xc2ce8ed0
	v_cmp_ngt_f32_e32 vcc, s44, v15
	s_mov_b32 s44, 0x42b17218
	v_ldexp_f32 v16, v16, v17
	v_cndmask_b32_e32 v16, 0, v16, vcc
	v_mov_b32_e32 v17, 0x7f800000
	v_cmp_nlt_f32_e32 vcc, s44, v15
	v_cndmask_b32_e32 v18, v17, v16, vcc
	v_add_f32_e32 v56, 1.0, v18
	v_cvt_f64_f32_e32 v[15:16], v56
	v_add_f32_e32 v58, -1.0, v56
	v_sub_f32_e32 v59, v58, v56
	v_sub_f32_e32 v58, v18, v58
	v_frexp_exp_i32_f64_e32 v15, v[15:16]
	v_add_f32_e32 v16, 1.0, v59
	v_add_f32_e32 v16, v58, v16
	v_frexp_mant_f32_e32 v58, v56
	s_mov_b32 s46, 0x3f2aaaab
	v_cmp_gt_f32_e32 vcc, s46, v58
	s_mov_b32 s46, 0x3f317218
	s_mov_b32 s44, 0x7f800000
	v_subbrev_co_u32_e32 v15, vcc, 0, v15, vcc
	v_sub_u32_e32 v58, 0, v15
	v_ldexp_f32 v56, v56, v58
	v_ldexp_f32 v16, v16, v58
	v_add_f32_e32 v58, -1.0, v56
	v_add_f32_e32 v61, 1.0, v56
	v_add_f32_e32 v59, 1.0, v58
	v_add_f32_e32 v62, -1.0, v61
	v_sub_f32_e32 v59, v56, v59
	v_sub_f32_e32 v56, v56, v62
	v_add_f32_e32 v59, v16, v59
	v_add_f32_e32 v16, v16, v56
	;; [unrolled: 1-line block ×3, first 2 shown]
	v_rcp_f32_e32 v62, v56
	v_add_f32_e32 v60, v58, v59
	v_sub_f32_e32 v58, v58, v60
	v_add_f32_e32 v58, v59, v58
	v_sub_f32_e32 v59, v61, v56
	v_add_f32_e32 v16, v16, v59
	v_mul_f32_e32 v59, v60, v62
	v_mul_f32_e32 v61, v56, v59
	v_fma_f32 v63, v59, v56, -v61
	v_fmac_f32_e32 v63, v59, v16
	v_add_f32_e32 v64, v61, v63
	v_sub_f32_e32 v65, v60, v64
	v_sub_f32_e32 v60, v60, v65
	;; [unrolled: 1-line block ×4, first 2 shown]
	v_add_f32_e32 v58, v58, v60
	v_sub_f32_e32 v60, v61, v63
	v_add_f32_e32 v58, v60, v58
	v_add_f32_e32 v60, v65, v58
	v_mul_f32_e32 v61, v62, v60
	v_mul_f32_e32 v63, v56, v61
	v_fma_f32 v56, v61, v56, -v63
	v_fmac_f32_e32 v56, v61, v16
	v_sub_f32_e32 v16, v65, v60
	v_add_f32_e32 v16, v58, v16
	v_add_f32_e32 v58, v63, v56
	v_sub_f32_e32 v64, v60, v58
	v_sub_f32_e32 v60, v60, v64
	;; [unrolled: 1-line block ×4, first 2 shown]
	v_add_f32_e32 v16, v16, v58
	v_sub_f32_e32 v56, v63, v56
	v_add_f32_e32 v16, v56, v16
	v_add_f32_e32 v56, v59, v61
	;; [unrolled: 1-line block ×3, first 2 shown]
	v_sub_f32_e32 v58, v56, v59
	v_mul_f32_e32 v16, v62, v16
	v_sub_f32_e32 v58, v61, v58
	v_add_f32_e32 v16, v58, v16
	v_cvt_f32_i32_e32 v15, v15
	v_add_f32_e32 v58, v56, v16
	v_mul_f32_e32 v59, v58, v58
	v_mov_b32_e32 v60, 0x3ecc95a3
	v_fmac_f32_e32 v60, 0x3e9b6dac, v59
	v_mov_b32_e32 v61, 0x3f2aaada
	v_fmac_f32_e32 v61, v59, v60
	v_mul_f32_e32 v60, 0x3f317218, v15
	v_fma_f32 v62, v15, s46, -v60
	v_fmac_f32_e32 v62, 0xb102e308, v15
	v_sub_f32_e32 v15, v58, v56
	v_sub_f32_e32 v15, v16, v15
	v_add_f32_e32 v16, v60, v62
	v_sub_f32_e32 v56, v16, v60
	v_ldexp_f32 v60, v58, 1
	v_mul_f32_e32 v58, v58, v59
	v_mul_f32_e32 v58, v58, v61
	v_add_f32_e32 v59, v60, v58
	v_sub_f32_e32 v60, v59, v60
	v_ldexp_f32 v15, v15, 1
	v_sub_f32_e32 v58, v58, v60
	v_add_f32_e32 v15, v15, v58
	v_add_f32_e32 v58, v59, v15
	v_sub_f32_e32 v59, v58, v59
	v_sub_f32_e32 v15, v15, v59
	v_add_f32_e32 v59, v16, v58
	v_sub_f32_e32 v60, v59, v16
	v_sub_f32_e32 v61, v59, v60
	;; [unrolled: 1-line block ×5, first 2 shown]
	v_add_f32_e32 v16, v58, v16
	v_add_f32_e32 v58, v56, v15
	v_sub_f32_e32 v60, v58, v56
	v_sub_f32_e32 v61, v58, v60
	;; [unrolled: 1-line block ×4, first 2 shown]
	v_add_f32_e32 v16, v58, v16
	v_add_f32_e32 v15, v15, v56
	;; [unrolled: 1-line block ×3, first 2 shown]
	v_sub_f32_e32 v58, v56, v59
	v_sub_f32_e32 v16, v16, v58
	v_add_f32_e32 v15, v15, v16
	v_add_f32_e32 v15, v56, v15
	v_cmp_neq_f32_e32 vcc, s44, v18
	s_mov_b32 s44, 0x33800000
	v_cndmask_b32_e32 v15, v17, v15, vcc
	v_cmp_lt_f32_e64 vcc, |v18|, s44
	v_cndmask_b32_e32 v15, v15, v18, vcc
	v_add_f32_e32 v15, v13, v15
.LBB507_93:
	s_or_b64 exec, exec, s[4:5]
	v_bfe_u32 v13, v15, 16, 1
	v_add3_u32 v13, v15, v13, s45
	v_and_b32_e32 v13, 0xffff0000, v13
	v_cmp_o_f32_e32 vcc, v15, v15
	v_cndmask_b32_e32 v15, v14, v13, vcc
	v_mov_b32_e32 v13, 16
	v_lshlrev_b32_sdwa v56, v13, v2 dst_sel:DWORD dst_unused:UNUSED_PAD src0_sel:DWORD src1_sel:WORD_1
	v_max_f32_e32 v14, v15, v15
	v_max_f32_e32 v58, v56, v56
	v_min_f32_e32 v16, v14, v58
	v_cmp_u_f32_e32 vcc, v15, v15
	v_max_f32_e32 v14, v14, v58
	v_cndmask_b32_e32 v16, v16, v15, vcc
	v_cmp_u_f32_e64 s[44:45], v56, v56
	v_cndmask_b32_e32 v14, v14, v15, vcc
	v_cndmask_b32_e64 v16, v16, v56, s[44:45]
	v_cndmask_b32_e64 v14, v14, v56, s[44:45]
	s_movk_i32 s48, 0x1f8
	v_cmp_neq_f32_e32 vcc, v16, v14
	v_cmp_class_f32_e64 s[4:5], v16, s48
	s_or_b64 s[46:47], vcc, s[4:5]
	s_and_saveexec_b64 s[4:5], s[46:47]
	s_cbranch_execz .LBB507_95
; %bb.94:
	v_sub_f32_e32 v15, v16, v14
	s_mov_b32 s46, 0x3fb8aa3b
	v_mul_f32_e32 v16, 0x3fb8aa3b, v15
	v_fma_f32 v17, v15, s46, -v16
	v_rndne_f32_e32 v18, v16
	v_fmac_f32_e32 v17, 0x32a5705f, v15
	v_sub_f32_e32 v16, v16, v18
	v_add_f32_e32 v16, v16, v17
	v_exp_f32_e32 v16, v16
	v_cvt_i32_f32_e32 v17, v18
	s_mov_b32 s46, 0xc2ce8ed0
	v_cmp_ngt_f32_e32 vcc, s46, v15
	s_mov_b32 s46, 0x42b17218
	v_ldexp_f32 v16, v16, v17
	v_cndmask_b32_e32 v16, 0, v16, vcc
	v_mov_b32_e32 v17, 0x7f800000
	v_cmp_nlt_f32_e32 vcc, s46, v15
	v_cndmask_b32_e32 v18, v17, v16, vcc
	v_add_f32_e32 v59, 1.0, v18
	v_cvt_f64_f32_e32 v[15:16], v59
	v_add_f32_e32 v60, -1.0, v59
	v_sub_f32_e32 v61, v60, v59
	v_sub_f32_e32 v60, v18, v60
	v_frexp_exp_i32_f64_e32 v15, v[15:16]
	v_add_f32_e32 v16, 1.0, v61
	v_add_f32_e32 v16, v60, v16
	v_frexp_mant_f32_e32 v60, v59
	s_mov_b32 s47, 0x3f2aaaab
	v_cmp_gt_f32_e32 vcc, s47, v60
	s_mov_b32 s47, 0x3f317218
	s_mov_b32 s46, 0x7f800000
	v_subbrev_co_u32_e32 v15, vcc, 0, v15, vcc
	v_sub_u32_e32 v60, 0, v15
	v_ldexp_f32 v59, v59, v60
	v_ldexp_f32 v16, v16, v60
	v_add_f32_e32 v60, -1.0, v59
	v_add_f32_e32 v63, 1.0, v59
	v_add_f32_e32 v61, 1.0, v60
	v_add_f32_e32 v64, -1.0, v63
	v_sub_f32_e32 v61, v59, v61
	v_sub_f32_e32 v59, v59, v64
	v_add_f32_e32 v61, v16, v61
	v_add_f32_e32 v16, v16, v59
	;; [unrolled: 1-line block ×3, first 2 shown]
	v_rcp_f32_e32 v64, v59
	v_add_f32_e32 v62, v60, v61
	v_sub_f32_e32 v60, v60, v62
	v_add_f32_e32 v60, v61, v60
	v_sub_f32_e32 v61, v63, v59
	v_add_f32_e32 v16, v16, v61
	v_mul_f32_e32 v61, v62, v64
	v_mul_f32_e32 v63, v59, v61
	v_fma_f32 v65, v61, v59, -v63
	v_fmac_f32_e32 v65, v61, v16
	v_add_f32_e32 v66, v63, v65
	v_sub_f32_e32 v69, v62, v66
	v_sub_f32_e32 v62, v62, v69
	;; [unrolled: 1-line block ×4, first 2 shown]
	v_add_f32_e32 v60, v60, v62
	v_sub_f32_e32 v62, v63, v65
	v_add_f32_e32 v60, v62, v60
	v_add_f32_e32 v62, v69, v60
	v_mul_f32_e32 v63, v64, v62
	v_mul_f32_e32 v65, v59, v63
	v_fma_f32 v59, v63, v59, -v65
	v_fmac_f32_e32 v59, v63, v16
	v_sub_f32_e32 v16, v69, v62
	v_add_f32_e32 v16, v60, v16
	v_add_f32_e32 v60, v65, v59
	v_sub_f32_e32 v66, v62, v60
	v_sub_f32_e32 v62, v62, v66
	;; [unrolled: 1-line block ×4, first 2 shown]
	v_add_f32_e32 v16, v16, v60
	v_sub_f32_e32 v59, v65, v59
	v_add_f32_e32 v16, v59, v16
	v_add_f32_e32 v59, v61, v63
	;; [unrolled: 1-line block ×3, first 2 shown]
	v_sub_f32_e32 v60, v59, v61
	v_mul_f32_e32 v16, v64, v16
	v_sub_f32_e32 v60, v63, v60
	v_add_f32_e32 v16, v60, v16
	v_cvt_f32_i32_e32 v15, v15
	v_add_f32_e32 v60, v59, v16
	v_mul_f32_e32 v61, v60, v60
	v_mov_b32_e32 v62, 0x3ecc95a3
	v_fmac_f32_e32 v62, 0x3e9b6dac, v61
	v_mov_b32_e32 v63, 0x3f2aaada
	v_fmac_f32_e32 v63, v61, v62
	v_mul_f32_e32 v62, 0x3f317218, v15
	v_fma_f32 v64, v15, s47, -v62
	v_fmac_f32_e32 v64, 0xb102e308, v15
	v_sub_f32_e32 v15, v60, v59
	v_sub_f32_e32 v15, v16, v15
	v_add_f32_e32 v16, v62, v64
	v_sub_f32_e32 v59, v16, v62
	v_ldexp_f32 v62, v60, 1
	v_mul_f32_e32 v60, v60, v61
	v_mul_f32_e32 v60, v60, v63
	v_add_f32_e32 v61, v62, v60
	v_sub_f32_e32 v62, v61, v62
	v_ldexp_f32 v15, v15, 1
	v_sub_f32_e32 v60, v60, v62
	v_add_f32_e32 v15, v15, v60
	v_add_f32_e32 v60, v61, v15
	v_sub_f32_e32 v61, v60, v61
	v_sub_f32_e32 v15, v15, v61
	v_add_f32_e32 v61, v16, v60
	v_sub_f32_e32 v62, v61, v16
	v_sub_f32_e32 v63, v61, v62
	v_sub_f32_e32 v59, v64, v59
	v_sub_f32_e32 v16, v16, v63
	v_sub_f32_e32 v60, v60, v62
	v_add_f32_e32 v16, v60, v16
	v_add_f32_e32 v60, v59, v15
	v_sub_f32_e32 v62, v60, v59
	v_sub_f32_e32 v63, v60, v62
	;; [unrolled: 1-line block ×4, first 2 shown]
	v_add_f32_e32 v16, v60, v16
	v_add_f32_e32 v15, v15, v59
	;; [unrolled: 1-line block ×3, first 2 shown]
	v_sub_f32_e32 v60, v59, v61
	v_sub_f32_e32 v16, v16, v60
	v_add_f32_e32 v15, v15, v16
	v_add_f32_e32 v15, v59, v15
	v_cmp_neq_f32_e32 vcc, s46, v18
	s_mov_b32 s46, 0x33800000
	v_cndmask_b32_e32 v15, v17, v15, vcc
	v_cmp_lt_f32_e64 vcc, |v18|, s46
	v_cndmask_b32_e32 v15, v15, v18, vcc
	v_add_f32_e32 v15, v14, v15
.LBB507_95:
	s_or_b64 exec, exec, s[4:5]
	v_bfe_u32 v14, v15, 16, 1
	s_movk_i32 s49, 0x7fff
	v_add3_u32 v14, v15, v14, s49
	v_and_b32_e32 v16, 0xffff0000, v14
	v_mov_b32_e32 v14, 0x7fc00000
	v_cmp_o_f32_e32 vcc, v15, v15
	v_cndmask_b32_e32 v15, v14, v16, vcc
	v_lshlrev_b32_sdwa v59, v13, v3 dst_sel:DWORD dst_unused:UNUSED_PAD src0_sel:DWORD src1_sel:WORD_0
	v_max_f32_e32 v13, v15, v15
	v_max_f32_e32 v61, v59, v59
	v_min_f32_e32 v16, v13, v61
	v_cmp_u_f32_e32 vcc, v15, v15
	v_max_f32_e32 v13, v13, v61
	v_cndmask_b32_e32 v16, v16, v15, vcc
	v_cmp_u_f32_e64 s[46:47], v59, v59
	v_cndmask_b32_e32 v13, v13, v15, vcc
	v_cndmask_b32_e64 v16, v16, v59, s[46:47]
	v_cndmask_b32_e64 v13, v13, v59, s[46:47]
	v_cmp_neq_f32_e32 vcc, v16, v13
	v_cmp_class_f32_e64 s[4:5], v16, s48
	s_or_b64 s[50:51], vcc, s[4:5]
	s_and_saveexec_b64 s[4:5], s[50:51]
	s_cbranch_execz .LBB507_97
; %bb.96:
	v_sub_f32_e32 v15, v16, v13
	s_mov_b32 s48, 0x3fb8aa3b
	v_mul_f32_e32 v16, 0x3fb8aa3b, v15
	v_fma_f32 v17, v15, s48, -v16
	v_rndne_f32_e32 v18, v16
	v_fmac_f32_e32 v17, 0x32a5705f, v15
	v_sub_f32_e32 v16, v16, v18
	v_add_f32_e32 v16, v16, v17
	v_exp_f32_e32 v16, v16
	v_cvt_i32_f32_e32 v17, v18
	s_mov_b32 s48, 0xc2ce8ed0
	v_cmp_ngt_f32_e32 vcc, s48, v15
	s_mov_b32 s48, 0x42b17218
	v_ldexp_f32 v16, v16, v17
	v_cndmask_b32_e32 v16, 0, v16, vcc
	v_mov_b32_e32 v17, 0x7f800000
	v_cmp_nlt_f32_e32 vcc, s48, v15
	v_cndmask_b32_e32 v18, v17, v16, vcc
	v_add_f32_e32 v60, 1.0, v18
	v_cvt_f64_f32_e32 v[15:16], v60
	v_add_f32_e32 v62, -1.0, v60
	v_sub_f32_e32 v63, v62, v60
	v_sub_f32_e32 v62, v18, v62
	v_frexp_exp_i32_f64_e32 v15, v[15:16]
	v_add_f32_e32 v16, 1.0, v63
	v_add_f32_e32 v16, v62, v16
	v_frexp_mant_f32_e32 v62, v60
	s_mov_b32 s50, 0x3f2aaaab
	v_cmp_gt_f32_e32 vcc, s50, v62
	s_mov_b32 s50, 0x3f317218
	s_mov_b32 s48, 0x7f800000
	v_subbrev_co_u32_e32 v15, vcc, 0, v15, vcc
	v_sub_u32_e32 v62, 0, v15
	v_ldexp_f32 v60, v60, v62
	v_ldexp_f32 v16, v16, v62
	v_add_f32_e32 v62, -1.0, v60
	v_add_f32_e32 v65, 1.0, v60
	v_add_f32_e32 v63, 1.0, v62
	v_add_f32_e32 v66, -1.0, v65
	v_sub_f32_e32 v63, v60, v63
	v_sub_f32_e32 v60, v60, v66
	v_add_f32_e32 v63, v16, v63
	v_add_f32_e32 v16, v16, v60
	;; [unrolled: 1-line block ×3, first 2 shown]
	v_rcp_f32_e32 v66, v60
	v_add_f32_e32 v64, v62, v63
	v_sub_f32_e32 v62, v62, v64
	v_add_f32_e32 v62, v63, v62
	v_sub_f32_e32 v63, v65, v60
	v_add_f32_e32 v16, v16, v63
	v_mul_f32_e32 v63, v64, v66
	v_mul_f32_e32 v65, v60, v63
	v_fma_f32 v69, v63, v60, -v65
	v_fmac_f32_e32 v69, v63, v16
	v_add_f32_e32 v70, v65, v69
	v_sub_f32_e32 v71, v64, v70
	v_sub_f32_e32 v64, v64, v71
	;; [unrolled: 1-line block ×4, first 2 shown]
	v_add_f32_e32 v62, v62, v64
	v_sub_f32_e32 v64, v65, v69
	v_add_f32_e32 v62, v64, v62
	v_add_f32_e32 v64, v71, v62
	v_mul_f32_e32 v65, v66, v64
	v_mul_f32_e32 v69, v60, v65
	v_fma_f32 v60, v65, v60, -v69
	v_fmac_f32_e32 v60, v65, v16
	v_sub_f32_e32 v16, v71, v64
	v_add_f32_e32 v16, v62, v16
	v_add_f32_e32 v62, v69, v60
	v_sub_f32_e32 v70, v64, v62
	v_sub_f32_e32 v64, v64, v70
	;; [unrolled: 1-line block ×4, first 2 shown]
	v_add_f32_e32 v16, v16, v62
	v_sub_f32_e32 v60, v69, v60
	v_add_f32_e32 v16, v60, v16
	v_add_f32_e32 v60, v63, v65
	;; [unrolled: 1-line block ×3, first 2 shown]
	v_sub_f32_e32 v62, v60, v63
	v_mul_f32_e32 v16, v66, v16
	v_sub_f32_e32 v62, v65, v62
	v_add_f32_e32 v16, v62, v16
	v_cvt_f32_i32_e32 v15, v15
	v_add_f32_e32 v62, v60, v16
	v_mul_f32_e32 v63, v62, v62
	v_mov_b32_e32 v64, 0x3ecc95a3
	v_fmac_f32_e32 v64, 0x3e9b6dac, v63
	v_mov_b32_e32 v65, 0x3f2aaada
	v_fmac_f32_e32 v65, v63, v64
	v_mul_f32_e32 v64, 0x3f317218, v15
	v_fma_f32 v66, v15, s50, -v64
	v_fmac_f32_e32 v66, 0xb102e308, v15
	v_sub_f32_e32 v15, v62, v60
	v_sub_f32_e32 v15, v16, v15
	v_add_f32_e32 v16, v64, v66
	v_sub_f32_e32 v60, v16, v64
	v_ldexp_f32 v64, v62, 1
	v_mul_f32_e32 v62, v62, v63
	v_mul_f32_e32 v62, v62, v65
	v_add_f32_e32 v63, v64, v62
	v_sub_f32_e32 v64, v63, v64
	v_ldexp_f32 v15, v15, 1
	v_sub_f32_e32 v62, v62, v64
	v_add_f32_e32 v15, v15, v62
	v_add_f32_e32 v62, v63, v15
	v_sub_f32_e32 v63, v62, v63
	v_sub_f32_e32 v15, v15, v63
	v_add_f32_e32 v63, v16, v62
	v_sub_f32_e32 v64, v63, v16
	v_sub_f32_e32 v65, v63, v64
	;; [unrolled: 1-line block ×5, first 2 shown]
	v_add_f32_e32 v16, v62, v16
	v_add_f32_e32 v62, v60, v15
	v_sub_f32_e32 v64, v62, v60
	v_sub_f32_e32 v65, v62, v64
	;; [unrolled: 1-line block ×4, first 2 shown]
	v_add_f32_e32 v16, v62, v16
	v_add_f32_e32 v15, v15, v60
	;; [unrolled: 1-line block ×3, first 2 shown]
	v_sub_f32_e32 v62, v60, v63
	v_sub_f32_e32 v16, v16, v62
	v_add_f32_e32 v15, v15, v16
	v_add_f32_e32 v15, v60, v15
	v_cmp_neq_f32_e32 vcc, s48, v18
	s_mov_b32 s48, 0x33800000
	v_cndmask_b32_e32 v15, v17, v15, vcc
	v_cmp_lt_f32_e64 vcc, |v18|, s48
	v_cndmask_b32_e32 v15, v15, v18, vcc
	v_add_f32_e32 v15, v13, v15
.LBB507_97:
	s_or_b64 exec, exec, s[4:5]
	v_bfe_u32 v13, v15, 16, 1
	v_add3_u32 v13, v15, v13, s49
	v_and_b32_e32 v13, 0xffff0000, v13
	v_cmp_o_f32_e32 vcc, v15, v15
	v_cndmask_b32_e32 v15, v14, v13, vcc
	v_mov_b32_e32 v13, 16
	v_lshlrev_b32_sdwa v60, v13, v3 dst_sel:DWORD dst_unused:UNUSED_PAD src0_sel:DWORD src1_sel:WORD_1
	v_max_f32_e32 v14, v15, v15
	v_max_f32_e32 v62, v60, v60
	v_min_f32_e32 v16, v14, v62
	v_cmp_u_f32_e32 vcc, v15, v15
	v_max_f32_e32 v14, v14, v62
	v_cndmask_b32_e32 v16, v16, v15, vcc
	v_cmp_u_f32_e64 s[48:49], v60, v60
	v_cndmask_b32_e32 v14, v14, v15, vcc
	v_cndmask_b32_e64 v16, v16, v60, s[48:49]
	v_cndmask_b32_e64 v14, v14, v60, s[48:49]
	s_movk_i32 s52, 0x1f8
	v_cmp_neq_f32_e32 vcc, v16, v14
	v_cmp_class_f32_e64 s[4:5], v16, s52
	s_or_b64 s[50:51], vcc, s[4:5]
	s_and_saveexec_b64 s[4:5], s[50:51]
	s_cbranch_execz .LBB507_99
; %bb.98:
	v_sub_f32_e32 v15, v16, v14
	s_mov_b32 s50, 0x3fb8aa3b
	v_mul_f32_e32 v16, 0x3fb8aa3b, v15
	v_fma_f32 v17, v15, s50, -v16
	v_rndne_f32_e32 v18, v16
	v_fmac_f32_e32 v17, 0x32a5705f, v15
	v_sub_f32_e32 v16, v16, v18
	v_add_f32_e32 v16, v16, v17
	v_exp_f32_e32 v16, v16
	v_cvt_i32_f32_e32 v17, v18
	s_mov_b32 s50, 0xc2ce8ed0
	v_cmp_ngt_f32_e32 vcc, s50, v15
	s_mov_b32 s50, 0x42b17218
	v_ldexp_f32 v16, v16, v17
	v_cndmask_b32_e32 v16, 0, v16, vcc
	v_mov_b32_e32 v17, 0x7f800000
	v_cmp_nlt_f32_e32 vcc, s50, v15
	v_cndmask_b32_e32 v18, v17, v16, vcc
	v_add_f32_e32 v63, 1.0, v18
	v_cvt_f64_f32_e32 v[15:16], v63
	v_add_f32_e32 v64, -1.0, v63
	v_sub_f32_e32 v65, v64, v63
	v_sub_f32_e32 v64, v18, v64
	v_frexp_exp_i32_f64_e32 v15, v[15:16]
	v_add_f32_e32 v16, 1.0, v65
	v_add_f32_e32 v16, v64, v16
	v_frexp_mant_f32_e32 v64, v63
	s_mov_b32 s51, 0x3f2aaaab
	v_cmp_gt_f32_e32 vcc, s51, v64
	s_mov_b32 s51, 0x3f317218
	s_mov_b32 s50, 0x7f800000
	v_subbrev_co_u32_e32 v15, vcc, 0, v15, vcc
	v_sub_u32_e32 v64, 0, v15
	v_ldexp_f32 v63, v63, v64
	v_ldexp_f32 v16, v16, v64
	v_add_f32_e32 v64, -1.0, v63
	v_add_f32_e32 v69, 1.0, v63
	v_add_f32_e32 v65, 1.0, v64
	v_add_f32_e32 v70, -1.0, v69
	v_sub_f32_e32 v65, v63, v65
	v_sub_f32_e32 v63, v63, v70
	v_add_f32_e32 v65, v16, v65
	v_add_f32_e32 v16, v16, v63
	;; [unrolled: 1-line block ×3, first 2 shown]
	v_rcp_f32_e32 v70, v63
	v_add_f32_e32 v66, v64, v65
	v_sub_f32_e32 v64, v64, v66
	v_add_f32_e32 v64, v65, v64
	v_sub_f32_e32 v65, v69, v63
	v_add_f32_e32 v16, v16, v65
	v_mul_f32_e32 v65, v66, v70
	v_mul_f32_e32 v69, v63, v65
	v_fma_f32 v71, v65, v63, -v69
	v_fmac_f32_e32 v71, v65, v16
	v_add_f32_e32 v72, v69, v71
	v_sub_f32_e32 v73, v66, v72
	v_sub_f32_e32 v66, v66, v73
	;; [unrolled: 1-line block ×4, first 2 shown]
	v_add_f32_e32 v64, v64, v66
	v_sub_f32_e32 v66, v69, v71
	v_add_f32_e32 v64, v66, v64
	v_add_f32_e32 v66, v73, v64
	v_mul_f32_e32 v69, v70, v66
	v_mul_f32_e32 v71, v63, v69
	v_fma_f32 v63, v69, v63, -v71
	v_fmac_f32_e32 v63, v69, v16
	v_sub_f32_e32 v16, v73, v66
	v_add_f32_e32 v16, v64, v16
	v_add_f32_e32 v64, v71, v63
	v_sub_f32_e32 v72, v66, v64
	v_sub_f32_e32 v66, v66, v72
	;; [unrolled: 1-line block ×4, first 2 shown]
	v_add_f32_e32 v16, v16, v64
	v_sub_f32_e32 v63, v71, v63
	v_add_f32_e32 v16, v63, v16
	v_add_f32_e32 v63, v65, v69
	v_add_f32_e32 v16, v72, v16
	v_sub_f32_e32 v64, v63, v65
	v_mul_f32_e32 v16, v70, v16
	v_sub_f32_e32 v64, v69, v64
	v_add_f32_e32 v16, v64, v16
	v_cvt_f32_i32_e32 v15, v15
	v_add_f32_e32 v64, v63, v16
	v_mul_f32_e32 v65, v64, v64
	v_mov_b32_e32 v66, 0x3ecc95a3
	v_fmac_f32_e32 v66, 0x3e9b6dac, v65
	v_mov_b32_e32 v69, 0x3f2aaada
	v_fmac_f32_e32 v69, v65, v66
	v_mul_f32_e32 v66, 0x3f317218, v15
	v_fma_f32 v70, v15, s51, -v66
	v_fmac_f32_e32 v70, 0xb102e308, v15
	v_sub_f32_e32 v15, v64, v63
	v_sub_f32_e32 v15, v16, v15
	v_add_f32_e32 v16, v66, v70
	v_sub_f32_e32 v63, v16, v66
	v_ldexp_f32 v66, v64, 1
	v_mul_f32_e32 v64, v64, v65
	v_mul_f32_e32 v64, v64, v69
	v_add_f32_e32 v65, v66, v64
	v_sub_f32_e32 v66, v65, v66
	v_ldexp_f32 v15, v15, 1
	v_sub_f32_e32 v64, v64, v66
	v_add_f32_e32 v15, v15, v64
	v_add_f32_e32 v64, v65, v15
	v_sub_f32_e32 v65, v64, v65
	v_sub_f32_e32 v15, v15, v65
	v_add_f32_e32 v65, v16, v64
	v_sub_f32_e32 v66, v65, v16
	v_sub_f32_e32 v69, v65, v66
	;; [unrolled: 1-line block ×5, first 2 shown]
	v_add_f32_e32 v16, v64, v16
	v_add_f32_e32 v64, v63, v15
	v_sub_f32_e32 v66, v64, v63
	v_sub_f32_e32 v69, v64, v66
	;; [unrolled: 1-line block ×4, first 2 shown]
	v_add_f32_e32 v16, v64, v16
	v_add_f32_e32 v15, v15, v63
	v_add_f32_e32 v63, v65, v16
	v_sub_f32_e32 v64, v63, v65
	v_sub_f32_e32 v16, v16, v64
	v_add_f32_e32 v15, v15, v16
	v_add_f32_e32 v15, v63, v15
	v_cmp_neq_f32_e32 vcc, s50, v18
	s_mov_b32 s50, 0x33800000
	v_cndmask_b32_e32 v15, v17, v15, vcc
	v_cmp_lt_f32_e64 vcc, |v18|, s50
	v_cndmask_b32_e32 v15, v15, v18, vcc
	v_add_f32_e32 v15, v14, v15
.LBB507_99:
	s_or_b64 exec, exec, s[4:5]
	v_bfe_u32 v14, v15, 16, 1
	s_movk_i32 s53, 0x7fff
	v_add3_u32 v14, v15, v14, s53
	v_and_b32_e32 v16, 0xffff0000, v14
	v_mov_b32_e32 v14, 0x7fc00000
	v_cmp_o_f32_e32 vcc, v15, v15
	v_cndmask_b32_e32 v15, v14, v16, vcc
	v_lshlrev_b32_sdwa v63, v13, v4 dst_sel:DWORD dst_unused:UNUSED_PAD src0_sel:DWORD src1_sel:WORD_0
	v_max_f32_e32 v13, v15, v15
	v_max_f32_e32 v65, v63, v63
	v_min_f32_e32 v16, v13, v65
	v_cmp_u_f32_e32 vcc, v15, v15
	v_max_f32_e32 v13, v13, v65
	v_cndmask_b32_e32 v16, v16, v15, vcc
	v_cmp_u_f32_e64 s[50:51], v63, v63
	v_cndmask_b32_e32 v13, v13, v15, vcc
	v_cndmask_b32_e64 v16, v16, v63, s[50:51]
	v_cndmask_b32_e64 v13, v13, v63, s[50:51]
	v_cmp_neq_f32_e32 vcc, v16, v13
	v_cmp_class_f32_e64 s[4:5], v16, s52
	s_or_b64 s[56:57], vcc, s[4:5]
	s_and_saveexec_b64 s[4:5], s[56:57]
	s_cbranch_execz .LBB507_101
; %bb.100:
	v_sub_f32_e32 v15, v16, v13
	s_mov_b32 s52, 0x3fb8aa3b
	v_mul_f32_e32 v16, 0x3fb8aa3b, v15
	v_fma_f32 v17, v15, s52, -v16
	v_rndne_f32_e32 v18, v16
	v_fmac_f32_e32 v17, 0x32a5705f, v15
	v_sub_f32_e32 v16, v16, v18
	v_add_f32_e32 v16, v16, v17
	v_exp_f32_e32 v16, v16
	v_cvt_i32_f32_e32 v17, v18
	s_mov_b32 s52, 0xc2ce8ed0
	v_cmp_ngt_f32_e32 vcc, s52, v15
	s_mov_b32 s52, 0x42b17218
	v_ldexp_f32 v16, v16, v17
	v_cndmask_b32_e32 v16, 0, v16, vcc
	v_mov_b32_e32 v17, 0x7f800000
	v_cmp_nlt_f32_e32 vcc, s52, v15
	v_cndmask_b32_e32 v18, v17, v16, vcc
	v_add_f32_e32 v64, 1.0, v18
	v_cvt_f64_f32_e32 v[15:16], v64
	v_add_f32_e32 v66, -1.0, v64
	v_sub_f32_e32 v69, v66, v64
	v_sub_f32_e32 v66, v18, v66
	v_frexp_exp_i32_f64_e32 v15, v[15:16]
	v_add_f32_e32 v16, 1.0, v69
	v_add_f32_e32 v16, v66, v16
	v_frexp_mant_f32_e32 v66, v64
	s_mov_b32 s56, 0x3f2aaaab
	v_cmp_gt_f32_e32 vcc, s56, v66
	s_mov_b32 s56, 0x3f317218
	s_mov_b32 s52, 0x7f800000
	v_subbrev_co_u32_e32 v15, vcc, 0, v15, vcc
	v_sub_u32_e32 v66, 0, v15
	v_ldexp_f32 v64, v64, v66
	v_ldexp_f32 v16, v16, v66
	v_add_f32_e32 v66, -1.0, v64
	v_add_f32_e32 v71, 1.0, v64
	v_add_f32_e32 v69, 1.0, v66
	v_add_f32_e32 v72, -1.0, v71
	v_sub_f32_e32 v69, v64, v69
	v_sub_f32_e32 v64, v64, v72
	v_add_f32_e32 v69, v16, v69
	v_add_f32_e32 v16, v16, v64
	v_add_f32_e32 v64, v71, v16
	v_rcp_f32_e32 v72, v64
	v_add_f32_e32 v70, v66, v69
	v_sub_f32_e32 v66, v66, v70
	v_add_f32_e32 v66, v69, v66
	v_sub_f32_e32 v69, v71, v64
	v_add_f32_e32 v16, v16, v69
	v_mul_f32_e32 v69, v70, v72
	v_mul_f32_e32 v71, v64, v69
	v_fma_f32 v73, v69, v64, -v71
	v_fmac_f32_e32 v73, v69, v16
	v_add_f32_e32 v74, v71, v73
	v_sub_f32_e32 v75, v70, v74
	v_sub_f32_e32 v70, v70, v75
	;; [unrolled: 1-line block ×4, first 2 shown]
	v_add_f32_e32 v66, v66, v70
	v_sub_f32_e32 v70, v71, v73
	v_add_f32_e32 v66, v70, v66
	v_add_f32_e32 v70, v75, v66
	v_mul_f32_e32 v71, v72, v70
	v_mul_f32_e32 v73, v64, v71
	v_fma_f32 v64, v71, v64, -v73
	v_fmac_f32_e32 v64, v71, v16
	v_sub_f32_e32 v16, v75, v70
	v_add_f32_e32 v16, v66, v16
	v_add_f32_e32 v66, v73, v64
	v_sub_f32_e32 v74, v70, v66
	v_sub_f32_e32 v70, v70, v74
	;; [unrolled: 1-line block ×4, first 2 shown]
	v_add_f32_e32 v16, v16, v66
	v_sub_f32_e32 v64, v73, v64
	v_add_f32_e32 v16, v64, v16
	v_add_f32_e32 v64, v69, v71
	;; [unrolled: 1-line block ×3, first 2 shown]
	v_sub_f32_e32 v66, v64, v69
	v_mul_f32_e32 v16, v72, v16
	v_sub_f32_e32 v66, v71, v66
	v_add_f32_e32 v16, v66, v16
	v_cvt_f32_i32_e32 v15, v15
	v_add_f32_e32 v66, v64, v16
	v_mul_f32_e32 v69, v66, v66
	v_mov_b32_e32 v70, 0x3ecc95a3
	v_fmac_f32_e32 v70, 0x3e9b6dac, v69
	v_mov_b32_e32 v71, 0x3f2aaada
	v_fmac_f32_e32 v71, v69, v70
	v_mul_f32_e32 v70, 0x3f317218, v15
	v_fma_f32 v72, v15, s56, -v70
	v_fmac_f32_e32 v72, 0xb102e308, v15
	v_sub_f32_e32 v15, v66, v64
	v_sub_f32_e32 v15, v16, v15
	v_add_f32_e32 v16, v70, v72
	v_sub_f32_e32 v64, v16, v70
	v_ldexp_f32 v70, v66, 1
	v_mul_f32_e32 v66, v66, v69
	v_mul_f32_e32 v66, v66, v71
	v_add_f32_e32 v69, v70, v66
	v_sub_f32_e32 v70, v69, v70
	v_ldexp_f32 v15, v15, 1
	v_sub_f32_e32 v66, v66, v70
	v_add_f32_e32 v15, v15, v66
	v_add_f32_e32 v66, v69, v15
	v_sub_f32_e32 v69, v66, v69
	v_sub_f32_e32 v15, v15, v69
	v_add_f32_e32 v69, v16, v66
	v_sub_f32_e32 v70, v69, v16
	v_sub_f32_e32 v71, v69, v70
	;; [unrolled: 1-line block ×5, first 2 shown]
	v_add_f32_e32 v16, v66, v16
	v_add_f32_e32 v66, v64, v15
	v_sub_f32_e32 v70, v66, v64
	v_sub_f32_e32 v71, v66, v70
	;; [unrolled: 1-line block ×4, first 2 shown]
	v_add_f32_e32 v16, v66, v16
	v_add_f32_e32 v15, v15, v64
	;; [unrolled: 1-line block ×3, first 2 shown]
	v_sub_f32_e32 v66, v64, v69
	v_sub_f32_e32 v16, v16, v66
	v_add_f32_e32 v15, v15, v16
	v_add_f32_e32 v15, v64, v15
	v_cmp_neq_f32_e32 vcc, s52, v18
	s_mov_b32 s52, 0x33800000
	v_cndmask_b32_e32 v15, v17, v15, vcc
	v_cmp_lt_f32_e64 vcc, |v18|, s52
	v_cndmask_b32_e32 v15, v15, v18, vcc
	v_add_f32_e32 v15, v13, v15
.LBB507_101:
	s_or_b64 exec, exec, s[4:5]
	v_bfe_u32 v13, v15, 16, 1
	v_add3_u32 v13, v15, v13, s53
	v_and_b32_e32 v13, 0xffff0000, v13
	v_cmp_o_f32_e32 vcc, v15, v15
	v_cndmask_b32_e32 v14, v14, v13, vcc
	v_mov_b32_e32 v13, 16
	v_lshlrev_b32_sdwa v64, v13, v4 dst_sel:DWORD dst_unused:UNUSED_PAD src0_sel:DWORD src1_sel:WORD_1
	v_max_f32_e32 v13, v14, v14
	v_max_f32_e32 v66, v64, v64
	v_min_f32_e32 v15, v13, v66
	v_cmp_u_f32_e32 vcc, v14, v14
	v_max_f32_e32 v13, v13, v66
	v_cndmask_b32_e32 v15, v15, v14, vcc
	v_cmp_u_f32_e64 s[52:53], v64, v64
	v_cndmask_b32_e32 v13, v13, v14, vcc
	v_cndmask_b32_e64 v15, v15, v64, s[52:53]
	v_cndmask_b32_e64 v13, v13, v64, s[52:53]
	s_movk_i32 s4, 0x1f8
	v_cmp_neq_f32_e32 vcc, v15, v13
	v_cmp_class_f32_e64 s[4:5], v15, s4
	s_or_b64 s[56:57], vcc, s[4:5]
	s_and_saveexec_b64 s[4:5], s[56:57]
	s_cbranch_execz .LBB507_103
; %bb.102:
	v_sub_f32_e32 v14, v15, v13
	s_mov_b32 s56, 0x3fb8aa3b
	v_mul_f32_e32 v15, 0x3fb8aa3b, v14
	v_fma_f32 v16, v14, s56, -v15
	v_rndne_f32_e32 v17, v15
	v_fmac_f32_e32 v16, 0x32a5705f, v14
	v_sub_f32_e32 v15, v15, v17
	v_add_f32_e32 v15, v15, v16
	v_exp_f32_e32 v15, v15
	v_cvt_i32_f32_e32 v16, v17
	s_mov_b32 s56, 0xc2ce8ed0
	v_cmp_ngt_f32_e32 vcc, s56, v14
	s_mov_b32 s56, 0x42b17218
	v_ldexp_f32 v15, v15, v16
	v_cndmask_b32_e32 v15, 0, v15, vcc
	v_mov_b32_e32 v16, 0x7f800000
	v_cmp_nlt_f32_e32 vcc, s56, v14
	v_cndmask_b32_e32 v17, v16, v15, vcc
	v_add_f32_e32 v18, 1.0, v17
	v_cvt_f64_f32_e32 v[14:15], v18
	v_add_f32_e32 v69, -1.0, v18
	v_sub_f32_e32 v70, v69, v18
	v_sub_f32_e32 v69, v17, v69
	v_frexp_exp_i32_f64_e32 v14, v[14:15]
	v_add_f32_e32 v15, 1.0, v70
	v_add_f32_e32 v15, v69, v15
	v_frexp_mant_f32_e32 v69, v18
	s_mov_b32 s57, 0x3f2aaaab
	v_cmp_gt_f32_e32 vcc, s57, v69
	s_mov_b32 s57, 0x3f317218
	s_mov_b32 s56, 0x7f800000
	v_subbrev_co_u32_e32 v14, vcc, 0, v14, vcc
	v_sub_u32_e32 v69, 0, v14
	v_ldexp_f32 v18, v18, v69
	v_ldexp_f32 v15, v15, v69
	v_add_f32_e32 v69, -1.0, v18
	v_add_f32_e32 v72, 1.0, v18
	v_add_f32_e32 v70, 1.0, v69
	v_add_f32_e32 v73, -1.0, v72
	v_sub_f32_e32 v70, v18, v70
	v_sub_f32_e32 v18, v18, v73
	v_add_f32_e32 v70, v15, v70
	v_add_f32_e32 v15, v15, v18
	;; [unrolled: 1-line block ×3, first 2 shown]
	v_rcp_f32_e32 v73, v18
	v_add_f32_e32 v71, v69, v70
	v_sub_f32_e32 v69, v69, v71
	v_add_f32_e32 v69, v70, v69
	v_sub_f32_e32 v70, v72, v18
	v_add_f32_e32 v15, v15, v70
	v_mul_f32_e32 v70, v71, v73
	v_mul_f32_e32 v72, v18, v70
	v_fma_f32 v74, v70, v18, -v72
	v_fmac_f32_e32 v74, v70, v15
	v_add_f32_e32 v75, v72, v74
	v_sub_f32_e32 v76, v71, v75
	v_sub_f32_e32 v71, v71, v76
	;; [unrolled: 1-line block ×4, first 2 shown]
	v_add_f32_e32 v69, v69, v71
	v_sub_f32_e32 v71, v72, v74
	v_add_f32_e32 v69, v71, v69
	v_add_f32_e32 v71, v76, v69
	v_mul_f32_e32 v72, v73, v71
	v_mul_f32_e32 v74, v18, v72
	v_fma_f32 v18, v72, v18, -v74
	v_fmac_f32_e32 v18, v72, v15
	v_sub_f32_e32 v15, v76, v71
	v_add_f32_e32 v15, v69, v15
	v_add_f32_e32 v69, v74, v18
	v_sub_f32_e32 v75, v71, v69
	v_sub_f32_e32 v71, v71, v75
	;; [unrolled: 1-line block ×4, first 2 shown]
	v_add_f32_e32 v15, v15, v69
	v_sub_f32_e32 v18, v74, v18
	v_add_f32_e32 v15, v18, v15
	v_add_f32_e32 v18, v70, v72
	;; [unrolled: 1-line block ×3, first 2 shown]
	v_sub_f32_e32 v69, v18, v70
	v_mul_f32_e32 v15, v73, v15
	v_sub_f32_e32 v69, v72, v69
	v_add_f32_e32 v15, v69, v15
	v_cvt_f32_i32_e32 v14, v14
	v_add_f32_e32 v69, v18, v15
	v_mul_f32_e32 v70, v69, v69
	v_mov_b32_e32 v71, 0x3ecc95a3
	v_fmac_f32_e32 v71, 0x3e9b6dac, v70
	v_mov_b32_e32 v72, 0x3f2aaada
	v_fmac_f32_e32 v72, v70, v71
	v_mul_f32_e32 v71, 0x3f317218, v14
	v_fma_f32 v73, v14, s57, -v71
	v_fmac_f32_e32 v73, 0xb102e308, v14
	v_sub_f32_e32 v14, v69, v18
	v_sub_f32_e32 v14, v15, v14
	v_add_f32_e32 v15, v71, v73
	v_sub_f32_e32 v18, v15, v71
	v_ldexp_f32 v71, v69, 1
	v_mul_f32_e32 v69, v69, v70
	v_mul_f32_e32 v69, v69, v72
	v_add_f32_e32 v70, v71, v69
	v_sub_f32_e32 v71, v70, v71
	v_ldexp_f32 v14, v14, 1
	v_sub_f32_e32 v69, v69, v71
	v_add_f32_e32 v14, v14, v69
	v_add_f32_e32 v69, v70, v14
	v_sub_f32_e32 v70, v69, v70
	v_sub_f32_e32 v14, v14, v70
	v_add_f32_e32 v70, v15, v69
	v_sub_f32_e32 v71, v70, v15
	v_sub_f32_e32 v72, v70, v71
	;; [unrolled: 1-line block ×5, first 2 shown]
	v_add_f32_e32 v15, v69, v15
	v_add_f32_e32 v69, v18, v14
	v_sub_f32_e32 v71, v69, v18
	v_sub_f32_e32 v72, v69, v71
	;; [unrolled: 1-line block ×4, first 2 shown]
	v_add_f32_e32 v15, v69, v15
	v_add_f32_e32 v14, v14, v18
	;; [unrolled: 1-line block ×3, first 2 shown]
	v_sub_f32_e32 v69, v18, v70
	v_sub_f32_e32 v15, v15, v69
	v_add_f32_e32 v14, v14, v15
	v_add_f32_e32 v14, v18, v14
	v_cmp_neq_f32_e32 vcc, s56, v17
	s_mov_b32 s56, 0x33800000
	v_cndmask_b32_e32 v14, v16, v14, vcc
	v_cmp_lt_f32_e64 vcc, |v17|, s56
	v_cndmask_b32_e32 v14, v14, v17, vcc
	v_add_f32_e32 v14, v13, v14
.LBB507_103:
	s_or_b64 exec, exec, s[4:5]
	v_bfe_u32 v13, v14, 16, 1
	s_movk_i32 s4, 0x7fff
	v_add3_u32 v13, v14, v13, s4
	v_cmp_o_f32_e32 vcc, v14, v14
	v_mov_b32_e32 v14, 0x7fc0
	v_cndmask_b32_sdwa v69, v14, v13, vcc dst_sel:DWORD dst_unused:UNUSED_PAD src0_sel:DWORD src1_sel:WORD_1
	v_lshrrev_b32_e32 v13, 4, v0
	v_and_b32_e32 v13, 14, v13
	v_lshl_add_u32 v13, v0, 1, v13
	v_cmp_gt_u32_e64 s[56:57], 64, v0
	ds_write_b16 v13, v69
	s_waitcnt lgkmcnt(0)
	s_barrier
	s_and_saveexec_b64 s[74:75], s[56:57]
	s_cbranch_execz .LBB507_143
; %bb.104:
	v_lshrrev_b32_e32 v13, 2, v0
	v_and_b32_e32 v13, 62, v13
	v_lshlrev_b32_e32 v14, 3, v0
	v_add_u32_e32 v13, v13, v14
	ds_read_u16 v14, v13
	ds_read_u16 v15, v13 offset:2
	s_movk_i32 s79, 0x1f8
	s_waitcnt lgkmcnt(1)
	v_lshlrev_b32_e32 v14, 16, v14
	s_waitcnt lgkmcnt(0)
	v_lshlrev_b32_e32 v16, 16, v15
	v_max_f32_e32 v17, v16, v16
	v_max_f32_e32 v15, v14, v14
	v_min_f32_e32 v18, v15, v17
	v_cmp_u_f32_e64 s[58:59], v14, v14
	v_max_f32_e32 v17, v15, v17
	v_cndmask_b32_e64 v18, v18, v14, s[58:59]
	v_cmp_u_f32_e32 vcc, v16, v16
	v_cndmask_b32_e64 v17, v17, v14, s[58:59]
	v_cndmask_b32_e32 v18, v18, v16, vcc
	v_cndmask_b32_e32 v16, v17, v16, vcc
	v_cmp_neq_f32_e32 vcc, v18, v16
	v_cmp_class_f32_e64 s[4:5], v18, s79
	s_or_b64 s[84:85], vcc, s[4:5]
	v_mov_b32_e32 v17, v14
	s_and_saveexec_b64 s[4:5], s[84:85]
	s_cbranch_execz .LBB507_106
; %bb.105:
	v_sub_f32_e32 v17, v18, v16
	s_mov_b32 s78, 0x3fb8aa3b
	v_mul_f32_e32 v18, 0x3fb8aa3b, v17
	v_fma_f32 v70, v17, s78, -v18
	v_rndne_f32_e32 v71, v18
	v_fmac_f32_e32 v70, 0x32a5705f, v17
	v_sub_f32_e32 v18, v18, v71
	v_add_f32_e32 v18, v18, v70
	v_exp_f32_e32 v18, v18
	v_cvt_i32_f32_e32 v70, v71
	s_mov_b32 s78, 0xc2ce8ed0
	v_cmp_ngt_f32_e32 vcc, s78, v17
	s_mov_b32 s78, 0x42b17218
	v_ldexp_f32 v18, v18, v70
	v_cndmask_b32_e32 v18, 0, v18, vcc
	v_mov_b32_e32 v70, 0x7f800000
	v_cmp_nlt_f32_e32 vcc, s78, v17
	v_cndmask_b32_e32 v71, v70, v18, vcc
	v_add_f32_e32 v72, 1.0, v71
	v_cvt_f64_f32_e32 v[17:18], v72
	v_add_f32_e32 v73, -1.0, v72
	v_sub_f32_e32 v74, v73, v72
	v_sub_f32_e32 v73, v71, v73
	v_frexp_exp_i32_f64_e32 v17, v[17:18]
	v_add_f32_e32 v18, 1.0, v74
	v_add_f32_e32 v18, v73, v18
	v_frexp_mant_f32_e32 v73, v72
	s_mov_b32 s84, 0x3f2aaaab
	v_cmp_gt_f32_e32 vcc, s84, v73
	s_mov_b32 s84, 0x3f317218
	s_mov_b32 s78, 0x7f800000
	v_subbrev_co_u32_e32 v17, vcc, 0, v17, vcc
	v_sub_u32_e32 v73, 0, v17
	v_ldexp_f32 v72, v72, v73
	v_ldexp_f32 v18, v18, v73
	v_add_f32_e32 v73, -1.0, v72
	v_add_f32_e32 v76, 1.0, v72
	v_add_f32_e32 v74, 1.0, v73
	v_add_f32_e32 v77, -1.0, v76
	v_sub_f32_e32 v74, v72, v74
	v_sub_f32_e32 v72, v72, v77
	v_add_f32_e32 v74, v18, v74
	v_add_f32_e32 v18, v18, v72
	;; [unrolled: 1-line block ×3, first 2 shown]
	v_rcp_f32_e32 v77, v72
	v_add_f32_e32 v75, v73, v74
	v_sub_f32_e32 v73, v73, v75
	v_add_f32_e32 v73, v74, v73
	v_sub_f32_e32 v74, v76, v72
	v_add_f32_e32 v18, v18, v74
	v_mul_f32_e32 v74, v75, v77
	v_mul_f32_e32 v76, v72, v74
	v_fma_f32 v78, v74, v72, -v76
	v_fmac_f32_e32 v78, v74, v18
	v_add_f32_e32 v79, v76, v78
	v_sub_f32_e32 v80, v75, v79
	v_sub_f32_e32 v75, v75, v80
	;; [unrolled: 1-line block ×4, first 2 shown]
	v_add_f32_e32 v73, v73, v75
	v_sub_f32_e32 v75, v76, v78
	v_add_f32_e32 v73, v75, v73
	v_add_f32_e32 v75, v80, v73
	v_mul_f32_e32 v76, v77, v75
	v_mul_f32_e32 v78, v72, v76
	v_fma_f32 v72, v76, v72, -v78
	v_fmac_f32_e32 v72, v76, v18
	v_sub_f32_e32 v18, v80, v75
	v_add_f32_e32 v18, v73, v18
	v_add_f32_e32 v73, v78, v72
	v_sub_f32_e32 v79, v75, v73
	v_sub_f32_e32 v75, v75, v79
	;; [unrolled: 1-line block ×4, first 2 shown]
	v_add_f32_e32 v18, v18, v73
	v_sub_f32_e32 v72, v78, v72
	v_add_f32_e32 v18, v72, v18
	v_add_f32_e32 v72, v74, v76
	;; [unrolled: 1-line block ×3, first 2 shown]
	v_sub_f32_e32 v73, v72, v74
	v_mul_f32_e32 v18, v77, v18
	v_sub_f32_e32 v73, v76, v73
	v_add_f32_e32 v18, v73, v18
	v_cvt_f32_i32_e32 v17, v17
	v_add_f32_e32 v73, v72, v18
	v_mul_f32_e32 v74, v73, v73
	v_mov_b32_e32 v75, 0x3ecc95a3
	v_fmac_f32_e32 v75, 0x3e9b6dac, v74
	v_mov_b32_e32 v76, 0x3f2aaada
	v_fmac_f32_e32 v76, v74, v75
	v_mul_f32_e32 v75, 0x3f317218, v17
	v_fma_f32 v77, v17, s84, -v75
	v_fmac_f32_e32 v77, 0xb102e308, v17
	v_sub_f32_e32 v17, v73, v72
	v_sub_f32_e32 v17, v18, v17
	v_add_f32_e32 v18, v75, v77
	v_sub_f32_e32 v72, v18, v75
	v_ldexp_f32 v75, v73, 1
	v_mul_f32_e32 v73, v73, v74
	v_mul_f32_e32 v73, v73, v76
	v_add_f32_e32 v74, v75, v73
	v_sub_f32_e32 v75, v74, v75
	v_ldexp_f32 v17, v17, 1
	v_sub_f32_e32 v73, v73, v75
	v_add_f32_e32 v17, v17, v73
	v_add_f32_e32 v73, v74, v17
	v_sub_f32_e32 v74, v73, v74
	v_sub_f32_e32 v17, v17, v74
	v_add_f32_e32 v74, v18, v73
	v_sub_f32_e32 v75, v74, v18
	v_sub_f32_e32 v76, v74, v75
	;; [unrolled: 1-line block ×5, first 2 shown]
	v_add_f32_e32 v18, v73, v18
	v_add_f32_e32 v73, v72, v17
	v_sub_f32_e32 v75, v73, v72
	v_sub_f32_e32 v76, v73, v75
	;; [unrolled: 1-line block ×4, first 2 shown]
	v_add_f32_e32 v18, v73, v18
	v_add_f32_e32 v17, v17, v72
	;; [unrolled: 1-line block ×3, first 2 shown]
	v_sub_f32_e32 v73, v72, v74
	v_sub_f32_e32 v18, v18, v73
	v_add_f32_e32 v17, v17, v18
	v_add_f32_e32 v17, v72, v17
	v_cmp_neq_f32_e32 vcc, s78, v71
	s_mov_b32 s78, 0x33800000
	v_cndmask_b32_e32 v17, v70, v17, vcc
	v_cmp_lt_f32_e64 vcc, |v71|, s78
	v_cndmask_b32_e32 v17, v17, v71, vcc
	v_add_f32_e32 v17, v16, v17
.LBB507_106:
	s_or_b64 exec, exec, s[4:5]
	ds_read_u16 v70, v13 offset:4
	v_bfe_u32 v16, v17, 16, 1
	s_movk_i32 s78, 0x7fff
	v_add3_u32 v16, v17, v16, s78
	v_and_b32_e32 v18, 0xffff0000, v16
	v_mov_b32_e32 v16, 0x7fc00000
	v_cmp_o_f32_e32 vcc, v17, v17
	v_cndmask_b32_e32 v18, v16, v18, vcc
	s_waitcnt lgkmcnt(0)
	v_lshlrev_b32_e32 v17, 16, v70
	v_max_f32_e32 v71, v18, v18
	v_max_f32_e32 v72, v17, v17
	v_min_f32_e32 v70, v71, v72
	v_cmp_u_f32_e32 vcc, v18, v18
	v_max_f32_e32 v71, v71, v72
	v_cndmask_b32_e32 v70, v70, v18, vcc
	v_cmp_u_f32_e64 s[4:5], v17, v17
	v_cndmask_b32_e32 v71, v71, v18, vcc
	v_cndmask_b32_e64 v70, v70, v17, s[4:5]
	v_cndmask_b32_e64 v17, v71, v17, s[4:5]
	v_cmp_neq_f32_e32 vcc, v70, v17
	v_cmp_class_f32_e64 s[4:5], v70, s79
	s_or_b64 s[84:85], vcc, s[4:5]
	s_and_saveexec_b64 s[4:5], s[84:85]
	s_cbranch_execz .LBB507_108
; %bb.107:
	v_sub_f32_e32 v18, v70, v17
	s_mov_b32 s79, 0x3fb8aa3b
	v_mul_f32_e32 v70, 0x3fb8aa3b, v18
	v_fma_f32 v71, v18, s79, -v70
	v_rndne_f32_e32 v72, v70
	v_fmac_f32_e32 v71, 0x32a5705f, v18
	v_sub_f32_e32 v70, v70, v72
	v_add_f32_e32 v70, v70, v71
	v_exp_f32_e32 v70, v70
	v_cvt_i32_f32_e32 v71, v72
	s_mov_b32 s79, 0xc2ce8ed0
	v_cmp_ngt_f32_e32 vcc, s79, v18
	s_mov_b32 s79, 0x42b17218
	v_ldexp_f32 v70, v70, v71
	v_cndmask_b32_e32 v70, 0, v70, vcc
	v_mov_b32_e32 v72, 0x7f800000
	v_cmp_nlt_f32_e32 vcc, s79, v18
	v_cndmask_b32_e32 v18, v72, v70, vcc
	v_add_f32_e32 v73, 1.0, v18
	v_cvt_f64_f32_e32 v[70:71], v73
	v_add_f32_e32 v74, -1.0, v73
	v_sub_f32_e32 v75, v74, v73
	v_sub_f32_e32 v74, v18, v74
	v_frexp_exp_i32_f64_e32 v70, v[70:71]
	v_add_f32_e32 v71, 1.0, v75
	v_add_f32_e32 v71, v74, v71
	v_frexp_mant_f32_e32 v74, v73
	s_mov_b32 s84, 0x3f2aaaab
	v_cmp_gt_f32_e32 vcc, s84, v74
	s_mov_b32 s84, 0x3f317218
	s_mov_b32 s79, 0x7f800000
	v_subbrev_co_u32_e32 v70, vcc, 0, v70, vcc
	v_sub_u32_e32 v74, 0, v70
	v_ldexp_f32 v73, v73, v74
	v_ldexp_f32 v71, v71, v74
	v_add_f32_e32 v74, -1.0, v73
	v_add_f32_e32 v77, 1.0, v73
	v_add_f32_e32 v75, 1.0, v74
	v_add_f32_e32 v78, -1.0, v77
	v_sub_f32_e32 v75, v73, v75
	v_sub_f32_e32 v73, v73, v78
	v_add_f32_e32 v75, v71, v75
	v_add_f32_e32 v71, v71, v73
	;; [unrolled: 1-line block ×3, first 2 shown]
	v_rcp_f32_e32 v78, v73
	v_add_f32_e32 v76, v74, v75
	v_sub_f32_e32 v74, v74, v76
	v_add_f32_e32 v74, v75, v74
	v_sub_f32_e32 v75, v77, v73
	v_add_f32_e32 v71, v71, v75
	v_mul_f32_e32 v75, v76, v78
	v_mul_f32_e32 v77, v73, v75
	v_fma_f32 v79, v75, v73, -v77
	v_fmac_f32_e32 v79, v75, v71
	v_add_f32_e32 v80, v77, v79
	v_sub_f32_e32 v81, v76, v80
	v_sub_f32_e32 v76, v76, v81
	;; [unrolled: 1-line block ×4, first 2 shown]
	v_add_f32_e32 v74, v74, v76
	v_sub_f32_e32 v76, v77, v79
	v_add_f32_e32 v74, v76, v74
	v_add_f32_e32 v76, v81, v74
	v_mul_f32_e32 v77, v78, v76
	v_mul_f32_e32 v79, v73, v77
	v_fma_f32 v73, v77, v73, -v79
	v_fmac_f32_e32 v73, v77, v71
	v_sub_f32_e32 v71, v81, v76
	v_add_f32_e32 v71, v74, v71
	v_add_f32_e32 v74, v79, v73
	v_sub_f32_e32 v80, v76, v74
	v_sub_f32_e32 v76, v76, v80
	;; [unrolled: 1-line block ×4, first 2 shown]
	v_add_f32_e32 v71, v71, v74
	v_sub_f32_e32 v73, v79, v73
	v_add_f32_e32 v71, v73, v71
	v_add_f32_e32 v73, v75, v77
	v_add_f32_e32 v71, v80, v71
	v_sub_f32_e32 v74, v73, v75
	v_mul_f32_e32 v71, v78, v71
	v_sub_f32_e32 v74, v77, v74
	v_add_f32_e32 v71, v74, v71
	v_cvt_f32_i32_e32 v70, v70
	v_add_f32_e32 v74, v73, v71
	v_mul_f32_e32 v75, v74, v74
	v_mov_b32_e32 v76, 0x3ecc95a3
	v_fmac_f32_e32 v76, 0x3e9b6dac, v75
	v_mov_b32_e32 v77, 0x3f2aaada
	v_fmac_f32_e32 v77, v75, v76
	v_mul_f32_e32 v76, 0x3f317218, v70
	v_fma_f32 v78, v70, s84, -v76
	v_fmac_f32_e32 v78, 0xb102e308, v70
	v_sub_f32_e32 v70, v74, v73
	v_sub_f32_e32 v70, v71, v70
	v_add_f32_e32 v71, v76, v78
	v_sub_f32_e32 v73, v71, v76
	v_ldexp_f32 v76, v74, 1
	v_mul_f32_e32 v74, v74, v75
	v_mul_f32_e32 v74, v74, v77
	v_add_f32_e32 v75, v76, v74
	v_sub_f32_e32 v76, v75, v76
	v_ldexp_f32 v70, v70, 1
	v_sub_f32_e32 v74, v74, v76
	v_add_f32_e32 v70, v70, v74
	v_add_f32_e32 v74, v75, v70
	v_sub_f32_e32 v75, v74, v75
	v_sub_f32_e32 v70, v70, v75
	v_add_f32_e32 v75, v71, v74
	v_sub_f32_e32 v76, v75, v71
	v_sub_f32_e32 v77, v75, v76
	;; [unrolled: 1-line block ×5, first 2 shown]
	v_add_f32_e32 v71, v74, v71
	v_add_f32_e32 v74, v73, v70
	v_sub_f32_e32 v76, v74, v73
	v_sub_f32_e32 v77, v74, v76
	;; [unrolled: 1-line block ×4, first 2 shown]
	v_add_f32_e32 v71, v74, v71
	v_add_f32_e32 v70, v70, v73
	;; [unrolled: 1-line block ×3, first 2 shown]
	v_sub_f32_e32 v74, v73, v75
	v_sub_f32_e32 v71, v71, v74
	v_add_f32_e32 v70, v70, v71
	v_add_f32_e32 v70, v73, v70
	v_cmp_neq_f32_e32 vcc, s79, v18
	s_mov_b32 s79, 0x33800000
	v_cndmask_b32_e32 v70, v72, v70, vcc
	v_cmp_lt_f32_e64 vcc, |v18|, s79
	v_cndmask_b32_e32 v18, v70, v18, vcc
	v_add_f32_e32 v18, v17, v18
.LBB507_108:
	s_or_b64 exec, exec, s[4:5]
	ds_read_u16 v70, v13 offset:6
	v_bfe_u32 v17, v18, 16, 1
	v_add3_u32 v17, v18, v17, s78
	v_and_b32_e32 v17, 0xffff0000, v17
	v_cmp_o_f32_e32 vcc, v18, v18
	v_cndmask_b32_e32 v17, v16, v17, vcc
	s_waitcnt lgkmcnt(0)
	v_lshlrev_b32_e32 v16, 16, v70
	v_max_f32_e32 v70, v17, v17
	v_max_f32_e32 v71, v16, v16
	v_min_f32_e32 v18, v70, v71
	v_cmp_u_f32_e32 vcc, v17, v17
	v_max_f32_e32 v70, v70, v71
	v_cndmask_b32_e32 v18, v18, v17, vcc
	v_cmp_u_f32_e64 s[4:5], v16, v16
	v_cndmask_b32_e32 v70, v70, v17, vcc
	v_cndmask_b32_e64 v18, v18, v16, s[4:5]
	v_cndmask_b32_e64 v16, v70, v16, s[4:5]
	s_movk_i32 s4, 0x1f8
	v_cmp_neq_f32_e32 vcc, v18, v16
	v_cmp_class_f32_e64 s[4:5], v18, s4
	s_or_b64 s[78:79], vcc, s[4:5]
	s_and_saveexec_b64 s[4:5], s[78:79]
	s_cbranch_execz .LBB507_110
; %bb.109:
	v_sub_f32_e32 v17, v18, v16
	s_mov_b32 s78, 0x3fb8aa3b
	v_mul_f32_e32 v18, 0x3fb8aa3b, v17
	v_fma_f32 v70, v17, s78, -v18
	v_rndne_f32_e32 v71, v18
	v_fmac_f32_e32 v70, 0x32a5705f, v17
	v_sub_f32_e32 v18, v18, v71
	v_add_f32_e32 v18, v18, v70
	v_exp_f32_e32 v18, v18
	v_cvt_i32_f32_e32 v70, v71
	s_mov_b32 s78, 0xc2ce8ed0
	v_cmp_ngt_f32_e32 vcc, s78, v17
	s_mov_b32 s78, 0x42b17218
	v_ldexp_f32 v18, v18, v70
	v_cndmask_b32_e32 v18, 0, v18, vcc
	v_mov_b32_e32 v70, 0x7f800000
	v_cmp_nlt_f32_e32 vcc, s78, v17
	v_cndmask_b32_e32 v71, v70, v18, vcc
	v_add_f32_e32 v72, 1.0, v71
	v_cvt_f64_f32_e32 v[17:18], v72
	v_add_f32_e32 v73, -1.0, v72
	v_sub_f32_e32 v74, v73, v72
	v_sub_f32_e32 v73, v71, v73
	v_frexp_exp_i32_f64_e32 v17, v[17:18]
	v_add_f32_e32 v18, 1.0, v74
	v_add_f32_e32 v18, v73, v18
	v_frexp_mant_f32_e32 v73, v72
	s_mov_b32 s79, 0x3f2aaaab
	v_cmp_gt_f32_e32 vcc, s79, v73
	s_mov_b32 s79, 0x3f317218
	s_mov_b32 s78, 0x7f800000
	v_subbrev_co_u32_e32 v17, vcc, 0, v17, vcc
	v_sub_u32_e32 v73, 0, v17
	v_ldexp_f32 v72, v72, v73
	v_ldexp_f32 v18, v18, v73
	v_add_f32_e32 v73, -1.0, v72
	v_add_f32_e32 v76, 1.0, v72
	v_add_f32_e32 v74, 1.0, v73
	v_add_f32_e32 v77, -1.0, v76
	v_sub_f32_e32 v74, v72, v74
	v_sub_f32_e32 v72, v72, v77
	v_add_f32_e32 v74, v18, v74
	v_add_f32_e32 v18, v18, v72
	;; [unrolled: 1-line block ×3, first 2 shown]
	v_rcp_f32_e32 v77, v72
	v_add_f32_e32 v75, v73, v74
	v_sub_f32_e32 v73, v73, v75
	v_add_f32_e32 v73, v74, v73
	v_sub_f32_e32 v74, v76, v72
	v_add_f32_e32 v18, v18, v74
	v_mul_f32_e32 v74, v75, v77
	v_mul_f32_e32 v76, v72, v74
	v_fma_f32 v78, v74, v72, -v76
	v_fmac_f32_e32 v78, v74, v18
	v_add_f32_e32 v79, v76, v78
	v_sub_f32_e32 v80, v75, v79
	v_sub_f32_e32 v75, v75, v80
	;; [unrolled: 1-line block ×4, first 2 shown]
	v_add_f32_e32 v73, v73, v75
	v_sub_f32_e32 v75, v76, v78
	v_add_f32_e32 v73, v75, v73
	v_add_f32_e32 v75, v80, v73
	v_mul_f32_e32 v76, v77, v75
	v_mul_f32_e32 v78, v72, v76
	v_fma_f32 v72, v76, v72, -v78
	v_fmac_f32_e32 v72, v76, v18
	v_sub_f32_e32 v18, v80, v75
	v_add_f32_e32 v18, v73, v18
	v_add_f32_e32 v73, v78, v72
	v_sub_f32_e32 v79, v75, v73
	v_sub_f32_e32 v75, v75, v79
	;; [unrolled: 1-line block ×4, first 2 shown]
	v_add_f32_e32 v18, v18, v73
	v_sub_f32_e32 v72, v78, v72
	v_add_f32_e32 v18, v72, v18
	v_add_f32_e32 v72, v74, v76
	;; [unrolled: 1-line block ×3, first 2 shown]
	v_sub_f32_e32 v73, v72, v74
	v_mul_f32_e32 v18, v77, v18
	v_sub_f32_e32 v73, v76, v73
	v_add_f32_e32 v18, v73, v18
	v_cvt_f32_i32_e32 v17, v17
	v_add_f32_e32 v73, v72, v18
	v_mul_f32_e32 v74, v73, v73
	v_mov_b32_e32 v75, 0x3ecc95a3
	v_fmac_f32_e32 v75, 0x3e9b6dac, v74
	v_mov_b32_e32 v76, 0x3f2aaada
	v_fmac_f32_e32 v76, v74, v75
	v_mul_f32_e32 v75, 0x3f317218, v17
	v_fma_f32 v77, v17, s79, -v75
	v_fmac_f32_e32 v77, 0xb102e308, v17
	v_sub_f32_e32 v17, v73, v72
	v_sub_f32_e32 v17, v18, v17
	v_add_f32_e32 v18, v75, v77
	v_sub_f32_e32 v72, v18, v75
	v_ldexp_f32 v75, v73, 1
	v_mul_f32_e32 v73, v73, v74
	v_mul_f32_e32 v73, v73, v76
	v_add_f32_e32 v74, v75, v73
	v_sub_f32_e32 v75, v74, v75
	v_ldexp_f32 v17, v17, 1
	v_sub_f32_e32 v73, v73, v75
	v_add_f32_e32 v17, v17, v73
	v_add_f32_e32 v73, v74, v17
	v_sub_f32_e32 v74, v73, v74
	v_sub_f32_e32 v17, v17, v74
	v_add_f32_e32 v74, v18, v73
	v_sub_f32_e32 v75, v74, v18
	v_sub_f32_e32 v76, v74, v75
	;; [unrolled: 1-line block ×5, first 2 shown]
	v_add_f32_e32 v18, v73, v18
	v_add_f32_e32 v73, v72, v17
	v_sub_f32_e32 v75, v73, v72
	v_sub_f32_e32 v76, v73, v75
	v_sub_f32_e32 v72, v72, v76
	v_sub_f32_e32 v17, v17, v75
	v_add_f32_e32 v18, v73, v18
	v_add_f32_e32 v17, v17, v72
	v_add_f32_e32 v72, v74, v18
	v_sub_f32_e32 v73, v72, v74
	v_sub_f32_e32 v18, v18, v73
	v_add_f32_e32 v17, v17, v18
	v_add_f32_e32 v17, v72, v17
	v_cmp_neq_f32_e32 vcc, s78, v71
	s_mov_b32 s78, 0x33800000
	v_cndmask_b32_e32 v17, v70, v17, vcc
	v_cmp_lt_f32_e64 vcc, |v71|, s78
	v_cndmask_b32_e32 v17, v17, v71, vcc
	v_add_f32_e32 v17, v16, v17
.LBB507_110:
	s_or_b64 exec, exec, s[4:5]
	v_bfe_u32 v16, v17, 16, 1
	s_movk_i32 s4, 0x7fff
	v_add3_u32 v16, v17, v16, s4
	v_cmp_o_f32_e32 vcc, v17, v17
	v_mov_b32_e32 v17, 0x7fc0
	v_cndmask_b32_sdwa v18, v17, v16, vcc dst_sel:DWORD dst_unused:UNUSED_PAD src0_sel:DWORD src1_sel:WORD_1
	v_mbcnt_lo_u32_b32 v16, -1, 0
	v_mbcnt_hi_u32_b32 v16, -1, v16
	v_and_b32_e32 v17, 15, v16
	v_and_b32_e32 v70, 0xffff, v18
	v_cmp_ne_u32_e32 vcc, 0, v17
	s_nop 0
	v_mov_b32_dpp v71, v70 row_shr:1 row_mask:0xf bank_mask:0xf
	s_and_saveexec_b64 s[4:5], vcc
	s_xor_b64 s[78:79], exec, s[4:5]
	s_cbranch_execz .LBB507_114
; %bb.111:
	v_lshlrev_b32_e32 v71, 16, v71
	v_lshlrev_b32_e32 v18, 16, v70
	v_max_f32_e32 v72, v18, v18
	v_max_f32_e32 v73, v71, v71
	v_min_f32_e32 v70, v73, v72
	v_cmp_u_f32_e32 vcc, v71, v71
	v_max_f32_e32 v72, v73, v72
	v_cndmask_b32_e32 v70, v70, v71, vcc
	v_cmp_u_f32_e64 s[4:5], v18, v18
	v_cndmask_b32_e32 v72, v72, v71, vcc
	v_cndmask_b32_e64 v70, v70, v18, s[4:5]
	v_cndmask_b32_e64 v18, v72, v18, s[4:5]
	s_movk_i32 s4, 0x1f8
	v_cmp_neq_f32_e32 vcc, v70, v18
	v_cmp_class_f32_e64 s[4:5], v70, s4
	s_or_b64 s[84:85], vcc, s[4:5]
	s_and_saveexec_b64 s[4:5], s[84:85]
	s_cbranch_execz .LBB507_113
; %bb.112:
	v_sub_f32_e32 v70, v70, v18
	s_mov_b32 s84, 0x3fb8aa3b
	v_mul_f32_e32 v71, 0x3fb8aa3b, v70
	v_fma_f32 v72, v70, s84, -v71
	v_rndne_f32_e32 v73, v71
	v_fmac_f32_e32 v72, 0x32a5705f, v70
	v_sub_f32_e32 v71, v71, v73
	v_add_f32_e32 v71, v71, v72
	v_exp_f32_e32 v71, v71
	v_cvt_i32_f32_e32 v72, v73
	s_mov_b32 s84, 0xc2ce8ed0
	v_cmp_ngt_f32_e32 vcc, s84, v70
	s_mov_b32 s84, 0x42b17218
	v_ldexp_f32 v71, v71, v72
	v_cndmask_b32_e32 v71, 0, v71, vcc
	v_mov_b32_e32 v72, 0x7f800000
	v_cmp_nlt_f32_e32 vcc, s84, v70
	v_cndmask_b32_e32 v73, v72, v71, vcc
	v_add_f32_e32 v74, 1.0, v73
	v_cvt_f64_f32_e32 v[70:71], v74
	v_add_f32_e32 v75, -1.0, v74
	v_sub_f32_e32 v76, v75, v74
	v_sub_f32_e32 v75, v73, v75
	v_frexp_exp_i32_f64_e32 v70, v[70:71]
	v_add_f32_e32 v71, 1.0, v76
	v_add_f32_e32 v71, v75, v71
	v_frexp_mant_f32_e32 v75, v74
	s_mov_b32 s85, 0x3f2aaaab
	v_cmp_gt_f32_e32 vcc, s85, v75
	s_mov_b32 s85, 0x3f317218
	s_mov_b32 s84, 0x7f800000
	v_subbrev_co_u32_e32 v70, vcc, 0, v70, vcc
	v_sub_u32_e32 v75, 0, v70
	v_ldexp_f32 v74, v74, v75
	v_ldexp_f32 v71, v71, v75
	v_add_f32_e32 v75, -1.0, v74
	v_add_f32_e32 v78, 1.0, v74
	v_add_f32_e32 v76, 1.0, v75
	v_add_f32_e32 v79, -1.0, v78
	v_sub_f32_e32 v76, v74, v76
	v_sub_f32_e32 v74, v74, v79
	v_add_f32_e32 v76, v71, v76
	v_add_f32_e32 v71, v71, v74
	;; [unrolled: 1-line block ×3, first 2 shown]
	v_rcp_f32_e32 v79, v74
	v_add_f32_e32 v77, v75, v76
	v_sub_f32_e32 v75, v75, v77
	v_add_f32_e32 v75, v76, v75
	v_sub_f32_e32 v76, v78, v74
	v_add_f32_e32 v71, v71, v76
	v_mul_f32_e32 v76, v77, v79
	v_mul_f32_e32 v78, v74, v76
	v_fma_f32 v80, v76, v74, -v78
	v_fmac_f32_e32 v80, v76, v71
	v_add_f32_e32 v81, v78, v80
	v_sub_f32_e32 v82, v77, v81
	v_sub_f32_e32 v77, v77, v82
	;; [unrolled: 1-line block ×4, first 2 shown]
	v_add_f32_e32 v75, v75, v77
	v_sub_f32_e32 v77, v78, v80
	v_add_f32_e32 v75, v77, v75
	v_add_f32_e32 v77, v82, v75
	v_mul_f32_e32 v78, v79, v77
	v_mul_f32_e32 v80, v74, v78
	v_fma_f32 v74, v78, v74, -v80
	v_fmac_f32_e32 v74, v78, v71
	v_sub_f32_e32 v71, v82, v77
	v_add_f32_e32 v71, v75, v71
	v_add_f32_e32 v75, v80, v74
	v_sub_f32_e32 v81, v77, v75
	v_sub_f32_e32 v77, v77, v81
	;; [unrolled: 1-line block ×4, first 2 shown]
	v_add_f32_e32 v71, v71, v75
	v_sub_f32_e32 v74, v80, v74
	v_add_f32_e32 v71, v74, v71
	v_add_f32_e32 v74, v76, v78
	;; [unrolled: 1-line block ×3, first 2 shown]
	v_sub_f32_e32 v75, v74, v76
	v_mul_f32_e32 v71, v79, v71
	v_sub_f32_e32 v75, v78, v75
	v_add_f32_e32 v71, v75, v71
	v_cvt_f32_i32_e32 v70, v70
	v_add_f32_e32 v75, v74, v71
	v_mul_f32_e32 v76, v75, v75
	v_mov_b32_e32 v77, 0x3ecc95a3
	v_fmac_f32_e32 v77, 0x3e9b6dac, v76
	v_mov_b32_e32 v78, 0x3f2aaada
	v_fmac_f32_e32 v78, v76, v77
	v_mul_f32_e32 v77, 0x3f317218, v70
	v_fma_f32 v79, v70, s85, -v77
	v_fmac_f32_e32 v79, 0xb102e308, v70
	v_sub_f32_e32 v70, v75, v74
	v_sub_f32_e32 v70, v71, v70
	v_add_f32_e32 v71, v77, v79
	v_sub_f32_e32 v74, v71, v77
	v_ldexp_f32 v77, v75, 1
	v_mul_f32_e32 v75, v75, v76
	v_mul_f32_e32 v75, v75, v78
	v_add_f32_e32 v76, v77, v75
	v_sub_f32_e32 v77, v76, v77
	v_ldexp_f32 v70, v70, 1
	v_sub_f32_e32 v75, v75, v77
	v_add_f32_e32 v70, v70, v75
	v_add_f32_e32 v75, v76, v70
	v_sub_f32_e32 v76, v75, v76
	v_sub_f32_e32 v70, v70, v76
	v_add_f32_e32 v76, v71, v75
	v_sub_f32_e32 v77, v76, v71
	v_sub_f32_e32 v78, v76, v77
	;; [unrolled: 1-line block ×5, first 2 shown]
	v_add_f32_e32 v71, v75, v71
	v_add_f32_e32 v75, v74, v70
	v_sub_f32_e32 v77, v75, v74
	v_sub_f32_e32 v78, v75, v77
	;; [unrolled: 1-line block ×4, first 2 shown]
	v_add_f32_e32 v71, v75, v71
	v_add_f32_e32 v70, v70, v74
	v_add_f32_e32 v74, v76, v71
	v_sub_f32_e32 v75, v74, v76
	v_sub_f32_e32 v71, v71, v75
	v_add_f32_e32 v70, v70, v71
	v_add_f32_e32 v70, v74, v70
	v_cmp_neq_f32_e32 vcc, s84, v73
	s_mov_b32 s84, 0x33800000
	v_cndmask_b32_e32 v70, v72, v70, vcc
	v_cmp_lt_f32_e64 vcc, |v73|, s84
	v_cndmask_b32_e32 v70, v70, v73, vcc
	v_add_f32_e32 v71, v18, v70
.LBB507_113:
	s_or_b64 exec, exec, s[4:5]
	v_bfe_u32 v18, v71, 16, 1
	s_movk_i32 s4, 0x7fff
	v_add3_u32 v18, v71, v18, s4
	v_cmp_o_f32_e32 vcc, v71, v71
	v_mov_b32_e32 v70, 0x7fc0
	v_cndmask_b32_sdwa v18, v70, v18, vcc dst_sel:DWORD dst_unused:UNUSED_PAD src0_sel:DWORD src1_sel:WORD_1
	v_and_b32_e32 v70, 0xffff, v18
.LBB507_114:
	s_or_b64 exec, exec, s[78:79]
	s_nop 0
	v_mov_b32_dpp v71, v70 row_shr:2 row_mask:0xf bank_mask:0xf
	v_cmp_lt_u32_e32 vcc, 1, v17
	s_and_saveexec_b64 s[78:79], vcc
	s_cbranch_execz .LBB507_118
; %bb.115:
	v_lshlrev_b32_e32 v71, 16, v71
	v_lshlrev_b32_e32 v18, 16, v70
	v_max_f32_e32 v72, v18, v18
	v_max_f32_e32 v73, v71, v71
	v_min_f32_e32 v70, v73, v72
	v_cmp_u_f32_e32 vcc, v71, v71
	v_max_f32_e32 v72, v73, v72
	v_cndmask_b32_e32 v70, v70, v71, vcc
	v_cmp_u_f32_e64 s[4:5], v18, v18
	v_cndmask_b32_e32 v72, v72, v71, vcc
	v_cndmask_b32_e64 v70, v70, v18, s[4:5]
	v_cndmask_b32_e64 v18, v72, v18, s[4:5]
	s_movk_i32 s4, 0x1f8
	v_cmp_neq_f32_e32 vcc, v70, v18
	v_cmp_class_f32_e64 s[4:5], v70, s4
	s_or_b64 s[84:85], vcc, s[4:5]
	s_and_saveexec_b64 s[4:5], s[84:85]
	s_cbranch_execz .LBB507_117
; %bb.116:
	v_sub_f32_e32 v70, v70, v18
	s_mov_b32 s84, 0x3fb8aa3b
	v_mul_f32_e32 v71, 0x3fb8aa3b, v70
	v_fma_f32 v72, v70, s84, -v71
	v_rndne_f32_e32 v73, v71
	v_fmac_f32_e32 v72, 0x32a5705f, v70
	v_sub_f32_e32 v71, v71, v73
	v_add_f32_e32 v71, v71, v72
	v_exp_f32_e32 v71, v71
	v_cvt_i32_f32_e32 v72, v73
	s_mov_b32 s84, 0xc2ce8ed0
	v_cmp_ngt_f32_e32 vcc, s84, v70
	s_mov_b32 s84, 0x42b17218
	v_ldexp_f32 v71, v71, v72
	v_cndmask_b32_e32 v71, 0, v71, vcc
	v_mov_b32_e32 v72, 0x7f800000
	v_cmp_nlt_f32_e32 vcc, s84, v70
	v_cndmask_b32_e32 v73, v72, v71, vcc
	v_add_f32_e32 v74, 1.0, v73
	v_cvt_f64_f32_e32 v[70:71], v74
	v_add_f32_e32 v75, -1.0, v74
	v_sub_f32_e32 v76, v75, v74
	v_sub_f32_e32 v75, v73, v75
	v_frexp_exp_i32_f64_e32 v70, v[70:71]
	v_add_f32_e32 v71, 1.0, v76
	v_add_f32_e32 v71, v75, v71
	v_frexp_mant_f32_e32 v75, v74
	s_mov_b32 s85, 0x3f2aaaab
	v_cmp_gt_f32_e32 vcc, s85, v75
	s_mov_b32 s85, 0x3f317218
	s_mov_b32 s84, 0x7f800000
	v_subbrev_co_u32_e32 v70, vcc, 0, v70, vcc
	v_sub_u32_e32 v75, 0, v70
	v_ldexp_f32 v74, v74, v75
	v_ldexp_f32 v71, v71, v75
	v_add_f32_e32 v75, -1.0, v74
	v_add_f32_e32 v78, 1.0, v74
	v_add_f32_e32 v76, 1.0, v75
	v_add_f32_e32 v79, -1.0, v78
	v_sub_f32_e32 v76, v74, v76
	v_sub_f32_e32 v74, v74, v79
	v_add_f32_e32 v76, v71, v76
	v_add_f32_e32 v71, v71, v74
	;; [unrolled: 1-line block ×3, first 2 shown]
	v_rcp_f32_e32 v79, v74
	v_add_f32_e32 v77, v75, v76
	v_sub_f32_e32 v75, v75, v77
	v_add_f32_e32 v75, v76, v75
	v_sub_f32_e32 v76, v78, v74
	v_add_f32_e32 v71, v71, v76
	v_mul_f32_e32 v76, v77, v79
	v_mul_f32_e32 v78, v74, v76
	v_fma_f32 v80, v76, v74, -v78
	v_fmac_f32_e32 v80, v76, v71
	v_add_f32_e32 v81, v78, v80
	v_sub_f32_e32 v82, v77, v81
	v_sub_f32_e32 v77, v77, v82
	;; [unrolled: 1-line block ×4, first 2 shown]
	v_add_f32_e32 v75, v75, v77
	v_sub_f32_e32 v77, v78, v80
	v_add_f32_e32 v75, v77, v75
	v_add_f32_e32 v77, v82, v75
	v_mul_f32_e32 v78, v79, v77
	v_mul_f32_e32 v80, v74, v78
	v_fma_f32 v74, v78, v74, -v80
	v_fmac_f32_e32 v74, v78, v71
	v_sub_f32_e32 v71, v82, v77
	v_add_f32_e32 v71, v75, v71
	v_add_f32_e32 v75, v80, v74
	v_sub_f32_e32 v81, v77, v75
	v_sub_f32_e32 v77, v77, v81
	;; [unrolled: 1-line block ×4, first 2 shown]
	v_add_f32_e32 v71, v71, v75
	v_sub_f32_e32 v74, v80, v74
	v_add_f32_e32 v71, v74, v71
	v_add_f32_e32 v74, v76, v78
	;; [unrolled: 1-line block ×3, first 2 shown]
	v_sub_f32_e32 v75, v74, v76
	v_mul_f32_e32 v71, v79, v71
	v_sub_f32_e32 v75, v78, v75
	v_add_f32_e32 v71, v75, v71
	v_cvt_f32_i32_e32 v70, v70
	v_add_f32_e32 v75, v74, v71
	v_mul_f32_e32 v76, v75, v75
	v_mov_b32_e32 v77, 0x3ecc95a3
	v_fmac_f32_e32 v77, 0x3e9b6dac, v76
	v_mov_b32_e32 v78, 0x3f2aaada
	v_fmac_f32_e32 v78, v76, v77
	v_mul_f32_e32 v77, 0x3f317218, v70
	v_fma_f32 v79, v70, s85, -v77
	v_fmac_f32_e32 v79, 0xb102e308, v70
	v_sub_f32_e32 v70, v75, v74
	v_sub_f32_e32 v70, v71, v70
	v_add_f32_e32 v71, v77, v79
	v_sub_f32_e32 v74, v71, v77
	v_ldexp_f32 v77, v75, 1
	v_mul_f32_e32 v75, v75, v76
	v_mul_f32_e32 v75, v75, v78
	v_add_f32_e32 v76, v77, v75
	v_sub_f32_e32 v77, v76, v77
	v_ldexp_f32 v70, v70, 1
	v_sub_f32_e32 v75, v75, v77
	v_add_f32_e32 v70, v70, v75
	v_add_f32_e32 v75, v76, v70
	v_sub_f32_e32 v76, v75, v76
	v_sub_f32_e32 v70, v70, v76
	v_add_f32_e32 v76, v71, v75
	v_sub_f32_e32 v77, v76, v71
	v_sub_f32_e32 v78, v76, v77
	;; [unrolled: 1-line block ×5, first 2 shown]
	v_add_f32_e32 v71, v75, v71
	v_add_f32_e32 v75, v74, v70
	v_sub_f32_e32 v77, v75, v74
	v_sub_f32_e32 v78, v75, v77
	;; [unrolled: 1-line block ×4, first 2 shown]
	v_add_f32_e32 v71, v75, v71
	v_add_f32_e32 v70, v70, v74
	;; [unrolled: 1-line block ×3, first 2 shown]
	v_sub_f32_e32 v75, v74, v76
	v_sub_f32_e32 v71, v71, v75
	v_add_f32_e32 v70, v70, v71
	v_add_f32_e32 v70, v74, v70
	v_cmp_neq_f32_e32 vcc, s84, v73
	s_mov_b32 s84, 0x33800000
	v_cndmask_b32_e32 v70, v72, v70, vcc
	v_cmp_lt_f32_e64 vcc, |v73|, s84
	v_cndmask_b32_e32 v70, v70, v73, vcc
	v_add_f32_e32 v71, v18, v70
.LBB507_117:
	s_or_b64 exec, exec, s[4:5]
	v_bfe_u32 v18, v71, 16, 1
	s_movk_i32 s4, 0x7fff
	v_add3_u32 v18, v71, v18, s4
	v_cmp_o_f32_e32 vcc, v71, v71
	v_mov_b32_e32 v70, 0x7fc0
	v_cndmask_b32_sdwa v18, v70, v18, vcc dst_sel:DWORD dst_unused:UNUSED_PAD src0_sel:DWORD src1_sel:WORD_1
	v_and_b32_e32 v70, 0xffff, v18
.LBB507_118:
	s_or_b64 exec, exec, s[78:79]
	s_nop 0
	v_mov_b32_dpp v71, v70 row_shr:4 row_mask:0xf bank_mask:0xf
	v_cmp_lt_u32_e32 vcc, 3, v17
	s_and_saveexec_b64 s[78:79], vcc
	s_cbranch_execz .LBB507_122
; %bb.119:
	v_lshlrev_b32_e32 v71, 16, v71
	v_lshlrev_b32_e32 v18, 16, v70
	v_max_f32_e32 v72, v18, v18
	v_max_f32_e32 v73, v71, v71
	v_min_f32_e32 v70, v73, v72
	v_cmp_u_f32_e32 vcc, v71, v71
	v_max_f32_e32 v72, v73, v72
	v_cndmask_b32_e32 v70, v70, v71, vcc
	v_cmp_u_f32_e64 s[4:5], v18, v18
	v_cndmask_b32_e32 v72, v72, v71, vcc
	v_cndmask_b32_e64 v70, v70, v18, s[4:5]
	v_cndmask_b32_e64 v18, v72, v18, s[4:5]
	s_movk_i32 s4, 0x1f8
	v_cmp_neq_f32_e32 vcc, v70, v18
	v_cmp_class_f32_e64 s[4:5], v70, s4
	s_or_b64 s[84:85], vcc, s[4:5]
	s_and_saveexec_b64 s[4:5], s[84:85]
	s_cbranch_execz .LBB507_121
; %bb.120:
	v_sub_f32_e32 v70, v70, v18
	s_mov_b32 s84, 0x3fb8aa3b
	v_mul_f32_e32 v71, 0x3fb8aa3b, v70
	v_fma_f32 v72, v70, s84, -v71
	v_rndne_f32_e32 v73, v71
	v_fmac_f32_e32 v72, 0x32a5705f, v70
	v_sub_f32_e32 v71, v71, v73
	v_add_f32_e32 v71, v71, v72
	v_exp_f32_e32 v71, v71
	v_cvt_i32_f32_e32 v72, v73
	s_mov_b32 s84, 0xc2ce8ed0
	v_cmp_ngt_f32_e32 vcc, s84, v70
	s_mov_b32 s84, 0x42b17218
	v_ldexp_f32 v71, v71, v72
	v_cndmask_b32_e32 v71, 0, v71, vcc
	v_mov_b32_e32 v72, 0x7f800000
	v_cmp_nlt_f32_e32 vcc, s84, v70
	v_cndmask_b32_e32 v73, v72, v71, vcc
	v_add_f32_e32 v74, 1.0, v73
	v_cvt_f64_f32_e32 v[70:71], v74
	v_add_f32_e32 v75, -1.0, v74
	v_sub_f32_e32 v76, v75, v74
	v_sub_f32_e32 v75, v73, v75
	v_frexp_exp_i32_f64_e32 v70, v[70:71]
	v_add_f32_e32 v71, 1.0, v76
	v_add_f32_e32 v71, v75, v71
	v_frexp_mant_f32_e32 v75, v74
	s_mov_b32 s85, 0x3f2aaaab
	v_cmp_gt_f32_e32 vcc, s85, v75
	s_mov_b32 s85, 0x3f317218
	s_mov_b32 s84, 0x7f800000
	v_subbrev_co_u32_e32 v70, vcc, 0, v70, vcc
	v_sub_u32_e32 v75, 0, v70
	v_ldexp_f32 v74, v74, v75
	v_ldexp_f32 v71, v71, v75
	v_add_f32_e32 v75, -1.0, v74
	v_add_f32_e32 v78, 1.0, v74
	v_add_f32_e32 v76, 1.0, v75
	v_add_f32_e32 v79, -1.0, v78
	v_sub_f32_e32 v76, v74, v76
	v_sub_f32_e32 v74, v74, v79
	v_add_f32_e32 v76, v71, v76
	v_add_f32_e32 v71, v71, v74
	v_add_f32_e32 v74, v78, v71
	v_rcp_f32_e32 v79, v74
	v_add_f32_e32 v77, v75, v76
	v_sub_f32_e32 v75, v75, v77
	v_add_f32_e32 v75, v76, v75
	v_sub_f32_e32 v76, v78, v74
	v_add_f32_e32 v71, v71, v76
	v_mul_f32_e32 v76, v77, v79
	v_mul_f32_e32 v78, v74, v76
	v_fma_f32 v80, v76, v74, -v78
	v_fmac_f32_e32 v80, v76, v71
	v_add_f32_e32 v81, v78, v80
	v_sub_f32_e32 v82, v77, v81
	v_sub_f32_e32 v77, v77, v82
	;; [unrolled: 1-line block ×4, first 2 shown]
	v_add_f32_e32 v75, v75, v77
	v_sub_f32_e32 v77, v78, v80
	v_add_f32_e32 v75, v77, v75
	v_add_f32_e32 v77, v82, v75
	v_mul_f32_e32 v78, v79, v77
	v_mul_f32_e32 v80, v74, v78
	v_fma_f32 v74, v78, v74, -v80
	v_fmac_f32_e32 v74, v78, v71
	v_sub_f32_e32 v71, v82, v77
	v_add_f32_e32 v71, v75, v71
	v_add_f32_e32 v75, v80, v74
	v_sub_f32_e32 v81, v77, v75
	v_sub_f32_e32 v77, v77, v81
	;; [unrolled: 1-line block ×4, first 2 shown]
	v_add_f32_e32 v71, v71, v75
	v_sub_f32_e32 v74, v80, v74
	v_add_f32_e32 v71, v74, v71
	v_add_f32_e32 v74, v76, v78
	;; [unrolled: 1-line block ×3, first 2 shown]
	v_sub_f32_e32 v75, v74, v76
	v_mul_f32_e32 v71, v79, v71
	v_sub_f32_e32 v75, v78, v75
	v_add_f32_e32 v71, v75, v71
	v_cvt_f32_i32_e32 v70, v70
	v_add_f32_e32 v75, v74, v71
	v_mul_f32_e32 v76, v75, v75
	v_mov_b32_e32 v77, 0x3ecc95a3
	v_fmac_f32_e32 v77, 0x3e9b6dac, v76
	v_mov_b32_e32 v78, 0x3f2aaada
	v_fmac_f32_e32 v78, v76, v77
	v_mul_f32_e32 v77, 0x3f317218, v70
	v_fma_f32 v79, v70, s85, -v77
	v_fmac_f32_e32 v79, 0xb102e308, v70
	v_sub_f32_e32 v70, v75, v74
	v_sub_f32_e32 v70, v71, v70
	v_add_f32_e32 v71, v77, v79
	v_sub_f32_e32 v74, v71, v77
	v_ldexp_f32 v77, v75, 1
	v_mul_f32_e32 v75, v75, v76
	v_mul_f32_e32 v75, v75, v78
	v_add_f32_e32 v76, v77, v75
	v_sub_f32_e32 v77, v76, v77
	v_ldexp_f32 v70, v70, 1
	v_sub_f32_e32 v75, v75, v77
	v_add_f32_e32 v70, v70, v75
	v_add_f32_e32 v75, v76, v70
	v_sub_f32_e32 v76, v75, v76
	v_sub_f32_e32 v70, v70, v76
	v_add_f32_e32 v76, v71, v75
	v_sub_f32_e32 v77, v76, v71
	v_sub_f32_e32 v78, v76, v77
	;; [unrolled: 1-line block ×5, first 2 shown]
	v_add_f32_e32 v71, v75, v71
	v_add_f32_e32 v75, v74, v70
	v_sub_f32_e32 v77, v75, v74
	v_sub_f32_e32 v78, v75, v77
	;; [unrolled: 1-line block ×4, first 2 shown]
	v_add_f32_e32 v71, v75, v71
	v_add_f32_e32 v70, v70, v74
	;; [unrolled: 1-line block ×3, first 2 shown]
	v_sub_f32_e32 v75, v74, v76
	v_sub_f32_e32 v71, v71, v75
	v_add_f32_e32 v70, v70, v71
	v_add_f32_e32 v70, v74, v70
	v_cmp_neq_f32_e32 vcc, s84, v73
	s_mov_b32 s84, 0x33800000
	v_cndmask_b32_e32 v70, v72, v70, vcc
	v_cmp_lt_f32_e64 vcc, |v73|, s84
	v_cndmask_b32_e32 v70, v70, v73, vcc
	v_add_f32_e32 v71, v18, v70
.LBB507_121:
	s_or_b64 exec, exec, s[4:5]
	v_bfe_u32 v18, v71, 16, 1
	s_movk_i32 s4, 0x7fff
	v_add3_u32 v18, v71, v18, s4
	v_cmp_o_f32_e32 vcc, v71, v71
	v_mov_b32_e32 v70, 0x7fc0
	v_cndmask_b32_sdwa v18, v70, v18, vcc dst_sel:DWORD dst_unused:UNUSED_PAD src0_sel:DWORD src1_sel:WORD_1
	v_and_b32_e32 v70, 0xffff, v18
.LBB507_122:
	s_or_b64 exec, exec, s[78:79]
	s_nop 0
	v_mov_b32_dpp v71, v70 row_shr:8 row_mask:0xf bank_mask:0xf
	v_cmp_lt_u32_e32 vcc, 7, v17
	s_and_saveexec_b64 s[78:79], vcc
	s_cbranch_execz .LBB507_126
; %bb.123:
	v_lshlrev_b32_e32 v18, 16, v71
	v_lshlrev_b32_e32 v17, 16, v70
	v_max_f32_e32 v71, v17, v17
	v_max_f32_e32 v72, v18, v18
	v_min_f32_e32 v70, v72, v71
	v_cmp_u_f32_e32 vcc, v18, v18
	v_max_f32_e32 v71, v72, v71
	v_cndmask_b32_e32 v70, v70, v18, vcc
	v_cmp_u_f32_e64 s[4:5], v17, v17
	v_cndmask_b32_e32 v71, v71, v18, vcc
	v_cndmask_b32_e64 v70, v70, v17, s[4:5]
	v_cndmask_b32_e64 v17, v71, v17, s[4:5]
	s_movk_i32 s4, 0x1f8
	v_cmp_neq_f32_e32 vcc, v70, v17
	v_cmp_class_f32_e64 s[4:5], v70, s4
	s_or_b64 s[84:85], vcc, s[4:5]
	s_and_saveexec_b64 s[4:5], s[84:85]
	s_cbranch_execz .LBB507_125
; %bb.124:
	v_sub_f32_e32 v18, v70, v17
	s_mov_b32 s84, 0x3fb8aa3b
	v_mul_f32_e32 v70, 0x3fb8aa3b, v18
	v_fma_f32 v71, v18, s84, -v70
	v_rndne_f32_e32 v72, v70
	v_fmac_f32_e32 v71, 0x32a5705f, v18
	v_sub_f32_e32 v70, v70, v72
	v_add_f32_e32 v70, v70, v71
	v_exp_f32_e32 v70, v70
	v_cvt_i32_f32_e32 v71, v72
	s_mov_b32 s84, 0xc2ce8ed0
	v_cmp_ngt_f32_e32 vcc, s84, v18
	s_mov_b32 s84, 0x42b17218
	v_ldexp_f32 v70, v70, v71
	v_cndmask_b32_e32 v70, 0, v70, vcc
	v_mov_b32_e32 v72, 0x7f800000
	v_cmp_nlt_f32_e32 vcc, s84, v18
	v_cndmask_b32_e32 v18, v72, v70, vcc
	v_add_f32_e32 v73, 1.0, v18
	v_cvt_f64_f32_e32 v[70:71], v73
	v_add_f32_e32 v74, -1.0, v73
	v_sub_f32_e32 v75, v74, v73
	v_sub_f32_e32 v74, v18, v74
	v_frexp_exp_i32_f64_e32 v70, v[70:71]
	v_add_f32_e32 v71, 1.0, v75
	v_add_f32_e32 v71, v74, v71
	v_frexp_mant_f32_e32 v74, v73
	s_mov_b32 s85, 0x3f2aaaab
	v_cmp_gt_f32_e32 vcc, s85, v74
	s_mov_b32 s85, 0x3f317218
	s_mov_b32 s84, 0x7f800000
	v_subbrev_co_u32_e32 v70, vcc, 0, v70, vcc
	v_sub_u32_e32 v74, 0, v70
	v_ldexp_f32 v73, v73, v74
	v_ldexp_f32 v71, v71, v74
	v_add_f32_e32 v74, -1.0, v73
	v_add_f32_e32 v77, 1.0, v73
	v_add_f32_e32 v75, 1.0, v74
	v_add_f32_e32 v78, -1.0, v77
	v_sub_f32_e32 v75, v73, v75
	v_sub_f32_e32 v73, v73, v78
	v_add_f32_e32 v75, v71, v75
	v_add_f32_e32 v71, v71, v73
	;; [unrolled: 1-line block ×3, first 2 shown]
	v_rcp_f32_e32 v78, v73
	v_add_f32_e32 v76, v74, v75
	v_sub_f32_e32 v74, v74, v76
	v_add_f32_e32 v74, v75, v74
	v_sub_f32_e32 v75, v77, v73
	v_add_f32_e32 v71, v71, v75
	v_mul_f32_e32 v75, v76, v78
	v_mul_f32_e32 v77, v73, v75
	v_fma_f32 v79, v75, v73, -v77
	v_fmac_f32_e32 v79, v75, v71
	v_add_f32_e32 v80, v77, v79
	v_sub_f32_e32 v81, v76, v80
	v_sub_f32_e32 v76, v76, v81
	;; [unrolled: 1-line block ×4, first 2 shown]
	v_add_f32_e32 v74, v74, v76
	v_sub_f32_e32 v76, v77, v79
	v_add_f32_e32 v74, v76, v74
	v_add_f32_e32 v76, v81, v74
	v_mul_f32_e32 v77, v78, v76
	v_mul_f32_e32 v79, v73, v77
	v_fma_f32 v73, v77, v73, -v79
	v_fmac_f32_e32 v73, v77, v71
	v_sub_f32_e32 v71, v81, v76
	v_add_f32_e32 v71, v74, v71
	v_add_f32_e32 v74, v79, v73
	v_sub_f32_e32 v80, v76, v74
	v_sub_f32_e32 v76, v76, v80
	;; [unrolled: 1-line block ×4, first 2 shown]
	v_add_f32_e32 v71, v71, v74
	v_sub_f32_e32 v73, v79, v73
	v_add_f32_e32 v71, v73, v71
	v_add_f32_e32 v73, v75, v77
	;; [unrolled: 1-line block ×3, first 2 shown]
	v_sub_f32_e32 v74, v73, v75
	v_mul_f32_e32 v71, v78, v71
	v_sub_f32_e32 v74, v77, v74
	v_add_f32_e32 v71, v74, v71
	v_cvt_f32_i32_e32 v70, v70
	v_add_f32_e32 v74, v73, v71
	v_mul_f32_e32 v75, v74, v74
	v_mov_b32_e32 v76, 0x3ecc95a3
	v_fmac_f32_e32 v76, 0x3e9b6dac, v75
	v_mov_b32_e32 v77, 0x3f2aaada
	v_fmac_f32_e32 v77, v75, v76
	v_mul_f32_e32 v76, 0x3f317218, v70
	v_fma_f32 v78, v70, s85, -v76
	v_fmac_f32_e32 v78, 0xb102e308, v70
	v_sub_f32_e32 v70, v74, v73
	v_sub_f32_e32 v70, v71, v70
	v_add_f32_e32 v71, v76, v78
	v_sub_f32_e32 v73, v71, v76
	v_ldexp_f32 v76, v74, 1
	v_mul_f32_e32 v74, v74, v75
	v_mul_f32_e32 v74, v74, v77
	v_add_f32_e32 v75, v76, v74
	v_sub_f32_e32 v76, v75, v76
	v_ldexp_f32 v70, v70, 1
	v_sub_f32_e32 v74, v74, v76
	v_add_f32_e32 v70, v70, v74
	v_add_f32_e32 v74, v75, v70
	v_sub_f32_e32 v75, v74, v75
	v_sub_f32_e32 v70, v70, v75
	v_add_f32_e32 v75, v71, v74
	v_sub_f32_e32 v76, v75, v71
	v_sub_f32_e32 v77, v75, v76
	;; [unrolled: 1-line block ×5, first 2 shown]
	v_add_f32_e32 v71, v74, v71
	v_add_f32_e32 v74, v73, v70
	v_sub_f32_e32 v76, v74, v73
	v_sub_f32_e32 v77, v74, v76
	;; [unrolled: 1-line block ×4, first 2 shown]
	v_add_f32_e32 v71, v74, v71
	v_add_f32_e32 v70, v70, v73
	;; [unrolled: 1-line block ×3, first 2 shown]
	v_sub_f32_e32 v74, v73, v75
	v_sub_f32_e32 v71, v71, v74
	v_add_f32_e32 v70, v70, v71
	v_add_f32_e32 v70, v73, v70
	v_cmp_neq_f32_e32 vcc, s84, v18
	s_mov_b32 s84, 0x33800000
	v_cndmask_b32_e32 v70, v72, v70, vcc
	v_cmp_lt_f32_e64 vcc, |v18|, s84
	v_cndmask_b32_e32 v18, v70, v18, vcc
	v_add_f32_e32 v18, v17, v18
.LBB507_125:
	s_or_b64 exec, exec, s[4:5]
	v_bfe_u32 v17, v18, 16, 1
	s_movk_i32 s4, 0x7fff
	v_add3_u32 v17, v18, v17, s4
	v_cmp_o_f32_e32 vcc, v18, v18
	v_mov_b32_e32 v18, 0x7fc0
	v_cndmask_b32_sdwa v18, v18, v17, vcc dst_sel:DWORD dst_unused:UNUSED_PAD src0_sel:DWORD src1_sel:WORD_1
	v_and_b32_e32 v70, 0xffff, v18
.LBB507_126:
	s_or_b64 exec, exec, s[78:79]
	v_and_b32_e32 v71, 16, v16
	v_mov_b32_dpp v17, v70 row_bcast:15 row_mask:0xf bank_mask:0xf
	v_cmp_ne_u32_e32 vcc, 0, v71
	s_and_saveexec_b64 s[78:79], vcc
	s_cbranch_execz .LBB507_130
; %bb.127:
	v_lshlrev_b32_e32 v18, 16, v17
	v_lshlrev_b32_e32 v17, 16, v70
	v_max_f32_e32 v71, v17, v17
	v_max_f32_e32 v72, v18, v18
	v_min_f32_e32 v70, v72, v71
	v_cmp_u_f32_e32 vcc, v18, v18
	v_max_f32_e32 v71, v72, v71
	v_cndmask_b32_e32 v70, v70, v18, vcc
	v_cmp_u_f32_e64 s[4:5], v17, v17
	v_cndmask_b32_e32 v71, v71, v18, vcc
	v_cndmask_b32_e64 v70, v70, v17, s[4:5]
	v_cndmask_b32_e64 v17, v71, v17, s[4:5]
	s_movk_i32 s4, 0x1f8
	v_cmp_neq_f32_e32 vcc, v70, v17
	v_cmp_class_f32_e64 s[4:5], v70, s4
	s_or_b64 s[84:85], vcc, s[4:5]
	s_and_saveexec_b64 s[4:5], s[84:85]
	s_cbranch_execz .LBB507_129
; %bb.128:
	v_sub_f32_e32 v18, v70, v17
	s_mov_b32 s84, 0x3fb8aa3b
	v_mul_f32_e32 v70, 0x3fb8aa3b, v18
	v_fma_f32 v71, v18, s84, -v70
	v_rndne_f32_e32 v72, v70
	v_fmac_f32_e32 v71, 0x32a5705f, v18
	v_sub_f32_e32 v70, v70, v72
	v_add_f32_e32 v70, v70, v71
	v_exp_f32_e32 v70, v70
	v_cvt_i32_f32_e32 v71, v72
	s_mov_b32 s84, 0xc2ce8ed0
	v_cmp_ngt_f32_e32 vcc, s84, v18
	s_mov_b32 s84, 0x42b17218
	v_ldexp_f32 v70, v70, v71
	v_cndmask_b32_e32 v70, 0, v70, vcc
	v_mov_b32_e32 v72, 0x7f800000
	v_cmp_nlt_f32_e32 vcc, s84, v18
	v_cndmask_b32_e32 v18, v72, v70, vcc
	v_add_f32_e32 v73, 1.0, v18
	v_cvt_f64_f32_e32 v[70:71], v73
	v_add_f32_e32 v74, -1.0, v73
	v_sub_f32_e32 v75, v74, v73
	v_sub_f32_e32 v74, v18, v74
	v_frexp_exp_i32_f64_e32 v70, v[70:71]
	v_add_f32_e32 v71, 1.0, v75
	v_add_f32_e32 v71, v74, v71
	v_frexp_mant_f32_e32 v74, v73
	s_mov_b32 s85, 0x3f2aaaab
	v_cmp_gt_f32_e32 vcc, s85, v74
	s_mov_b32 s85, 0x3f317218
	s_mov_b32 s84, 0x7f800000
	v_subbrev_co_u32_e32 v70, vcc, 0, v70, vcc
	v_sub_u32_e32 v74, 0, v70
	v_ldexp_f32 v73, v73, v74
	v_ldexp_f32 v71, v71, v74
	v_add_f32_e32 v74, -1.0, v73
	v_add_f32_e32 v77, 1.0, v73
	v_add_f32_e32 v75, 1.0, v74
	v_add_f32_e32 v78, -1.0, v77
	v_sub_f32_e32 v75, v73, v75
	v_sub_f32_e32 v73, v73, v78
	v_add_f32_e32 v75, v71, v75
	v_add_f32_e32 v71, v71, v73
	;; [unrolled: 1-line block ×3, first 2 shown]
	v_rcp_f32_e32 v78, v73
	v_add_f32_e32 v76, v74, v75
	v_sub_f32_e32 v74, v74, v76
	v_add_f32_e32 v74, v75, v74
	v_sub_f32_e32 v75, v77, v73
	v_add_f32_e32 v71, v71, v75
	v_mul_f32_e32 v75, v76, v78
	v_mul_f32_e32 v77, v73, v75
	v_fma_f32 v79, v75, v73, -v77
	v_fmac_f32_e32 v79, v75, v71
	v_add_f32_e32 v80, v77, v79
	v_sub_f32_e32 v81, v76, v80
	v_sub_f32_e32 v76, v76, v81
	;; [unrolled: 1-line block ×4, first 2 shown]
	v_add_f32_e32 v74, v74, v76
	v_sub_f32_e32 v76, v77, v79
	v_add_f32_e32 v74, v76, v74
	v_add_f32_e32 v76, v81, v74
	v_mul_f32_e32 v77, v78, v76
	v_mul_f32_e32 v79, v73, v77
	v_fma_f32 v73, v77, v73, -v79
	v_fmac_f32_e32 v73, v77, v71
	v_sub_f32_e32 v71, v81, v76
	v_add_f32_e32 v71, v74, v71
	v_add_f32_e32 v74, v79, v73
	v_sub_f32_e32 v80, v76, v74
	v_sub_f32_e32 v76, v76, v80
	;; [unrolled: 1-line block ×4, first 2 shown]
	v_add_f32_e32 v71, v71, v74
	v_sub_f32_e32 v73, v79, v73
	v_add_f32_e32 v71, v73, v71
	v_add_f32_e32 v73, v75, v77
	;; [unrolled: 1-line block ×3, first 2 shown]
	v_sub_f32_e32 v74, v73, v75
	v_mul_f32_e32 v71, v78, v71
	v_sub_f32_e32 v74, v77, v74
	v_add_f32_e32 v71, v74, v71
	v_cvt_f32_i32_e32 v70, v70
	v_add_f32_e32 v74, v73, v71
	v_mul_f32_e32 v75, v74, v74
	v_mov_b32_e32 v76, 0x3ecc95a3
	v_fmac_f32_e32 v76, 0x3e9b6dac, v75
	v_mov_b32_e32 v77, 0x3f2aaada
	v_fmac_f32_e32 v77, v75, v76
	v_mul_f32_e32 v76, 0x3f317218, v70
	v_fma_f32 v78, v70, s85, -v76
	v_fmac_f32_e32 v78, 0xb102e308, v70
	v_sub_f32_e32 v70, v74, v73
	v_sub_f32_e32 v70, v71, v70
	v_add_f32_e32 v71, v76, v78
	v_sub_f32_e32 v73, v71, v76
	v_ldexp_f32 v76, v74, 1
	v_mul_f32_e32 v74, v74, v75
	v_mul_f32_e32 v74, v74, v77
	v_add_f32_e32 v75, v76, v74
	v_sub_f32_e32 v76, v75, v76
	v_ldexp_f32 v70, v70, 1
	v_sub_f32_e32 v74, v74, v76
	v_add_f32_e32 v70, v70, v74
	v_add_f32_e32 v74, v75, v70
	v_sub_f32_e32 v75, v74, v75
	v_sub_f32_e32 v70, v70, v75
	v_add_f32_e32 v75, v71, v74
	v_sub_f32_e32 v76, v75, v71
	v_sub_f32_e32 v77, v75, v76
	;; [unrolled: 1-line block ×5, first 2 shown]
	v_add_f32_e32 v71, v74, v71
	v_add_f32_e32 v74, v73, v70
	v_sub_f32_e32 v76, v74, v73
	v_sub_f32_e32 v77, v74, v76
	v_sub_f32_e32 v73, v73, v77
	v_sub_f32_e32 v70, v70, v76
	v_add_f32_e32 v71, v74, v71
	v_add_f32_e32 v70, v70, v73
	v_add_f32_e32 v73, v75, v71
	v_sub_f32_e32 v74, v73, v75
	v_sub_f32_e32 v71, v71, v74
	v_add_f32_e32 v70, v70, v71
	v_add_f32_e32 v70, v73, v70
	v_cmp_neq_f32_e32 vcc, s84, v18
	s_mov_b32 s84, 0x33800000
	v_cndmask_b32_e32 v70, v72, v70, vcc
	v_cmp_lt_f32_e64 vcc, |v18|, s84
	v_cndmask_b32_e32 v18, v70, v18, vcc
	v_add_f32_e32 v18, v17, v18
.LBB507_129:
	s_or_b64 exec, exec, s[4:5]
	v_bfe_u32 v17, v18, 16, 1
	s_movk_i32 s4, 0x7fff
	v_add3_u32 v17, v18, v17, s4
	v_cmp_o_f32_e32 vcc, v18, v18
	v_mov_b32_e32 v18, 0x7fc0
	v_cndmask_b32_sdwa v18, v18, v17, vcc dst_sel:DWORD dst_unused:UNUSED_PAD src0_sel:DWORD src1_sel:WORD_1
	v_and_b32_e32 v70, 0xffff, v18
.LBB507_130:
	s_or_b64 exec, exec, s[78:79]
	s_nop 0
	v_mov_b32_dpp v17, v70 row_bcast:31 row_mask:0xf bank_mask:0xf
	v_cmp_lt_u32_e32 vcc, 31, v16
	s_and_saveexec_b64 s[78:79], vcc
	s_cbranch_execz .LBB507_134
; %bb.131:
	v_lshlrev_b32_e32 v18, 16, v17
	v_lshlrev_b32_e32 v17, 16, v70
	v_max_f32_e32 v71, v17, v17
	v_max_f32_e32 v72, v18, v18
	v_min_f32_e32 v70, v72, v71
	v_cmp_u_f32_e32 vcc, v18, v18
	v_max_f32_e32 v71, v72, v71
	v_cndmask_b32_e32 v70, v70, v18, vcc
	v_cmp_u_f32_e64 s[4:5], v17, v17
	v_cndmask_b32_e32 v71, v71, v18, vcc
	v_cndmask_b32_e64 v70, v70, v17, s[4:5]
	v_cndmask_b32_e64 v17, v71, v17, s[4:5]
	s_movk_i32 s4, 0x1f8
	v_cmp_neq_f32_e32 vcc, v70, v17
	v_cmp_class_f32_e64 s[4:5], v70, s4
	s_or_b64 s[84:85], vcc, s[4:5]
	s_and_saveexec_b64 s[4:5], s[84:85]
	s_cbranch_execz .LBB507_133
; %bb.132:
	v_sub_f32_e32 v18, v70, v17
	s_mov_b32 s84, 0x3fb8aa3b
	v_mul_f32_e32 v70, 0x3fb8aa3b, v18
	v_fma_f32 v71, v18, s84, -v70
	v_rndne_f32_e32 v72, v70
	v_fmac_f32_e32 v71, 0x32a5705f, v18
	v_sub_f32_e32 v70, v70, v72
	v_add_f32_e32 v70, v70, v71
	v_exp_f32_e32 v70, v70
	v_cvt_i32_f32_e32 v71, v72
	s_mov_b32 s84, 0xc2ce8ed0
	v_cmp_ngt_f32_e32 vcc, s84, v18
	s_mov_b32 s84, 0x42b17218
	v_ldexp_f32 v70, v70, v71
	v_cndmask_b32_e32 v70, 0, v70, vcc
	v_mov_b32_e32 v72, 0x7f800000
	v_cmp_nlt_f32_e32 vcc, s84, v18
	v_cndmask_b32_e32 v18, v72, v70, vcc
	v_add_f32_e32 v73, 1.0, v18
	v_cvt_f64_f32_e32 v[70:71], v73
	v_add_f32_e32 v74, -1.0, v73
	v_sub_f32_e32 v75, v74, v73
	v_sub_f32_e32 v74, v18, v74
	v_frexp_exp_i32_f64_e32 v70, v[70:71]
	v_add_f32_e32 v71, 1.0, v75
	v_add_f32_e32 v71, v74, v71
	v_frexp_mant_f32_e32 v74, v73
	s_mov_b32 s85, 0x3f2aaaab
	v_cmp_gt_f32_e32 vcc, s85, v74
	s_mov_b32 s85, 0x3f317218
	s_mov_b32 s84, 0x7f800000
	v_subbrev_co_u32_e32 v70, vcc, 0, v70, vcc
	v_sub_u32_e32 v74, 0, v70
	v_ldexp_f32 v73, v73, v74
	v_ldexp_f32 v71, v71, v74
	v_add_f32_e32 v74, -1.0, v73
	v_add_f32_e32 v77, 1.0, v73
	v_add_f32_e32 v75, 1.0, v74
	v_add_f32_e32 v78, -1.0, v77
	v_sub_f32_e32 v75, v73, v75
	v_sub_f32_e32 v73, v73, v78
	v_add_f32_e32 v75, v71, v75
	v_add_f32_e32 v71, v71, v73
	;; [unrolled: 1-line block ×3, first 2 shown]
	v_rcp_f32_e32 v78, v73
	v_add_f32_e32 v76, v74, v75
	v_sub_f32_e32 v74, v74, v76
	v_add_f32_e32 v74, v75, v74
	v_sub_f32_e32 v75, v77, v73
	v_add_f32_e32 v71, v71, v75
	v_mul_f32_e32 v75, v76, v78
	v_mul_f32_e32 v77, v73, v75
	v_fma_f32 v79, v75, v73, -v77
	v_fmac_f32_e32 v79, v75, v71
	v_add_f32_e32 v80, v77, v79
	v_sub_f32_e32 v81, v76, v80
	v_sub_f32_e32 v76, v76, v81
	;; [unrolled: 1-line block ×4, first 2 shown]
	v_add_f32_e32 v74, v74, v76
	v_sub_f32_e32 v76, v77, v79
	v_add_f32_e32 v74, v76, v74
	v_add_f32_e32 v76, v81, v74
	v_mul_f32_e32 v77, v78, v76
	v_mul_f32_e32 v79, v73, v77
	v_fma_f32 v73, v77, v73, -v79
	v_fmac_f32_e32 v73, v77, v71
	v_sub_f32_e32 v71, v81, v76
	v_add_f32_e32 v71, v74, v71
	v_add_f32_e32 v74, v79, v73
	v_sub_f32_e32 v80, v76, v74
	v_sub_f32_e32 v76, v76, v80
	;; [unrolled: 1-line block ×4, first 2 shown]
	v_add_f32_e32 v71, v71, v74
	v_sub_f32_e32 v73, v79, v73
	v_add_f32_e32 v71, v73, v71
	v_add_f32_e32 v73, v75, v77
	;; [unrolled: 1-line block ×3, first 2 shown]
	v_sub_f32_e32 v74, v73, v75
	v_mul_f32_e32 v71, v78, v71
	v_sub_f32_e32 v74, v77, v74
	v_add_f32_e32 v71, v74, v71
	v_cvt_f32_i32_e32 v70, v70
	v_add_f32_e32 v74, v73, v71
	v_mul_f32_e32 v75, v74, v74
	v_mov_b32_e32 v76, 0x3ecc95a3
	v_fmac_f32_e32 v76, 0x3e9b6dac, v75
	v_mov_b32_e32 v77, 0x3f2aaada
	v_fmac_f32_e32 v77, v75, v76
	v_mul_f32_e32 v76, 0x3f317218, v70
	v_fma_f32 v78, v70, s85, -v76
	v_fmac_f32_e32 v78, 0xb102e308, v70
	v_sub_f32_e32 v70, v74, v73
	v_sub_f32_e32 v70, v71, v70
	v_add_f32_e32 v71, v76, v78
	v_sub_f32_e32 v73, v71, v76
	v_ldexp_f32 v76, v74, 1
	v_mul_f32_e32 v74, v74, v75
	v_mul_f32_e32 v74, v74, v77
	v_add_f32_e32 v75, v76, v74
	v_sub_f32_e32 v76, v75, v76
	v_ldexp_f32 v70, v70, 1
	v_sub_f32_e32 v74, v74, v76
	v_add_f32_e32 v70, v70, v74
	v_add_f32_e32 v74, v75, v70
	v_sub_f32_e32 v75, v74, v75
	v_sub_f32_e32 v70, v70, v75
	v_add_f32_e32 v75, v71, v74
	v_sub_f32_e32 v76, v75, v71
	v_sub_f32_e32 v77, v75, v76
	;; [unrolled: 1-line block ×5, first 2 shown]
	v_add_f32_e32 v71, v74, v71
	v_add_f32_e32 v74, v73, v70
	v_sub_f32_e32 v76, v74, v73
	v_sub_f32_e32 v77, v74, v76
	;; [unrolled: 1-line block ×4, first 2 shown]
	v_add_f32_e32 v71, v74, v71
	v_add_f32_e32 v70, v70, v73
	v_add_f32_e32 v73, v75, v71
	v_sub_f32_e32 v74, v73, v75
	v_sub_f32_e32 v71, v71, v74
	v_add_f32_e32 v70, v70, v71
	v_add_f32_e32 v70, v73, v70
	v_cmp_neq_f32_e32 vcc, s84, v18
	s_mov_b32 s84, 0x33800000
	v_cndmask_b32_e32 v70, v72, v70, vcc
	v_cmp_lt_f32_e64 vcc, |v18|, s84
	v_cndmask_b32_e32 v18, v70, v18, vcc
	v_add_f32_e32 v18, v17, v18
.LBB507_133:
	s_or_b64 exec, exec, s[4:5]
	v_bfe_u32 v17, v18, 16, 1
	s_movk_i32 s4, 0x7fff
	v_add3_u32 v17, v18, v17, s4
	v_cmp_o_f32_e32 vcc, v18, v18
	v_mov_b32_e32 v18, 0x7fc0
	v_cndmask_b32_sdwa v18, v18, v17, vcc dst_sel:DWORD dst_unused:UNUSED_PAD src0_sel:DWORD src1_sel:WORD_1
.LBB507_134:
	s_or_b64 exec, exec, s[78:79]
	v_add_u32_e32 v17, -1, v16
	v_and_b32_e32 v70, 64, v16
	v_cmp_lt_i32_e32 vcc, v17, v70
	v_cndmask_b32_e32 v16, v17, v16, vcc
	v_lshlrev_b32_e32 v16, 2, v16
	v_and_b32_e32 v17, 0xffff, v18
	ds_bpermute_b32 v16, v16, v17
	s_waitcnt lgkmcnt(0)
	v_lshlrev_b32_e32 v16, 16, v16
	v_max_f32_e32 v18, v16, v16
	v_min_f32_e32 v17, v18, v15
	v_cmp_u_f32_e32 vcc, v16, v16
	v_max_f32_e32 v15, v18, v15
	v_cndmask_b32_e32 v17, v17, v16, vcc
	v_cndmask_b32_e32 v15, v15, v16, vcc
	v_cndmask_b32_e64 v17, v17, v14, s[58:59]
	v_cndmask_b32_e64 v14, v15, v14, s[58:59]
	s_movk_i32 s58, 0x1f8
	v_cmp_neq_f32_e32 vcc, v17, v14
	v_cmp_class_f32_e64 s[4:5], v17, s58
	s_or_b64 s[78:79], vcc, s[4:5]
	s_and_saveexec_b64 s[4:5], s[78:79]
	s_cbranch_execz .LBB507_136
; %bb.135:
	v_sub_f32_e32 v15, v17, v14
	s_mov_b32 s59, 0x3fb8aa3b
	v_mul_f32_e32 v16, 0x3fb8aa3b, v15
	v_fma_f32 v17, v15, s59, -v16
	v_rndne_f32_e32 v18, v16
	v_fmac_f32_e32 v17, 0x32a5705f, v15
	v_sub_f32_e32 v16, v16, v18
	v_add_f32_e32 v16, v16, v17
	v_exp_f32_e32 v16, v16
	v_cvt_i32_f32_e32 v17, v18
	s_mov_b32 s59, 0xc2ce8ed0
	v_cmp_ngt_f32_e32 vcc, s59, v15
	s_mov_b32 s59, 0x42b17218
	v_ldexp_f32 v16, v16, v17
	v_cndmask_b32_e32 v16, 0, v16, vcc
	v_mov_b32_e32 v17, 0x7f800000
	v_cmp_nlt_f32_e32 vcc, s59, v15
	v_cndmask_b32_e32 v18, v17, v16, vcc
	v_add_f32_e32 v70, 1.0, v18
	v_cvt_f64_f32_e32 v[15:16], v70
	v_add_f32_e32 v71, -1.0, v70
	v_sub_f32_e32 v72, v71, v70
	v_sub_f32_e32 v71, v18, v71
	v_frexp_exp_i32_f64_e32 v15, v[15:16]
	v_add_f32_e32 v16, 1.0, v72
	v_add_f32_e32 v16, v71, v16
	v_frexp_mant_f32_e32 v71, v70
	s_mov_b32 s78, 0x3f2aaaab
	v_cmp_gt_f32_e32 vcc, s78, v71
	s_mov_b32 s78, 0x3f317218
	s_mov_b32 s59, 0x7f800000
	v_subbrev_co_u32_e32 v15, vcc, 0, v15, vcc
	v_sub_u32_e32 v71, 0, v15
	v_ldexp_f32 v70, v70, v71
	v_ldexp_f32 v16, v16, v71
	v_add_f32_e32 v71, -1.0, v70
	v_add_f32_e32 v74, 1.0, v70
	v_add_f32_e32 v72, 1.0, v71
	v_add_f32_e32 v75, -1.0, v74
	v_sub_f32_e32 v72, v70, v72
	v_sub_f32_e32 v70, v70, v75
	v_add_f32_e32 v72, v16, v72
	v_add_f32_e32 v16, v16, v70
	;; [unrolled: 1-line block ×3, first 2 shown]
	v_rcp_f32_e32 v75, v70
	v_add_f32_e32 v73, v71, v72
	v_sub_f32_e32 v71, v71, v73
	v_add_f32_e32 v71, v72, v71
	v_sub_f32_e32 v72, v74, v70
	v_add_f32_e32 v16, v16, v72
	v_mul_f32_e32 v72, v73, v75
	v_mul_f32_e32 v74, v70, v72
	v_fma_f32 v76, v72, v70, -v74
	v_fmac_f32_e32 v76, v72, v16
	v_add_f32_e32 v77, v74, v76
	v_sub_f32_e32 v78, v73, v77
	v_sub_f32_e32 v73, v73, v78
	;; [unrolled: 1-line block ×4, first 2 shown]
	v_add_f32_e32 v71, v71, v73
	v_sub_f32_e32 v73, v74, v76
	v_add_f32_e32 v71, v73, v71
	v_add_f32_e32 v73, v78, v71
	v_mul_f32_e32 v74, v75, v73
	v_mul_f32_e32 v76, v70, v74
	v_fma_f32 v70, v74, v70, -v76
	v_fmac_f32_e32 v70, v74, v16
	v_sub_f32_e32 v16, v78, v73
	v_add_f32_e32 v16, v71, v16
	v_add_f32_e32 v71, v76, v70
	v_sub_f32_e32 v77, v73, v71
	v_sub_f32_e32 v73, v73, v77
	;; [unrolled: 1-line block ×4, first 2 shown]
	v_add_f32_e32 v16, v16, v71
	v_sub_f32_e32 v70, v76, v70
	v_add_f32_e32 v16, v70, v16
	v_add_f32_e32 v70, v72, v74
	;; [unrolled: 1-line block ×3, first 2 shown]
	v_sub_f32_e32 v71, v70, v72
	v_mul_f32_e32 v16, v75, v16
	v_sub_f32_e32 v71, v74, v71
	v_add_f32_e32 v16, v71, v16
	v_cvt_f32_i32_e32 v15, v15
	v_add_f32_e32 v71, v70, v16
	v_mul_f32_e32 v72, v71, v71
	v_mov_b32_e32 v73, 0x3ecc95a3
	v_fmac_f32_e32 v73, 0x3e9b6dac, v72
	v_mov_b32_e32 v74, 0x3f2aaada
	v_fmac_f32_e32 v74, v72, v73
	v_mul_f32_e32 v73, 0x3f317218, v15
	v_fma_f32 v75, v15, s78, -v73
	v_fmac_f32_e32 v75, 0xb102e308, v15
	v_sub_f32_e32 v15, v71, v70
	v_sub_f32_e32 v15, v16, v15
	v_add_f32_e32 v16, v73, v75
	v_sub_f32_e32 v70, v16, v73
	v_ldexp_f32 v73, v71, 1
	v_mul_f32_e32 v71, v71, v72
	v_mul_f32_e32 v71, v71, v74
	v_add_f32_e32 v72, v73, v71
	v_sub_f32_e32 v73, v72, v73
	v_ldexp_f32 v15, v15, 1
	v_sub_f32_e32 v71, v71, v73
	v_add_f32_e32 v15, v15, v71
	v_add_f32_e32 v71, v72, v15
	v_sub_f32_e32 v72, v71, v72
	v_sub_f32_e32 v15, v15, v72
	v_add_f32_e32 v72, v16, v71
	v_sub_f32_e32 v73, v72, v16
	v_sub_f32_e32 v74, v72, v73
	;; [unrolled: 1-line block ×5, first 2 shown]
	v_add_f32_e32 v16, v71, v16
	v_add_f32_e32 v71, v70, v15
	v_sub_f32_e32 v73, v71, v70
	v_sub_f32_e32 v74, v71, v73
	;; [unrolled: 1-line block ×4, first 2 shown]
	v_add_f32_e32 v16, v71, v16
	v_add_f32_e32 v15, v15, v70
	;; [unrolled: 1-line block ×3, first 2 shown]
	v_sub_f32_e32 v71, v70, v72
	v_sub_f32_e32 v16, v16, v71
	v_add_f32_e32 v15, v15, v16
	v_add_f32_e32 v15, v70, v15
	v_cmp_neq_f32_e32 vcc, s59, v18
	s_mov_b32 s59, 0x33800000
	v_cndmask_b32_e32 v15, v17, v15, vcc
	v_cmp_lt_f32_e64 vcc, |v18|, s59
	v_cndmask_b32_e32 v15, v15, v18, vcc
	v_add_f32_e32 v16, v14, v15
.LBB507_136:
	s_or_b64 exec, exec, s[4:5]
	v_bfe_u32 v14, v16, 16, 1
	s_movk_i32 s59, 0x7fff
	v_add3_u32 v15, v16, v14, s59
	v_cmp_o_f32_e32 vcc, v16, v16
	v_mov_b32_e32 v14, 0x7fc0
	v_cndmask_b32_sdwa v15, v14, v15, vcc dst_sel:DWORD dst_unused:UNUSED_PAD src0_sel:DWORD src1_sel:WORD_1
	v_cndmask_b32_e64 v15, v15, v69, s[60:61]
	; wave barrier
	ds_write_b16 v13, v15
	; wave barrier
	ds_read_u16 v17, v13 offset:2
	v_lshlrev_b32_e32 v16, 16, v15
	v_max_f32_e32 v18, v16, v16
	v_cmp_u_f32_e32 vcc, v16, v16
	s_waitcnt lgkmcnt(0)
	v_lshlrev_b32_e32 v15, 16, v17
	v_max_f32_e32 v70, v15, v15
	v_min_f32_e32 v17, v18, v70
	v_max_f32_e32 v18, v18, v70
	v_cndmask_b32_e32 v17, v17, v16, vcc
	v_cmp_u_f32_e64 s[4:5], v15, v15
	v_cndmask_b32_e32 v18, v18, v16, vcc
	v_cndmask_b32_e64 v17, v17, v15, s[4:5]
	v_cndmask_b32_e64 v15, v18, v15, s[4:5]
	v_cmp_neq_f32_e32 vcc, v17, v15
	v_cmp_class_f32_e64 s[4:5], v17, s58
	s_or_b64 s[78:79], vcc, s[4:5]
	s_and_saveexec_b64 s[4:5], s[78:79]
	s_cbranch_execz .LBB507_138
; %bb.137:
	v_sub_f32_e32 v16, v17, v15
	s_mov_b32 s58, 0x3fb8aa3b
	v_mul_f32_e32 v17, 0x3fb8aa3b, v16
	v_fma_f32 v18, v16, s58, -v17
	v_rndne_f32_e32 v70, v17
	v_fmac_f32_e32 v18, 0x32a5705f, v16
	v_sub_f32_e32 v17, v17, v70
	v_add_f32_e32 v17, v17, v18
	v_exp_f32_e32 v17, v17
	v_cvt_i32_f32_e32 v18, v70
	s_mov_b32 s58, 0xc2ce8ed0
	v_cmp_ngt_f32_e32 vcc, s58, v16
	s_mov_b32 s58, 0x42b17218
	v_ldexp_f32 v17, v17, v18
	v_cndmask_b32_e32 v17, 0, v17, vcc
	v_mov_b32_e32 v18, 0x7f800000
	v_cmp_nlt_f32_e32 vcc, s58, v16
	v_cndmask_b32_e32 v70, v18, v17, vcc
	v_add_f32_e32 v71, 1.0, v70
	v_cvt_f64_f32_e32 v[16:17], v71
	v_add_f32_e32 v72, -1.0, v71
	v_sub_f32_e32 v73, v72, v71
	v_sub_f32_e32 v72, v70, v72
	v_frexp_exp_i32_f64_e32 v16, v[16:17]
	v_add_f32_e32 v17, 1.0, v73
	v_add_f32_e32 v17, v72, v17
	v_frexp_mant_f32_e32 v72, v71
	s_mov_b32 s78, 0x3f2aaaab
	v_cmp_gt_f32_e32 vcc, s78, v72
	s_mov_b32 s78, 0x3f317218
	s_mov_b32 s58, 0x7f800000
	v_subbrev_co_u32_e32 v16, vcc, 0, v16, vcc
	v_sub_u32_e32 v72, 0, v16
	v_ldexp_f32 v71, v71, v72
	v_ldexp_f32 v17, v17, v72
	v_add_f32_e32 v72, -1.0, v71
	v_add_f32_e32 v75, 1.0, v71
	v_add_f32_e32 v73, 1.0, v72
	v_add_f32_e32 v76, -1.0, v75
	v_sub_f32_e32 v73, v71, v73
	v_sub_f32_e32 v71, v71, v76
	v_add_f32_e32 v73, v17, v73
	v_add_f32_e32 v17, v17, v71
	v_add_f32_e32 v71, v75, v17
	v_rcp_f32_e32 v76, v71
	v_add_f32_e32 v74, v72, v73
	v_sub_f32_e32 v72, v72, v74
	v_add_f32_e32 v72, v73, v72
	v_sub_f32_e32 v73, v75, v71
	v_add_f32_e32 v17, v17, v73
	v_mul_f32_e32 v73, v74, v76
	v_mul_f32_e32 v75, v71, v73
	v_fma_f32 v77, v73, v71, -v75
	v_fmac_f32_e32 v77, v73, v17
	v_add_f32_e32 v78, v75, v77
	v_sub_f32_e32 v79, v74, v78
	v_sub_f32_e32 v74, v74, v79
	;; [unrolled: 1-line block ×4, first 2 shown]
	v_add_f32_e32 v72, v72, v74
	v_sub_f32_e32 v74, v75, v77
	v_add_f32_e32 v72, v74, v72
	v_add_f32_e32 v74, v79, v72
	v_mul_f32_e32 v75, v76, v74
	v_mul_f32_e32 v77, v71, v75
	v_fma_f32 v71, v75, v71, -v77
	v_fmac_f32_e32 v71, v75, v17
	v_sub_f32_e32 v17, v79, v74
	v_add_f32_e32 v17, v72, v17
	v_add_f32_e32 v72, v77, v71
	v_sub_f32_e32 v78, v74, v72
	v_sub_f32_e32 v74, v74, v78
	v_sub_f32_e32 v77, v72, v77
	v_sub_f32_e32 v72, v74, v72
	v_add_f32_e32 v17, v17, v72
	v_sub_f32_e32 v71, v77, v71
	v_add_f32_e32 v17, v71, v17
	v_add_f32_e32 v71, v73, v75
	;; [unrolled: 1-line block ×3, first 2 shown]
	v_sub_f32_e32 v72, v71, v73
	v_mul_f32_e32 v17, v76, v17
	v_sub_f32_e32 v72, v75, v72
	v_add_f32_e32 v17, v72, v17
	v_cvt_f32_i32_e32 v16, v16
	v_add_f32_e32 v72, v71, v17
	v_mul_f32_e32 v73, v72, v72
	v_mov_b32_e32 v74, 0x3ecc95a3
	v_fmac_f32_e32 v74, 0x3e9b6dac, v73
	v_mov_b32_e32 v75, 0x3f2aaada
	v_fmac_f32_e32 v75, v73, v74
	v_mul_f32_e32 v74, 0x3f317218, v16
	v_fma_f32 v76, v16, s78, -v74
	v_fmac_f32_e32 v76, 0xb102e308, v16
	v_sub_f32_e32 v16, v72, v71
	v_sub_f32_e32 v16, v17, v16
	v_add_f32_e32 v17, v74, v76
	v_sub_f32_e32 v71, v17, v74
	v_ldexp_f32 v74, v72, 1
	v_mul_f32_e32 v72, v72, v73
	v_mul_f32_e32 v72, v72, v75
	v_add_f32_e32 v73, v74, v72
	v_sub_f32_e32 v74, v73, v74
	v_ldexp_f32 v16, v16, 1
	v_sub_f32_e32 v72, v72, v74
	v_add_f32_e32 v16, v16, v72
	v_add_f32_e32 v72, v73, v16
	v_sub_f32_e32 v73, v72, v73
	v_sub_f32_e32 v16, v16, v73
	v_add_f32_e32 v73, v17, v72
	v_sub_f32_e32 v74, v73, v17
	v_sub_f32_e32 v75, v73, v74
	;; [unrolled: 1-line block ×5, first 2 shown]
	v_add_f32_e32 v17, v72, v17
	v_add_f32_e32 v72, v71, v16
	v_sub_f32_e32 v74, v72, v71
	v_sub_f32_e32 v75, v72, v74
	;; [unrolled: 1-line block ×4, first 2 shown]
	v_add_f32_e32 v17, v72, v17
	v_add_f32_e32 v16, v16, v71
	;; [unrolled: 1-line block ×3, first 2 shown]
	v_sub_f32_e32 v72, v71, v73
	v_sub_f32_e32 v17, v17, v72
	v_add_f32_e32 v16, v16, v17
	v_add_f32_e32 v16, v71, v16
	v_cmp_neq_f32_e32 vcc, s58, v70
	s_mov_b32 s58, 0x33800000
	v_cndmask_b32_e32 v16, v18, v16, vcc
	v_cmp_lt_f32_e64 vcc, |v70|, s58
	v_cndmask_b32_e32 v16, v16, v70, vcc
	v_add_f32_e32 v16, v15, v16
.LBB507_138:
	s_or_b64 exec, exec, s[4:5]
	v_bfe_u32 v15, v16, 16, 1
	v_add3_u32 v15, v16, v15, s59
	v_cmp_o_f32_e32 vcc, v16, v16
	ds_read_u16 v16, v13 offset:4
	v_cndmask_b32_sdwa v14, v14, v15, vcc dst_sel:DWORD dst_unused:UNUSED_PAD src0_sel:DWORD src1_sel:WORD_1
	ds_write_b16 v13, v14 offset:2
	v_lshlrev_b32_e32 v15, 16, v14
	v_max_f32_e32 v17, v15, v15
	s_waitcnt lgkmcnt(1)
	v_lshlrev_b32_e32 v14, 16, v16
	v_max_f32_e32 v18, v14, v14
	v_min_f32_e32 v16, v17, v18
	v_cmp_u_f32_e32 vcc, v15, v15
	v_max_f32_e32 v17, v17, v18
	v_cndmask_b32_e32 v16, v16, v15, vcc
	v_cmp_u_f32_e64 s[4:5], v14, v14
	v_cndmask_b32_e32 v17, v17, v15, vcc
	v_cndmask_b32_e64 v16, v16, v14, s[4:5]
	v_cndmask_b32_e64 v14, v17, v14, s[4:5]
	s_movk_i32 s58, 0x1f8
	v_cmp_neq_f32_e32 vcc, v16, v14
	v_cmp_class_f32_e64 s[4:5], v16, s58
	s_or_b64 s[78:79], vcc, s[4:5]
	s_and_saveexec_b64 s[4:5], s[78:79]
	s_cbranch_execz .LBB507_140
; %bb.139:
	v_sub_f32_e32 v15, v16, v14
	s_mov_b32 s59, 0x3fb8aa3b
	v_mul_f32_e32 v16, 0x3fb8aa3b, v15
	v_fma_f32 v17, v15, s59, -v16
	v_rndne_f32_e32 v18, v16
	v_fmac_f32_e32 v17, 0x32a5705f, v15
	v_sub_f32_e32 v16, v16, v18
	v_add_f32_e32 v16, v16, v17
	v_exp_f32_e32 v16, v16
	v_cvt_i32_f32_e32 v17, v18
	s_mov_b32 s59, 0xc2ce8ed0
	v_cmp_ngt_f32_e32 vcc, s59, v15
	s_mov_b32 s59, 0x42b17218
	v_ldexp_f32 v16, v16, v17
	v_cndmask_b32_e32 v16, 0, v16, vcc
	v_mov_b32_e32 v17, 0x7f800000
	v_cmp_nlt_f32_e32 vcc, s59, v15
	v_cndmask_b32_e32 v18, v17, v16, vcc
	v_add_f32_e32 v70, 1.0, v18
	v_cvt_f64_f32_e32 v[15:16], v70
	v_add_f32_e32 v71, -1.0, v70
	v_sub_f32_e32 v72, v71, v70
	v_sub_f32_e32 v71, v18, v71
	v_frexp_exp_i32_f64_e32 v15, v[15:16]
	v_add_f32_e32 v16, 1.0, v72
	v_add_f32_e32 v16, v71, v16
	v_frexp_mant_f32_e32 v71, v70
	s_mov_b32 s78, 0x3f2aaaab
	v_cmp_gt_f32_e32 vcc, s78, v71
	s_mov_b32 s78, 0x3f317218
	s_mov_b32 s59, 0x7f800000
	v_subbrev_co_u32_e32 v15, vcc, 0, v15, vcc
	v_sub_u32_e32 v71, 0, v15
	v_ldexp_f32 v70, v70, v71
	v_ldexp_f32 v16, v16, v71
	v_add_f32_e32 v71, -1.0, v70
	v_add_f32_e32 v74, 1.0, v70
	v_add_f32_e32 v72, 1.0, v71
	v_add_f32_e32 v75, -1.0, v74
	v_sub_f32_e32 v72, v70, v72
	v_sub_f32_e32 v70, v70, v75
	v_add_f32_e32 v72, v16, v72
	v_add_f32_e32 v16, v16, v70
	v_add_f32_e32 v70, v74, v16
	v_rcp_f32_e32 v75, v70
	v_add_f32_e32 v73, v71, v72
	v_sub_f32_e32 v71, v71, v73
	v_add_f32_e32 v71, v72, v71
	v_sub_f32_e32 v72, v74, v70
	v_add_f32_e32 v16, v16, v72
	v_mul_f32_e32 v72, v73, v75
	v_mul_f32_e32 v74, v70, v72
	v_fma_f32 v76, v72, v70, -v74
	v_fmac_f32_e32 v76, v72, v16
	v_add_f32_e32 v77, v74, v76
	v_sub_f32_e32 v78, v73, v77
	v_sub_f32_e32 v73, v73, v78
	;; [unrolled: 1-line block ×4, first 2 shown]
	v_add_f32_e32 v71, v71, v73
	v_sub_f32_e32 v73, v74, v76
	v_add_f32_e32 v71, v73, v71
	v_add_f32_e32 v73, v78, v71
	v_mul_f32_e32 v74, v75, v73
	v_mul_f32_e32 v76, v70, v74
	v_fma_f32 v70, v74, v70, -v76
	v_fmac_f32_e32 v70, v74, v16
	v_sub_f32_e32 v16, v78, v73
	v_add_f32_e32 v16, v71, v16
	v_add_f32_e32 v71, v76, v70
	v_sub_f32_e32 v77, v73, v71
	v_sub_f32_e32 v73, v73, v77
	;; [unrolled: 1-line block ×4, first 2 shown]
	v_add_f32_e32 v16, v16, v71
	v_sub_f32_e32 v70, v76, v70
	v_add_f32_e32 v16, v70, v16
	v_add_f32_e32 v70, v72, v74
	v_add_f32_e32 v16, v77, v16
	v_sub_f32_e32 v71, v70, v72
	v_mul_f32_e32 v16, v75, v16
	v_sub_f32_e32 v71, v74, v71
	v_add_f32_e32 v16, v71, v16
	v_cvt_f32_i32_e32 v15, v15
	v_add_f32_e32 v71, v70, v16
	v_mul_f32_e32 v72, v71, v71
	v_mov_b32_e32 v73, 0x3ecc95a3
	v_fmac_f32_e32 v73, 0x3e9b6dac, v72
	v_mov_b32_e32 v74, 0x3f2aaada
	v_fmac_f32_e32 v74, v72, v73
	v_mul_f32_e32 v73, 0x3f317218, v15
	v_fma_f32 v75, v15, s78, -v73
	v_fmac_f32_e32 v75, 0xb102e308, v15
	v_sub_f32_e32 v15, v71, v70
	v_sub_f32_e32 v15, v16, v15
	v_add_f32_e32 v16, v73, v75
	v_sub_f32_e32 v70, v16, v73
	v_ldexp_f32 v73, v71, 1
	v_mul_f32_e32 v71, v71, v72
	v_mul_f32_e32 v71, v71, v74
	v_add_f32_e32 v72, v73, v71
	v_sub_f32_e32 v73, v72, v73
	v_ldexp_f32 v15, v15, 1
	v_sub_f32_e32 v71, v71, v73
	v_add_f32_e32 v15, v15, v71
	v_add_f32_e32 v71, v72, v15
	v_sub_f32_e32 v72, v71, v72
	v_sub_f32_e32 v15, v15, v72
	v_add_f32_e32 v72, v16, v71
	v_sub_f32_e32 v73, v72, v16
	v_sub_f32_e32 v74, v72, v73
	;; [unrolled: 1-line block ×5, first 2 shown]
	v_add_f32_e32 v16, v71, v16
	v_add_f32_e32 v71, v70, v15
	v_sub_f32_e32 v73, v71, v70
	v_sub_f32_e32 v74, v71, v73
	;; [unrolled: 1-line block ×4, first 2 shown]
	v_add_f32_e32 v16, v71, v16
	v_add_f32_e32 v15, v15, v70
	;; [unrolled: 1-line block ×3, first 2 shown]
	v_sub_f32_e32 v71, v70, v72
	v_sub_f32_e32 v16, v16, v71
	v_add_f32_e32 v15, v15, v16
	v_add_f32_e32 v15, v70, v15
	v_cmp_neq_f32_e32 vcc, s59, v18
	s_mov_b32 s59, 0x33800000
	v_cndmask_b32_e32 v15, v17, v15, vcc
	v_cmp_lt_f32_e64 vcc, |v18|, s59
	v_cndmask_b32_e32 v15, v15, v18, vcc
	v_add_f32_e32 v15, v14, v15
.LBB507_140:
	s_or_b64 exec, exec, s[4:5]
	v_bfe_u32 v14, v15, 16, 1
	s_movk_i32 s59, 0x7fff
	v_add3_u32 v16, v15, v14, s59
	v_cmp_o_f32_e32 vcc, v15, v15
	ds_read_u16 v15, v13 offset:6
	v_mov_b32_e32 v14, 0x7fc0
	v_cndmask_b32_sdwa v16, v14, v16, vcc dst_sel:DWORD dst_unused:UNUSED_PAD src0_sel:DWORD src1_sel:WORD_1
	ds_write_b16 v13, v16 offset:4
	v_lshlrev_b32_e32 v16, 16, v16
	s_waitcnt lgkmcnt(1)
	v_lshlrev_b32_e32 v15, 16, v15
	v_max_f32_e32 v18, v16, v16
	v_max_f32_e32 v70, v15, v15
	v_min_f32_e32 v17, v18, v70
	v_cmp_u_f32_e32 vcc, v16, v16
	v_max_f32_e32 v18, v18, v70
	v_cndmask_b32_e32 v17, v17, v16, vcc
	v_cmp_u_f32_e64 s[4:5], v15, v15
	v_cndmask_b32_e32 v18, v18, v16, vcc
	v_cndmask_b32_e64 v17, v17, v15, s[4:5]
	v_cndmask_b32_e64 v15, v18, v15, s[4:5]
	v_cmp_neq_f32_e32 vcc, v17, v15
	v_cmp_class_f32_e64 s[4:5], v17, s58
	s_or_b64 s[78:79], vcc, s[4:5]
	s_and_saveexec_b64 s[4:5], s[78:79]
	s_cbranch_execz .LBB507_142
; %bb.141:
	v_sub_f32_e32 v16, v17, v15
	s_mov_b32 s58, 0x3fb8aa3b
	v_mul_f32_e32 v17, 0x3fb8aa3b, v16
	v_fma_f32 v18, v16, s58, -v17
	v_rndne_f32_e32 v70, v17
	v_fmac_f32_e32 v18, 0x32a5705f, v16
	v_sub_f32_e32 v17, v17, v70
	v_add_f32_e32 v17, v17, v18
	v_exp_f32_e32 v17, v17
	v_cvt_i32_f32_e32 v18, v70
	s_mov_b32 s58, 0xc2ce8ed0
	v_cmp_ngt_f32_e32 vcc, s58, v16
	s_mov_b32 s58, 0x42b17218
	v_ldexp_f32 v17, v17, v18
	v_cndmask_b32_e32 v17, 0, v17, vcc
	v_mov_b32_e32 v18, 0x7f800000
	v_cmp_nlt_f32_e32 vcc, s58, v16
	v_cndmask_b32_e32 v70, v18, v17, vcc
	v_add_f32_e32 v71, 1.0, v70
	v_cvt_f64_f32_e32 v[16:17], v71
	v_add_f32_e32 v72, -1.0, v71
	v_sub_f32_e32 v73, v72, v71
	v_sub_f32_e32 v72, v70, v72
	v_frexp_exp_i32_f64_e32 v16, v[16:17]
	v_add_f32_e32 v17, 1.0, v73
	v_add_f32_e32 v17, v72, v17
	v_frexp_mant_f32_e32 v72, v71
	s_mov_b32 s78, 0x3f2aaaab
	v_cmp_gt_f32_e32 vcc, s78, v72
	s_mov_b32 s78, 0x3f317218
	s_mov_b32 s58, 0x7f800000
	v_subbrev_co_u32_e32 v16, vcc, 0, v16, vcc
	v_sub_u32_e32 v72, 0, v16
	v_ldexp_f32 v71, v71, v72
	v_ldexp_f32 v17, v17, v72
	v_add_f32_e32 v72, -1.0, v71
	v_add_f32_e32 v75, 1.0, v71
	v_add_f32_e32 v73, 1.0, v72
	v_add_f32_e32 v76, -1.0, v75
	v_sub_f32_e32 v73, v71, v73
	v_sub_f32_e32 v71, v71, v76
	v_add_f32_e32 v73, v17, v73
	v_add_f32_e32 v17, v17, v71
	;; [unrolled: 1-line block ×3, first 2 shown]
	v_rcp_f32_e32 v76, v71
	v_add_f32_e32 v74, v72, v73
	v_sub_f32_e32 v72, v72, v74
	v_add_f32_e32 v72, v73, v72
	v_sub_f32_e32 v73, v75, v71
	v_add_f32_e32 v17, v17, v73
	v_mul_f32_e32 v73, v74, v76
	v_mul_f32_e32 v75, v71, v73
	v_fma_f32 v77, v73, v71, -v75
	v_fmac_f32_e32 v77, v73, v17
	v_add_f32_e32 v78, v75, v77
	v_sub_f32_e32 v79, v74, v78
	v_sub_f32_e32 v74, v74, v79
	;; [unrolled: 1-line block ×4, first 2 shown]
	v_add_f32_e32 v72, v72, v74
	v_sub_f32_e32 v74, v75, v77
	v_add_f32_e32 v72, v74, v72
	v_add_f32_e32 v74, v79, v72
	v_mul_f32_e32 v75, v76, v74
	v_mul_f32_e32 v77, v71, v75
	v_fma_f32 v71, v75, v71, -v77
	v_fmac_f32_e32 v71, v75, v17
	v_sub_f32_e32 v17, v79, v74
	v_add_f32_e32 v17, v72, v17
	v_add_f32_e32 v72, v77, v71
	v_sub_f32_e32 v78, v74, v72
	v_sub_f32_e32 v74, v74, v78
	;; [unrolled: 1-line block ×4, first 2 shown]
	v_add_f32_e32 v17, v17, v72
	v_sub_f32_e32 v71, v77, v71
	v_add_f32_e32 v17, v71, v17
	v_add_f32_e32 v71, v73, v75
	;; [unrolled: 1-line block ×3, first 2 shown]
	v_sub_f32_e32 v72, v71, v73
	v_mul_f32_e32 v17, v76, v17
	v_sub_f32_e32 v72, v75, v72
	v_add_f32_e32 v17, v72, v17
	v_cvt_f32_i32_e32 v16, v16
	v_add_f32_e32 v72, v71, v17
	v_mul_f32_e32 v73, v72, v72
	v_mov_b32_e32 v74, 0x3ecc95a3
	v_fmac_f32_e32 v74, 0x3e9b6dac, v73
	v_mov_b32_e32 v75, 0x3f2aaada
	v_fmac_f32_e32 v75, v73, v74
	v_mul_f32_e32 v74, 0x3f317218, v16
	v_fma_f32 v76, v16, s78, -v74
	v_fmac_f32_e32 v76, 0xb102e308, v16
	v_sub_f32_e32 v16, v72, v71
	v_sub_f32_e32 v16, v17, v16
	v_add_f32_e32 v17, v74, v76
	v_sub_f32_e32 v71, v17, v74
	v_ldexp_f32 v74, v72, 1
	v_mul_f32_e32 v72, v72, v73
	v_mul_f32_e32 v72, v72, v75
	v_add_f32_e32 v73, v74, v72
	v_sub_f32_e32 v74, v73, v74
	v_ldexp_f32 v16, v16, 1
	v_sub_f32_e32 v72, v72, v74
	v_add_f32_e32 v16, v16, v72
	v_add_f32_e32 v72, v73, v16
	v_sub_f32_e32 v73, v72, v73
	v_sub_f32_e32 v16, v16, v73
	v_add_f32_e32 v73, v17, v72
	v_sub_f32_e32 v74, v73, v17
	v_sub_f32_e32 v75, v73, v74
	v_sub_f32_e32 v71, v76, v71
	v_sub_f32_e32 v17, v17, v75
	v_sub_f32_e32 v72, v72, v74
	v_add_f32_e32 v17, v72, v17
	v_add_f32_e32 v72, v71, v16
	v_sub_f32_e32 v74, v72, v71
	v_sub_f32_e32 v75, v72, v74
	;; [unrolled: 1-line block ×4, first 2 shown]
	v_add_f32_e32 v17, v72, v17
	v_add_f32_e32 v16, v16, v71
	;; [unrolled: 1-line block ×3, first 2 shown]
	v_sub_f32_e32 v72, v71, v73
	v_sub_f32_e32 v17, v17, v72
	v_add_f32_e32 v16, v16, v17
	v_add_f32_e32 v16, v71, v16
	v_cmp_neq_f32_e32 vcc, s58, v70
	s_mov_b32 s58, 0x33800000
	v_cndmask_b32_e32 v16, v18, v16, vcc
	v_cmp_lt_f32_e64 vcc, |v70|, s58
	v_cndmask_b32_e32 v16, v16, v70, vcc
	v_add_f32_e32 v16, v15, v16
.LBB507_142:
	s_or_b64 exec, exec, s[4:5]
	v_bfe_u32 v15, v16, 16, 1
	v_add3_u32 v15, v16, v15, s59
	v_cmp_o_f32_e32 vcc, v16, v16
	v_cndmask_b32_sdwa v14, v14, v15, vcc dst_sel:DWORD dst_unused:UNUSED_PAD src0_sel:DWORD src1_sel:WORD_1
	ds_write_b16 v13, v14 offset:6
.LBB507_143:
	s_or_b64 exec, exec, s[74:75]
	s_waitcnt lgkmcnt(0)
	s_barrier
	s_and_saveexec_b64 s[4:5], s[2:3]
; %bb.144:
	v_add_u32_e32 v13, -1, v0
	v_lshrrev_b32_e32 v14, 4, v13
	v_and_b32_e32 v14, 0xffffffe, v14
	v_lshl_add_u32 v13, v13, 1, v14
	ds_read_u16 v69, v13
; %bb.145:
	s_or_b64 exec, exec, s[4:5]
	s_and_saveexec_b64 s[58:59], s[56:57]
	s_cbranch_execz .LBB507_217
; %bb.146:
	v_mov_b32_e32 v15, 0
	ds_read_u16 v70, v15 offset:524
	v_mbcnt_lo_u32_b32 v13, -1, 0
	v_mbcnt_hi_u32_b32 v18, -1, v13
	s_mov_b32 s75, 0
	v_cmp_eq_u32_e64 s[56:57], 0, v18
	s_and_saveexec_b64 s[4:5], s[56:57]
	s_cbranch_execz .LBB507_148
; %bb.147:
	s_add_i32 s74, s83, 64
	s_lshl_b64 s[74:75], s[74:75], 2
	s_add_u32 s74, s80, s74
	s_addc_u32 s75, s81, s75
	s_waitcnt lgkmcnt(0)
	v_or_b32_e32 v13, 0x10000, v70
	global_store_dword v15, v13, s[74:75]
.LBB507_148:
	s_or_b64 exec, exec, s[4:5]
	v_xad_u32 v13, v18, -1, s83
	v_add_u32_e32 v14, 64, v13
	v_lshlrev_b64 v[16:17], 2, v[14:15]
	v_mov_b32_e32 v14, s81
	v_add_co_u32_e32 v16, vcc, s80, v16
	v_addc_co_u32_e32 v17, vcc, v14, v17, vcc
	global_load_dword v89, v[16:17], off glc
	s_waitcnt vmcnt(0)
	v_lshrrev_b32_e32 v71, 16, v89
	v_cmp_eq_u16_sdwa s[74:75], v71, v15 src0_sel:BYTE_0 src1_sel:DWORD
	s_and_saveexec_b64 s[4:5], s[74:75]
	s_cbranch_execz .LBB507_152
; %bb.149:
	s_mov_b64 s[74:75], 0
	v_mov_b32_e32 v14, 0
.LBB507_150:                            ; =>This Inner Loop Header: Depth=1
	global_load_dword v89, v[16:17], off glc
	s_waitcnt vmcnt(0)
	v_lshrrev_b32_e32 v71, 16, v89
	v_cmp_ne_u16_sdwa s[78:79], v71, v14 src0_sel:BYTE_0 src1_sel:DWORD
	s_or_b64 s[74:75], s[78:79], s[74:75]
	s_andn2_b64 exec, exec, s[74:75]
	s_cbranch_execnz .LBB507_150
; %bb.151:
	s_or_b64 exec, exec, s[74:75]
.LBB507_152:
	s_or_b64 exec, exec, s[4:5]
	v_and_b32_e32 v72, 63, v18
	v_mov_b32_e32 v14, 2
	v_lshlrev_b64 v[15:16], v18, -1
	v_cmp_ne_u32_e32 vcc, 63, v72
	v_cmp_eq_u16_sdwa s[4:5], v71, v14 src0_sel:BYTE_0 src1_sel:DWORD
	v_addc_co_u32_e32 v17, vcc, 0, v18, vcc
	v_and_b32_e32 v14, s5, v16
	v_lshlrev_b32_e32 v73, 2, v17
	v_and_b32_e32 v17, 0xffff, v89
	v_or_b32_e32 v14, 0x80000000, v14
	ds_bpermute_b32 v74, v73, v17
	v_and_b32_e32 v75, s4, v15
	v_ffbl_b32_e32 v14, v14
	v_add_u32_e32 v14, 32, v14
	v_ffbl_b32_e32 v75, v75
	v_min_u32_e32 v14, v75, v14
	v_cmp_lt_u32_e32 vcc, v72, v14
	s_and_saveexec_b64 s[74:75], vcc
	s_cbranch_execz .LBB507_156
; %bb.153:
	s_waitcnt lgkmcnt(0)
	v_lshlrev_b32_e32 v74, 16, v74
	v_lshlrev_b32_e32 v17, 16, v17
	v_max_f32_e32 v76, v17, v17
	v_max_f32_e32 v77, v74, v74
	v_min_f32_e32 v75, v77, v76
	v_cmp_u_f32_e32 vcc, v74, v74
	v_max_f32_e32 v76, v77, v76
	v_cndmask_b32_e32 v75, v75, v74, vcc
	v_cmp_u_f32_e64 s[4:5], v17, v17
	v_cndmask_b32_e32 v76, v76, v74, vcc
	v_cndmask_b32_e64 v75, v75, v17, s[4:5]
	v_cndmask_b32_e64 v17, v76, v17, s[4:5]
	s_movk_i32 s4, 0x1f8
	v_cmp_neq_f32_e32 vcc, v75, v17
	v_cmp_class_f32_e64 s[4:5], v75, s4
	s_or_b64 s[78:79], vcc, s[4:5]
	s_and_saveexec_b64 s[4:5], s[78:79]
	s_cbranch_execz .LBB507_155
; %bb.154:
	v_sub_f32_e32 v74, v75, v17
	s_mov_b32 s78, 0x3fb8aa3b
	v_mul_f32_e32 v75, 0x3fb8aa3b, v74
	v_fma_f32 v76, v74, s78, -v75
	v_rndne_f32_e32 v77, v75
	v_fmac_f32_e32 v76, 0x32a5705f, v74
	v_sub_f32_e32 v75, v75, v77
	v_add_f32_e32 v75, v75, v76
	v_exp_f32_e32 v75, v75
	v_cvt_i32_f32_e32 v76, v77
	s_mov_b32 s78, 0xc2ce8ed0
	v_cmp_ngt_f32_e32 vcc, s78, v74
	s_mov_b32 s78, 0x42b17218
	v_ldexp_f32 v75, v75, v76
	v_cndmask_b32_e32 v75, 0, v75, vcc
	v_mov_b32_e32 v76, 0x7f800000
	v_cmp_nlt_f32_e32 vcc, s78, v74
	v_cndmask_b32_e32 v77, v76, v75, vcc
	v_add_f32_e32 v78, 1.0, v77
	v_cvt_f64_f32_e32 v[74:75], v78
	v_add_f32_e32 v79, -1.0, v78
	v_sub_f32_e32 v80, v79, v78
	v_sub_f32_e32 v79, v77, v79
	v_frexp_exp_i32_f64_e32 v74, v[74:75]
	v_add_f32_e32 v75, 1.0, v80
	v_add_f32_e32 v75, v79, v75
	v_frexp_mant_f32_e32 v79, v78
	s_mov_b32 s79, 0x3f2aaaab
	v_cmp_gt_f32_e32 vcc, s79, v79
	s_mov_b32 s79, 0x3f317218
	s_mov_b32 s78, 0x7f800000
	v_subbrev_co_u32_e32 v74, vcc, 0, v74, vcc
	v_sub_u32_e32 v79, 0, v74
	v_ldexp_f32 v78, v78, v79
	v_ldexp_f32 v75, v75, v79
	v_add_f32_e32 v79, -1.0, v78
	v_add_f32_e32 v82, 1.0, v78
	v_add_f32_e32 v80, 1.0, v79
	v_add_f32_e32 v83, -1.0, v82
	v_sub_f32_e32 v80, v78, v80
	v_sub_f32_e32 v78, v78, v83
	v_add_f32_e32 v80, v75, v80
	v_add_f32_e32 v75, v75, v78
	;; [unrolled: 1-line block ×3, first 2 shown]
	v_rcp_f32_e32 v83, v78
	v_add_f32_e32 v81, v79, v80
	v_sub_f32_e32 v79, v79, v81
	v_add_f32_e32 v79, v80, v79
	v_sub_f32_e32 v80, v82, v78
	v_add_f32_e32 v75, v75, v80
	v_mul_f32_e32 v80, v81, v83
	v_mul_f32_e32 v82, v78, v80
	v_fma_f32 v84, v80, v78, -v82
	v_fmac_f32_e32 v84, v80, v75
	v_add_f32_e32 v85, v82, v84
	v_sub_f32_e32 v86, v81, v85
	v_sub_f32_e32 v81, v81, v86
	;; [unrolled: 1-line block ×4, first 2 shown]
	v_add_f32_e32 v79, v79, v81
	v_sub_f32_e32 v81, v82, v84
	v_add_f32_e32 v79, v81, v79
	v_add_f32_e32 v81, v86, v79
	v_mul_f32_e32 v82, v83, v81
	v_mul_f32_e32 v84, v78, v82
	v_fma_f32 v78, v82, v78, -v84
	v_fmac_f32_e32 v78, v82, v75
	v_sub_f32_e32 v75, v86, v81
	v_add_f32_e32 v75, v79, v75
	v_add_f32_e32 v79, v84, v78
	v_sub_f32_e32 v85, v81, v79
	v_sub_f32_e32 v81, v81, v85
	;; [unrolled: 1-line block ×4, first 2 shown]
	v_add_f32_e32 v75, v75, v79
	v_sub_f32_e32 v78, v84, v78
	v_add_f32_e32 v75, v78, v75
	v_add_f32_e32 v78, v80, v82
	;; [unrolled: 1-line block ×3, first 2 shown]
	v_sub_f32_e32 v79, v78, v80
	v_mul_f32_e32 v75, v83, v75
	v_sub_f32_e32 v79, v82, v79
	v_add_f32_e32 v75, v79, v75
	v_cvt_f32_i32_e32 v74, v74
	v_add_f32_e32 v79, v78, v75
	v_mul_f32_e32 v80, v79, v79
	v_mov_b32_e32 v81, 0x3ecc95a3
	v_fmac_f32_e32 v81, 0x3e9b6dac, v80
	v_mov_b32_e32 v82, 0x3f2aaada
	v_fmac_f32_e32 v82, v80, v81
	v_mul_f32_e32 v81, 0x3f317218, v74
	v_fma_f32 v83, v74, s79, -v81
	v_fmac_f32_e32 v83, 0xb102e308, v74
	v_sub_f32_e32 v74, v79, v78
	v_sub_f32_e32 v74, v75, v74
	v_add_f32_e32 v75, v81, v83
	v_sub_f32_e32 v78, v75, v81
	v_ldexp_f32 v81, v79, 1
	v_mul_f32_e32 v79, v79, v80
	v_mul_f32_e32 v79, v79, v82
	v_add_f32_e32 v80, v81, v79
	v_sub_f32_e32 v81, v80, v81
	v_ldexp_f32 v74, v74, 1
	v_sub_f32_e32 v79, v79, v81
	v_add_f32_e32 v74, v74, v79
	v_add_f32_e32 v79, v80, v74
	v_sub_f32_e32 v80, v79, v80
	v_sub_f32_e32 v74, v74, v80
	v_add_f32_e32 v80, v75, v79
	v_sub_f32_e32 v81, v80, v75
	v_sub_f32_e32 v82, v80, v81
	;; [unrolled: 1-line block ×5, first 2 shown]
	v_add_f32_e32 v75, v79, v75
	v_add_f32_e32 v79, v78, v74
	v_sub_f32_e32 v81, v79, v78
	v_sub_f32_e32 v82, v79, v81
	;; [unrolled: 1-line block ×4, first 2 shown]
	v_add_f32_e32 v75, v79, v75
	v_add_f32_e32 v74, v74, v78
	;; [unrolled: 1-line block ×3, first 2 shown]
	v_sub_f32_e32 v79, v78, v80
	v_sub_f32_e32 v75, v75, v79
	v_add_f32_e32 v74, v74, v75
	v_add_f32_e32 v74, v78, v74
	v_cmp_neq_f32_e32 vcc, s78, v77
	s_mov_b32 s78, 0x33800000
	v_cndmask_b32_e32 v74, v76, v74, vcc
	v_cmp_lt_f32_e64 vcc, |v77|, s78
	v_cndmask_b32_e32 v74, v74, v77, vcc
	v_add_f32_e32 v74, v17, v74
.LBB507_155:
	s_or_b64 exec, exec, s[4:5]
	v_bfe_u32 v17, v74, 16, 1
	s_movk_i32 s4, 0x7fff
	v_add3_u32 v17, v74, v17, s4
	v_cmp_o_f32_e32 vcc, v74, v74
	v_mov_b32_e32 v74, 0x7fc0
	v_cndmask_b32_sdwa v89, v74, v17, vcc dst_sel:DWORD dst_unused:UNUSED_PAD src0_sel:DWORD src1_sel:WORD_1
	v_and_b32_e32 v17, 0xffff, v89
.LBB507_156:
	s_or_b64 exec, exec, s[74:75]
	v_cmp_gt_u32_e32 vcc, 62, v72
	s_waitcnt lgkmcnt(0)
	v_cndmask_b32_e64 v74, 0, 2, vcc
	v_add_lshl_u32 v74, v74, v18, 2
	ds_bpermute_b32 v76, v74, v17
	v_add_u32_e32 v75, 2, v72
	v_cmp_le_u32_e32 vcc, v75, v14
	s_and_saveexec_b64 s[74:75], vcc
	s_cbranch_execz .LBB507_160
; %bb.157:
	s_waitcnt lgkmcnt(0)
	v_lshlrev_b32_e32 v76, 16, v76
	v_lshlrev_b32_e32 v17, 16, v17
	v_max_f32_e32 v78, v17, v17
	v_max_f32_e32 v79, v76, v76
	v_min_f32_e32 v77, v79, v78
	v_cmp_u_f32_e32 vcc, v76, v76
	v_max_f32_e32 v78, v79, v78
	v_cndmask_b32_e32 v77, v77, v76, vcc
	v_cmp_u_f32_e64 s[4:5], v17, v17
	v_cndmask_b32_e32 v78, v78, v76, vcc
	v_cndmask_b32_e64 v77, v77, v17, s[4:5]
	v_cndmask_b32_e64 v17, v78, v17, s[4:5]
	s_movk_i32 s4, 0x1f8
	v_cmp_neq_f32_e32 vcc, v77, v17
	v_cmp_class_f32_e64 s[4:5], v77, s4
	s_or_b64 s[78:79], vcc, s[4:5]
	s_and_saveexec_b64 s[4:5], s[78:79]
	s_cbranch_execz .LBB507_159
; %bb.158:
	v_sub_f32_e32 v76, v77, v17
	s_mov_b32 s78, 0x3fb8aa3b
	v_mul_f32_e32 v77, 0x3fb8aa3b, v76
	v_fma_f32 v78, v76, s78, -v77
	v_rndne_f32_e32 v79, v77
	v_fmac_f32_e32 v78, 0x32a5705f, v76
	v_sub_f32_e32 v77, v77, v79
	v_add_f32_e32 v77, v77, v78
	v_exp_f32_e32 v77, v77
	v_cvt_i32_f32_e32 v78, v79
	s_mov_b32 s78, 0xc2ce8ed0
	v_cmp_ngt_f32_e32 vcc, s78, v76
	s_mov_b32 s78, 0x42b17218
	v_ldexp_f32 v77, v77, v78
	v_cndmask_b32_e32 v77, 0, v77, vcc
	v_mov_b32_e32 v78, 0x7f800000
	v_cmp_nlt_f32_e32 vcc, s78, v76
	v_cndmask_b32_e32 v79, v78, v77, vcc
	v_add_f32_e32 v80, 1.0, v79
	v_cvt_f64_f32_e32 v[76:77], v80
	v_add_f32_e32 v81, -1.0, v80
	v_sub_f32_e32 v82, v81, v80
	v_sub_f32_e32 v81, v79, v81
	v_frexp_exp_i32_f64_e32 v76, v[76:77]
	v_add_f32_e32 v77, 1.0, v82
	v_add_f32_e32 v77, v81, v77
	v_frexp_mant_f32_e32 v81, v80
	s_mov_b32 s79, 0x3f2aaaab
	v_cmp_gt_f32_e32 vcc, s79, v81
	s_mov_b32 s79, 0x3f317218
	s_mov_b32 s78, 0x7f800000
	v_subbrev_co_u32_e32 v76, vcc, 0, v76, vcc
	v_sub_u32_e32 v81, 0, v76
	v_ldexp_f32 v80, v80, v81
	v_ldexp_f32 v77, v77, v81
	v_add_f32_e32 v81, -1.0, v80
	v_add_f32_e32 v84, 1.0, v80
	v_add_f32_e32 v82, 1.0, v81
	v_add_f32_e32 v85, -1.0, v84
	v_sub_f32_e32 v82, v80, v82
	v_sub_f32_e32 v80, v80, v85
	v_add_f32_e32 v82, v77, v82
	v_add_f32_e32 v77, v77, v80
	;; [unrolled: 1-line block ×3, first 2 shown]
	v_rcp_f32_e32 v85, v80
	v_add_f32_e32 v83, v81, v82
	v_sub_f32_e32 v81, v81, v83
	v_add_f32_e32 v81, v82, v81
	v_sub_f32_e32 v82, v84, v80
	v_add_f32_e32 v77, v77, v82
	v_mul_f32_e32 v82, v83, v85
	v_mul_f32_e32 v84, v80, v82
	v_fma_f32 v86, v82, v80, -v84
	v_fmac_f32_e32 v86, v82, v77
	v_add_f32_e32 v87, v84, v86
	v_sub_f32_e32 v88, v83, v87
	v_sub_f32_e32 v83, v83, v88
	;; [unrolled: 1-line block ×4, first 2 shown]
	v_add_f32_e32 v81, v81, v83
	v_sub_f32_e32 v83, v84, v86
	v_add_f32_e32 v81, v83, v81
	v_add_f32_e32 v83, v88, v81
	v_mul_f32_e32 v84, v85, v83
	v_mul_f32_e32 v86, v80, v84
	v_fma_f32 v80, v84, v80, -v86
	v_fmac_f32_e32 v80, v84, v77
	v_sub_f32_e32 v77, v88, v83
	v_add_f32_e32 v77, v81, v77
	v_add_f32_e32 v81, v86, v80
	v_sub_f32_e32 v87, v83, v81
	v_sub_f32_e32 v83, v83, v87
	;; [unrolled: 1-line block ×4, first 2 shown]
	v_add_f32_e32 v77, v77, v81
	v_sub_f32_e32 v80, v86, v80
	v_add_f32_e32 v77, v80, v77
	v_add_f32_e32 v80, v82, v84
	;; [unrolled: 1-line block ×3, first 2 shown]
	v_sub_f32_e32 v81, v80, v82
	v_mul_f32_e32 v77, v85, v77
	v_sub_f32_e32 v81, v84, v81
	v_add_f32_e32 v77, v81, v77
	v_cvt_f32_i32_e32 v76, v76
	v_add_f32_e32 v81, v80, v77
	v_mul_f32_e32 v82, v81, v81
	v_mov_b32_e32 v83, 0x3ecc95a3
	v_fmac_f32_e32 v83, 0x3e9b6dac, v82
	v_mov_b32_e32 v84, 0x3f2aaada
	v_fmac_f32_e32 v84, v82, v83
	v_mul_f32_e32 v83, 0x3f317218, v76
	v_fma_f32 v85, v76, s79, -v83
	v_fmac_f32_e32 v85, 0xb102e308, v76
	v_sub_f32_e32 v76, v81, v80
	v_sub_f32_e32 v76, v77, v76
	v_add_f32_e32 v77, v83, v85
	v_sub_f32_e32 v80, v77, v83
	v_ldexp_f32 v83, v81, 1
	v_mul_f32_e32 v81, v81, v82
	v_mul_f32_e32 v81, v81, v84
	v_add_f32_e32 v82, v83, v81
	v_sub_f32_e32 v83, v82, v83
	v_ldexp_f32 v76, v76, 1
	v_sub_f32_e32 v81, v81, v83
	v_add_f32_e32 v76, v76, v81
	v_add_f32_e32 v81, v82, v76
	v_sub_f32_e32 v82, v81, v82
	v_sub_f32_e32 v76, v76, v82
	v_add_f32_e32 v82, v77, v81
	v_sub_f32_e32 v83, v82, v77
	v_sub_f32_e32 v84, v82, v83
	;; [unrolled: 1-line block ×5, first 2 shown]
	v_add_f32_e32 v77, v81, v77
	v_add_f32_e32 v81, v80, v76
	v_sub_f32_e32 v83, v81, v80
	v_sub_f32_e32 v84, v81, v83
	;; [unrolled: 1-line block ×4, first 2 shown]
	v_add_f32_e32 v77, v81, v77
	v_add_f32_e32 v76, v76, v80
	;; [unrolled: 1-line block ×3, first 2 shown]
	v_sub_f32_e32 v81, v80, v82
	v_sub_f32_e32 v77, v77, v81
	v_add_f32_e32 v76, v76, v77
	v_add_f32_e32 v76, v80, v76
	v_cmp_neq_f32_e32 vcc, s78, v79
	s_mov_b32 s78, 0x33800000
	v_cndmask_b32_e32 v76, v78, v76, vcc
	v_cmp_lt_f32_e64 vcc, |v79|, s78
	v_cndmask_b32_e32 v76, v76, v79, vcc
	v_add_f32_e32 v76, v17, v76
.LBB507_159:
	s_or_b64 exec, exec, s[4:5]
	v_bfe_u32 v17, v76, 16, 1
	s_movk_i32 s4, 0x7fff
	v_add3_u32 v17, v76, v17, s4
	v_cmp_o_f32_e32 vcc, v76, v76
	v_mov_b32_e32 v76, 0x7fc0
	v_cndmask_b32_sdwa v89, v76, v17, vcc dst_sel:DWORD dst_unused:UNUSED_PAD src0_sel:DWORD src1_sel:WORD_1
	v_and_b32_e32 v17, 0xffff, v89
.LBB507_160:
	s_or_b64 exec, exec, s[74:75]
	v_cmp_gt_u32_e32 vcc, 60, v72
	s_waitcnt lgkmcnt(0)
	v_cndmask_b32_e64 v76, 0, 4, vcc
	v_add_lshl_u32 v76, v76, v18, 2
	ds_bpermute_b32 v78, v76, v17
	v_add_u32_e32 v77, 4, v72
	v_cmp_le_u32_e32 vcc, v77, v14
	s_and_saveexec_b64 s[74:75], vcc
	s_cbranch_execz .LBB507_164
; %bb.161:
	s_waitcnt lgkmcnt(0)
	v_lshlrev_b32_e32 v78, 16, v78
	v_lshlrev_b32_e32 v17, 16, v17
	v_max_f32_e32 v80, v17, v17
	v_max_f32_e32 v81, v78, v78
	v_min_f32_e32 v79, v81, v80
	v_cmp_u_f32_e32 vcc, v78, v78
	v_max_f32_e32 v80, v81, v80
	v_cndmask_b32_e32 v79, v79, v78, vcc
	v_cmp_u_f32_e64 s[4:5], v17, v17
	v_cndmask_b32_e32 v80, v80, v78, vcc
	v_cndmask_b32_e64 v79, v79, v17, s[4:5]
	v_cndmask_b32_e64 v17, v80, v17, s[4:5]
	s_movk_i32 s4, 0x1f8
	v_cmp_neq_f32_e32 vcc, v79, v17
	v_cmp_class_f32_e64 s[4:5], v79, s4
	s_or_b64 s[78:79], vcc, s[4:5]
	s_and_saveexec_b64 s[4:5], s[78:79]
	s_cbranch_execz .LBB507_163
; %bb.162:
	v_sub_f32_e32 v78, v79, v17
	s_mov_b32 s78, 0x3fb8aa3b
	v_mul_f32_e32 v79, 0x3fb8aa3b, v78
	v_fma_f32 v80, v78, s78, -v79
	v_rndne_f32_e32 v81, v79
	v_fmac_f32_e32 v80, 0x32a5705f, v78
	v_sub_f32_e32 v79, v79, v81
	v_add_f32_e32 v79, v79, v80
	v_exp_f32_e32 v79, v79
	v_cvt_i32_f32_e32 v80, v81
	s_mov_b32 s78, 0xc2ce8ed0
	v_cmp_ngt_f32_e32 vcc, s78, v78
	s_mov_b32 s78, 0x42b17218
	v_ldexp_f32 v79, v79, v80
	v_cndmask_b32_e32 v79, 0, v79, vcc
	v_mov_b32_e32 v80, 0x7f800000
	v_cmp_nlt_f32_e32 vcc, s78, v78
	v_cndmask_b32_e32 v81, v80, v79, vcc
	v_add_f32_e32 v82, 1.0, v81
	v_cvt_f64_f32_e32 v[78:79], v82
	v_add_f32_e32 v83, -1.0, v82
	v_sub_f32_e32 v84, v83, v82
	v_sub_f32_e32 v83, v81, v83
	v_frexp_exp_i32_f64_e32 v78, v[78:79]
	v_add_f32_e32 v79, 1.0, v84
	v_add_f32_e32 v79, v83, v79
	v_frexp_mant_f32_e32 v83, v82
	s_mov_b32 s79, 0x3f2aaaab
	v_cmp_gt_f32_e32 vcc, s79, v83
	s_mov_b32 s79, 0x3f317218
	s_mov_b32 s78, 0x7f800000
	v_subbrev_co_u32_e32 v78, vcc, 0, v78, vcc
	v_sub_u32_e32 v83, 0, v78
	v_ldexp_f32 v82, v82, v83
	v_ldexp_f32 v79, v79, v83
	v_add_f32_e32 v83, -1.0, v82
	v_add_f32_e32 v86, 1.0, v82
	v_add_f32_e32 v84, 1.0, v83
	v_add_f32_e32 v87, -1.0, v86
	v_sub_f32_e32 v84, v82, v84
	v_sub_f32_e32 v82, v82, v87
	v_add_f32_e32 v84, v79, v84
	v_add_f32_e32 v79, v79, v82
	;; [unrolled: 1-line block ×3, first 2 shown]
	v_rcp_f32_e32 v87, v82
	v_add_f32_e32 v85, v83, v84
	v_sub_f32_e32 v83, v83, v85
	v_add_f32_e32 v83, v84, v83
	v_sub_f32_e32 v84, v86, v82
	v_add_f32_e32 v79, v79, v84
	v_mul_f32_e32 v84, v85, v87
	v_mul_f32_e32 v86, v82, v84
	v_fma_f32 v88, v84, v82, -v86
	v_fmac_f32_e32 v88, v84, v79
	v_add_f32_e32 v89, v86, v88
	v_sub_f32_e32 v90, v85, v89
	v_sub_f32_e32 v85, v85, v90
	;; [unrolled: 1-line block ×4, first 2 shown]
	v_add_f32_e32 v83, v83, v85
	v_sub_f32_e32 v85, v86, v88
	v_add_f32_e32 v83, v85, v83
	v_add_f32_e32 v85, v90, v83
	v_mul_f32_e32 v86, v87, v85
	v_mul_f32_e32 v88, v82, v86
	v_fma_f32 v82, v86, v82, -v88
	v_fmac_f32_e32 v82, v86, v79
	v_sub_f32_e32 v79, v90, v85
	v_add_f32_e32 v79, v83, v79
	v_add_f32_e32 v83, v88, v82
	v_sub_f32_e32 v89, v85, v83
	v_sub_f32_e32 v85, v85, v89
	;; [unrolled: 1-line block ×4, first 2 shown]
	v_add_f32_e32 v79, v79, v83
	v_sub_f32_e32 v82, v88, v82
	v_add_f32_e32 v79, v82, v79
	v_add_f32_e32 v82, v84, v86
	;; [unrolled: 1-line block ×3, first 2 shown]
	v_sub_f32_e32 v83, v82, v84
	v_mul_f32_e32 v79, v87, v79
	v_sub_f32_e32 v83, v86, v83
	v_add_f32_e32 v79, v83, v79
	v_cvt_f32_i32_e32 v78, v78
	v_add_f32_e32 v83, v82, v79
	v_mul_f32_e32 v84, v83, v83
	v_mov_b32_e32 v85, 0x3ecc95a3
	v_fmac_f32_e32 v85, 0x3e9b6dac, v84
	v_mov_b32_e32 v86, 0x3f2aaada
	v_fmac_f32_e32 v86, v84, v85
	v_mul_f32_e32 v85, 0x3f317218, v78
	v_fma_f32 v87, v78, s79, -v85
	v_fmac_f32_e32 v87, 0xb102e308, v78
	v_sub_f32_e32 v78, v83, v82
	v_sub_f32_e32 v78, v79, v78
	v_add_f32_e32 v79, v85, v87
	v_sub_f32_e32 v82, v79, v85
	v_ldexp_f32 v85, v83, 1
	v_mul_f32_e32 v83, v83, v84
	v_mul_f32_e32 v83, v83, v86
	v_add_f32_e32 v84, v85, v83
	v_sub_f32_e32 v85, v84, v85
	v_ldexp_f32 v78, v78, 1
	v_sub_f32_e32 v83, v83, v85
	v_add_f32_e32 v78, v78, v83
	v_add_f32_e32 v83, v84, v78
	v_sub_f32_e32 v84, v83, v84
	v_sub_f32_e32 v78, v78, v84
	v_add_f32_e32 v84, v79, v83
	v_sub_f32_e32 v85, v84, v79
	v_sub_f32_e32 v86, v84, v85
	;; [unrolled: 1-line block ×5, first 2 shown]
	v_add_f32_e32 v79, v83, v79
	v_add_f32_e32 v83, v82, v78
	v_sub_f32_e32 v85, v83, v82
	v_sub_f32_e32 v86, v83, v85
	;; [unrolled: 1-line block ×4, first 2 shown]
	v_add_f32_e32 v79, v83, v79
	v_add_f32_e32 v78, v78, v82
	;; [unrolled: 1-line block ×3, first 2 shown]
	v_sub_f32_e32 v83, v82, v84
	v_sub_f32_e32 v79, v79, v83
	v_add_f32_e32 v78, v78, v79
	v_add_f32_e32 v78, v82, v78
	v_cmp_neq_f32_e32 vcc, s78, v81
	s_mov_b32 s78, 0x33800000
	v_cndmask_b32_e32 v78, v80, v78, vcc
	v_cmp_lt_f32_e64 vcc, |v81|, s78
	v_cndmask_b32_e32 v78, v78, v81, vcc
	v_add_f32_e32 v78, v17, v78
.LBB507_163:
	s_or_b64 exec, exec, s[4:5]
	v_bfe_u32 v17, v78, 16, 1
	s_movk_i32 s4, 0x7fff
	v_add3_u32 v17, v78, v17, s4
	v_cmp_o_f32_e32 vcc, v78, v78
	v_mov_b32_e32 v78, 0x7fc0
	v_cndmask_b32_sdwa v89, v78, v17, vcc dst_sel:DWORD dst_unused:UNUSED_PAD src0_sel:DWORD src1_sel:WORD_1
	v_and_b32_e32 v17, 0xffff, v89
.LBB507_164:
	s_or_b64 exec, exec, s[74:75]
	v_cmp_gt_u32_e32 vcc, 56, v72
	s_waitcnt lgkmcnt(0)
	v_cndmask_b32_e64 v78, 0, 8, vcc
	v_add_lshl_u32 v78, v78, v18, 2
	ds_bpermute_b32 v80, v78, v17
	v_add_u32_e32 v79, 8, v72
	v_cmp_le_u32_e32 vcc, v79, v14
	s_and_saveexec_b64 s[74:75], vcc
	s_cbranch_execz .LBB507_168
; %bb.165:
	s_waitcnt lgkmcnt(0)
	v_lshlrev_b32_e32 v80, 16, v80
	v_lshlrev_b32_e32 v17, 16, v17
	v_max_f32_e32 v82, v17, v17
	v_max_f32_e32 v83, v80, v80
	v_min_f32_e32 v81, v83, v82
	v_cmp_u_f32_e32 vcc, v80, v80
	v_max_f32_e32 v82, v83, v82
	v_cndmask_b32_e32 v81, v81, v80, vcc
	v_cmp_u_f32_e64 s[4:5], v17, v17
	v_cndmask_b32_e32 v82, v82, v80, vcc
	v_cndmask_b32_e64 v81, v81, v17, s[4:5]
	v_cndmask_b32_e64 v17, v82, v17, s[4:5]
	s_movk_i32 s4, 0x1f8
	v_cmp_neq_f32_e32 vcc, v81, v17
	v_cmp_class_f32_e64 s[4:5], v81, s4
	s_or_b64 s[78:79], vcc, s[4:5]
	s_and_saveexec_b64 s[4:5], s[78:79]
	s_cbranch_execz .LBB507_167
; %bb.166:
	v_sub_f32_e32 v80, v81, v17
	s_mov_b32 s78, 0x3fb8aa3b
	v_mul_f32_e32 v81, 0x3fb8aa3b, v80
	v_fma_f32 v82, v80, s78, -v81
	v_rndne_f32_e32 v83, v81
	v_fmac_f32_e32 v82, 0x32a5705f, v80
	v_sub_f32_e32 v81, v81, v83
	v_add_f32_e32 v81, v81, v82
	v_exp_f32_e32 v81, v81
	v_cvt_i32_f32_e32 v82, v83
	s_mov_b32 s78, 0xc2ce8ed0
	v_cmp_ngt_f32_e32 vcc, s78, v80
	s_mov_b32 s78, 0x42b17218
	v_ldexp_f32 v81, v81, v82
	v_cndmask_b32_e32 v81, 0, v81, vcc
	v_mov_b32_e32 v82, 0x7f800000
	v_cmp_nlt_f32_e32 vcc, s78, v80
	v_cndmask_b32_e32 v83, v82, v81, vcc
	v_add_f32_e32 v84, 1.0, v83
	v_cvt_f64_f32_e32 v[80:81], v84
	v_add_f32_e32 v85, -1.0, v84
	v_sub_f32_e32 v86, v85, v84
	v_sub_f32_e32 v85, v83, v85
	v_frexp_exp_i32_f64_e32 v80, v[80:81]
	v_add_f32_e32 v81, 1.0, v86
	v_add_f32_e32 v81, v85, v81
	v_frexp_mant_f32_e32 v85, v84
	s_mov_b32 s79, 0x3f2aaaab
	v_cmp_gt_f32_e32 vcc, s79, v85
	s_mov_b32 s79, 0x3f317218
	s_mov_b32 s78, 0x7f800000
	v_subbrev_co_u32_e32 v80, vcc, 0, v80, vcc
	v_sub_u32_e32 v85, 0, v80
	v_ldexp_f32 v84, v84, v85
	v_ldexp_f32 v81, v81, v85
	v_add_f32_e32 v85, -1.0, v84
	v_add_f32_e32 v88, 1.0, v84
	v_add_f32_e32 v86, 1.0, v85
	v_add_f32_e32 v89, -1.0, v88
	v_sub_f32_e32 v86, v84, v86
	v_sub_f32_e32 v84, v84, v89
	v_add_f32_e32 v86, v81, v86
	v_add_f32_e32 v81, v81, v84
	;; [unrolled: 1-line block ×3, first 2 shown]
	v_rcp_f32_e32 v89, v84
	v_add_f32_e32 v87, v85, v86
	v_sub_f32_e32 v85, v85, v87
	v_add_f32_e32 v85, v86, v85
	v_sub_f32_e32 v86, v88, v84
	v_add_f32_e32 v81, v81, v86
	v_mul_f32_e32 v86, v87, v89
	v_mul_f32_e32 v88, v84, v86
	v_fma_f32 v90, v86, v84, -v88
	v_fmac_f32_e32 v90, v86, v81
	v_add_f32_e32 v91, v88, v90
	v_sub_f32_e32 v92, v87, v91
	v_sub_f32_e32 v87, v87, v92
	;; [unrolled: 1-line block ×4, first 2 shown]
	v_add_f32_e32 v85, v85, v87
	v_sub_f32_e32 v87, v88, v90
	v_add_f32_e32 v85, v87, v85
	v_add_f32_e32 v87, v92, v85
	v_mul_f32_e32 v88, v89, v87
	v_mul_f32_e32 v90, v84, v88
	v_fma_f32 v84, v88, v84, -v90
	v_fmac_f32_e32 v84, v88, v81
	v_sub_f32_e32 v81, v92, v87
	v_add_f32_e32 v81, v85, v81
	v_add_f32_e32 v85, v90, v84
	v_sub_f32_e32 v91, v87, v85
	v_sub_f32_e32 v87, v87, v91
	v_sub_f32_e32 v90, v85, v90
	v_sub_f32_e32 v85, v87, v85
	v_add_f32_e32 v81, v81, v85
	v_sub_f32_e32 v84, v90, v84
	v_add_f32_e32 v81, v84, v81
	v_add_f32_e32 v84, v86, v88
	;; [unrolled: 1-line block ×3, first 2 shown]
	v_sub_f32_e32 v85, v84, v86
	v_mul_f32_e32 v81, v89, v81
	v_sub_f32_e32 v85, v88, v85
	v_add_f32_e32 v81, v85, v81
	v_cvt_f32_i32_e32 v80, v80
	v_add_f32_e32 v85, v84, v81
	v_mul_f32_e32 v86, v85, v85
	v_mov_b32_e32 v87, 0x3ecc95a3
	v_fmac_f32_e32 v87, 0x3e9b6dac, v86
	v_mov_b32_e32 v88, 0x3f2aaada
	v_fmac_f32_e32 v88, v86, v87
	v_mul_f32_e32 v87, 0x3f317218, v80
	v_fma_f32 v89, v80, s79, -v87
	v_fmac_f32_e32 v89, 0xb102e308, v80
	v_sub_f32_e32 v80, v85, v84
	v_sub_f32_e32 v80, v81, v80
	v_add_f32_e32 v81, v87, v89
	v_sub_f32_e32 v84, v81, v87
	v_ldexp_f32 v87, v85, 1
	v_mul_f32_e32 v85, v85, v86
	v_mul_f32_e32 v85, v85, v88
	v_add_f32_e32 v86, v87, v85
	v_sub_f32_e32 v87, v86, v87
	v_ldexp_f32 v80, v80, 1
	v_sub_f32_e32 v85, v85, v87
	v_add_f32_e32 v80, v80, v85
	v_add_f32_e32 v85, v86, v80
	v_sub_f32_e32 v86, v85, v86
	v_sub_f32_e32 v80, v80, v86
	v_add_f32_e32 v86, v81, v85
	v_sub_f32_e32 v87, v86, v81
	v_sub_f32_e32 v88, v86, v87
	;; [unrolled: 1-line block ×5, first 2 shown]
	v_add_f32_e32 v81, v85, v81
	v_add_f32_e32 v85, v84, v80
	v_sub_f32_e32 v87, v85, v84
	v_sub_f32_e32 v88, v85, v87
	;; [unrolled: 1-line block ×4, first 2 shown]
	v_add_f32_e32 v81, v85, v81
	v_add_f32_e32 v80, v80, v84
	;; [unrolled: 1-line block ×3, first 2 shown]
	v_sub_f32_e32 v85, v84, v86
	v_sub_f32_e32 v81, v81, v85
	v_add_f32_e32 v80, v80, v81
	v_add_f32_e32 v80, v84, v80
	v_cmp_neq_f32_e32 vcc, s78, v83
	s_mov_b32 s78, 0x33800000
	v_cndmask_b32_e32 v80, v82, v80, vcc
	v_cmp_lt_f32_e64 vcc, |v83|, s78
	v_cndmask_b32_e32 v80, v80, v83, vcc
	v_add_f32_e32 v80, v17, v80
.LBB507_167:
	s_or_b64 exec, exec, s[4:5]
	v_bfe_u32 v17, v80, 16, 1
	s_movk_i32 s4, 0x7fff
	v_add3_u32 v17, v80, v17, s4
	v_cmp_o_f32_e32 vcc, v80, v80
	v_mov_b32_e32 v80, 0x7fc0
	v_cndmask_b32_sdwa v89, v80, v17, vcc dst_sel:DWORD dst_unused:UNUSED_PAD src0_sel:DWORD src1_sel:WORD_1
	v_and_b32_e32 v17, 0xffff, v89
.LBB507_168:
	s_or_b64 exec, exec, s[74:75]
	v_cmp_gt_u32_e32 vcc, 48, v72
	s_waitcnt lgkmcnt(0)
	v_cndmask_b32_e64 v80, 0, 16, vcc
	v_add_lshl_u32 v80, v80, v18, 2
	ds_bpermute_b32 v82, v80, v17
	v_add_u32_e32 v81, 16, v72
	v_cmp_le_u32_e32 vcc, v81, v14
	s_and_saveexec_b64 s[74:75], vcc
	s_cbranch_execz .LBB507_172
; %bb.169:
	s_waitcnt lgkmcnt(0)
	v_lshlrev_b32_e32 v82, 16, v82
	v_lshlrev_b32_e32 v17, 16, v17
	v_max_f32_e32 v84, v17, v17
	v_max_f32_e32 v85, v82, v82
	v_min_f32_e32 v83, v85, v84
	v_cmp_u_f32_e32 vcc, v82, v82
	v_max_f32_e32 v84, v85, v84
	v_cndmask_b32_e32 v83, v83, v82, vcc
	v_cmp_u_f32_e64 s[4:5], v17, v17
	v_cndmask_b32_e32 v84, v84, v82, vcc
	v_cndmask_b32_e64 v83, v83, v17, s[4:5]
	v_cndmask_b32_e64 v17, v84, v17, s[4:5]
	s_movk_i32 s4, 0x1f8
	v_cmp_neq_f32_e32 vcc, v83, v17
	v_cmp_class_f32_e64 s[4:5], v83, s4
	s_or_b64 s[78:79], vcc, s[4:5]
	s_and_saveexec_b64 s[4:5], s[78:79]
	s_cbranch_execz .LBB507_171
; %bb.170:
	v_sub_f32_e32 v82, v83, v17
	s_mov_b32 s78, 0x3fb8aa3b
	v_mul_f32_e32 v83, 0x3fb8aa3b, v82
	v_fma_f32 v84, v82, s78, -v83
	v_rndne_f32_e32 v85, v83
	v_fmac_f32_e32 v84, 0x32a5705f, v82
	v_sub_f32_e32 v83, v83, v85
	v_add_f32_e32 v83, v83, v84
	v_exp_f32_e32 v83, v83
	v_cvt_i32_f32_e32 v84, v85
	s_mov_b32 s78, 0xc2ce8ed0
	v_cmp_ngt_f32_e32 vcc, s78, v82
	s_mov_b32 s78, 0x42b17218
	v_ldexp_f32 v83, v83, v84
	v_cndmask_b32_e32 v83, 0, v83, vcc
	v_mov_b32_e32 v84, 0x7f800000
	v_cmp_nlt_f32_e32 vcc, s78, v82
	v_cndmask_b32_e32 v85, v84, v83, vcc
	v_add_f32_e32 v86, 1.0, v85
	v_cvt_f64_f32_e32 v[82:83], v86
	v_add_f32_e32 v87, -1.0, v86
	v_sub_f32_e32 v88, v87, v86
	v_sub_f32_e32 v87, v85, v87
	v_frexp_exp_i32_f64_e32 v82, v[82:83]
	v_add_f32_e32 v83, 1.0, v88
	v_add_f32_e32 v83, v87, v83
	v_frexp_mant_f32_e32 v87, v86
	s_mov_b32 s79, 0x3f2aaaab
	v_cmp_gt_f32_e32 vcc, s79, v87
	s_mov_b32 s79, 0x3f317218
	s_mov_b32 s78, 0x7f800000
	v_subbrev_co_u32_e32 v82, vcc, 0, v82, vcc
	v_sub_u32_e32 v87, 0, v82
	v_ldexp_f32 v86, v86, v87
	v_ldexp_f32 v83, v83, v87
	v_add_f32_e32 v87, -1.0, v86
	v_add_f32_e32 v90, 1.0, v86
	v_add_f32_e32 v88, 1.0, v87
	v_add_f32_e32 v91, -1.0, v90
	v_sub_f32_e32 v88, v86, v88
	v_sub_f32_e32 v86, v86, v91
	v_add_f32_e32 v88, v83, v88
	v_add_f32_e32 v83, v83, v86
	;; [unrolled: 1-line block ×3, first 2 shown]
	v_rcp_f32_e32 v91, v86
	v_add_f32_e32 v89, v87, v88
	v_sub_f32_e32 v87, v87, v89
	v_add_f32_e32 v87, v88, v87
	v_sub_f32_e32 v88, v90, v86
	v_add_f32_e32 v83, v83, v88
	v_mul_f32_e32 v88, v89, v91
	v_mul_f32_e32 v90, v86, v88
	v_fma_f32 v92, v88, v86, -v90
	v_fmac_f32_e32 v92, v88, v83
	v_add_f32_e32 v93, v90, v92
	v_sub_f32_e32 v94, v89, v93
	v_sub_f32_e32 v89, v89, v94
	;; [unrolled: 1-line block ×4, first 2 shown]
	v_add_f32_e32 v87, v87, v89
	v_sub_f32_e32 v89, v90, v92
	v_add_f32_e32 v87, v89, v87
	v_add_f32_e32 v89, v94, v87
	v_mul_f32_e32 v90, v91, v89
	v_mul_f32_e32 v92, v86, v90
	v_fma_f32 v86, v90, v86, -v92
	v_fmac_f32_e32 v86, v90, v83
	v_sub_f32_e32 v83, v94, v89
	v_add_f32_e32 v83, v87, v83
	v_add_f32_e32 v87, v92, v86
	v_sub_f32_e32 v93, v89, v87
	v_sub_f32_e32 v89, v89, v93
	;; [unrolled: 1-line block ×4, first 2 shown]
	v_add_f32_e32 v83, v83, v87
	v_sub_f32_e32 v86, v92, v86
	v_add_f32_e32 v83, v86, v83
	v_add_f32_e32 v86, v88, v90
	;; [unrolled: 1-line block ×3, first 2 shown]
	v_sub_f32_e32 v87, v86, v88
	v_mul_f32_e32 v83, v91, v83
	v_sub_f32_e32 v87, v90, v87
	v_add_f32_e32 v83, v87, v83
	v_cvt_f32_i32_e32 v82, v82
	v_add_f32_e32 v87, v86, v83
	v_mul_f32_e32 v88, v87, v87
	v_mov_b32_e32 v89, 0x3ecc95a3
	v_fmac_f32_e32 v89, 0x3e9b6dac, v88
	v_mov_b32_e32 v90, 0x3f2aaada
	v_fmac_f32_e32 v90, v88, v89
	v_mul_f32_e32 v89, 0x3f317218, v82
	v_fma_f32 v91, v82, s79, -v89
	v_fmac_f32_e32 v91, 0xb102e308, v82
	v_sub_f32_e32 v82, v87, v86
	v_sub_f32_e32 v82, v83, v82
	v_add_f32_e32 v83, v89, v91
	v_sub_f32_e32 v86, v83, v89
	v_ldexp_f32 v89, v87, 1
	v_mul_f32_e32 v87, v87, v88
	v_mul_f32_e32 v87, v87, v90
	v_add_f32_e32 v88, v89, v87
	v_sub_f32_e32 v89, v88, v89
	v_ldexp_f32 v82, v82, 1
	v_sub_f32_e32 v87, v87, v89
	v_add_f32_e32 v82, v82, v87
	v_add_f32_e32 v87, v88, v82
	v_sub_f32_e32 v88, v87, v88
	v_sub_f32_e32 v82, v82, v88
	v_add_f32_e32 v88, v83, v87
	v_sub_f32_e32 v89, v88, v83
	v_sub_f32_e32 v90, v88, v89
	;; [unrolled: 1-line block ×5, first 2 shown]
	v_add_f32_e32 v83, v87, v83
	v_add_f32_e32 v87, v86, v82
	v_sub_f32_e32 v89, v87, v86
	v_sub_f32_e32 v90, v87, v89
	;; [unrolled: 1-line block ×4, first 2 shown]
	v_add_f32_e32 v83, v87, v83
	v_add_f32_e32 v82, v82, v86
	;; [unrolled: 1-line block ×3, first 2 shown]
	v_sub_f32_e32 v87, v86, v88
	v_sub_f32_e32 v83, v83, v87
	v_add_f32_e32 v82, v82, v83
	v_add_f32_e32 v82, v86, v82
	v_cmp_neq_f32_e32 vcc, s78, v85
	s_mov_b32 s78, 0x33800000
	v_cndmask_b32_e32 v82, v84, v82, vcc
	v_cmp_lt_f32_e64 vcc, |v85|, s78
	v_cndmask_b32_e32 v82, v82, v85, vcc
	v_add_f32_e32 v82, v17, v82
.LBB507_171:
	s_or_b64 exec, exec, s[4:5]
	v_bfe_u32 v17, v82, 16, 1
	s_movk_i32 s4, 0x7fff
	v_add3_u32 v17, v82, v17, s4
	v_cmp_o_f32_e32 vcc, v82, v82
	v_mov_b32_e32 v82, 0x7fc0
	v_cndmask_b32_sdwa v89, v82, v17, vcc dst_sel:DWORD dst_unused:UNUSED_PAD src0_sel:DWORD src1_sel:WORD_1
	v_and_b32_e32 v17, 0xffff, v89
.LBB507_172:
	s_or_b64 exec, exec, s[74:75]
	s_waitcnt lgkmcnt(0)
	v_mov_b32_e32 v82, 0x80
	v_lshl_or_b32 v82, v18, 2, v82
	ds_bpermute_b32 v18, v82, v17
	v_add_u32_e32 v83, 32, v72
	v_cmp_le_u32_e32 vcc, v83, v14
	s_and_saveexec_b64 s[74:75], vcc
	s_cbranch_execz .LBB507_176
; %bb.173:
	s_waitcnt lgkmcnt(0)
	v_lshlrev_b32_e32 v18, 16, v18
	v_lshlrev_b32_e32 v14, 16, v17
	v_max_f32_e32 v84, v14, v14
	v_max_f32_e32 v85, v18, v18
	v_min_f32_e32 v17, v85, v84
	v_cmp_u_f32_e32 vcc, v18, v18
	v_max_f32_e32 v84, v85, v84
	v_cndmask_b32_e32 v17, v17, v18, vcc
	v_cmp_u_f32_e64 s[4:5], v14, v14
	v_cndmask_b32_e32 v84, v84, v18, vcc
	v_cndmask_b32_e64 v17, v17, v14, s[4:5]
	v_cndmask_b32_e64 v14, v84, v14, s[4:5]
	s_movk_i32 s4, 0x1f8
	v_cmp_neq_f32_e32 vcc, v17, v14
	v_cmp_class_f32_e64 s[4:5], v17, s4
	s_or_b64 s[78:79], vcc, s[4:5]
	s_and_saveexec_b64 s[4:5], s[78:79]
	s_cbranch_execz .LBB507_175
; %bb.174:
	v_sub_f32_e32 v17, v17, v14
	s_mov_b32 s78, 0x3fb8aa3b
	v_mul_f32_e32 v18, 0x3fb8aa3b, v17
	v_fma_f32 v84, v17, s78, -v18
	v_rndne_f32_e32 v85, v18
	v_fmac_f32_e32 v84, 0x32a5705f, v17
	v_sub_f32_e32 v18, v18, v85
	v_add_f32_e32 v18, v18, v84
	v_exp_f32_e32 v18, v18
	v_cvt_i32_f32_e32 v84, v85
	s_mov_b32 s78, 0xc2ce8ed0
	v_cmp_ngt_f32_e32 vcc, s78, v17
	s_mov_b32 s78, 0x42b17218
	v_ldexp_f32 v18, v18, v84
	v_cndmask_b32_e32 v18, 0, v18, vcc
	v_mov_b32_e32 v84, 0x7f800000
	v_cmp_nlt_f32_e32 vcc, s78, v17
	v_cndmask_b32_e32 v85, v84, v18, vcc
	v_add_f32_e32 v86, 1.0, v85
	v_cvt_f64_f32_e32 v[17:18], v86
	v_add_f32_e32 v87, -1.0, v86
	v_sub_f32_e32 v88, v87, v86
	v_sub_f32_e32 v87, v85, v87
	v_frexp_exp_i32_f64_e32 v17, v[17:18]
	v_add_f32_e32 v18, 1.0, v88
	v_add_f32_e32 v18, v87, v18
	v_frexp_mant_f32_e32 v87, v86
	s_mov_b32 s79, 0x3f2aaaab
	v_cmp_gt_f32_e32 vcc, s79, v87
	s_mov_b32 s79, 0x3f317218
	s_mov_b32 s78, 0x7f800000
	v_subbrev_co_u32_e32 v17, vcc, 0, v17, vcc
	v_sub_u32_e32 v87, 0, v17
	v_ldexp_f32 v86, v86, v87
	v_ldexp_f32 v18, v18, v87
	v_add_f32_e32 v87, -1.0, v86
	v_add_f32_e32 v90, 1.0, v86
	v_add_f32_e32 v88, 1.0, v87
	v_add_f32_e32 v91, -1.0, v90
	v_sub_f32_e32 v88, v86, v88
	v_sub_f32_e32 v86, v86, v91
	v_add_f32_e32 v88, v18, v88
	v_add_f32_e32 v18, v18, v86
	;; [unrolled: 1-line block ×3, first 2 shown]
	v_rcp_f32_e32 v91, v86
	v_add_f32_e32 v89, v87, v88
	v_sub_f32_e32 v87, v87, v89
	v_add_f32_e32 v87, v88, v87
	v_sub_f32_e32 v88, v90, v86
	v_add_f32_e32 v18, v18, v88
	v_mul_f32_e32 v88, v89, v91
	v_mul_f32_e32 v90, v86, v88
	v_fma_f32 v92, v88, v86, -v90
	v_fmac_f32_e32 v92, v88, v18
	v_add_f32_e32 v93, v90, v92
	v_sub_f32_e32 v94, v89, v93
	v_sub_f32_e32 v89, v89, v94
	;; [unrolled: 1-line block ×4, first 2 shown]
	v_add_f32_e32 v87, v87, v89
	v_sub_f32_e32 v89, v90, v92
	v_add_f32_e32 v87, v89, v87
	v_add_f32_e32 v89, v94, v87
	v_mul_f32_e32 v90, v91, v89
	v_mul_f32_e32 v92, v86, v90
	v_fma_f32 v86, v90, v86, -v92
	v_fmac_f32_e32 v86, v90, v18
	v_sub_f32_e32 v18, v94, v89
	v_add_f32_e32 v18, v87, v18
	v_add_f32_e32 v87, v92, v86
	v_sub_f32_e32 v93, v89, v87
	v_sub_f32_e32 v89, v89, v93
	;; [unrolled: 1-line block ×4, first 2 shown]
	v_add_f32_e32 v18, v18, v87
	v_sub_f32_e32 v86, v92, v86
	v_add_f32_e32 v18, v86, v18
	v_add_f32_e32 v86, v88, v90
	;; [unrolled: 1-line block ×3, first 2 shown]
	v_sub_f32_e32 v87, v86, v88
	v_mul_f32_e32 v18, v91, v18
	v_sub_f32_e32 v87, v90, v87
	v_add_f32_e32 v18, v87, v18
	v_cvt_f32_i32_e32 v17, v17
	v_add_f32_e32 v87, v86, v18
	v_mul_f32_e32 v88, v87, v87
	v_mov_b32_e32 v89, 0x3ecc95a3
	v_fmac_f32_e32 v89, 0x3e9b6dac, v88
	v_mov_b32_e32 v90, 0x3f2aaada
	v_fmac_f32_e32 v90, v88, v89
	v_mul_f32_e32 v89, 0x3f317218, v17
	v_fma_f32 v91, v17, s79, -v89
	v_fmac_f32_e32 v91, 0xb102e308, v17
	v_sub_f32_e32 v17, v87, v86
	v_sub_f32_e32 v17, v18, v17
	v_add_f32_e32 v18, v89, v91
	v_sub_f32_e32 v86, v18, v89
	v_ldexp_f32 v89, v87, 1
	v_mul_f32_e32 v87, v87, v88
	v_mul_f32_e32 v87, v87, v90
	v_add_f32_e32 v88, v89, v87
	v_sub_f32_e32 v89, v88, v89
	v_ldexp_f32 v17, v17, 1
	v_sub_f32_e32 v87, v87, v89
	v_add_f32_e32 v17, v17, v87
	v_add_f32_e32 v87, v88, v17
	v_sub_f32_e32 v88, v87, v88
	v_sub_f32_e32 v17, v17, v88
	v_add_f32_e32 v88, v18, v87
	v_sub_f32_e32 v89, v88, v18
	v_sub_f32_e32 v90, v88, v89
	;; [unrolled: 1-line block ×5, first 2 shown]
	v_add_f32_e32 v18, v87, v18
	v_add_f32_e32 v87, v86, v17
	v_sub_f32_e32 v89, v87, v86
	v_sub_f32_e32 v90, v87, v89
	;; [unrolled: 1-line block ×4, first 2 shown]
	v_add_f32_e32 v18, v87, v18
	v_add_f32_e32 v17, v17, v86
	;; [unrolled: 1-line block ×3, first 2 shown]
	v_sub_f32_e32 v87, v86, v88
	v_sub_f32_e32 v18, v18, v87
	v_add_f32_e32 v17, v17, v18
	v_add_f32_e32 v17, v86, v17
	v_cmp_neq_f32_e32 vcc, s78, v85
	s_mov_b32 s78, 0x33800000
	v_cndmask_b32_e32 v17, v84, v17, vcc
	v_cmp_lt_f32_e64 vcc, |v85|, s78
	v_cndmask_b32_e32 v17, v17, v85, vcc
	v_add_f32_e32 v18, v14, v17
.LBB507_175:
	s_or_b64 exec, exec, s[4:5]
	v_bfe_u32 v14, v18, 16, 1
	s_movk_i32 s4, 0x7fff
	v_add3_u32 v14, v18, v14, s4
	v_cmp_o_f32_e32 vcc, v18, v18
	v_mov_b32_e32 v17, 0x7fc0
	v_cndmask_b32_sdwa v89, v17, v14, vcc dst_sel:DWORD dst_unused:UNUSED_PAD src0_sel:DWORD src1_sel:WORD_1
.LBB507_176:
	s_or_b64 exec, exec, s[74:75]
	v_mov_b32_e32 v14, 0
	s_movk_i32 s78, 0x1f8
	s_mov_b32 s79, 0x3fb8aa3b
	s_mov_b32 s84, 0xc2ce8ed0
	;; [unrolled: 1-line block ×5, first 2 shown]
	v_mov_b32_e32 v85, 0x3f2aaada
	s_mov_b32 s88, 0x3f317218
	s_mov_b32 s89, 0x33800000
	s_movk_i32 s90, 0x7fff
	v_mov_b32_e32 v86, 2
	v_mov_b32_e32 v87, 0x7f800000
	;; [unrolled: 1-line block ×3, first 2 shown]
	s_branch .LBB507_179
.LBB507_177:                            ;   in Loop: Header=BB507_179 Depth=1
	s_or_b64 exec, exec, s[4:5]
	v_bfe_u32 v17, v18, 16, 1
	v_add3_u32 v17, v18, v17, s90
	v_cmp_o_f32_e32 vcc, v18, v18
	v_subrev_u32_e32 v13, 64, v13
	v_cndmask_b32_sdwa v89, v88, v17, vcc dst_sel:DWORD dst_unused:UNUSED_PAD src0_sel:DWORD src1_sel:WORD_1
	s_mov_b64 s[4:5], 0
.LBB507_178:                            ;   in Loop: Header=BB507_179 Depth=1
	s_and_b64 vcc, exec, s[4:5]
	s_cbranch_vccnz .LBB507_211
.LBB507_179:                            ; =>This Loop Header: Depth=1
                                        ;     Child Loop BB507_182 Depth 2
	v_cmp_ne_u16_sdwa s[4:5], v71, v86 src0_sel:BYTE_0 src1_sel:DWORD
	v_mov_b32_e32 v84, v89
	s_cmp_lg_u64 s[4:5], exec
	s_mov_b64 s[4:5], -1
                                        ; implicit-def: $vgpr89
                                        ; implicit-def: $vgpr71
	s_cbranch_scc1 .LBB507_178
; %bb.180:                              ;   in Loop: Header=BB507_179 Depth=1
	s_waitcnt lgkmcnt(0)
	v_lshlrev_b64 v[17:18], 2, v[13:14]
	v_mov_b32_e32 v71, s81
	v_add_co_u32_e32 v17, vcc, s80, v17
	v_addc_co_u32_e32 v18, vcc, v71, v18, vcc
	global_load_dword v89, v[17:18], off glc
	s_waitcnt vmcnt(0)
	v_lshrrev_b32_e32 v71, 16, v89
	v_cmp_eq_u16_sdwa s[74:75], v71, v14 src0_sel:BYTE_0 src1_sel:DWORD
	s_and_saveexec_b64 s[4:5], s[74:75]
	s_cbranch_execz .LBB507_184
; %bb.181:                              ;   in Loop: Header=BB507_179 Depth=1
	s_mov_b64 s[74:75], 0
.LBB507_182:                            ;   Parent Loop BB507_179 Depth=1
                                        ; =>  This Inner Loop Header: Depth=2
	global_load_dword v89, v[17:18], off glc
	s_waitcnt vmcnt(0)
	v_lshrrev_b32_e32 v71, 16, v89
	v_cmp_ne_u16_sdwa s[92:93], v71, v14 src0_sel:BYTE_0 src1_sel:DWORD
	s_or_b64 s[74:75], s[92:93], s[74:75]
	s_andn2_b64 exec, exec, s[74:75]
	s_cbranch_execnz .LBB507_182
; %bb.183:                              ;   in Loop: Header=BB507_179 Depth=1
	s_or_b64 exec, exec, s[74:75]
.LBB507_184:                            ;   in Loop: Header=BB507_179 Depth=1
	s_or_b64 exec, exec, s[4:5]
	v_cmp_eq_u16_sdwa s[4:5], v71, v86 src0_sel:BYTE_0 src1_sel:DWORD
	v_and_b32_e32 v17, s5, v16
	v_and_b32_e32 v18, 0xffff, v89
	v_or_b32_e32 v17, 0x80000000, v17
	ds_bpermute_b32 v90, v73, v18
	v_and_b32_e32 v91, s4, v15
	v_ffbl_b32_e32 v17, v17
	v_add_u32_e32 v17, 32, v17
	v_ffbl_b32_e32 v91, v91
	v_min_u32_e32 v17, v91, v17
	v_cmp_lt_u32_e32 vcc, v72, v17
	s_and_saveexec_b64 s[74:75], vcc
	s_cbranch_execz .LBB507_188
; %bb.185:                              ;   in Loop: Header=BB507_179 Depth=1
	s_waitcnt lgkmcnt(0)
	v_lshlrev_b32_e32 v89, 16, v90
	v_lshlrev_b32_e32 v18, 16, v18
	v_max_f32_e32 v91, v18, v18
	v_max_f32_e32 v92, v89, v89
	v_min_f32_e32 v90, v92, v91
	v_cmp_u_f32_e32 vcc, v89, v89
	v_max_f32_e32 v91, v92, v91
	v_cndmask_b32_e32 v90, v90, v89, vcc
	v_cmp_u_f32_e64 s[4:5], v18, v18
	v_cndmask_b32_e32 v91, v91, v89, vcc
	v_cndmask_b32_e64 v90, v90, v18, s[4:5]
	v_cndmask_b32_e64 v18, v91, v18, s[4:5]
	v_cmp_neq_f32_e32 vcc, v90, v18
	v_cmp_class_f32_e64 s[4:5], v90, s78
	s_or_b64 s[92:93], vcc, s[4:5]
	s_and_saveexec_b64 s[4:5], s[92:93]
	s_cbranch_execz .LBB507_187
; %bb.186:                              ;   in Loop: Header=BB507_179 Depth=1
	v_sub_f32_e32 v89, v90, v18
	v_mul_f32_e32 v90, 0x3fb8aa3b, v89
	v_fma_f32 v91, v89, s79, -v90
	v_rndne_f32_e32 v92, v90
	v_fmac_f32_e32 v91, 0x32a5705f, v89
	v_sub_f32_e32 v90, v90, v92
	v_add_f32_e32 v90, v90, v91
	v_cvt_i32_f32_e32 v91, v92
	v_exp_f32_e32 v90, v90
	v_cmp_ngt_f32_e32 vcc, s84, v89
	v_ldexp_f32 v90, v90, v91
	v_cndmask_b32_e32 v90, 0, v90, vcc
	v_cmp_nlt_f32_e32 vcc, s85, v89
	v_cndmask_b32_e32 v91, v87, v90, vcc
	v_add_f32_e32 v92, 1.0, v91
	v_cvt_f64_f32_e32 v[89:90], v92
	v_add_f32_e32 v93, -1.0, v92
	v_sub_f32_e32 v94, v93, v92
	v_sub_f32_e32 v93, v91, v93
	v_frexp_exp_i32_f64_e32 v89, v[89:90]
	v_frexp_mant_f32_e32 v90, v92
	v_cmp_gt_f32_e32 vcc, s87, v90
	v_add_f32_e32 v94, 1.0, v94
	v_add_f32_e32 v93, v93, v94
	v_subbrev_co_u32_e32 v89, vcc, 0, v89, vcc
	v_sub_u32_e32 v90, 0, v89
	v_ldexp_f32 v92, v92, v90
	v_ldexp_f32 v90, v93, v90
	v_add_f32_e32 v93, -1.0, v92
	v_add_f32_e32 v96, 1.0, v92
	v_add_f32_e32 v94, 1.0, v93
	v_add_f32_e32 v97, -1.0, v96
	v_sub_f32_e32 v94, v92, v94
	v_sub_f32_e32 v92, v92, v97
	v_add_f32_e32 v94, v90, v94
	v_add_f32_e32 v90, v90, v92
	;; [unrolled: 1-line block ×3, first 2 shown]
	v_rcp_f32_e32 v97, v92
	v_add_f32_e32 v95, v93, v94
	v_sub_f32_e32 v93, v93, v95
	v_add_f32_e32 v93, v94, v93
	v_sub_f32_e32 v94, v96, v92
	v_add_f32_e32 v90, v90, v94
	v_mul_f32_e32 v94, v95, v97
	v_mul_f32_e32 v96, v92, v94
	v_fma_f32 v98, v94, v92, -v96
	v_fmac_f32_e32 v98, v94, v90
	v_add_f32_e32 v99, v96, v98
	v_sub_f32_e32 v100, v95, v99
	v_sub_f32_e32 v95, v95, v100
	;; [unrolled: 1-line block ×4, first 2 shown]
	v_add_f32_e32 v93, v93, v95
	v_sub_f32_e32 v95, v96, v98
	v_add_f32_e32 v93, v95, v93
	v_add_f32_e32 v95, v100, v93
	v_mul_f32_e32 v96, v97, v95
	v_mul_f32_e32 v98, v92, v96
	v_fma_f32 v92, v96, v92, -v98
	v_fmac_f32_e32 v92, v96, v90
	v_sub_f32_e32 v90, v100, v95
	v_add_f32_e32 v90, v93, v90
	v_add_f32_e32 v93, v98, v92
	v_sub_f32_e32 v99, v95, v93
	v_sub_f32_e32 v95, v95, v99
	;; [unrolled: 1-line block ×4, first 2 shown]
	v_add_f32_e32 v90, v90, v93
	v_sub_f32_e32 v92, v98, v92
	v_cvt_f32_i32_e32 v89, v89
	v_add_f32_e32 v90, v92, v90
	v_add_f32_e32 v92, v94, v96
	;; [unrolled: 1-line block ×3, first 2 shown]
	v_sub_f32_e32 v93, v92, v94
	v_mul_f32_e32 v90, v97, v90
	v_sub_f32_e32 v93, v96, v93
	v_add_f32_e32 v90, v93, v90
	v_mul_f32_e32 v96, 0x3f317218, v89
	v_add_f32_e32 v93, v92, v90
	v_fma_f32 v97, v89, s88, -v96
	v_mul_f32_e32 v94, v93, v93
	v_mov_b32_e32 v95, 0x3ecc95a3
	v_fmac_f32_e32 v97, 0xb102e308, v89
	v_sub_f32_e32 v89, v93, v92
	v_fmac_f32_e32 v95, 0x3e9b6dac, v94
	v_sub_f32_e32 v89, v90, v89
	v_add_f32_e32 v90, v96, v97
	v_fma_f32 v95, v94, v95, v85
	v_sub_f32_e32 v92, v90, v96
	v_ldexp_f32 v96, v93, 1
	v_mul_f32_e32 v93, v93, v94
	v_mul_f32_e32 v93, v93, v95
	v_add_f32_e32 v94, v96, v93
	v_sub_f32_e32 v95, v94, v96
	v_ldexp_f32 v89, v89, 1
	v_sub_f32_e32 v93, v93, v95
	v_add_f32_e32 v89, v89, v93
	v_add_f32_e32 v93, v94, v89
	v_sub_f32_e32 v94, v93, v94
	v_sub_f32_e32 v89, v89, v94
	v_add_f32_e32 v94, v90, v93
	v_sub_f32_e32 v95, v94, v90
	v_sub_f32_e32 v96, v94, v95
	;; [unrolled: 1-line block ×5, first 2 shown]
	v_add_f32_e32 v90, v93, v90
	v_add_f32_e32 v93, v92, v89
	v_sub_f32_e32 v95, v93, v92
	v_sub_f32_e32 v96, v93, v95
	;; [unrolled: 1-line block ×4, first 2 shown]
	v_add_f32_e32 v90, v93, v90
	v_add_f32_e32 v89, v89, v92
	;; [unrolled: 1-line block ×3, first 2 shown]
	v_sub_f32_e32 v93, v92, v94
	v_sub_f32_e32 v90, v90, v93
	v_add_f32_e32 v89, v89, v90
	v_add_f32_e32 v89, v92, v89
	v_cmp_neq_f32_e32 vcc, s86, v91
	v_cndmask_b32_e32 v89, v87, v89, vcc
	v_cmp_lt_f32_e64 vcc, |v91|, s89
	v_cndmask_b32_e32 v89, v89, v91, vcc
	v_add_f32_e32 v89, v18, v89
.LBB507_187:                            ;   in Loop: Header=BB507_179 Depth=1
	s_or_b64 exec, exec, s[4:5]
	v_bfe_u32 v18, v89, 16, 1
	v_add3_u32 v18, v89, v18, s90
	v_cmp_o_f32_e32 vcc, v89, v89
	v_cndmask_b32_sdwa v89, v88, v18, vcc dst_sel:DWORD dst_unused:UNUSED_PAD src0_sel:DWORD src1_sel:WORD_1
	v_and_b32_e32 v18, 0xffff, v89
.LBB507_188:                            ;   in Loop: Header=BB507_179 Depth=1
	s_or_b64 exec, exec, s[74:75]
	s_waitcnt lgkmcnt(0)
	ds_bpermute_b32 v90, v74, v18
	v_cmp_le_u32_e32 vcc, v75, v17
	s_and_saveexec_b64 s[74:75], vcc
	s_cbranch_execz .LBB507_192
; %bb.189:                              ;   in Loop: Header=BB507_179 Depth=1
	s_waitcnt lgkmcnt(0)
	v_lshlrev_b32_e32 v89, 16, v90
	v_lshlrev_b32_e32 v18, 16, v18
	v_max_f32_e32 v91, v18, v18
	v_max_f32_e32 v92, v89, v89
	v_min_f32_e32 v90, v92, v91
	v_cmp_u_f32_e32 vcc, v89, v89
	v_max_f32_e32 v91, v92, v91
	v_cndmask_b32_e32 v90, v90, v89, vcc
	v_cmp_u_f32_e64 s[4:5], v18, v18
	v_cndmask_b32_e32 v91, v91, v89, vcc
	v_cndmask_b32_e64 v90, v90, v18, s[4:5]
	v_cndmask_b32_e64 v18, v91, v18, s[4:5]
	v_cmp_neq_f32_e32 vcc, v90, v18
	v_cmp_class_f32_e64 s[4:5], v90, s78
	s_or_b64 s[92:93], vcc, s[4:5]
	s_and_saveexec_b64 s[4:5], s[92:93]
	s_cbranch_execz .LBB507_191
; %bb.190:                              ;   in Loop: Header=BB507_179 Depth=1
	v_sub_f32_e32 v89, v90, v18
	v_mul_f32_e32 v90, 0x3fb8aa3b, v89
	v_fma_f32 v91, v89, s79, -v90
	v_rndne_f32_e32 v92, v90
	v_fmac_f32_e32 v91, 0x32a5705f, v89
	v_sub_f32_e32 v90, v90, v92
	v_add_f32_e32 v90, v90, v91
	v_cvt_i32_f32_e32 v91, v92
	v_exp_f32_e32 v90, v90
	v_cmp_ngt_f32_e32 vcc, s84, v89
	v_ldexp_f32 v90, v90, v91
	v_cndmask_b32_e32 v90, 0, v90, vcc
	v_cmp_nlt_f32_e32 vcc, s85, v89
	v_cndmask_b32_e32 v91, v87, v90, vcc
	v_add_f32_e32 v92, 1.0, v91
	v_cvt_f64_f32_e32 v[89:90], v92
	v_add_f32_e32 v93, -1.0, v92
	v_sub_f32_e32 v94, v93, v92
	v_sub_f32_e32 v93, v91, v93
	v_frexp_exp_i32_f64_e32 v89, v[89:90]
	v_frexp_mant_f32_e32 v90, v92
	v_cmp_gt_f32_e32 vcc, s87, v90
	v_add_f32_e32 v94, 1.0, v94
	v_add_f32_e32 v93, v93, v94
	v_subbrev_co_u32_e32 v89, vcc, 0, v89, vcc
	v_sub_u32_e32 v90, 0, v89
	v_ldexp_f32 v92, v92, v90
	v_ldexp_f32 v90, v93, v90
	v_add_f32_e32 v93, -1.0, v92
	v_add_f32_e32 v96, 1.0, v92
	v_add_f32_e32 v94, 1.0, v93
	v_add_f32_e32 v97, -1.0, v96
	v_sub_f32_e32 v94, v92, v94
	v_sub_f32_e32 v92, v92, v97
	v_add_f32_e32 v94, v90, v94
	v_add_f32_e32 v90, v90, v92
	;; [unrolled: 1-line block ×3, first 2 shown]
	v_rcp_f32_e32 v97, v92
	v_add_f32_e32 v95, v93, v94
	v_sub_f32_e32 v93, v93, v95
	v_add_f32_e32 v93, v94, v93
	v_sub_f32_e32 v94, v96, v92
	v_add_f32_e32 v90, v90, v94
	v_mul_f32_e32 v94, v95, v97
	v_mul_f32_e32 v96, v92, v94
	v_fma_f32 v98, v94, v92, -v96
	v_fmac_f32_e32 v98, v94, v90
	v_add_f32_e32 v99, v96, v98
	v_sub_f32_e32 v100, v95, v99
	v_sub_f32_e32 v95, v95, v100
	;; [unrolled: 1-line block ×4, first 2 shown]
	v_add_f32_e32 v93, v93, v95
	v_sub_f32_e32 v95, v96, v98
	v_add_f32_e32 v93, v95, v93
	v_add_f32_e32 v95, v100, v93
	v_mul_f32_e32 v96, v97, v95
	v_mul_f32_e32 v98, v92, v96
	v_fma_f32 v92, v96, v92, -v98
	v_fmac_f32_e32 v92, v96, v90
	v_sub_f32_e32 v90, v100, v95
	v_add_f32_e32 v90, v93, v90
	v_add_f32_e32 v93, v98, v92
	v_sub_f32_e32 v99, v95, v93
	v_sub_f32_e32 v95, v95, v99
	v_sub_f32_e32 v98, v93, v98
	v_sub_f32_e32 v93, v95, v93
	v_add_f32_e32 v90, v90, v93
	v_sub_f32_e32 v92, v98, v92
	v_cvt_f32_i32_e32 v89, v89
	v_add_f32_e32 v90, v92, v90
	v_add_f32_e32 v92, v94, v96
	;; [unrolled: 1-line block ×3, first 2 shown]
	v_sub_f32_e32 v93, v92, v94
	v_mul_f32_e32 v90, v97, v90
	v_sub_f32_e32 v93, v96, v93
	v_add_f32_e32 v90, v93, v90
	v_mul_f32_e32 v96, 0x3f317218, v89
	v_add_f32_e32 v93, v92, v90
	v_fma_f32 v97, v89, s88, -v96
	v_mul_f32_e32 v94, v93, v93
	v_mov_b32_e32 v95, 0x3ecc95a3
	v_fmac_f32_e32 v97, 0xb102e308, v89
	v_sub_f32_e32 v89, v93, v92
	v_fmac_f32_e32 v95, 0x3e9b6dac, v94
	v_sub_f32_e32 v89, v90, v89
	v_add_f32_e32 v90, v96, v97
	v_fma_f32 v95, v94, v95, v85
	v_sub_f32_e32 v92, v90, v96
	v_ldexp_f32 v96, v93, 1
	v_mul_f32_e32 v93, v93, v94
	v_mul_f32_e32 v93, v93, v95
	v_add_f32_e32 v94, v96, v93
	v_sub_f32_e32 v95, v94, v96
	v_ldexp_f32 v89, v89, 1
	v_sub_f32_e32 v93, v93, v95
	v_add_f32_e32 v89, v89, v93
	v_add_f32_e32 v93, v94, v89
	v_sub_f32_e32 v94, v93, v94
	v_sub_f32_e32 v89, v89, v94
	v_add_f32_e32 v94, v90, v93
	v_sub_f32_e32 v95, v94, v90
	v_sub_f32_e32 v96, v94, v95
	;; [unrolled: 1-line block ×5, first 2 shown]
	v_add_f32_e32 v90, v93, v90
	v_add_f32_e32 v93, v92, v89
	v_sub_f32_e32 v95, v93, v92
	v_sub_f32_e32 v96, v93, v95
	;; [unrolled: 1-line block ×4, first 2 shown]
	v_add_f32_e32 v90, v93, v90
	v_add_f32_e32 v89, v89, v92
	;; [unrolled: 1-line block ×3, first 2 shown]
	v_sub_f32_e32 v93, v92, v94
	v_sub_f32_e32 v90, v90, v93
	v_add_f32_e32 v89, v89, v90
	v_add_f32_e32 v89, v92, v89
	v_cmp_neq_f32_e32 vcc, s86, v91
	v_cndmask_b32_e32 v89, v87, v89, vcc
	v_cmp_lt_f32_e64 vcc, |v91|, s89
	v_cndmask_b32_e32 v89, v89, v91, vcc
	v_add_f32_e32 v89, v18, v89
.LBB507_191:                            ;   in Loop: Header=BB507_179 Depth=1
	s_or_b64 exec, exec, s[4:5]
	v_bfe_u32 v18, v89, 16, 1
	v_add3_u32 v18, v89, v18, s90
	v_cmp_o_f32_e32 vcc, v89, v89
	v_cndmask_b32_sdwa v89, v88, v18, vcc dst_sel:DWORD dst_unused:UNUSED_PAD src0_sel:DWORD src1_sel:WORD_1
	v_and_b32_e32 v18, 0xffff, v89
.LBB507_192:                            ;   in Loop: Header=BB507_179 Depth=1
	s_or_b64 exec, exec, s[74:75]
	s_waitcnt lgkmcnt(0)
	ds_bpermute_b32 v90, v76, v18
	v_cmp_le_u32_e32 vcc, v77, v17
	s_and_saveexec_b64 s[74:75], vcc
	s_cbranch_execz .LBB507_196
; %bb.193:                              ;   in Loop: Header=BB507_179 Depth=1
	s_waitcnt lgkmcnt(0)
	v_lshlrev_b32_e32 v89, 16, v90
	v_lshlrev_b32_e32 v18, 16, v18
	v_max_f32_e32 v91, v18, v18
	v_max_f32_e32 v92, v89, v89
	v_min_f32_e32 v90, v92, v91
	v_cmp_u_f32_e32 vcc, v89, v89
	v_max_f32_e32 v91, v92, v91
	v_cndmask_b32_e32 v90, v90, v89, vcc
	v_cmp_u_f32_e64 s[4:5], v18, v18
	v_cndmask_b32_e32 v91, v91, v89, vcc
	v_cndmask_b32_e64 v90, v90, v18, s[4:5]
	v_cndmask_b32_e64 v18, v91, v18, s[4:5]
	v_cmp_neq_f32_e32 vcc, v90, v18
	v_cmp_class_f32_e64 s[4:5], v90, s78
	s_or_b64 s[92:93], vcc, s[4:5]
	s_and_saveexec_b64 s[4:5], s[92:93]
	s_cbranch_execz .LBB507_195
; %bb.194:                              ;   in Loop: Header=BB507_179 Depth=1
	v_sub_f32_e32 v89, v90, v18
	v_mul_f32_e32 v90, 0x3fb8aa3b, v89
	v_fma_f32 v91, v89, s79, -v90
	v_rndne_f32_e32 v92, v90
	v_fmac_f32_e32 v91, 0x32a5705f, v89
	v_sub_f32_e32 v90, v90, v92
	v_add_f32_e32 v90, v90, v91
	v_cvt_i32_f32_e32 v91, v92
	v_exp_f32_e32 v90, v90
	v_cmp_ngt_f32_e32 vcc, s84, v89
	v_ldexp_f32 v90, v90, v91
	v_cndmask_b32_e32 v90, 0, v90, vcc
	v_cmp_nlt_f32_e32 vcc, s85, v89
	v_cndmask_b32_e32 v91, v87, v90, vcc
	v_add_f32_e32 v92, 1.0, v91
	v_cvt_f64_f32_e32 v[89:90], v92
	v_add_f32_e32 v93, -1.0, v92
	v_sub_f32_e32 v94, v93, v92
	v_sub_f32_e32 v93, v91, v93
	v_frexp_exp_i32_f64_e32 v89, v[89:90]
	v_frexp_mant_f32_e32 v90, v92
	v_cmp_gt_f32_e32 vcc, s87, v90
	v_add_f32_e32 v94, 1.0, v94
	v_add_f32_e32 v93, v93, v94
	v_subbrev_co_u32_e32 v89, vcc, 0, v89, vcc
	v_sub_u32_e32 v90, 0, v89
	v_ldexp_f32 v92, v92, v90
	v_ldexp_f32 v90, v93, v90
	v_add_f32_e32 v93, -1.0, v92
	v_add_f32_e32 v96, 1.0, v92
	v_add_f32_e32 v94, 1.0, v93
	v_add_f32_e32 v97, -1.0, v96
	v_sub_f32_e32 v94, v92, v94
	v_sub_f32_e32 v92, v92, v97
	v_add_f32_e32 v94, v90, v94
	v_add_f32_e32 v90, v90, v92
	;; [unrolled: 1-line block ×3, first 2 shown]
	v_rcp_f32_e32 v97, v92
	v_add_f32_e32 v95, v93, v94
	v_sub_f32_e32 v93, v93, v95
	v_add_f32_e32 v93, v94, v93
	v_sub_f32_e32 v94, v96, v92
	v_add_f32_e32 v90, v90, v94
	v_mul_f32_e32 v94, v95, v97
	v_mul_f32_e32 v96, v92, v94
	v_fma_f32 v98, v94, v92, -v96
	v_fmac_f32_e32 v98, v94, v90
	v_add_f32_e32 v99, v96, v98
	v_sub_f32_e32 v100, v95, v99
	v_sub_f32_e32 v95, v95, v100
	;; [unrolled: 1-line block ×4, first 2 shown]
	v_add_f32_e32 v93, v93, v95
	v_sub_f32_e32 v95, v96, v98
	v_add_f32_e32 v93, v95, v93
	v_add_f32_e32 v95, v100, v93
	v_mul_f32_e32 v96, v97, v95
	v_mul_f32_e32 v98, v92, v96
	v_fma_f32 v92, v96, v92, -v98
	v_fmac_f32_e32 v92, v96, v90
	v_sub_f32_e32 v90, v100, v95
	v_add_f32_e32 v90, v93, v90
	v_add_f32_e32 v93, v98, v92
	v_sub_f32_e32 v99, v95, v93
	v_sub_f32_e32 v95, v95, v99
	;; [unrolled: 1-line block ×4, first 2 shown]
	v_add_f32_e32 v90, v90, v93
	v_sub_f32_e32 v92, v98, v92
	v_cvt_f32_i32_e32 v89, v89
	v_add_f32_e32 v90, v92, v90
	v_add_f32_e32 v92, v94, v96
	;; [unrolled: 1-line block ×3, first 2 shown]
	v_sub_f32_e32 v93, v92, v94
	v_mul_f32_e32 v90, v97, v90
	v_sub_f32_e32 v93, v96, v93
	v_add_f32_e32 v90, v93, v90
	v_mul_f32_e32 v96, 0x3f317218, v89
	v_add_f32_e32 v93, v92, v90
	v_fma_f32 v97, v89, s88, -v96
	v_mul_f32_e32 v94, v93, v93
	v_mov_b32_e32 v95, 0x3ecc95a3
	v_fmac_f32_e32 v97, 0xb102e308, v89
	v_sub_f32_e32 v89, v93, v92
	v_fmac_f32_e32 v95, 0x3e9b6dac, v94
	v_sub_f32_e32 v89, v90, v89
	v_add_f32_e32 v90, v96, v97
	v_fma_f32 v95, v94, v95, v85
	v_sub_f32_e32 v92, v90, v96
	v_ldexp_f32 v96, v93, 1
	v_mul_f32_e32 v93, v93, v94
	v_mul_f32_e32 v93, v93, v95
	v_add_f32_e32 v94, v96, v93
	v_sub_f32_e32 v95, v94, v96
	v_ldexp_f32 v89, v89, 1
	v_sub_f32_e32 v93, v93, v95
	v_add_f32_e32 v89, v89, v93
	v_add_f32_e32 v93, v94, v89
	v_sub_f32_e32 v94, v93, v94
	v_sub_f32_e32 v89, v89, v94
	v_add_f32_e32 v94, v90, v93
	v_sub_f32_e32 v95, v94, v90
	v_sub_f32_e32 v96, v94, v95
	;; [unrolled: 1-line block ×5, first 2 shown]
	v_add_f32_e32 v90, v93, v90
	v_add_f32_e32 v93, v92, v89
	v_sub_f32_e32 v95, v93, v92
	v_sub_f32_e32 v96, v93, v95
	v_sub_f32_e32 v92, v92, v96
	v_sub_f32_e32 v89, v89, v95
	v_add_f32_e32 v90, v93, v90
	v_add_f32_e32 v89, v89, v92
	;; [unrolled: 1-line block ×3, first 2 shown]
	v_sub_f32_e32 v93, v92, v94
	v_sub_f32_e32 v90, v90, v93
	v_add_f32_e32 v89, v89, v90
	v_add_f32_e32 v89, v92, v89
	v_cmp_neq_f32_e32 vcc, s86, v91
	v_cndmask_b32_e32 v89, v87, v89, vcc
	v_cmp_lt_f32_e64 vcc, |v91|, s89
	v_cndmask_b32_e32 v89, v89, v91, vcc
	v_add_f32_e32 v89, v18, v89
.LBB507_195:                            ;   in Loop: Header=BB507_179 Depth=1
	s_or_b64 exec, exec, s[4:5]
	v_bfe_u32 v18, v89, 16, 1
	v_add3_u32 v18, v89, v18, s90
	v_cmp_o_f32_e32 vcc, v89, v89
	v_cndmask_b32_sdwa v89, v88, v18, vcc dst_sel:DWORD dst_unused:UNUSED_PAD src0_sel:DWORD src1_sel:WORD_1
	v_and_b32_e32 v18, 0xffff, v89
.LBB507_196:                            ;   in Loop: Header=BB507_179 Depth=1
	s_or_b64 exec, exec, s[74:75]
	s_waitcnt lgkmcnt(0)
	ds_bpermute_b32 v90, v78, v18
	v_cmp_le_u32_e32 vcc, v79, v17
	s_and_saveexec_b64 s[74:75], vcc
	s_cbranch_execz .LBB507_200
; %bb.197:                              ;   in Loop: Header=BB507_179 Depth=1
	s_waitcnt lgkmcnt(0)
	v_lshlrev_b32_e32 v89, 16, v90
	v_lshlrev_b32_e32 v18, 16, v18
	v_max_f32_e32 v91, v18, v18
	v_max_f32_e32 v92, v89, v89
	v_min_f32_e32 v90, v92, v91
	v_cmp_u_f32_e32 vcc, v89, v89
	v_max_f32_e32 v91, v92, v91
	v_cndmask_b32_e32 v90, v90, v89, vcc
	v_cmp_u_f32_e64 s[4:5], v18, v18
	v_cndmask_b32_e32 v91, v91, v89, vcc
	v_cndmask_b32_e64 v90, v90, v18, s[4:5]
	v_cndmask_b32_e64 v18, v91, v18, s[4:5]
	v_cmp_neq_f32_e32 vcc, v90, v18
	v_cmp_class_f32_e64 s[4:5], v90, s78
	s_or_b64 s[92:93], vcc, s[4:5]
	s_and_saveexec_b64 s[4:5], s[92:93]
	s_cbranch_execz .LBB507_199
; %bb.198:                              ;   in Loop: Header=BB507_179 Depth=1
	v_sub_f32_e32 v89, v90, v18
	v_mul_f32_e32 v90, 0x3fb8aa3b, v89
	v_fma_f32 v91, v89, s79, -v90
	v_rndne_f32_e32 v92, v90
	v_fmac_f32_e32 v91, 0x32a5705f, v89
	v_sub_f32_e32 v90, v90, v92
	v_add_f32_e32 v90, v90, v91
	v_cvt_i32_f32_e32 v91, v92
	v_exp_f32_e32 v90, v90
	v_cmp_ngt_f32_e32 vcc, s84, v89
	v_ldexp_f32 v90, v90, v91
	v_cndmask_b32_e32 v90, 0, v90, vcc
	v_cmp_nlt_f32_e32 vcc, s85, v89
	v_cndmask_b32_e32 v91, v87, v90, vcc
	v_add_f32_e32 v92, 1.0, v91
	v_cvt_f64_f32_e32 v[89:90], v92
	v_add_f32_e32 v93, -1.0, v92
	v_sub_f32_e32 v94, v93, v92
	v_sub_f32_e32 v93, v91, v93
	v_frexp_exp_i32_f64_e32 v89, v[89:90]
	v_frexp_mant_f32_e32 v90, v92
	v_cmp_gt_f32_e32 vcc, s87, v90
	v_add_f32_e32 v94, 1.0, v94
	v_add_f32_e32 v93, v93, v94
	v_subbrev_co_u32_e32 v89, vcc, 0, v89, vcc
	v_sub_u32_e32 v90, 0, v89
	v_ldexp_f32 v92, v92, v90
	v_ldexp_f32 v90, v93, v90
	v_add_f32_e32 v93, -1.0, v92
	v_add_f32_e32 v96, 1.0, v92
	v_add_f32_e32 v94, 1.0, v93
	v_add_f32_e32 v97, -1.0, v96
	v_sub_f32_e32 v94, v92, v94
	v_sub_f32_e32 v92, v92, v97
	v_add_f32_e32 v94, v90, v94
	v_add_f32_e32 v90, v90, v92
	;; [unrolled: 1-line block ×3, first 2 shown]
	v_rcp_f32_e32 v97, v92
	v_add_f32_e32 v95, v93, v94
	v_sub_f32_e32 v93, v93, v95
	v_add_f32_e32 v93, v94, v93
	v_sub_f32_e32 v94, v96, v92
	v_add_f32_e32 v90, v90, v94
	v_mul_f32_e32 v94, v95, v97
	v_mul_f32_e32 v96, v92, v94
	v_fma_f32 v98, v94, v92, -v96
	v_fmac_f32_e32 v98, v94, v90
	v_add_f32_e32 v99, v96, v98
	v_sub_f32_e32 v100, v95, v99
	v_sub_f32_e32 v95, v95, v100
	;; [unrolled: 1-line block ×4, first 2 shown]
	v_add_f32_e32 v93, v93, v95
	v_sub_f32_e32 v95, v96, v98
	v_add_f32_e32 v93, v95, v93
	v_add_f32_e32 v95, v100, v93
	v_mul_f32_e32 v96, v97, v95
	v_mul_f32_e32 v98, v92, v96
	v_fma_f32 v92, v96, v92, -v98
	v_fmac_f32_e32 v92, v96, v90
	v_sub_f32_e32 v90, v100, v95
	v_add_f32_e32 v90, v93, v90
	v_add_f32_e32 v93, v98, v92
	v_sub_f32_e32 v99, v95, v93
	v_sub_f32_e32 v95, v95, v99
	;; [unrolled: 1-line block ×4, first 2 shown]
	v_add_f32_e32 v90, v90, v93
	v_sub_f32_e32 v92, v98, v92
	v_cvt_f32_i32_e32 v89, v89
	v_add_f32_e32 v90, v92, v90
	v_add_f32_e32 v92, v94, v96
	;; [unrolled: 1-line block ×3, first 2 shown]
	v_sub_f32_e32 v93, v92, v94
	v_mul_f32_e32 v90, v97, v90
	v_sub_f32_e32 v93, v96, v93
	v_add_f32_e32 v90, v93, v90
	v_mul_f32_e32 v96, 0x3f317218, v89
	v_add_f32_e32 v93, v92, v90
	v_fma_f32 v97, v89, s88, -v96
	v_mul_f32_e32 v94, v93, v93
	v_mov_b32_e32 v95, 0x3ecc95a3
	v_fmac_f32_e32 v97, 0xb102e308, v89
	v_sub_f32_e32 v89, v93, v92
	v_fmac_f32_e32 v95, 0x3e9b6dac, v94
	v_sub_f32_e32 v89, v90, v89
	v_add_f32_e32 v90, v96, v97
	v_fma_f32 v95, v94, v95, v85
	v_sub_f32_e32 v92, v90, v96
	v_ldexp_f32 v96, v93, 1
	v_mul_f32_e32 v93, v93, v94
	v_mul_f32_e32 v93, v93, v95
	v_add_f32_e32 v94, v96, v93
	v_sub_f32_e32 v95, v94, v96
	v_ldexp_f32 v89, v89, 1
	v_sub_f32_e32 v93, v93, v95
	v_add_f32_e32 v89, v89, v93
	v_add_f32_e32 v93, v94, v89
	v_sub_f32_e32 v94, v93, v94
	v_sub_f32_e32 v89, v89, v94
	v_add_f32_e32 v94, v90, v93
	v_sub_f32_e32 v95, v94, v90
	v_sub_f32_e32 v96, v94, v95
	;; [unrolled: 1-line block ×5, first 2 shown]
	v_add_f32_e32 v90, v93, v90
	v_add_f32_e32 v93, v92, v89
	v_sub_f32_e32 v95, v93, v92
	v_sub_f32_e32 v96, v93, v95
	v_sub_f32_e32 v92, v92, v96
	v_sub_f32_e32 v89, v89, v95
	v_add_f32_e32 v90, v93, v90
	v_add_f32_e32 v89, v89, v92
	;; [unrolled: 1-line block ×3, first 2 shown]
	v_sub_f32_e32 v93, v92, v94
	v_sub_f32_e32 v90, v90, v93
	v_add_f32_e32 v89, v89, v90
	v_add_f32_e32 v89, v92, v89
	v_cmp_neq_f32_e32 vcc, s86, v91
	v_cndmask_b32_e32 v89, v87, v89, vcc
	v_cmp_lt_f32_e64 vcc, |v91|, s89
	v_cndmask_b32_e32 v89, v89, v91, vcc
	v_add_f32_e32 v89, v18, v89
.LBB507_199:                            ;   in Loop: Header=BB507_179 Depth=1
	s_or_b64 exec, exec, s[4:5]
	v_bfe_u32 v18, v89, 16, 1
	v_add3_u32 v18, v89, v18, s90
	v_cmp_o_f32_e32 vcc, v89, v89
	v_cndmask_b32_sdwa v89, v88, v18, vcc dst_sel:DWORD dst_unused:UNUSED_PAD src0_sel:DWORD src1_sel:WORD_1
	v_and_b32_e32 v18, 0xffff, v89
.LBB507_200:                            ;   in Loop: Header=BB507_179 Depth=1
	s_or_b64 exec, exec, s[74:75]
	s_waitcnt lgkmcnt(0)
	ds_bpermute_b32 v90, v80, v18
	v_cmp_le_u32_e32 vcc, v81, v17
	s_and_saveexec_b64 s[74:75], vcc
	s_cbranch_execz .LBB507_204
; %bb.201:                              ;   in Loop: Header=BB507_179 Depth=1
	s_waitcnt lgkmcnt(0)
	v_lshlrev_b32_e32 v89, 16, v90
	v_lshlrev_b32_e32 v18, 16, v18
	v_max_f32_e32 v91, v18, v18
	v_max_f32_e32 v92, v89, v89
	v_min_f32_e32 v90, v92, v91
	v_cmp_u_f32_e32 vcc, v89, v89
	v_max_f32_e32 v91, v92, v91
	v_cndmask_b32_e32 v90, v90, v89, vcc
	v_cmp_u_f32_e64 s[4:5], v18, v18
	v_cndmask_b32_e32 v91, v91, v89, vcc
	v_cndmask_b32_e64 v90, v90, v18, s[4:5]
	v_cndmask_b32_e64 v18, v91, v18, s[4:5]
	v_cmp_neq_f32_e32 vcc, v90, v18
	v_cmp_class_f32_e64 s[4:5], v90, s78
	s_or_b64 s[92:93], vcc, s[4:5]
	s_and_saveexec_b64 s[4:5], s[92:93]
	s_cbranch_execz .LBB507_203
; %bb.202:                              ;   in Loop: Header=BB507_179 Depth=1
	v_sub_f32_e32 v89, v90, v18
	v_mul_f32_e32 v90, 0x3fb8aa3b, v89
	v_fma_f32 v91, v89, s79, -v90
	v_rndne_f32_e32 v92, v90
	v_fmac_f32_e32 v91, 0x32a5705f, v89
	v_sub_f32_e32 v90, v90, v92
	v_add_f32_e32 v90, v90, v91
	v_cvt_i32_f32_e32 v91, v92
	v_exp_f32_e32 v90, v90
	v_cmp_ngt_f32_e32 vcc, s84, v89
	v_ldexp_f32 v90, v90, v91
	v_cndmask_b32_e32 v90, 0, v90, vcc
	v_cmp_nlt_f32_e32 vcc, s85, v89
	v_cndmask_b32_e32 v91, v87, v90, vcc
	v_add_f32_e32 v92, 1.0, v91
	v_cvt_f64_f32_e32 v[89:90], v92
	v_add_f32_e32 v93, -1.0, v92
	v_sub_f32_e32 v94, v93, v92
	v_sub_f32_e32 v93, v91, v93
	v_frexp_exp_i32_f64_e32 v89, v[89:90]
	v_frexp_mant_f32_e32 v90, v92
	v_cmp_gt_f32_e32 vcc, s87, v90
	v_add_f32_e32 v94, 1.0, v94
	v_add_f32_e32 v93, v93, v94
	v_subbrev_co_u32_e32 v89, vcc, 0, v89, vcc
	v_sub_u32_e32 v90, 0, v89
	v_ldexp_f32 v92, v92, v90
	v_ldexp_f32 v90, v93, v90
	v_add_f32_e32 v93, -1.0, v92
	v_add_f32_e32 v96, 1.0, v92
	v_add_f32_e32 v94, 1.0, v93
	v_add_f32_e32 v97, -1.0, v96
	v_sub_f32_e32 v94, v92, v94
	v_sub_f32_e32 v92, v92, v97
	v_add_f32_e32 v94, v90, v94
	v_add_f32_e32 v90, v90, v92
	;; [unrolled: 1-line block ×3, first 2 shown]
	v_rcp_f32_e32 v97, v92
	v_add_f32_e32 v95, v93, v94
	v_sub_f32_e32 v93, v93, v95
	v_add_f32_e32 v93, v94, v93
	v_sub_f32_e32 v94, v96, v92
	v_add_f32_e32 v90, v90, v94
	v_mul_f32_e32 v94, v95, v97
	v_mul_f32_e32 v96, v92, v94
	v_fma_f32 v98, v94, v92, -v96
	v_fmac_f32_e32 v98, v94, v90
	v_add_f32_e32 v99, v96, v98
	v_sub_f32_e32 v100, v95, v99
	v_sub_f32_e32 v95, v95, v100
	;; [unrolled: 1-line block ×4, first 2 shown]
	v_add_f32_e32 v93, v93, v95
	v_sub_f32_e32 v95, v96, v98
	v_add_f32_e32 v93, v95, v93
	v_add_f32_e32 v95, v100, v93
	v_mul_f32_e32 v96, v97, v95
	v_mul_f32_e32 v98, v92, v96
	v_fma_f32 v92, v96, v92, -v98
	v_fmac_f32_e32 v92, v96, v90
	v_sub_f32_e32 v90, v100, v95
	v_add_f32_e32 v90, v93, v90
	v_add_f32_e32 v93, v98, v92
	v_sub_f32_e32 v99, v95, v93
	v_sub_f32_e32 v95, v95, v99
	;; [unrolled: 1-line block ×4, first 2 shown]
	v_add_f32_e32 v90, v90, v93
	v_sub_f32_e32 v92, v98, v92
	v_cvt_f32_i32_e32 v89, v89
	v_add_f32_e32 v90, v92, v90
	v_add_f32_e32 v92, v94, v96
	;; [unrolled: 1-line block ×3, first 2 shown]
	v_sub_f32_e32 v93, v92, v94
	v_mul_f32_e32 v90, v97, v90
	v_sub_f32_e32 v93, v96, v93
	v_add_f32_e32 v90, v93, v90
	v_mul_f32_e32 v96, 0x3f317218, v89
	v_add_f32_e32 v93, v92, v90
	v_fma_f32 v97, v89, s88, -v96
	v_mul_f32_e32 v94, v93, v93
	v_mov_b32_e32 v95, 0x3ecc95a3
	v_fmac_f32_e32 v97, 0xb102e308, v89
	v_sub_f32_e32 v89, v93, v92
	v_fmac_f32_e32 v95, 0x3e9b6dac, v94
	v_sub_f32_e32 v89, v90, v89
	v_add_f32_e32 v90, v96, v97
	v_fma_f32 v95, v94, v95, v85
	v_sub_f32_e32 v92, v90, v96
	v_ldexp_f32 v96, v93, 1
	v_mul_f32_e32 v93, v93, v94
	v_mul_f32_e32 v93, v93, v95
	v_add_f32_e32 v94, v96, v93
	v_sub_f32_e32 v95, v94, v96
	v_ldexp_f32 v89, v89, 1
	v_sub_f32_e32 v93, v93, v95
	v_add_f32_e32 v89, v89, v93
	v_add_f32_e32 v93, v94, v89
	v_sub_f32_e32 v94, v93, v94
	v_sub_f32_e32 v89, v89, v94
	v_add_f32_e32 v94, v90, v93
	v_sub_f32_e32 v95, v94, v90
	v_sub_f32_e32 v96, v94, v95
	;; [unrolled: 1-line block ×5, first 2 shown]
	v_add_f32_e32 v90, v93, v90
	v_add_f32_e32 v93, v92, v89
	v_sub_f32_e32 v95, v93, v92
	v_sub_f32_e32 v96, v93, v95
	;; [unrolled: 1-line block ×4, first 2 shown]
	v_add_f32_e32 v90, v93, v90
	v_add_f32_e32 v89, v89, v92
	;; [unrolled: 1-line block ×3, first 2 shown]
	v_sub_f32_e32 v93, v92, v94
	v_sub_f32_e32 v90, v90, v93
	v_add_f32_e32 v89, v89, v90
	v_add_f32_e32 v89, v92, v89
	v_cmp_neq_f32_e32 vcc, s86, v91
	v_cndmask_b32_e32 v89, v87, v89, vcc
	v_cmp_lt_f32_e64 vcc, |v91|, s89
	v_cndmask_b32_e32 v89, v89, v91, vcc
	v_add_f32_e32 v89, v18, v89
.LBB507_203:                            ;   in Loop: Header=BB507_179 Depth=1
	s_or_b64 exec, exec, s[4:5]
	v_bfe_u32 v18, v89, 16, 1
	v_add3_u32 v18, v89, v18, s90
	v_cmp_o_f32_e32 vcc, v89, v89
	v_cndmask_b32_sdwa v89, v88, v18, vcc dst_sel:DWORD dst_unused:UNUSED_PAD src0_sel:DWORD src1_sel:WORD_1
	v_and_b32_e32 v18, 0xffff, v89
.LBB507_204:                            ;   in Loop: Header=BB507_179 Depth=1
	s_or_b64 exec, exec, s[74:75]
	s_waitcnt lgkmcnt(0)
	ds_bpermute_b32 v90, v82, v18
	v_cmp_le_u32_e32 vcc, v83, v17
	s_and_saveexec_b64 s[74:75], vcc
	s_cbranch_execz .LBB507_208
; %bb.205:                              ;   in Loop: Header=BB507_179 Depth=1
	s_waitcnt lgkmcnt(0)
	v_lshlrev_b32_e32 v89, 16, v90
	v_lshlrev_b32_e32 v17, 16, v18
	v_max_f32_e32 v90, v17, v17
	v_max_f32_e32 v91, v89, v89
	v_min_f32_e32 v18, v91, v90
	v_cmp_u_f32_e32 vcc, v89, v89
	v_max_f32_e32 v90, v91, v90
	v_cndmask_b32_e32 v18, v18, v89, vcc
	v_cmp_u_f32_e64 s[4:5], v17, v17
	v_cndmask_b32_e32 v90, v90, v89, vcc
	v_cndmask_b32_e64 v18, v18, v17, s[4:5]
	v_cndmask_b32_e64 v17, v90, v17, s[4:5]
	v_cmp_neq_f32_e32 vcc, v18, v17
	v_cmp_class_f32_e64 s[4:5], v18, s78
	s_or_b64 s[92:93], vcc, s[4:5]
	s_and_saveexec_b64 s[4:5], s[92:93]
	s_cbranch_execz .LBB507_207
; %bb.206:                              ;   in Loop: Header=BB507_179 Depth=1
	v_sub_f32_e32 v18, v18, v17
	v_mul_f32_e32 v89, 0x3fb8aa3b, v18
	v_fma_f32 v90, v18, s79, -v89
	v_rndne_f32_e32 v91, v89
	v_fmac_f32_e32 v90, 0x32a5705f, v18
	v_sub_f32_e32 v89, v89, v91
	v_add_f32_e32 v89, v89, v90
	v_cvt_i32_f32_e32 v90, v91
	v_exp_f32_e32 v89, v89
	v_cmp_ngt_f32_e32 vcc, s84, v18
	v_ldexp_f32 v89, v89, v90
	v_cndmask_b32_e32 v89, 0, v89, vcc
	v_cmp_nlt_f32_e32 vcc, s85, v18
	v_cndmask_b32_e32 v18, v87, v89, vcc
	v_add_f32_e32 v91, 1.0, v18
	v_cvt_f64_f32_e32 v[89:90], v91
	v_add_f32_e32 v92, -1.0, v91
	v_sub_f32_e32 v93, v92, v91
	v_sub_f32_e32 v92, v18, v92
	v_frexp_exp_i32_f64_e32 v89, v[89:90]
	v_frexp_mant_f32_e32 v90, v91
	v_cmp_gt_f32_e32 vcc, s87, v90
	v_add_f32_e32 v93, 1.0, v93
	v_add_f32_e32 v92, v92, v93
	v_subbrev_co_u32_e32 v89, vcc, 0, v89, vcc
	v_sub_u32_e32 v90, 0, v89
	v_ldexp_f32 v91, v91, v90
	v_ldexp_f32 v90, v92, v90
	v_add_f32_e32 v92, -1.0, v91
	v_add_f32_e32 v95, 1.0, v91
	v_add_f32_e32 v93, 1.0, v92
	v_add_f32_e32 v96, -1.0, v95
	v_sub_f32_e32 v93, v91, v93
	v_sub_f32_e32 v91, v91, v96
	v_add_f32_e32 v93, v90, v93
	v_add_f32_e32 v90, v90, v91
	v_add_f32_e32 v91, v95, v90
	v_rcp_f32_e32 v96, v91
	v_add_f32_e32 v94, v92, v93
	v_sub_f32_e32 v92, v92, v94
	v_add_f32_e32 v92, v93, v92
	v_sub_f32_e32 v93, v95, v91
	v_add_f32_e32 v90, v90, v93
	v_mul_f32_e32 v93, v94, v96
	v_mul_f32_e32 v95, v91, v93
	v_fma_f32 v97, v93, v91, -v95
	v_fmac_f32_e32 v97, v93, v90
	v_add_f32_e32 v98, v95, v97
	v_sub_f32_e32 v99, v94, v98
	v_sub_f32_e32 v94, v94, v99
	;; [unrolled: 1-line block ×4, first 2 shown]
	v_add_f32_e32 v92, v92, v94
	v_sub_f32_e32 v94, v95, v97
	v_add_f32_e32 v92, v94, v92
	v_add_f32_e32 v94, v99, v92
	v_mul_f32_e32 v95, v96, v94
	v_mul_f32_e32 v97, v91, v95
	v_fma_f32 v91, v95, v91, -v97
	v_fmac_f32_e32 v91, v95, v90
	v_sub_f32_e32 v90, v99, v94
	v_add_f32_e32 v90, v92, v90
	v_add_f32_e32 v92, v97, v91
	v_sub_f32_e32 v98, v94, v92
	v_sub_f32_e32 v94, v94, v98
	;; [unrolled: 1-line block ×4, first 2 shown]
	v_add_f32_e32 v90, v90, v92
	v_sub_f32_e32 v91, v97, v91
	v_cvt_f32_i32_e32 v89, v89
	v_add_f32_e32 v90, v91, v90
	v_add_f32_e32 v91, v93, v95
	;; [unrolled: 1-line block ×3, first 2 shown]
	v_sub_f32_e32 v92, v91, v93
	v_mul_f32_e32 v90, v96, v90
	v_sub_f32_e32 v92, v95, v92
	v_add_f32_e32 v90, v92, v90
	v_mul_f32_e32 v95, 0x3f317218, v89
	v_add_f32_e32 v92, v91, v90
	v_fma_f32 v96, v89, s88, -v95
	v_mul_f32_e32 v93, v92, v92
	v_mov_b32_e32 v94, 0x3ecc95a3
	v_fmac_f32_e32 v96, 0xb102e308, v89
	v_sub_f32_e32 v89, v92, v91
	v_fmac_f32_e32 v94, 0x3e9b6dac, v93
	v_sub_f32_e32 v89, v90, v89
	v_add_f32_e32 v90, v95, v96
	v_fma_f32 v94, v93, v94, v85
	v_sub_f32_e32 v91, v90, v95
	v_ldexp_f32 v95, v92, 1
	v_mul_f32_e32 v92, v92, v93
	v_mul_f32_e32 v92, v92, v94
	v_add_f32_e32 v93, v95, v92
	v_sub_f32_e32 v94, v93, v95
	v_ldexp_f32 v89, v89, 1
	v_sub_f32_e32 v92, v92, v94
	v_add_f32_e32 v89, v89, v92
	v_add_f32_e32 v92, v93, v89
	v_sub_f32_e32 v93, v92, v93
	v_sub_f32_e32 v89, v89, v93
	v_add_f32_e32 v93, v90, v92
	v_sub_f32_e32 v94, v93, v90
	v_sub_f32_e32 v95, v93, v94
	;; [unrolled: 1-line block ×5, first 2 shown]
	v_add_f32_e32 v90, v92, v90
	v_add_f32_e32 v92, v91, v89
	v_sub_f32_e32 v94, v92, v91
	v_sub_f32_e32 v95, v92, v94
	v_sub_f32_e32 v91, v91, v95
	v_sub_f32_e32 v89, v89, v94
	v_add_f32_e32 v90, v92, v90
	v_add_f32_e32 v89, v89, v91
	;; [unrolled: 1-line block ×3, first 2 shown]
	v_sub_f32_e32 v92, v91, v93
	v_sub_f32_e32 v90, v90, v92
	v_add_f32_e32 v89, v89, v90
	v_add_f32_e32 v89, v91, v89
	v_cmp_neq_f32_e32 vcc, s86, v18
	v_cndmask_b32_e32 v89, v87, v89, vcc
	v_cmp_lt_f32_e64 vcc, |v18|, s89
	v_cndmask_b32_e32 v18, v89, v18, vcc
	v_add_f32_e32 v89, v17, v18
.LBB507_207:                            ;   in Loop: Header=BB507_179 Depth=1
	s_or_b64 exec, exec, s[4:5]
	v_bfe_u32 v17, v89, 16, 1
	v_add3_u32 v17, v89, v17, s90
	v_cmp_o_f32_e32 vcc, v89, v89
	v_cndmask_b32_sdwa v89, v88, v17, vcc dst_sel:DWORD dst_unused:UNUSED_PAD src0_sel:DWORD src1_sel:WORD_1
.LBB507_208:                            ;   in Loop: Header=BB507_179 Depth=1
	s_or_b64 exec, exec, s[74:75]
	v_lshlrev_b32_e32 v18, 16, v89
	v_lshlrev_b32_e32 v17, 16, v84
	s_waitcnt lgkmcnt(0)
	v_max_f32_e32 v90, v17, v17
	v_max_f32_e32 v91, v18, v18
	v_min_f32_e32 v89, v91, v90
	v_cmp_u_f32_e32 vcc, v18, v18
	v_max_f32_e32 v90, v91, v90
	v_cndmask_b32_e32 v89, v89, v18, vcc
	v_cmp_u_f32_e64 s[4:5], v17, v17
	v_cndmask_b32_e32 v90, v90, v18, vcc
	v_cndmask_b32_e64 v89, v89, v17, s[4:5]
	v_cndmask_b32_e64 v17, v90, v17, s[4:5]
	v_cmp_neq_f32_e32 vcc, v89, v17
	v_cmp_class_f32_e64 s[4:5], v89, s78
	s_or_b64 s[74:75], vcc, s[4:5]
	s_and_saveexec_b64 s[4:5], s[74:75]
	s_cbranch_execz .LBB507_177
; %bb.209:                              ;   in Loop: Header=BB507_179 Depth=1
	v_sub_f32_e32 v18, v89, v17
	v_mul_f32_e32 v89, 0x3fb8aa3b, v18
	v_fma_f32 v90, v18, s79, -v89
	v_rndne_f32_e32 v91, v89
	v_fmac_f32_e32 v90, 0x32a5705f, v18
	v_sub_f32_e32 v89, v89, v91
	v_add_f32_e32 v89, v89, v90
	v_cvt_i32_f32_e32 v90, v91
	v_exp_f32_e32 v89, v89
	v_cmp_ngt_f32_e32 vcc, s84, v18
	v_ldexp_f32 v89, v89, v90
	v_cndmask_b32_e32 v89, 0, v89, vcc
	v_cmp_nlt_f32_e32 vcc, s85, v18
	v_cndmask_b32_e32 v18, v87, v89, vcc
	v_add_f32_e32 v91, 1.0, v18
	v_cvt_f64_f32_e32 v[89:90], v91
	v_add_f32_e32 v92, -1.0, v91
	v_sub_f32_e32 v93, v92, v91
	v_sub_f32_e32 v92, v18, v92
	v_frexp_exp_i32_f64_e32 v89, v[89:90]
	v_frexp_mant_f32_e32 v90, v91
	v_cmp_gt_f32_e32 vcc, s87, v90
	v_add_f32_e32 v93, 1.0, v93
	v_add_f32_e32 v92, v92, v93
	v_subbrev_co_u32_e32 v89, vcc, 0, v89, vcc
	v_sub_u32_e32 v90, 0, v89
	v_ldexp_f32 v91, v91, v90
	v_ldexp_f32 v90, v92, v90
	v_add_f32_e32 v92, -1.0, v91
	v_add_f32_e32 v95, 1.0, v91
	v_add_f32_e32 v93, 1.0, v92
	v_add_f32_e32 v96, -1.0, v95
	v_sub_f32_e32 v93, v91, v93
	v_sub_f32_e32 v91, v91, v96
	v_add_f32_e32 v93, v90, v93
	v_add_f32_e32 v90, v90, v91
	;; [unrolled: 1-line block ×3, first 2 shown]
	v_rcp_f32_e32 v96, v91
	v_add_f32_e32 v94, v92, v93
	v_sub_f32_e32 v92, v92, v94
	v_add_f32_e32 v92, v93, v92
	v_sub_f32_e32 v93, v95, v91
	v_add_f32_e32 v90, v90, v93
	v_mul_f32_e32 v93, v94, v96
	v_mul_f32_e32 v95, v91, v93
	v_fma_f32 v97, v93, v91, -v95
	v_fmac_f32_e32 v97, v93, v90
	v_add_f32_e32 v98, v95, v97
	v_sub_f32_e32 v99, v94, v98
	v_sub_f32_e32 v94, v94, v99
	;; [unrolled: 1-line block ×4, first 2 shown]
	v_add_f32_e32 v92, v92, v94
	v_sub_f32_e32 v94, v95, v97
	v_add_f32_e32 v92, v94, v92
	v_add_f32_e32 v94, v99, v92
	v_mul_f32_e32 v95, v96, v94
	v_mul_f32_e32 v97, v91, v95
	v_fma_f32 v91, v95, v91, -v97
	v_fmac_f32_e32 v91, v95, v90
	v_sub_f32_e32 v90, v99, v94
	v_add_f32_e32 v90, v92, v90
	v_add_f32_e32 v92, v97, v91
	v_sub_f32_e32 v98, v94, v92
	v_sub_f32_e32 v94, v94, v98
	;; [unrolled: 1-line block ×4, first 2 shown]
	v_add_f32_e32 v90, v90, v92
	v_sub_f32_e32 v91, v97, v91
	v_cvt_f32_i32_e32 v89, v89
	v_add_f32_e32 v90, v91, v90
	v_add_f32_e32 v91, v93, v95
	;; [unrolled: 1-line block ×3, first 2 shown]
	v_sub_f32_e32 v92, v91, v93
	v_mul_f32_e32 v90, v96, v90
	v_sub_f32_e32 v92, v95, v92
	v_add_f32_e32 v90, v92, v90
	v_mul_f32_e32 v95, 0x3f317218, v89
	v_add_f32_e32 v92, v91, v90
	v_fma_f32 v96, v89, s88, -v95
	v_mul_f32_e32 v93, v92, v92
	v_mov_b32_e32 v94, 0x3ecc95a3
	v_fmac_f32_e32 v96, 0xb102e308, v89
	v_sub_f32_e32 v89, v92, v91
	v_fmac_f32_e32 v94, 0x3e9b6dac, v93
	v_sub_f32_e32 v89, v90, v89
	v_add_f32_e32 v90, v95, v96
	v_fma_f32 v94, v93, v94, v85
	v_sub_f32_e32 v91, v90, v95
	v_ldexp_f32 v95, v92, 1
	v_mul_f32_e32 v92, v92, v93
	v_mul_f32_e32 v92, v92, v94
	v_add_f32_e32 v93, v95, v92
	v_sub_f32_e32 v94, v93, v95
	v_ldexp_f32 v89, v89, 1
	v_sub_f32_e32 v92, v92, v94
	v_add_f32_e32 v89, v89, v92
	v_add_f32_e32 v92, v93, v89
	v_sub_f32_e32 v93, v92, v93
	v_sub_f32_e32 v89, v89, v93
	v_add_f32_e32 v93, v90, v92
	v_sub_f32_e32 v94, v93, v90
	v_sub_f32_e32 v95, v93, v94
	;; [unrolled: 1-line block ×5, first 2 shown]
	v_add_f32_e32 v90, v92, v90
	v_add_f32_e32 v92, v91, v89
	v_sub_f32_e32 v94, v92, v91
	v_sub_f32_e32 v95, v92, v94
	v_sub_f32_e32 v91, v91, v95
	v_sub_f32_e32 v89, v89, v94
	v_add_f32_e32 v90, v92, v90
	v_add_f32_e32 v89, v89, v91
	;; [unrolled: 1-line block ×3, first 2 shown]
	v_sub_f32_e32 v92, v91, v93
	v_sub_f32_e32 v90, v90, v92
	v_add_f32_e32 v89, v89, v90
	v_add_f32_e32 v89, v91, v89
	v_cmp_neq_f32_e32 vcc, s86, v18
	v_cndmask_b32_e32 v89, v87, v89, vcc
	v_cmp_lt_f32_e64 vcc, |v18|, s89
	v_cndmask_b32_e32 v18, v89, v18, vcc
	v_add_f32_e32 v18, v17, v18
	s_branch .LBB507_177
.LBB507_210:
                                        ; implicit-def: $vgpr13
                                        ; implicit-def: $vgpr14
                                        ; implicit-def: $vgpr15
                                        ; implicit-def: $vgpr16
                                        ; implicit-def: $vgpr17
                                        ; implicit-def: $vgpr18
                                        ; implicit-def: $vgpr21
                                        ; implicit-def: $vgpr22
                                        ; implicit-def: $vgpr23
                                        ; implicit-def: $vgpr24
                                        ; implicit-def: $vgpr25
                                        ; implicit-def: $vgpr26
                                        ; implicit-def: $vgpr27
                                        ; implicit-def: $vgpr28
                                        ; implicit-def: $vgpr29
                                        ; implicit-def: $vgpr30
                                        ; implicit-def: $vgpr31
                                        ; implicit-def: $vgpr32
                                        ; implicit-def: $vgpr33
                                        ; implicit-def: $vgpr34
                                        ; implicit-def: $vgpr35
                                        ; implicit-def: $vgpr36
                                        ; implicit-def: $vgpr37
                                        ; implicit-def: $vgpr38
	s_cbranch_execnz .LBB507_270
	s_branch .LBB507_413
.LBB507_211:
	s_and_saveexec_b64 s[74:75], s[56:57]
	s_cbranch_execz .LBB507_215
; %bb.212:
	v_lshlrev_b32_e32 v14, 16, v84
	v_lshlrev_b32_e32 v13, 16, v70
	v_max_f32_e32 v16, v13, v13
	v_max_f32_e32 v17, v14, v14
	v_min_f32_e32 v15, v17, v16
	v_cmp_u_f32_e32 vcc, v14, v14
	v_max_f32_e32 v16, v17, v16
	v_cndmask_b32_e32 v15, v15, v14, vcc
	v_cmp_u_f32_e64 s[4:5], v13, v13
	v_cndmask_b32_e32 v16, v16, v14, vcc
	v_cndmask_b32_e64 v15, v15, v13, s[4:5]
	v_cndmask_b32_e64 v13, v16, v13, s[4:5]
	s_movk_i32 s4, 0x1f8
	v_cmp_neq_f32_e32 vcc, v15, v13
	v_cmp_class_f32_e64 s[4:5], v15, s4
	s_or_b64 s[56:57], vcc, s[4:5]
	s_and_saveexec_b64 s[4:5], s[56:57]
	s_cbranch_execz .LBB507_214
; %bb.213:
	v_sub_f32_e32 v14, v15, v13
	s_mov_b32 s56, 0x3fb8aa3b
	v_mul_f32_e32 v15, 0x3fb8aa3b, v14
	v_fma_f32 v16, v14, s56, -v15
	v_rndne_f32_e32 v17, v15
	v_fmac_f32_e32 v16, 0x32a5705f, v14
	v_sub_f32_e32 v15, v15, v17
	v_add_f32_e32 v15, v15, v16
	v_exp_f32_e32 v15, v15
	v_cvt_i32_f32_e32 v16, v17
	s_mov_b32 s56, 0xc2ce8ed0
	v_cmp_ngt_f32_e32 vcc, s56, v14
	s_mov_b32 s56, 0x42b17218
	v_ldexp_f32 v15, v15, v16
	v_cndmask_b32_e32 v15, 0, v15, vcc
	v_mov_b32_e32 v16, 0x7f800000
	v_cmp_nlt_f32_e32 vcc, s56, v14
	v_cndmask_b32_e32 v17, v16, v15, vcc
	s_waitcnt lgkmcnt(0)
	v_add_f32_e32 v18, 1.0, v17
	v_cvt_f64_f32_e32 v[14:15], v18
	v_add_f32_e32 v70, -1.0, v18
	v_sub_f32_e32 v71, v70, v18
	v_sub_f32_e32 v70, v17, v70
	v_frexp_exp_i32_f64_e32 v14, v[14:15]
	v_add_f32_e32 v15, 1.0, v71
	v_add_f32_e32 v15, v70, v15
	v_frexp_mant_f32_e32 v70, v18
	s_mov_b32 s57, 0x3f2aaaab
	v_cmp_gt_f32_e32 vcc, s57, v70
	s_mov_b32 s57, 0x3f317218
	s_mov_b32 s56, 0x7f800000
	v_subbrev_co_u32_e32 v14, vcc, 0, v14, vcc
	v_sub_u32_e32 v70, 0, v14
	v_ldexp_f32 v18, v18, v70
	v_ldexp_f32 v15, v15, v70
	v_add_f32_e32 v70, -1.0, v18
	v_add_f32_e32 v73, 1.0, v18
	v_add_f32_e32 v71, 1.0, v70
	v_add_f32_e32 v74, -1.0, v73
	v_sub_f32_e32 v71, v18, v71
	v_sub_f32_e32 v18, v18, v74
	v_add_f32_e32 v71, v15, v71
	v_add_f32_e32 v15, v15, v18
	;; [unrolled: 1-line block ×3, first 2 shown]
	v_rcp_f32_e32 v74, v18
	v_add_f32_e32 v72, v70, v71
	v_sub_f32_e32 v70, v70, v72
	v_add_f32_e32 v70, v71, v70
	v_sub_f32_e32 v71, v73, v18
	v_add_f32_e32 v15, v15, v71
	v_mul_f32_e32 v71, v72, v74
	v_mul_f32_e32 v73, v18, v71
	v_fma_f32 v75, v71, v18, -v73
	v_fmac_f32_e32 v75, v71, v15
	v_add_f32_e32 v76, v73, v75
	v_sub_f32_e32 v77, v72, v76
	v_sub_f32_e32 v72, v72, v77
	;; [unrolled: 1-line block ×4, first 2 shown]
	v_add_f32_e32 v70, v70, v72
	v_sub_f32_e32 v72, v73, v75
	v_add_f32_e32 v70, v72, v70
	v_add_f32_e32 v72, v77, v70
	v_mul_f32_e32 v73, v74, v72
	v_mul_f32_e32 v75, v18, v73
	v_fma_f32 v18, v73, v18, -v75
	v_fmac_f32_e32 v18, v73, v15
	v_sub_f32_e32 v15, v77, v72
	v_add_f32_e32 v15, v70, v15
	v_add_f32_e32 v70, v75, v18
	v_sub_f32_e32 v76, v72, v70
	v_sub_f32_e32 v72, v72, v76
	;; [unrolled: 1-line block ×4, first 2 shown]
	v_add_f32_e32 v15, v15, v70
	v_sub_f32_e32 v18, v75, v18
	v_add_f32_e32 v15, v18, v15
	v_add_f32_e32 v18, v71, v73
	;; [unrolled: 1-line block ×3, first 2 shown]
	v_sub_f32_e32 v70, v18, v71
	v_mul_f32_e32 v15, v74, v15
	v_sub_f32_e32 v70, v73, v70
	v_add_f32_e32 v15, v70, v15
	v_cvt_f32_i32_e32 v14, v14
	v_add_f32_e32 v70, v18, v15
	v_mul_f32_e32 v71, v70, v70
	v_mov_b32_e32 v72, 0x3ecc95a3
	v_fmac_f32_e32 v72, 0x3e9b6dac, v71
	v_mov_b32_e32 v73, 0x3f2aaada
	v_fmac_f32_e32 v73, v71, v72
	v_mul_f32_e32 v72, 0x3f317218, v14
	v_fma_f32 v74, v14, s57, -v72
	v_fmac_f32_e32 v74, 0xb102e308, v14
	v_sub_f32_e32 v14, v70, v18
	v_sub_f32_e32 v14, v15, v14
	v_add_f32_e32 v15, v72, v74
	v_sub_f32_e32 v18, v15, v72
	v_ldexp_f32 v72, v70, 1
	v_mul_f32_e32 v70, v70, v71
	v_mul_f32_e32 v70, v70, v73
	v_add_f32_e32 v71, v72, v70
	v_sub_f32_e32 v72, v71, v72
	v_ldexp_f32 v14, v14, 1
	v_sub_f32_e32 v70, v70, v72
	v_add_f32_e32 v14, v14, v70
	v_add_f32_e32 v70, v71, v14
	v_sub_f32_e32 v71, v70, v71
	v_sub_f32_e32 v14, v14, v71
	v_add_f32_e32 v71, v15, v70
	v_sub_f32_e32 v72, v71, v15
	v_sub_f32_e32 v73, v71, v72
	;; [unrolled: 1-line block ×5, first 2 shown]
	v_add_f32_e32 v15, v70, v15
	v_add_f32_e32 v70, v18, v14
	v_sub_f32_e32 v72, v70, v18
	v_sub_f32_e32 v73, v70, v72
	v_sub_f32_e32 v18, v18, v73
	v_sub_f32_e32 v14, v14, v72
	v_add_f32_e32 v15, v70, v15
	v_add_f32_e32 v14, v14, v18
	;; [unrolled: 1-line block ×3, first 2 shown]
	v_sub_f32_e32 v70, v18, v71
	v_sub_f32_e32 v15, v15, v70
	v_add_f32_e32 v14, v14, v15
	v_add_f32_e32 v14, v18, v14
	v_cmp_neq_f32_e32 vcc, s56, v17
	s_mov_b32 s56, 0x33800000
	v_cndmask_b32_e32 v14, v16, v14, vcc
	v_cmp_lt_f32_e64 vcc, |v17|, s56
	v_cndmask_b32_e32 v14, v14, v17, vcc
	v_add_f32_e32 v14, v13, v14
.LBB507_214:
	s_or_b64 exec, exec, s[4:5]
	v_bfe_u32 v13, v14, 16, 1
	s_movk_i32 s4, 0x7fff
	v_add3_u32 v13, v14, v13, s4
	s_add_i32 s4, s83, 64
	s_mov_b32 s5, 0
	s_lshl_b64 s[4:5], s[4:5], 2
	s_mov_b32 s56, 0x20000
	s_add_u32 s4, s80, s4
	v_or_b32_sdwa v13, v13, s56 dst_sel:DWORD dst_unused:UNUSED_PAD src0_sel:WORD_1 src1_sel:DWORD
	v_mov_b32_e32 v16, 0x27fc0
	v_cmp_o_f32_e32 vcc, v14, v14
	s_addc_u32 s5, s81, s5
	v_mov_b32_e32 v15, 0
	v_cndmask_b32_e32 v13, v16, v13, vcc
	global_store_dword v15, v13, s[4:5]
.LBB507_215:
	s_or_b64 exec, exec, s[74:75]
	s_and_b64 exec, exec, s[60:61]
; %bb.216:
	v_mov_b32_e32 v13, 0
	ds_write_b16 v13, v84
.LBB507_217:
	s_or_b64 exec, exec, s[58:59]
	v_mov_b32_e32 v13, 0
	s_waitcnt vmcnt(0) lgkmcnt(0)
	s_barrier
	ds_read_u16 v13, v13
	s_and_saveexec_b64 s[4:5], s[2:3]
	s_cbranch_execz .LBB507_221
; %bb.218:
	v_lshlrev_b32_e32 v15, 16, v69
	v_max_f32_e32 v14, v15, v15
	v_min_f32_e32 v16, v14, v68
	v_cmp_u_f32_e32 vcc, v15, v15
	v_max_f32_e32 v14, v14, v68
	v_cndmask_b32_e32 v16, v16, v15, vcc
	v_cndmask_b32_e32 v14, v14, v15, vcc
	v_cndmask_b32_e64 v16, v16, v67, s[54:55]
	v_cndmask_b32_e64 v14, v14, v67, s[54:55]
	s_movk_i32 s54, 0x1f8
	v_cmp_neq_f32_e32 vcc, v16, v14
	v_cmp_class_f32_e64 s[54:55], v16, s54
	s_or_b64 s[56:57], vcc, s[54:55]
	s_and_saveexec_b64 s[54:55], s[56:57]
	s_cbranch_execz .LBB507_220
; %bb.219:
	v_sub_f32_e32 v15, v16, v14
	s_mov_b32 s56, 0x3fb8aa3b
	v_mul_f32_e32 v16, 0x3fb8aa3b, v15
	v_fma_f32 v17, v15, s56, -v16
	v_rndne_f32_e32 v18, v16
	v_fmac_f32_e32 v17, 0x32a5705f, v15
	v_sub_f32_e32 v16, v16, v18
	v_add_f32_e32 v16, v16, v17
	v_exp_f32_e32 v16, v16
	v_cvt_i32_f32_e32 v17, v18
	s_mov_b32 s56, 0xc2ce8ed0
	v_cmp_ngt_f32_e32 vcc, s56, v15
	s_mov_b32 s56, 0x42b17218
	v_ldexp_f32 v16, v16, v17
	v_cndmask_b32_e32 v16, 0, v16, vcc
	v_mov_b32_e32 v17, 0x7f800000
	v_cmp_nlt_f32_e32 vcc, s56, v15
	v_cndmask_b32_e32 v18, v17, v16, vcc
	v_add_f32_e32 v67, 1.0, v18
	v_cvt_f64_f32_e32 v[15:16], v67
	v_add_f32_e32 v68, -1.0, v67
	v_sub_f32_e32 v69, v68, v67
	v_sub_f32_e32 v68, v18, v68
	v_frexp_exp_i32_f64_e32 v15, v[15:16]
	v_add_f32_e32 v16, 1.0, v69
	v_add_f32_e32 v16, v68, v16
	v_frexp_mant_f32_e32 v68, v67
	s_mov_b32 s57, 0x3f2aaaab
	v_cmp_gt_f32_e32 vcc, s57, v68
	s_mov_b32 s57, 0x3f317218
	s_mov_b32 s56, 0x7f800000
	v_subbrev_co_u32_e32 v15, vcc, 0, v15, vcc
	v_sub_u32_e32 v68, 0, v15
	v_ldexp_f32 v67, v67, v68
	v_ldexp_f32 v16, v16, v68
	v_add_f32_e32 v68, -1.0, v67
	v_add_f32_e32 v71, 1.0, v67
	v_add_f32_e32 v69, 1.0, v68
	v_add_f32_e32 v72, -1.0, v71
	v_sub_f32_e32 v69, v67, v69
	v_sub_f32_e32 v67, v67, v72
	v_add_f32_e32 v69, v16, v69
	v_add_f32_e32 v16, v16, v67
	;; [unrolled: 1-line block ×3, first 2 shown]
	v_rcp_f32_e32 v72, v67
	v_add_f32_e32 v70, v68, v69
	v_sub_f32_e32 v68, v68, v70
	v_add_f32_e32 v68, v69, v68
	v_sub_f32_e32 v69, v71, v67
	v_add_f32_e32 v16, v16, v69
	v_mul_f32_e32 v69, v70, v72
	v_mul_f32_e32 v71, v67, v69
	v_fma_f32 v73, v69, v67, -v71
	v_fmac_f32_e32 v73, v69, v16
	v_add_f32_e32 v74, v71, v73
	v_sub_f32_e32 v75, v70, v74
	v_sub_f32_e32 v70, v70, v75
	;; [unrolled: 1-line block ×4, first 2 shown]
	v_add_f32_e32 v68, v68, v70
	v_sub_f32_e32 v70, v71, v73
	v_add_f32_e32 v68, v70, v68
	v_add_f32_e32 v70, v75, v68
	v_mul_f32_e32 v71, v72, v70
	v_mul_f32_e32 v73, v67, v71
	v_fma_f32 v67, v71, v67, -v73
	v_fmac_f32_e32 v67, v71, v16
	v_sub_f32_e32 v16, v75, v70
	v_add_f32_e32 v16, v68, v16
	v_add_f32_e32 v68, v73, v67
	v_sub_f32_e32 v74, v70, v68
	v_sub_f32_e32 v70, v70, v74
	;; [unrolled: 1-line block ×4, first 2 shown]
	v_add_f32_e32 v16, v16, v68
	v_sub_f32_e32 v67, v73, v67
	v_add_f32_e32 v16, v67, v16
	v_add_f32_e32 v67, v69, v71
	;; [unrolled: 1-line block ×3, first 2 shown]
	v_sub_f32_e32 v68, v67, v69
	v_mul_f32_e32 v16, v72, v16
	v_sub_f32_e32 v68, v71, v68
	v_add_f32_e32 v16, v68, v16
	v_cvt_f32_i32_e32 v15, v15
	v_add_f32_e32 v68, v67, v16
	v_mul_f32_e32 v69, v68, v68
	v_mov_b32_e32 v70, 0x3ecc95a3
	v_fmac_f32_e32 v70, 0x3e9b6dac, v69
	v_mov_b32_e32 v71, 0x3f2aaada
	v_fmac_f32_e32 v71, v69, v70
	v_mul_f32_e32 v70, 0x3f317218, v15
	v_fma_f32 v72, v15, s57, -v70
	v_fmac_f32_e32 v72, 0xb102e308, v15
	v_sub_f32_e32 v15, v68, v67
	v_sub_f32_e32 v15, v16, v15
	v_add_f32_e32 v16, v70, v72
	v_sub_f32_e32 v67, v16, v70
	v_ldexp_f32 v70, v68, 1
	v_mul_f32_e32 v68, v68, v69
	v_mul_f32_e32 v68, v68, v71
	v_add_f32_e32 v69, v70, v68
	v_sub_f32_e32 v70, v69, v70
	v_ldexp_f32 v15, v15, 1
	v_sub_f32_e32 v68, v68, v70
	v_add_f32_e32 v15, v15, v68
	v_add_f32_e32 v68, v69, v15
	v_sub_f32_e32 v69, v68, v69
	v_sub_f32_e32 v15, v15, v69
	v_add_f32_e32 v69, v16, v68
	v_sub_f32_e32 v70, v69, v16
	v_sub_f32_e32 v71, v69, v70
	;; [unrolled: 1-line block ×5, first 2 shown]
	v_add_f32_e32 v16, v68, v16
	v_add_f32_e32 v68, v67, v15
	v_sub_f32_e32 v70, v68, v67
	v_sub_f32_e32 v71, v68, v70
	;; [unrolled: 1-line block ×4, first 2 shown]
	v_add_f32_e32 v16, v68, v16
	v_add_f32_e32 v15, v15, v67
	;; [unrolled: 1-line block ×3, first 2 shown]
	v_sub_f32_e32 v68, v67, v69
	v_sub_f32_e32 v16, v16, v68
	v_add_f32_e32 v15, v15, v16
	v_add_f32_e32 v15, v67, v15
	v_cmp_neq_f32_e32 vcc, s56, v18
	s_mov_b32 s56, 0x33800000
	v_cndmask_b32_e32 v15, v17, v15, vcc
	v_cmp_lt_f32_e64 vcc, |v18|, s56
	v_cndmask_b32_e32 v15, v15, v18, vcc
	v_add_f32_e32 v15, v14, v15
.LBB507_220:
	s_or_b64 exec, exec, s[54:55]
	v_bfe_u32 v14, v15, 16, 1
	s_movk_i32 s54, 0x7fff
	v_add3_u32 v14, v15, v14, s54
	v_and_b32_e32 v14, 0xffff0000, v14
	v_mov_b32_e32 v16, 0x7fc00000
	v_cmp_o_f32_e32 vcc, v15, v15
	v_cndmask_b32_e32 v67, v16, v14, vcc
.LBB507_221:
	s_or_b64 exec, exec, s[4:5]
	s_waitcnt lgkmcnt(0)
	v_lshlrev_b32_e32 v14, 16, v13
	v_max_f32_e32 v13, v67, v67
	v_max_f32_e32 v16, v14, v14
	v_min_f32_e32 v15, v16, v13
	v_cmp_u_f32_e32 vcc, v14, v14
	v_max_f32_e32 v13, v16, v13
	v_cndmask_b32_e32 v15, v15, v14, vcc
	v_cmp_u_f32_e64 s[4:5], v67, v67
	v_cndmask_b32_e32 v13, v13, v14, vcc
	v_cndmask_b32_e64 v15, v15, v67, s[4:5]
	v_cndmask_b32_e64 v13, v13, v67, s[4:5]
	s_movk_i32 s54, 0x1f8
	v_cmp_neq_f32_e32 vcc, v15, v13
	v_cmp_class_f32_e64 s[4:5], v15, s54
	s_or_b64 s[56:57], vcc, s[4:5]
	s_and_saveexec_b64 s[4:5], s[56:57]
	s_cbranch_execz .LBB507_223
; %bb.222:
	v_sub_f32_e32 v14, v15, v13
	s_mov_b32 s55, 0x3fb8aa3b
	v_mul_f32_e32 v15, 0x3fb8aa3b, v14
	v_fma_f32 v16, v14, s55, -v15
	v_rndne_f32_e32 v17, v15
	v_fmac_f32_e32 v16, 0x32a5705f, v14
	v_sub_f32_e32 v15, v15, v17
	v_add_f32_e32 v15, v15, v16
	v_exp_f32_e32 v15, v15
	v_cvt_i32_f32_e32 v16, v17
	s_mov_b32 s55, 0xc2ce8ed0
	v_cmp_ngt_f32_e32 vcc, s55, v14
	s_mov_b32 s55, 0x42b17218
	v_ldexp_f32 v15, v15, v16
	v_cndmask_b32_e32 v15, 0, v15, vcc
	v_mov_b32_e32 v16, 0x7f800000
	v_cmp_nlt_f32_e32 vcc, s55, v14
	v_cndmask_b32_e32 v17, v16, v15, vcc
	v_add_f32_e32 v18, 1.0, v17
	v_cvt_f64_f32_e32 v[14:15], v18
	v_add_f32_e32 v67, -1.0, v18
	v_sub_f32_e32 v68, v67, v18
	v_sub_f32_e32 v67, v17, v67
	v_frexp_exp_i32_f64_e32 v14, v[14:15]
	v_add_f32_e32 v15, 1.0, v68
	v_add_f32_e32 v15, v67, v15
	v_frexp_mant_f32_e32 v67, v18
	s_mov_b32 s56, 0x3f2aaaab
	v_cmp_gt_f32_e32 vcc, s56, v67
	s_mov_b32 s56, 0x3f317218
	s_mov_b32 s55, 0x7f800000
	v_subbrev_co_u32_e32 v14, vcc, 0, v14, vcc
	v_sub_u32_e32 v67, 0, v14
	v_ldexp_f32 v18, v18, v67
	v_ldexp_f32 v15, v15, v67
	v_add_f32_e32 v67, -1.0, v18
	v_add_f32_e32 v70, 1.0, v18
	v_add_f32_e32 v68, 1.0, v67
	v_add_f32_e32 v71, -1.0, v70
	v_sub_f32_e32 v68, v18, v68
	v_sub_f32_e32 v18, v18, v71
	v_add_f32_e32 v68, v15, v68
	v_add_f32_e32 v15, v15, v18
	;; [unrolled: 1-line block ×3, first 2 shown]
	v_rcp_f32_e32 v71, v18
	v_add_f32_e32 v69, v67, v68
	v_sub_f32_e32 v67, v67, v69
	v_add_f32_e32 v67, v68, v67
	v_sub_f32_e32 v68, v70, v18
	v_add_f32_e32 v15, v15, v68
	v_mul_f32_e32 v68, v69, v71
	v_mul_f32_e32 v70, v18, v68
	v_fma_f32 v72, v68, v18, -v70
	v_fmac_f32_e32 v72, v68, v15
	v_add_f32_e32 v73, v70, v72
	v_sub_f32_e32 v74, v69, v73
	v_sub_f32_e32 v69, v69, v74
	;; [unrolled: 1-line block ×4, first 2 shown]
	v_add_f32_e32 v67, v67, v69
	v_sub_f32_e32 v69, v70, v72
	v_add_f32_e32 v67, v69, v67
	v_add_f32_e32 v69, v74, v67
	v_mul_f32_e32 v70, v71, v69
	v_mul_f32_e32 v72, v18, v70
	v_fma_f32 v18, v70, v18, -v72
	v_fmac_f32_e32 v18, v70, v15
	v_sub_f32_e32 v15, v74, v69
	v_add_f32_e32 v15, v67, v15
	v_add_f32_e32 v67, v72, v18
	v_sub_f32_e32 v73, v69, v67
	v_sub_f32_e32 v69, v69, v73
	;; [unrolled: 1-line block ×4, first 2 shown]
	v_add_f32_e32 v15, v15, v67
	v_sub_f32_e32 v18, v72, v18
	v_add_f32_e32 v15, v18, v15
	v_add_f32_e32 v18, v68, v70
	;; [unrolled: 1-line block ×3, first 2 shown]
	v_sub_f32_e32 v67, v18, v68
	v_mul_f32_e32 v15, v71, v15
	v_sub_f32_e32 v67, v70, v67
	v_add_f32_e32 v15, v67, v15
	v_cvt_f32_i32_e32 v14, v14
	v_add_f32_e32 v67, v18, v15
	v_mul_f32_e32 v68, v67, v67
	v_mov_b32_e32 v69, 0x3ecc95a3
	v_fmac_f32_e32 v69, 0x3e9b6dac, v68
	v_mov_b32_e32 v70, 0x3f2aaada
	v_fmac_f32_e32 v70, v68, v69
	v_mul_f32_e32 v69, 0x3f317218, v14
	v_fma_f32 v71, v14, s56, -v69
	v_fmac_f32_e32 v71, 0xb102e308, v14
	v_sub_f32_e32 v14, v67, v18
	v_sub_f32_e32 v14, v15, v14
	v_add_f32_e32 v15, v69, v71
	v_sub_f32_e32 v18, v15, v69
	v_ldexp_f32 v69, v67, 1
	v_mul_f32_e32 v67, v67, v68
	v_mul_f32_e32 v67, v67, v70
	v_add_f32_e32 v68, v69, v67
	v_sub_f32_e32 v69, v68, v69
	v_ldexp_f32 v14, v14, 1
	v_sub_f32_e32 v67, v67, v69
	v_add_f32_e32 v14, v14, v67
	v_add_f32_e32 v67, v68, v14
	v_sub_f32_e32 v68, v67, v68
	v_sub_f32_e32 v14, v14, v68
	v_add_f32_e32 v68, v15, v67
	v_sub_f32_e32 v69, v68, v15
	v_sub_f32_e32 v70, v68, v69
	;; [unrolled: 1-line block ×5, first 2 shown]
	v_add_f32_e32 v15, v67, v15
	v_add_f32_e32 v67, v18, v14
	v_sub_f32_e32 v69, v67, v18
	v_sub_f32_e32 v70, v67, v69
	;; [unrolled: 1-line block ×4, first 2 shown]
	v_add_f32_e32 v15, v67, v15
	v_add_f32_e32 v14, v14, v18
	;; [unrolled: 1-line block ×3, first 2 shown]
	v_sub_f32_e32 v67, v18, v68
	v_sub_f32_e32 v15, v15, v67
	v_add_f32_e32 v14, v14, v15
	v_add_f32_e32 v14, v18, v14
	v_cmp_neq_f32_e32 vcc, s55, v17
	s_mov_b32 s55, 0x33800000
	v_cndmask_b32_e32 v14, v16, v14, vcc
	v_cmp_lt_f32_e64 vcc, |v17|, s55
	v_cndmask_b32_e32 v14, v14, v17, vcc
	v_add_f32_e32 v14, v13, v14
.LBB507_223:
	s_or_b64 exec, exec, s[4:5]
	v_bfe_u32 v13, v14, 16, 1
	s_movk_i32 s55, 0x7fff
	v_add3_u32 v13, v14, v13, s55
	v_cmp_o_f32_e32 vcc, v14, v14
	v_mov_b32_e32 v14, 0x7fc0
	v_cndmask_b32_sdwa v13, v14, v13, vcc dst_sel:DWORD dst_unused:UNUSED_PAD src0_sel:DWORD src1_sel:WORD_1
	v_lshlrev_b32_e32 v16, 16, v13
	v_max_f32_e32 v15, v16, v16
	v_min_f32_e32 v17, v15, v22
	v_cmp_u_f32_e32 vcc, v16, v16
	v_max_f32_e32 v15, v15, v22
	v_cndmask_b32_e32 v17, v17, v16, vcc
	v_cndmask_b32_e32 v15, v15, v16, vcc
	v_cndmask_b32_e64 v17, v17, v21, s[6:7]
	v_cndmask_b32_e64 v15, v15, v21, s[6:7]
	v_cmp_neq_f32_e32 vcc, v17, v15
	v_cmp_class_f32_e64 s[4:5], v17, s54
	s_or_b64 s[6:7], vcc, s[4:5]
	s_and_saveexec_b64 s[4:5], s[6:7]
	s_cbranch_execz .LBB507_225
; %bb.224:
	v_sub_f32_e32 v16, v17, v15
	s_mov_b32 s6, 0x3fb8aa3b
	v_mul_f32_e32 v17, 0x3fb8aa3b, v16
	v_fma_f32 v18, v16, s6, -v17
	v_rndne_f32_e32 v21, v17
	v_fmac_f32_e32 v18, 0x32a5705f, v16
	v_sub_f32_e32 v17, v17, v21
	v_add_f32_e32 v17, v17, v18
	v_exp_f32_e32 v17, v17
	v_cvt_i32_f32_e32 v18, v21
	s_mov_b32 s6, 0xc2ce8ed0
	v_cmp_ngt_f32_e32 vcc, s6, v16
	s_mov_b32 s6, 0x42b17218
	v_ldexp_f32 v17, v17, v18
	v_cndmask_b32_e32 v17, 0, v17, vcc
	v_mov_b32_e32 v18, 0x7f800000
	v_cmp_nlt_f32_e32 vcc, s6, v16
	v_cndmask_b32_e32 v21, v18, v17, vcc
	v_add_f32_e32 v22, 1.0, v21
	v_cvt_f64_f32_e32 v[16:17], v22
	v_add_f32_e32 v67, -1.0, v22
	v_sub_f32_e32 v68, v67, v22
	v_sub_f32_e32 v67, v21, v67
	v_frexp_exp_i32_f64_e32 v16, v[16:17]
	v_add_f32_e32 v17, 1.0, v68
	v_add_f32_e32 v17, v67, v17
	v_frexp_mant_f32_e32 v67, v22
	s_mov_b32 s7, 0x3f2aaaab
	v_cmp_gt_f32_e32 vcc, s7, v67
	s_mov_b32 s7, 0x3f317218
	s_mov_b32 s6, 0x7f800000
	v_subbrev_co_u32_e32 v16, vcc, 0, v16, vcc
	v_sub_u32_e32 v67, 0, v16
	v_ldexp_f32 v22, v22, v67
	v_ldexp_f32 v17, v17, v67
	v_add_f32_e32 v67, -1.0, v22
	v_add_f32_e32 v70, 1.0, v22
	v_add_f32_e32 v68, 1.0, v67
	v_add_f32_e32 v71, -1.0, v70
	v_sub_f32_e32 v68, v22, v68
	v_sub_f32_e32 v22, v22, v71
	v_add_f32_e32 v68, v17, v68
	v_add_f32_e32 v17, v17, v22
	;; [unrolled: 1-line block ×3, first 2 shown]
	v_rcp_f32_e32 v71, v22
	v_add_f32_e32 v69, v67, v68
	v_sub_f32_e32 v67, v67, v69
	v_add_f32_e32 v67, v68, v67
	v_sub_f32_e32 v68, v70, v22
	v_add_f32_e32 v17, v17, v68
	v_mul_f32_e32 v68, v69, v71
	v_mul_f32_e32 v70, v22, v68
	v_fma_f32 v72, v68, v22, -v70
	v_fmac_f32_e32 v72, v68, v17
	v_add_f32_e32 v73, v70, v72
	v_sub_f32_e32 v74, v69, v73
	v_sub_f32_e32 v69, v69, v74
	;; [unrolled: 1-line block ×4, first 2 shown]
	v_add_f32_e32 v67, v67, v69
	v_sub_f32_e32 v69, v70, v72
	v_add_f32_e32 v67, v69, v67
	v_add_f32_e32 v69, v74, v67
	v_mul_f32_e32 v70, v71, v69
	v_mul_f32_e32 v72, v22, v70
	v_fma_f32 v22, v70, v22, -v72
	v_fmac_f32_e32 v22, v70, v17
	v_sub_f32_e32 v17, v74, v69
	v_add_f32_e32 v17, v67, v17
	v_add_f32_e32 v67, v72, v22
	v_sub_f32_e32 v73, v69, v67
	v_sub_f32_e32 v69, v69, v73
	;; [unrolled: 1-line block ×4, first 2 shown]
	v_add_f32_e32 v17, v17, v67
	v_sub_f32_e32 v22, v72, v22
	v_add_f32_e32 v17, v22, v17
	v_add_f32_e32 v22, v68, v70
	;; [unrolled: 1-line block ×3, first 2 shown]
	v_sub_f32_e32 v67, v22, v68
	v_mul_f32_e32 v17, v71, v17
	v_sub_f32_e32 v67, v70, v67
	v_add_f32_e32 v17, v67, v17
	v_cvt_f32_i32_e32 v16, v16
	v_add_f32_e32 v67, v22, v17
	v_mul_f32_e32 v68, v67, v67
	v_mov_b32_e32 v69, 0x3ecc95a3
	v_fmac_f32_e32 v69, 0x3e9b6dac, v68
	v_mov_b32_e32 v70, 0x3f2aaada
	v_fmac_f32_e32 v70, v68, v69
	v_mul_f32_e32 v69, 0x3f317218, v16
	v_fma_f32 v71, v16, s7, -v69
	v_fmac_f32_e32 v71, 0xb102e308, v16
	v_sub_f32_e32 v16, v67, v22
	v_sub_f32_e32 v16, v17, v16
	v_add_f32_e32 v17, v69, v71
	v_sub_f32_e32 v22, v17, v69
	v_ldexp_f32 v69, v67, 1
	v_mul_f32_e32 v67, v67, v68
	v_mul_f32_e32 v67, v67, v70
	v_add_f32_e32 v68, v69, v67
	v_sub_f32_e32 v69, v68, v69
	v_ldexp_f32 v16, v16, 1
	v_sub_f32_e32 v67, v67, v69
	v_add_f32_e32 v16, v16, v67
	v_add_f32_e32 v67, v68, v16
	v_sub_f32_e32 v68, v67, v68
	v_sub_f32_e32 v16, v16, v68
	v_add_f32_e32 v68, v17, v67
	v_sub_f32_e32 v69, v68, v17
	v_sub_f32_e32 v70, v68, v69
	;; [unrolled: 1-line block ×5, first 2 shown]
	v_add_f32_e32 v17, v67, v17
	v_add_f32_e32 v67, v22, v16
	v_sub_f32_e32 v69, v67, v22
	v_sub_f32_e32 v70, v67, v69
	;; [unrolled: 1-line block ×4, first 2 shown]
	v_add_f32_e32 v17, v67, v17
	v_add_f32_e32 v16, v16, v22
	;; [unrolled: 1-line block ×3, first 2 shown]
	v_sub_f32_e32 v67, v22, v68
	v_sub_f32_e32 v17, v17, v67
	v_add_f32_e32 v16, v16, v17
	v_add_f32_e32 v16, v22, v16
	v_cmp_neq_f32_e32 vcc, s6, v21
	s_mov_b32 s6, 0x33800000
	v_cndmask_b32_e32 v16, v18, v16, vcc
	v_cmp_lt_f32_e64 vcc, |v21|, s6
	v_cndmask_b32_e32 v16, v16, v21, vcc
	v_add_f32_e32 v16, v15, v16
.LBB507_225:
	s_or_b64 exec, exec, s[4:5]
	v_bfe_u32 v15, v16, 16, 1
	v_add3_u32 v15, v16, v15, s55
	v_cmp_o_f32_e32 vcc, v16, v16
	v_cndmask_b32_sdwa v14, v14, v15, vcc dst_sel:DWORD dst_unused:UNUSED_PAD src0_sel:DWORD src1_sel:WORD_1
	v_lshlrev_b32_e32 v16, 16, v14
	v_max_f32_e32 v15, v16, v16
	v_min_f32_e32 v17, v15, v25
	v_cmp_u_f32_e32 vcc, v16, v16
	v_max_f32_e32 v15, v15, v25
	v_cndmask_b32_e32 v17, v17, v16, vcc
	v_cndmask_b32_e32 v15, v15, v16, vcc
	v_cndmask_b32_e64 v17, v17, v23, s[8:9]
	v_cndmask_b32_e64 v15, v15, v23, s[8:9]
	s_movk_i32 s6, 0x1f8
	v_cmp_neq_f32_e32 vcc, v17, v15
	v_cmp_class_f32_e64 s[4:5], v17, s6
	s_or_b64 s[8:9], vcc, s[4:5]
	s_and_saveexec_b64 s[4:5], s[8:9]
	s_cbranch_execz .LBB507_227
; %bb.226:
	v_sub_f32_e32 v16, v17, v15
	s_mov_b32 s7, 0x3fb8aa3b
	v_mul_f32_e32 v17, 0x3fb8aa3b, v16
	v_fma_f32 v18, v16, s7, -v17
	v_rndne_f32_e32 v21, v17
	v_fmac_f32_e32 v18, 0x32a5705f, v16
	v_sub_f32_e32 v17, v17, v21
	v_add_f32_e32 v17, v17, v18
	v_exp_f32_e32 v17, v17
	v_cvt_i32_f32_e32 v18, v21
	s_mov_b32 s7, 0xc2ce8ed0
	v_cmp_ngt_f32_e32 vcc, s7, v16
	s_mov_b32 s7, 0x42b17218
	v_ldexp_f32 v17, v17, v18
	v_cndmask_b32_e32 v17, 0, v17, vcc
	v_mov_b32_e32 v18, 0x7f800000
	v_cmp_nlt_f32_e32 vcc, s7, v16
	v_cndmask_b32_e32 v21, v18, v17, vcc
	v_add_f32_e32 v22, 1.0, v21
	v_cvt_f64_f32_e32 v[16:17], v22
	v_add_f32_e32 v23, -1.0, v22
	v_sub_f32_e32 v25, v23, v22
	v_sub_f32_e32 v23, v21, v23
	v_frexp_exp_i32_f64_e32 v16, v[16:17]
	v_add_f32_e32 v17, 1.0, v25
	v_add_f32_e32 v17, v23, v17
	v_frexp_mant_f32_e32 v23, v22
	s_mov_b32 s8, 0x3f2aaaab
	v_cmp_gt_f32_e32 vcc, s8, v23
	s_mov_b32 s8, 0x3f317218
	s_mov_b32 s7, 0x7f800000
	v_subbrev_co_u32_e32 v16, vcc, 0, v16, vcc
	v_sub_u32_e32 v23, 0, v16
	v_ldexp_f32 v22, v22, v23
	v_ldexp_f32 v17, v17, v23
	v_add_f32_e32 v23, -1.0, v22
	v_add_f32_e32 v68, 1.0, v22
	v_add_f32_e32 v25, 1.0, v23
	v_add_f32_e32 v69, -1.0, v68
	v_sub_f32_e32 v25, v22, v25
	v_sub_f32_e32 v22, v22, v69
	v_add_f32_e32 v25, v17, v25
	v_add_f32_e32 v17, v17, v22
	;; [unrolled: 1-line block ×3, first 2 shown]
	v_rcp_f32_e32 v69, v22
	v_add_f32_e32 v67, v23, v25
	v_sub_f32_e32 v23, v23, v67
	v_add_f32_e32 v23, v25, v23
	v_sub_f32_e32 v25, v68, v22
	v_add_f32_e32 v17, v17, v25
	v_mul_f32_e32 v25, v67, v69
	v_mul_f32_e32 v68, v22, v25
	v_fma_f32 v70, v25, v22, -v68
	v_fmac_f32_e32 v70, v25, v17
	v_add_f32_e32 v71, v68, v70
	v_sub_f32_e32 v72, v67, v71
	v_sub_f32_e32 v67, v67, v72
	;; [unrolled: 1-line block ×4, first 2 shown]
	v_add_f32_e32 v23, v23, v67
	v_sub_f32_e32 v67, v68, v70
	v_add_f32_e32 v23, v67, v23
	v_add_f32_e32 v67, v72, v23
	v_mul_f32_e32 v68, v69, v67
	v_mul_f32_e32 v70, v22, v68
	v_fma_f32 v22, v68, v22, -v70
	v_fmac_f32_e32 v22, v68, v17
	v_sub_f32_e32 v17, v72, v67
	v_add_f32_e32 v17, v23, v17
	v_add_f32_e32 v23, v70, v22
	v_sub_f32_e32 v71, v67, v23
	v_sub_f32_e32 v67, v67, v71
	;; [unrolled: 1-line block ×4, first 2 shown]
	v_add_f32_e32 v17, v17, v23
	v_sub_f32_e32 v22, v70, v22
	v_add_f32_e32 v17, v22, v17
	v_add_f32_e32 v22, v25, v68
	;; [unrolled: 1-line block ×3, first 2 shown]
	v_sub_f32_e32 v23, v22, v25
	v_mul_f32_e32 v17, v69, v17
	v_sub_f32_e32 v23, v68, v23
	v_add_f32_e32 v17, v23, v17
	v_cvt_f32_i32_e32 v16, v16
	v_add_f32_e32 v23, v22, v17
	v_mul_f32_e32 v25, v23, v23
	v_mov_b32_e32 v67, 0x3ecc95a3
	v_fmac_f32_e32 v67, 0x3e9b6dac, v25
	v_mov_b32_e32 v68, 0x3f2aaada
	v_fmac_f32_e32 v68, v25, v67
	v_mul_f32_e32 v67, 0x3f317218, v16
	v_fma_f32 v69, v16, s8, -v67
	v_fmac_f32_e32 v69, 0xb102e308, v16
	v_sub_f32_e32 v16, v23, v22
	v_sub_f32_e32 v16, v17, v16
	v_add_f32_e32 v17, v67, v69
	v_sub_f32_e32 v22, v17, v67
	v_ldexp_f32 v67, v23, 1
	v_mul_f32_e32 v23, v23, v25
	v_mul_f32_e32 v23, v23, v68
	v_add_f32_e32 v25, v67, v23
	v_sub_f32_e32 v67, v25, v67
	v_ldexp_f32 v16, v16, 1
	v_sub_f32_e32 v23, v23, v67
	v_add_f32_e32 v16, v16, v23
	v_add_f32_e32 v23, v25, v16
	v_sub_f32_e32 v25, v23, v25
	v_sub_f32_e32 v16, v16, v25
	v_add_f32_e32 v25, v17, v23
	v_sub_f32_e32 v67, v25, v17
	v_sub_f32_e32 v68, v25, v67
	;; [unrolled: 1-line block ×5, first 2 shown]
	v_add_f32_e32 v17, v23, v17
	v_add_f32_e32 v23, v22, v16
	v_sub_f32_e32 v67, v23, v22
	v_sub_f32_e32 v68, v23, v67
	;; [unrolled: 1-line block ×4, first 2 shown]
	v_add_f32_e32 v17, v23, v17
	v_add_f32_e32 v16, v16, v22
	;; [unrolled: 1-line block ×3, first 2 shown]
	v_sub_f32_e32 v23, v22, v25
	v_sub_f32_e32 v17, v17, v23
	v_add_f32_e32 v16, v16, v17
	v_add_f32_e32 v16, v22, v16
	v_cmp_neq_f32_e32 vcc, s7, v21
	s_mov_b32 s7, 0x33800000
	v_cndmask_b32_e32 v16, v18, v16, vcc
	v_cmp_lt_f32_e64 vcc, |v21|, s7
	v_cndmask_b32_e32 v16, v16, v21, vcc
	v_add_f32_e32 v16, v15, v16
.LBB507_227:
	s_or_b64 exec, exec, s[4:5]
	v_bfe_u32 v15, v16, 16, 1
	s_movk_i32 s7, 0x7fff
	v_add3_u32 v15, v16, v15, s7
	v_cmp_o_f32_e32 vcc, v16, v16
	v_mov_b32_e32 v16, 0x7fc0
	v_cndmask_b32_sdwa v15, v16, v15, vcc dst_sel:DWORD dst_unused:UNUSED_PAD src0_sel:DWORD src1_sel:WORD_1
	v_lshlrev_b32_e32 v18, 16, v15
	v_max_f32_e32 v17, v18, v18
	v_min_f32_e32 v21, v17, v26
	v_cmp_u_f32_e32 vcc, v18, v18
	v_max_f32_e32 v17, v17, v26
	v_cndmask_b32_e32 v21, v21, v18, vcc
	v_cndmask_b32_e32 v17, v17, v18, vcc
	v_cndmask_b32_e64 v21, v21, v24, s[10:11]
	v_cndmask_b32_e64 v17, v17, v24, s[10:11]
	v_cmp_neq_f32_e32 vcc, v21, v17
	v_cmp_class_f32_e64 s[4:5], v21, s6
	s_or_b64 s[8:9], vcc, s[4:5]
	s_and_saveexec_b64 s[4:5], s[8:9]
	s_cbranch_execz .LBB507_229
; %bb.228:
	v_sub_f32_e32 v18, v21, v17
	s_mov_b32 s6, 0x3fb8aa3b
	v_mul_f32_e32 v21, 0x3fb8aa3b, v18
	v_fma_f32 v22, v18, s6, -v21
	v_rndne_f32_e32 v23, v21
	v_fmac_f32_e32 v22, 0x32a5705f, v18
	v_sub_f32_e32 v21, v21, v23
	v_add_f32_e32 v21, v21, v22
	v_exp_f32_e32 v21, v21
	v_cvt_i32_f32_e32 v22, v23
	s_mov_b32 s6, 0xc2ce8ed0
	v_cmp_ngt_f32_e32 vcc, s6, v18
	s_mov_b32 s6, 0x42b17218
	v_ldexp_f32 v21, v21, v22
	v_cndmask_b32_e32 v21, 0, v21, vcc
	v_mov_b32_e32 v23, 0x7f800000
	v_cmp_nlt_f32_e32 vcc, s6, v18
	v_cndmask_b32_e32 v18, v23, v21, vcc
	v_add_f32_e32 v24, 1.0, v18
	v_cvt_f64_f32_e32 v[21:22], v24
	v_add_f32_e32 v25, -1.0, v24
	v_sub_f32_e32 v26, v25, v24
	v_sub_f32_e32 v25, v18, v25
	v_frexp_exp_i32_f64_e32 v21, v[21:22]
	v_add_f32_e32 v22, 1.0, v26
	v_add_f32_e32 v22, v25, v22
	v_frexp_mant_f32_e32 v25, v24
	s_mov_b32 s8, 0x3f2aaaab
	v_cmp_gt_f32_e32 vcc, s8, v25
	s_mov_b32 s8, 0x3f317218
	s_mov_b32 s6, 0x7f800000
	v_subbrev_co_u32_e32 v21, vcc, 0, v21, vcc
	v_sub_u32_e32 v25, 0, v21
	v_ldexp_f32 v24, v24, v25
	v_ldexp_f32 v22, v22, v25
	v_add_f32_e32 v25, -1.0, v24
	v_add_f32_e32 v68, 1.0, v24
	v_add_f32_e32 v26, 1.0, v25
	v_add_f32_e32 v69, -1.0, v68
	v_sub_f32_e32 v26, v24, v26
	v_sub_f32_e32 v24, v24, v69
	v_add_f32_e32 v26, v22, v26
	v_add_f32_e32 v22, v22, v24
	;; [unrolled: 1-line block ×3, first 2 shown]
	v_rcp_f32_e32 v69, v24
	v_add_f32_e32 v67, v25, v26
	v_sub_f32_e32 v25, v25, v67
	v_add_f32_e32 v25, v26, v25
	v_sub_f32_e32 v26, v68, v24
	v_add_f32_e32 v22, v22, v26
	v_mul_f32_e32 v26, v67, v69
	v_mul_f32_e32 v68, v24, v26
	v_fma_f32 v70, v26, v24, -v68
	v_fmac_f32_e32 v70, v26, v22
	v_add_f32_e32 v71, v68, v70
	v_sub_f32_e32 v72, v67, v71
	v_sub_f32_e32 v67, v67, v72
	v_sub_f32_e32 v68, v71, v68
	v_sub_f32_e32 v67, v67, v71
	v_add_f32_e32 v25, v25, v67
	v_sub_f32_e32 v67, v68, v70
	v_add_f32_e32 v25, v67, v25
	v_add_f32_e32 v67, v72, v25
	v_mul_f32_e32 v68, v69, v67
	v_mul_f32_e32 v70, v24, v68
	v_fma_f32 v24, v68, v24, -v70
	v_fmac_f32_e32 v24, v68, v22
	v_sub_f32_e32 v22, v72, v67
	v_add_f32_e32 v22, v25, v22
	v_add_f32_e32 v25, v70, v24
	v_sub_f32_e32 v71, v67, v25
	v_sub_f32_e32 v67, v67, v71
	;; [unrolled: 1-line block ×4, first 2 shown]
	v_add_f32_e32 v22, v22, v25
	v_sub_f32_e32 v24, v70, v24
	v_add_f32_e32 v22, v24, v22
	v_add_f32_e32 v24, v26, v68
	;; [unrolled: 1-line block ×3, first 2 shown]
	v_sub_f32_e32 v25, v24, v26
	v_mul_f32_e32 v22, v69, v22
	v_sub_f32_e32 v25, v68, v25
	v_add_f32_e32 v22, v25, v22
	v_cvt_f32_i32_e32 v21, v21
	v_add_f32_e32 v25, v24, v22
	v_mul_f32_e32 v26, v25, v25
	v_mov_b32_e32 v67, 0x3ecc95a3
	v_fmac_f32_e32 v67, 0x3e9b6dac, v26
	v_mov_b32_e32 v68, 0x3f2aaada
	v_fmac_f32_e32 v68, v26, v67
	v_mul_f32_e32 v67, 0x3f317218, v21
	v_fma_f32 v69, v21, s8, -v67
	v_fmac_f32_e32 v69, 0xb102e308, v21
	v_sub_f32_e32 v21, v25, v24
	v_sub_f32_e32 v21, v22, v21
	v_add_f32_e32 v22, v67, v69
	v_sub_f32_e32 v24, v22, v67
	v_ldexp_f32 v67, v25, 1
	v_mul_f32_e32 v25, v25, v26
	v_mul_f32_e32 v25, v25, v68
	v_add_f32_e32 v26, v67, v25
	v_sub_f32_e32 v67, v26, v67
	v_ldexp_f32 v21, v21, 1
	v_sub_f32_e32 v25, v25, v67
	v_add_f32_e32 v21, v21, v25
	v_add_f32_e32 v25, v26, v21
	v_sub_f32_e32 v26, v25, v26
	v_sub_f32_e32 v21, v21, v26
	v_add_f32_e32 v26, v22, v25
	v_sub_f32_e32 v67, v26, v22
	v_sub_f32_e32 v68, v26, v67
	;; [unrolled: 1-line block ×5, first 2 shown]
	v_add_f32_e32 v22, v25, v22
	v_add_f32_e32 v25, v24, v21
	v_sub_f32_e32 v67, v25, v24
	v_sub_f32_e32 v68, v25, v67
	;; [unrolled: 1-line block ×4, first 2 shown]
	v_add_f32_e32 v22, v25, v22
	v_add_f32_e32 v21, v21, v24
	;; [unrolled: 1-line block ×3, first 2 shown]
	v_sub_f32_e32 v25, v24, v26
	v_sub_f32_e32 v22, v22, v25
	v_add_f32_e32 v21, v21, v22
	v_add_f32_e32 v21, v24, v21
	v_cmp_neq_f32_e32 vcc, s6, v18
	s_mov_b32 s6, 0x33800000
	v_cndmask_b32_e32 v21, v23, v21, vcc
	v_cmp_lt_f32_e64 vcc, |v18|, s6
	v_cndmask_b32_e32 v18, v21, v18, vcc
	v_add_f32_e32 v18, v17, v18
.LBB507_229:
	s_or_b64 exec, exec, s[4:5]
	v_bfe_u32 v17, v18, 16, 1
	v_add3_u32 v17, v18, v17, s7
	v_cmp_o_f32_e32 vcc, v18, v18
	v_cndmask_b32_sdwa v16, v16, v17, vcc dst_sel:DWORD dst_unused:UNUSED_PAD src0_sel:DWORD src1_sel:WORD_1
	v_lshlrev_b32_e32 v18, 16, v16
	v_max_f32_e32 v17, v18, v18
	v_min_f32_e32 v21, v17, v29
	v_cmp_u_f32_e32 vcc, v18, v18
	v_max_f32_e32 v17, v17, v29
	v_cndmask_b32_e32 v21, v21, v18, vcc
	v_cndmask_b32_e32 v17, v17, v18, vcc
	v_cndmask_b32_e64 v21, v21, v27, s[12:13]
	v_cndmask_b32_e64 v17, v17, v27, s[12:13]
	s_movk_i32 s6, 0x1f8
	v_cmp_neq_f32_e32 vcc, v21, v17
	v_cmp_class_f32_e64 s[4:5], v21, s6
	s_or_b64 s[8:9], vcc, s[4:5]
	s_and_saveexec_b64 s[4:5], s[8:9]
	s_cbranch_execz .LBB507_231
; %bb.230:
	v_sub_f32_e32 v18, v21, v17
	s_mov_b32 s7, 0x3fb8aa3b
	v_mul_f32_e32 v21, 0x3fb8aa3b, v18
	v_fma_f32 v22, v18, s7, -v21
	v_rndne_f32_e32 v23, v21
	v_fmac_f32_e32 v22, 0x32a5705f, v18
	v_sub_f32_e32 v21, v21, v23
	v_add_f32_e32 v21, v21, v22
	v_exp_f32_e32 v21, v21
	v_cvt_i32_f32_e32 v22, v23
	s_mov_b32 s7, 0xc2ce8ed0
	v_cmp_ngt_f32_e32 vcc, s7, v18
	s_mov_b32 s7, 0x42b17218
	v_ldexp_f32 v21, v21, v22
	v_cndmask_b32_e32 v21, 0, v21, vcc
	v_mov_b32_e32 v23, 0x7f800000
	v_cmp_nlt_f32_e32 vcc, s7, v18
	v_cndmask_b32_e32 v18, v23, v21, vcc
	v_add_f32_e32 v24, 1.0, v18
	v_cvt_f64_f32_e32 v[21:22], v24
	v_add_f32_e32 v25, -1.0, v24
	v_sub_f32_e32 v26, v25, v24
	v_sub_f32_e32 v25, v18, v25
	v_frexp_exp_i32_f64_e32 v21, v[21:22]
	v_add_f32_e32 v22, 1.0, v26
	v_add_f32_e32 v22, v25, v22
	v_frexp_mant_f32_e32 v25, v24
	s_mov_b32 s8, 0x3f2aaaab
	v_cmp_gt_f32_e32 vcc, s8, v25
	s_mov_b32 s8, 0x3f317218
	s_mov_b32 s7, 0x7f800000
	v_subbrev_co_u32_e32 v21, vcc, 0, v21, vcc
	v_sub_u32_e32 v25, 0, v21
	v_ldexp_f32 v24, v24, v25
	v_ldexp_f32 v22, v22, v25
	v_add_f32_e32 v25, -1.0, v24
	v_add_f32_e32 v29, 1.0, v24
	v_add_f32_e32 v26, 1.0, v25
	v_add_f32_e32 v67, -1.0, v29
	v_sub_f32_e32 v26, v24, v26
	v_sub_f32_e32 v24, v24, v67
	v_add_f32_e32 v26, v22, v26
	v_add_f32_e32 v22, v22, v24
	;; [unrolled: 1-line block ×3, first 2 shown]
	v_rcp_f32_e32 v67, v24
	v_add_f32_e32 v27, v25, v26
	v_sub_f32_e32 v25, v25, v27
	v_add_f32_e32 v25, v26, v25
	v_sub_f32_e32 v26, v29, v24
	v_add_f32_e32 v22, v22, v26
	v_mul_f32_e32 v26, v27, v67
	v_mul_f32_e32 v29, v24, v26
	v_fma_f32 v68, v26, v24, -v29
	v_fmac_f32_e32 v68, v26, v22
	v_add_f32_e32 v69, v29, v68
	v_sub_f32_e32 v70, v27, v69
	v_sub_f32_e32 v27, v27, v70
	;; [unrolled: 1-line block ×4, first 2 shown]
	v_add_f32_e32 v25, v25, v27
	v_sub_f32_e32 v27, v29, v68
	v_add_f32_e32 v25, v27, v25
	v_add_f32_e32 v27, v70, v25
	v_mul_f32_e32 v29, v67, v27
	v_mul_f32_e32 v68, v24, v29
	v_fma_f32 v24, v29, v24, -v68
	v_fmac_f32_e32 v24, v29, v22
	v_sub_f32_e32 v22, v70, v27
	v_add_f32_e32 v22, v25, v22
	v_add_f32_e32 v25, v68, v24
	v_sub_f32_e32 v69, v27, v25
	v_sub_f32_e32 v27, v27, v69
	;; [unrolled: 1-line block ×4, first 2 shown]
	v_add_f32_e32 v22, v22, v25
	v_sub_f32_e32 v24, v68, v24
	v_add_f32_e32 v22, v24, v22
	v_add_f32_e32 v24, v26, v29
	;; [unrolled: 1-line block ×3, first 2 shown]
	v_sub_f32_e32 v25, v24, v26
	v_mul_f32_e32 v22, v67, v22
	v_sub_f32_e32 v25, v29, v25
	v_add_f32_e32 v22, v25, v22
	v_cvt_f32_i32_e32 v21, v21
	v_add_f32_e32 v25, v24, v22
	v_mul_f32_e32 v26, v25, v25
	v_mov_b32_e32 v27, 0x3ecc95a3
	v_fmac_f32_e32 v27, 0x3e9b6dac, v26
	v_mov_b32_e32 v29, 0x3f2aaada
	v_fmac_f32_e32 v29, v26, v27
	v_mul_f32_e32 v27, 0x3f317218, v21
	v_fma_f32 v67, v21, s8, -v27
	v_fmac_f32_e32 v67, 0xb102e308, v21
	v_sub_f32_e32 v21, v25, v24
	v_sub_f32_e32 v21, v22, v21
	v_add_f32_e32 v22, v27, v67
	v_sub_f32_e32 v24, v22, v27
	v_ldexp_f32 v27, v25, 1
	v_mul_f32_e32 v25, v25, v26
	v_mul_f32_e32 v25, v25, v29
	v_add_f32_e32 v26, v27, v25
	v_sub_f32_e32 v27, v26, v27
	v_ldexp_f32 v21, v21, 1
	v_sub_f32_e32 v25, v25, v27
	v_add_f32_e32 v21, v21, v25
	v_add_f32_e32 v25, v26, v21
	v_sub_f32_e32 v26, v25, v26
	v_sub_f32_e32 v21, v21, v26
	v_add_f32_e32 v26, v22, v25
	v_sub_f32_e32 v27, v26, v22
	v_sub_f32_e32 v29, v26, v27
	;; [unrolled: 1-line block ×5, first 2 shown]
	v_add_f32_e32 v22, v25, v22
	v_add_f32_e32 v25, v24, v21
	v_sub_f32_e32 v27, v25, v24
	v_sub_f32_e32 v29, v25, v27
	;; [unrolled: 1-line block ×4, first 2 shown]
	v_add_f32_e32 v22, v25, v22
	v_add_f32_e32 v21, v21, v24
	v_add_f32_e32 v24, v26, v22
	v_sub_f32_e32 v25, v24, v26
	v_sub_f32_e32 v22, v22, v25
	v_add_f32_e32 v21, v21, v22
	v_add_f32_e32 v21, v24, v21
	v_cmp_neq_f32_e32 vcc, s7, v18
	s_mov_b32 s7, 0x33800000
	v_cndmask_b32_e32 v21, v23, v21, vcc
	v_cmp_lt_f32_e64 vcc, |v18|, s7
	v_cndmask_b32_e32 v18, v21, v18, vcc
	v_add_f32_e32 v18, v17, v18
.LBB507_231:
	s_or_b64 exec, exec, s[4:5]
	v_bfe_u32 v17, v18, 16, 1
	s_movk_i32 s7, 0x7fff
	v_add3_u32 v17, v18, v17, s7
	v_cmp_o_f32_e32 vcc, v18, v18
	v_mov_b32_e32 v18, 0x7fc0
	v_cndmask_b32_sdwa v17, v18, v17, vcc dst_sel:DWORD dst_unused:UNUSED_PAD src0_sel:DWORD src1_sel:WORD_1
	v_lshlrev_b32_e32 v22, 16, v17
	v_max_f32_e32 v21, v22, v22
	v_min_f32_e32 v23, v21, v30
	v_cmp_u_f32_e32 vcc, v22, v22
	v_max_f32_e32 v21, v21, v30
	v_cndmask_b32_e32 v23, v23, v22, vcc
	v_cndmask_b32_e32 v21, v21, v22, vcc
	v_cndmask_b32_e64 v23, v23, v28, s[14:15]
	v_cndmask_b32_e64 v21, v21, v28, s[14:15]
	v_cmp_neq_f32_e32 vcc, v23, v21
	v_cmp_class_f32_e64 s[4:5], v23, s6
	s_or_b64 s[8:9], vcc, s[4:5]
	s_and_saveexec_b64 s[4:5], s[8:9]
	s_cbranch_execz .LBB507_233
; %bb.232:
	v_sub_f32_e32 v22, v23, v21
	s_mov_b32 s6, 0x3fb8aa3b
	v_mul_f32_e32 v23, 0x3fb8aa3b, v22
	v_fma_f32 v24, v22, s6, -v23
	v_rndne_f32_e32 v25, v23
	v_fmac_f32_e32 v24, 0x32a5705f, v22
	v_sub_f32_e32 v23, v23, v25
	v_add_f32_e32 v23, v23, v24
	v_exp_f32_e32 v23, v23
	v_cvt_i32_f32_e32 v24, v25
	s_mov_b32 s6, 0xc2ce8ed0
	v_cmp_ngt_f32_e32 vcc, s6, v22
	s_mov_b32 s6, 0x42b17218
	v_ldexp_f32 v23, v23, v24
	v_cndmask_b32_e32 v23, 0, v23, vcc
	v_mov_b32_e32 v24, 0x7f800000
	v_cmp_nlt_f32_e32 vcc, s6, v22
	v_cndmask_b32_e32 v25, v24, v23, vcc
	v_add_f32_e32 v26, 1.0, v25
	v_cvt_f64_f32_e32 v[22:23], v26
	v_add_f32_e32 v27, -1.0, v26
	v_sub_f32_e32 v28, v27, v26
	v_sub_f32_e32 v27, v25, v27
	v_frexp_exp_i32_f64_e32 v22, v[22:23]
	v_add_f32_e32 v23, 1.0, v28
	v_add_f32_e32 v23, v27, v23
	v_frexp_mant_f32_e32 v27, v26
	s_mov_b32 s8, 0x3f2aaaab
	v_cmp_gt_f32_e32 vcc, s8, v27
	s_mov_b32 s8, 0x3f317218
	s_mov_b32 s6, 0x7f800000
	v_subbrev_co_u32_e32 v22, vcc, 0, v22, vcc
	v_sub_u32_e32 v27, 0, v22
	v_ldexp_f32 v26, v26, v27
	v_ldexp_f32 v23, v23, v27
	v_add_f32_e32 v27, -1.0, v26
	v_add_f32_e32 v30, 1.0, v26
	v_add_f32_e32 v28, 1.0, v27
	v_add_f32_e32 v67, -1.0, v30
	v_sub_f32_e32 v28, v26, v28
	v_sub_f32_e32 v26, v26, v67
	v_add_f32_e32 v28, v23, v28
	v_add_f32_e32 v23, v23, v26
	;; [unrolled: 1-line block ×3, first 2 shown]
	v_rcp_f32_e32 v67, v26
	v_add_f32_e32 v29, v27, v28
	v_sub_f32_e32 v27, v27, v29
	v_add_f32_e32 v27, v28, v27
	v_sub_f32_e32 v28, v30, v26
	v_add_f32_e32 v23, v23, v28
	v_mul_f32_e32 v28, v29, v67
	v_mul_f32_e32 v30, v26, v28
	v_fma_f32 v68, v28, v26, -v30
	v_fmac_f32_e32 v68, v28, v23
	v_add_f32_e32 v69, v30, v68
	v_sub_f32_e32 v70, v29, v69
	v_sub_f32_e32 v29, v29, v70
	;; [unrolled: 1-line block ×4, first 2 shown]
	v_add_f32_e32 v27, v27, v29
	v_sub_f32_e32 v29, v30, v68
	v_add_f32_e32 v27, v29, v27
	v_add_f32_e32 v29, v70, v27
	v_mul_f32_e32 v30, v67, v29
	v_mul_f32_e32 v68, v26, v30
	v_fma_f32 v26, v30, v26, -v68
	v_fmac_f32_e32 v26, v30, v23
	v_sub_f32_e32 v23, v70, v29
	v_add_f32_e32 v23, v27, v23
	v_add_f32_e32 v27, v68, v26
	v_sub_f32_e32 v69, v29, v27
	v_sub_f32_e32 v29, v29, v69
	;; [unrolled: 1-line block ×4, first 2 shown]
	v_add_f32_e32 v23, v23, v27
	v_sub_f32_e32 v26, v68, v26
	v_add_f32_e32 v23, v26, v23
	v_add_f32_e32 v26, v28, v30
	v_add_f32_e32 v23, v69, v23
	v_sub_f32_e32 v27, v26, v28
	v_mul_f32_e32 v23, v67, v23
	v_sub_f32_e32 v27, v30, v27
	v_add_f32_e32 v23, v27, v23
	v_cvt_f32_i32_e32 v22, v22
	v_add_f32_e32 v27, v26, v23
	v_mul_f32_e32 v28, v27, v27
	v_mov_b32_e32 v29, 0x3ecc95a3
	v_fmac_f32_e32 v29, 0x3e9b6dac, v28
	v_mov_b32_e32 v30, 0x3f2aaada
	v_fmac_f32_e32 v30, v28, v29
	v_mul_f32_e32 v29, 0x3f317218, v22
	v_fma_f32 v67, v22, s8, -v29
	v_fmac_f32_e32 v67, 0xb102e308, v22
	v_sub_f32_e32 v22, v27, v26
	v_sub_f32_e32 v22, v23, v22
	v_add_f32_e32 v23, v29, v67
	v_sub_f32_e32 v26, v23, v29
	v_ldexp_f32 v29, v27, 1
	v_mul_f32_e32 v27, v27, v28
	v_mul_f32_e32 v27, v27, v30
	v_add_f32_e32 v28, v29, v27
	v_sub_f32_e32 v29, v28, v29
	v_ldexp_f32 v22, v22, 1
	v_sub_f32_e32 v27, v27, v29
	v_add_f32_e32 v22, v22, v27
	v_add_f32_e32 v27, v28, v22
	v_sub_f32_e32 v28, v27, v28
	v_sub_f32_e32 v22, v22, v28
	v_add_f32_e32 v28, v23, v27
	v_sub_f32_e32 v29, v28, v23
	v_sub_f32_e32 v30, v28, v29
	;; [unrolled: 1-line block ×5, first 2 shown]
	v_add_f32_e32 v23, v27, v23
	v_add_f32_e32 v27, v26, v22
	v_sub_f32_e32 v29, v27, v26
	v_sub_f32_e32 v30, v27, v29
	;; [unrolled: 1-line block ×4, first 2 shown]
	v_add_f32_e32 v23, v27, v23
	v_add_f32_e32 v22, v22, v26
	;; [unrolled: 1-line block ×3, first 2 shown]
	v_sub_f32_e32 v27, v26, v28
	v_sub_f32_e32 v23, v23, v27
	v_add_f32_e32 v22, v22, v23
	v_add_f32_e32 v22, v26, v22
	v_cmp_neq_f32_e32 vcc, s6, v25
	s_mov_b32 s6, 0x33800000
	v_cndmask_b32_e32 v22, v24, v22, vcc
	v_cmp_lt_f32_e64 vcc, |v25|, s6
	v_cndmask_b32_e32 v22, v22, v25, vcc
	v_add_f32_e32 v22, v21, v22
.LBB507_233:
	s_or_b64 exec, exec, s[4:5]
	v_bfe_u32 v21, v22, 16, 1
	v_add3_u32 v21, v22, v21, s7
	v_cmp_o_f32_e32 vcc, v22, v22
	v_cndmask_b32_sdwa v18, v18, v21, vcc dst_sel:DWORD dst_unused:UNUSED_PAD src0_sel:DWORD src1_sel:WORD_1
	v_lshlrev_b32_e32 v22, 16, v18
	v_max_f32_e32 v21, v22, v22
	v_min_f32_e32 v23, v21, v33
	v_cmp_u_f32_e32 vcc, v22, v22
	v_max_f32_e32 v21, v21, v33
	v_cndmask_b32_e32 v23, v23, v22, vcc
	v_cndmask_b32_e32 v21, v21, v22, vcc
	v_cndmask_b32_e64 v23, v23, v31, s[16:17]
	v_cndmask_b32_e64 v21, v21, v31, s[16:17]
	s_movk_i32 s6, 0x1f8
	v_cmp_neq_f32_e32 vcc, v23, v21
	v_cmp_class_f32_e64 s[4:5], v23, s6
	s_or_b64 s[8:9], vcc, s[4:5]
	s_and_saveexec_b64 s[4:5], s[8:9]
	s_cbranch_execz .LBB507_235
; %bb.234:
	v_sub_f32_e32 v22, v23, v21
	s_mov_b32 s7, 0x3fb8aa3b
	v_mul_f32_e32 v23, 0x3fb8aa3b, v22
	v_fma_f32 v24, v22, s7, -v23
	v_rndne_f32_e32 v25, v23
	v_fmac_f32_e32 v24, 0x32a5705f, v22
	v_sub_f32_e32 v23, v23, v25
	v_add_f32_e32 v23, v23, v24
	v_exp_f32_e32 v23, v23
	v_cvt_i32_f32_e32 v24, v25
	s_mov_b32 s7, 0xc2ce8ed0
	v_cmp_ngt_f32_e32 vcc, s7, v22
	s_mov_b32 s7, 0x42b17218
	v_ldexp_f32 v23, v23, v24
	v_cndmask_b32_e32 v23, 0, v23, vcc
	v_mov_b32_e32 v24, 0x7f800000
	v_cmp_nlt_f32_e32 vcc, s7, v22
	v_cndmask_b32_e32 v25, v24, v23, vcc
	v_add_f32_e32 v26, 1.0, v25
	v_cvt_f64_f32_e32 v[22:23], v26
	v_add_f32_e32 v27, -1.0, v26
	v_sub_f32_e32 v28, v27, v26
	v_sub_f32_e32 v27, v25, v27
	v_frexp_exp_i32_f64_e32 v22, v[22:23]
	v_add_f32_e32 v23, 1.0, v28
	v_add_f32_e32 v23, v27, v23
	v_frexp_mant_f32_e32 v27, v26
	s_mov_b32 s8, 0x3f2aaaab
	v_cmp_gt_f32_e32 vcc, s8, v27
	s_mov_b32 s8, 0x3f317218
	s_mov_b32 s7, 0x7f800000
	v_subbrev_co_u32_e32 v22, vcc, 0, v22, vcc
	v_sub_u32_e32 v27, 0, v22
	v_ldexp_f32 v26, v26, v27
	v_ldexp_f32 v23, v23, v27
	v_add_f32_e32 v27, -1.0, v26
	v_add_f32_e32 v30, 1.0, v26
	v_add_f32_e32 v28, 1.0, v27
	v_add_f32_e32 v31, -1.0, v30
	v_sub_f32_e32 v28, v26, v28
	v_sub_f32_e32 v26, v26, v31
	v_add_f32_e32 v28, v23, v28
	v_add_f32_e32 v23, v23, v26
	;; [unrolled: 1-line block ×3, first 2 shown]
	v_rcp_f32_e32 v31, v26
	v_add_f32_e32 v29, v27, v28
	v_sub_f32_e32 v27, v27, v29
	v_add_f32_e32 v27, v28, v27
	v_sub_f32_e32 v28, v30, v26
	v_add_f32_e32 v23, v23, v28
	v_mul_f32_e32 v28, v29, v31
	v_mul_f32_e32 v30, v26, v28
	v_fma_f32 v33, v28, v26, -v30
	v_fmac_f32_e32 v33, v28, v23
	v_add_f32_e32 v67, v30, v33
	v_sub_f32_e32 v68, v29, v67
	v_sub_f32_e32 v29, v29, v68
	;; [unrolled: 1-line block ×4, first 2 shown]
	v_add_f32_e32 v27, v27, v29
	v_sub_f32_e32 v29, v30, v33
	v_add_f32_e32 v27, v29, v27
	v_add_f32_e32 v29, v68, v27
	v_mul_f32_e32 v30, v31, v29
	v_mul_f32_e32 v33, v26, v30
	v_fma_f32 v26, v30, v26, -v33
	v_fmac_f32_e32 v26, v30, v23
	v_sub_f32_e32 v23, v68, v29
	v_add_f32_e32 v23, v27, v23
	v_add_f32_e32 v27, v33, v26
	v_sub_f32_e32 v67, v29, v27
	v_sub_f32_e32 v29, v29, v67
	;; [unrolled: 1-line block ×4, first 2 shown]
	v_add_f32_e32 v23, v23, v27
	v_sub_f32_e32 v26, v33, v26
	v_add_f32_e32 v23, v26, v23
	v_add_f32_e32 v26, v28, v30
	;; [unrolled: 1-line block ×3, first 2 shown]
	v_sub_f32_e32 v27, v26, v28
	v_mul_f32_e32 v23, v31, v23
	v_sub_f32_e32 v27, v30, v27
	v_add_f32_e32 v23, v27, v23
	v_cvt_f32_i32_e32 v22, v22
	v_add_f32_e32 v27, v26, v23
	v_mul_f32_e32 v28, v27, v27
	v_mov_b32_e32 v29, 0x3ecc95a3
	v_fmac_f32_e32 v29, 0x3e9b6dac, v28
	v_mov_b32_e32 v30, 0x3f2aaada
	v_fmac_f32_e32 v30, v28, v29
	v_mul_f32_e32 v29, 0x3f317218, v22
	v_fma_f32 v31, v22, s8, -v29
	v_fmac_f32_e32 v31, 0xb102e308, v22
	v_sub_f32_e32 v22, v27, v26
	v_sub_f32_e32 v22, v23, v22
	v_add_f32_e32 v23, v29, v31
	v_sub_f32_e32 v26, v23, v29
	v_ldexp_f32 v29, v27, 1
	v_mul_f32_e32 v27, v27, v28
	v_mul_f32_e32 v27, v27, v30
	v_add_f32_e32 v28, v29, v27
	v_sub_f32_e32 v29, v28, v29
	v_ldexp_f32 v22, v22, 1
	v_sub_f32_e32 v27, v27, v29
	v_add_f32_e32 v22, v22, v27
	v_add_f32_e32 v27, v28, v22
	v_sub_f32_e32 v28, v27, v28
	v_sub_f32_e32 v22, v22, v28
	v_add_f32_e32 v28, v23, v27
	v_sub_f32_e32 v29, v28, v23
	v_sub_f32_e32 v30, v28, v29
	;; [unrolled: 1-line block ×5, first 2 shown]
	v_add_f32_e32 v23, v27, v23
	v_add_f32_e32 v27, v26, v22
	v_sub_f32_e32 v29, v27, v26
	v_sub_f32_e32 v30, v27, v29
	;; [unrolled: 1-line block ×4, first 2 shown]
	v_add_f32_e32 v23, v27, v23
	v_add_f32_e32 v22, v22, v26
	;; [unrolled: 1-line block ×3, first 2 shown]
	v_sub_f32_e32 v27, v26, v28
	v_sub_f32_e32 v23, v23, v27
	v_add_f32_e32 v22, v22, v23
	v_add_f32_e32 v22, v26, v22
	v_cmp_neq_f32_e32 vcc, s7, v25
	s_mov_b32 s7, 0x33800000
	v_cndmask_b32_e32 v22, v24, v22, vcc
	v_cmp_lt_f32_e64 vcc, |v25|, s7
	v_cndmask_b32_e32 v22, v22, v25, vcc
	v_add_f32_e32 v22, v21, v22
.LBB507_235:
	s_or_b64 exec, exec, s[4:5]
	v_bfe_u32 v21, v22, 16, 1
	s_movk_i32 s7, 0x7fff
	v_add3_u32 v21, v22, v21, s7
	v_cmp_o_f32_e32 vcc, v22, v22
	v_mov_b32_e32 v22, 0x7fc0
	v_cndmask_b32_sdwa v21, v22, v21, vcc dst_sel:DWORD dst_unused:UNUSED_PAD src0_sel:DWORD src1_sel:WORD_1
	v_lshlrev_b32_e32 v24, 16, v21
	v_max_f32_e32 v23, v24, v24
	v_min_f32_e32 v25, v23, v34
	v_cmp_u_f32_e32 vcc, v24, v24
	v_max_f32_e32 v23, v23, v34
	v_cndmask_b32_e32 v25, v25, v24, vcc
	v_cndmask_b32_e32 v23, v23, v24, vcc
	v_cndmask_b32_e64 v25, v25, v32, s[18:19]
	v_cndmask_b32_e64 v23, v23, v32, s[18:19]
	v_cmp_neq_f32_e32 vcc, v25, v23
	v_cmp_class_f32_e64 s[4:5], v25, s6
	s_or_b64 s[8:9], vcc, s[4:5]
	s_and_saveexec_b64 s[4:5], s[8:9]
	s_cbranch_execz .LBB507_237
; %bb.236:
	v_sub_f32_e32 v24, v25, v23
	s_mov_b32 s6, 0x3fb8aa3b
	v_mul_f32_e32 v25, 0x3fb8aa3b, v24
	v_fma_f32 v26, v24, s6, -v25
	v_rndne_f32_e32 v27, v25
	v_fmac_f32_e32 v26, 0x32a5705f, v24
	v_sub_f32_e32 v25, v25, v27
	v_add_f32_e32 v25, v25, v26
	v_exp_f32_e32 v25, v25
	v_cvt_i32_f32_e32 v26, v27
	s_mov_b32 s6, 0xc2ce8ed0
	v_cmp_ngt_f32_e32 vcc, s6, v24
	s_mov_b32 s6, 0x42b17218
	v_ldexp_f32 v25, v25, v26
	v_cndmask_b32_e32 v25, 0, v25, vcc
	v_mov_b32_e32 v26, 0x7f800000
	v_cmp_nlt_f32_e32 vcc, s6, v24
	v_cndmask_b32_e32 v27, v26, v25, vcc
	v_add_f32_e32 v28, 1.0, v27
	v_cvt_f64_f32_e32 v[24:25], v28
	v_add_f32_e32 v29, -1.0, v28
	v_sub_f32_e32 v30, v29, v28
	v_sub_f32_e32 v29, v27, v29
	v_frexp_exp_i32_f64_e32 v24, v[24:25]
	v_add_f32_e32 v25, 1.0, v30
	v_add_f32_e32 v25, v29, v25
	v_frexp_mant_f32_e32 v29, v28
	s_mov_b32 s8, 0x3f2aaaab
	v_cmp_gt_f32_e32 vcc, s8, v29
	s_mov_b32 s8, 0x3f317218
	s_mov_b32 s6, 0x7f800000
	v_subbrev_co_u32_e32 v24, vcc, 0, v24, vcc
	v_sub_u32_e32 v29, 0, v24
	v_ldexp_f32 v28, v28, v29
	v_ldexp_f32 v25, v25, v29
	v_add_f32_e32 v29, -1.0, v28
	v_add_f32_e32 v32, 1.0, v28
	v_add_f32_e32 v30, 1.0, v29
	v_add_f32_e32 v33, -1.0, v32
	v_sub_f32_e32 v30, v28, v30
	v_sub_f32_e32 v28, v28, v33
	v_add_f32_e32 v30, v25, v30
	v_add_f32_e32 v25, v25, v28
	;; [unrolled: 1-line block ×3, first 2 shown]
	v_rcp_f32_e32 v33, v28
	v_add_f32_e32 v31, v29, v30
	v_sub_f32_e32 v29, v29, v31
	v_add_f32_e32 v29, v30, v29
	v_sub_f32_e32 v30, v32, v28
	v_add_f32_e32 v25, v25, v30
	v_mul_f32_e32 v30, v31, v33
	v_mul_f32_e32 v32, v28, v30
	v_fma_f32 v34, v30, v28, -v32
	v_fmac_f32_e32 v34, v30, v25
	v_add_f32_e32 v67, v32, v34
	v_sub_f32_e32 v68, v31, v67
	v_sub_f32_e32 v31, v31, v68
	v_sub_f32_e32 v32, v67, v32
	v_sub_f32_e32 v31, v31, v67
	v_add_f32_e32 v29, v29, v31
	v_sub_f32_e32 v31, v32, v34
	v_add_f32_e32 v29, v31, v29
	v_add_f32_e32 v31, v68, v29
	v_mul_f32_e32 v32, v33, v31
	v_mul_f32_e32 v34, v28, v32
	v_fma_f32 v28, v32, v28, -v34
	v_fmac_f32_e32 v28, v32, v25
	v_sub_f32_e32 v25, v68, v31
	v_add_f32_e32 v25, v29, v25
	v_add_f32_e32 v29, v34, v28
	v_sub_f32_e32 v67, v31, v29
	v_sub_f32_e32 v31, v31, v67
	;; [unrolled: 1-line block ×4, first 2 shown]
	v_add_f32_e32 v25, v25, v29
	v_sub_f32_e32 v28, v34, v28
	v_add_f32_e32 v25, v28, v25
	v_add_f32_e32 v28, v30, v32
	;; [unrolled: 1-line block ×3, first 2 shown]
	v_sub_f32_e32 v29, v28, v30
	v_mul_f32_e32 v25, v33, v25
	v_sub_f32_e32 v29, v32, v29
	v_add_f32_e32 v25, v29, v25
	v_cvt_f32_i32_e32 v24, v24
	v_add_f32_e32 v29, v28, v25
	v_mul_f32_e32 v30, v29, v29
	v_mov_b32_e32 v31, 0x3ecc95a3
	v_fmac_f32_e32 v31, 0x3e9b6dac, v30
	v_mov_b32_e32 v32, 0x3f2aaada
	v_fmac_f32_e32 v32, v30, v31
	v_mul_f32_e32 v31, 0x3f317218, v24
	v_fma_f32 v33, v24, s8, -v31
	v_fmac_f32_e32 v33, 0xb102e308, v24
	v_sub_f32_e32 v24, v29, v28
	v_sub_f32_e32 v24, v25, v24
	v_add_f32_e32 v25, v31, v33
	v_sub_f32_e32 v28, v25, v31
	v_ldexp_f32 v31, v29, 1
	v_mul_f32_e32 v29, v29, v30
	v_mul_f32_e32 v29, v29, v32
	v_add_f32_e32 v30, v31, v29
	v_sub_f32_e32 v31, v30, v31
	v_ldexp_f32 v24, v24, 1
	v_sub_f32_e32 v29, v29, v31
	v_add_f32_e32 v24, v24, v29
	v_add_f32_e32 v29, v30, v24
	v_sub_f32_e32 v30, v29, v30
	v_sub_f32_e32 v24, v24, v30
	v_add_f32_e32 v30, v25, v29
	v_sub_f32_e32 v31, v30, v25
	v_sub_f32_e32 v32, v30, v31
	;; [unrolled: 1-line block ×5, first 2 shown]
	v_add_f32_e32 v25, v29, v25
	v_add_f32_e32 v29, v28, v24
	v_sub_f32_e32 v31, v29, v28
	v_sub_f32_e32 v32, v29, v31
	;; [unrolled: 1-line block ×4, first 2 shown]
	v_add_f32_e32 v25, v29, v25
	v_add_f32_e32 v24, v24, v28
	;; [unrolled: 1-line block ×3, first 2 shown]
	v_sub_f32_e32 v29, v28, v30
	v_sub_f32_e32 v25, v25, v29
	v_add_f32_e32 v24, v24, v25
	v_add_f32_e32 v24, v28, v24
	v_cmp_neq_f32_e32 vcc, s6, v27
	s_mov_b32 s6, 0x33800000
	v_cndmask_b32_e32 v24, v26, v24, vcc
	v_cmp_lt_f32_e64 vcc, |v27|, s6
	v_cndmask_b32_e32 v24, v24, v27, vcc
	v_add_f32_e32 v24, v23, v24
.LBB507_237:
	s_or_b64 exec, exec, s[4:5]
	v_bfe_u32 v23, v24, 16, 1
	v_add3_u32 v23, v24, v23, s7
	v_cmp_o_f32_e32 vcc, v24, v24
	v_cndmask_b32_sdwa v22, v22, v23, vcc dst_sel:DWORD dst_unused:UNUSED_PAD src0_sel:DWORD src1_sel:WORD_1
	v_lshlrev_b32_e32 v24, 16, v22
	v_max_f32_e32 v23, v24, v24
	v_min_f32_e32 v25, v23, v37
	v_cmp_u_f32_e32 vcc, v24, v24
	v_max_f32_e32 v23, v23, v37
	v_cndmask_b32_e32 v25, v25, v24, vcc
	v_cndmask_b32_e32 v23, v23, v24, vcc
	v_cndmask_b32_e64 v25, v25, v35, s[20:21]
	v_cndmask_b32_e64 v23, v23, v35, s[20:21]
	s_movk_i32 s6, 0x1f8
	v_cmp_neq_f32_e32 vcc, v25, v23
	v_cmp_class_f32_e64 s[4:5], v25, s6
	s_or_b64 s[8:9], vcc, s[4:5]
	s_and_saveexec_b64 s[4:5], s[8:9]
	s_cbranch_execz .LBB507_239
; %bb.238:
	v_sub_f32_e32 v24, v25, v23
	s_mov_b32 s7, 0x3fb8aa3b
	v_mul_f32_e32 v25, 0x3fb8aa3b, v24
	v_fma_f32 v26, v24, s7, -v25
	v_rndne_f32_e32 v27, v25
	v_fmac_f32_e32 v26, 0x32a5705f, v24
	v_sub_f32_e32 v25, v25, v27
	v_add_f32_e32 v25, v25, v26
	v_exp_f32_e32 v25, v25
	v_cvt_i32_f32_e32 v26, v27
	s_mov_b32 s7, 0xc2ce8ed0
	v_cmp_ngt_f32_e32 vcc, s7, v24
	s_mov_b32 s7, 0x42b17218
	v_ldexp_f32 v25, v25, v26
	v_cndmask_b32_e32 v25, 0, v25, vcc
	v_mov_b32_e32 v26, 0x7f800000
	v_cmp_nlt_f32_e32 vcc, s7, v24
	v_cndmask_b32_e32 v27, v26, v25, vcc
	v_add_f32_e32 v28, 1.0, v27
	v_cvt_f64_f32_e32 v[24:25], v28
	v_add_f32_e32 v29, -1.0, v28
	v_sub_f32_e32 v30, v29, v28
	v_sub_f32_e32 v29, v27, v29
	v_frexp_exp_i32_f64_e32 v24, v[24:25]
	v_add_f32_e32 v25, 1.0, v30
	v_add_f32_e32 v25, v29, v25
	v_frexp_mant_f32_e32 v29, v28
	s_mov_b32 s8, 0x3f2aaaab
	v_cmp_gt_f32_e32 vcc, s8, v29
	s_mov_b32 s8, 0x3f317218
	s_mov_b32 s7, 0x7f800000
	v_subbrev_co_u32_e32 v24, vcc, 0, v24, vcc
	v_sub_u32_e32 v29, 0, v24
	v_ldexp_f32 v28, v28, v29
	v_ldexp_f32 v25, v25, v29
	v_add_f32_e32 v29, -1.0, v28
	v_add_f32_e32 v32, 1.0, v28
	v_add_f32_e32 v30, 1.0, v29
	v_add_f32_e32 v33, -1.0, v32
	v_sub_f32_e32 v30, v28, v30
	v_sub_f32_e32 v28, v28, v33
	v_add_f32_e32 v30, v25, v30
	v_add_f32_e32 v25, v25, v28
	;; [unrolled: 1-line block ×3, first 2 shown]
	v_rcp_f32_e32 v33, v28
	v_add_f32_e32 v31, v29, v30
	v_sub_f32_e32 v29, v29, v31
	v_add_f32_e32 v29, v30, v29
	v_sub_f32_e32 v30, v32, v28
	v_add_f32_e32 v25, v25, v30
	v_mul_f32_e32 v30, v31, v33
	v_mul_f32_e32 v32, v28, v30
	v_fma_f32 v34, v30, v28, -v32
	v_fmac_f32_e32 v34, v30, v25
	v_add_f32_e32 v35, v32, v34
	v_sub_f32_e32 v37, v31, v35
	v_sub_f32_e32 v31, v31, v37
	v_sub_f32_e32 v32, v35, v32
	v_sub_f32_e32 v31, v31, v35
	v_add_f32_e32 v29, v29, v31
	v_sub_f32_e32 v31, v32, v34
	v_add_f32_e32 v29, v31, v29
	v_add_f32_e32 v31, v37, v29
	v_mul_f32_e32 v32, v33, v31
	v_mul_f32_e32 v34, v28, v32
	v_fma_f32 v28, v32, v28, -v34
	v_fmac_f32_e32 v28, v32, v25
	v_sub_f32_e32 v25, v37, v31
	v_add_f32_e32 v25, v29, v25
	v_add_f32_e32 v29, v34, v28
	v_sub_f32_e32 v35, v31, v29
	v_sub_f32_e32 v31, v31, v35
	;; [unrolled: 1-line block ×4, first 2 shown]
	v_add_f32_e32 v25, v25, v29
	v_sub_f32_e32 v28, v34, v28
	v_add_f32_e32 v25, v28, v25
	v_add_f32_e32 v28, v30, v32
	;; [unrolled: 1-line block ×3, first 2 shown]
	v_sub_f32_e32 v29, v28, v30
	v_mul_f32_e32 v25, v33, v25
	v_sub_f32_e32 v29, v32, v29
	v_add_f32_e32 v25, v29, v25
	v_cvt_f32_i32_e32 v24, v24
	v_add_f32_e32 v29, v28, v25
	v_mul_f32_e32 v30, v29, v29
	v_mov_b32_e32 v31, 0x3ecc95a3
	v_fmac_f32_e32 v31, 0x3e9b6dac, v30
	v_mov_b32_e32 v32, 0x3f2aaada
	v_fmac_f32_e32 v32, v30, v31
	v_mul_f32_e32 v31, 0x3f317218, v24
	v_fma_f32 v33, v24, s8, -v31
	v_fmac_f32_e32 v33, 0xb102e308, v24
	v_sub_f32_e32 v24, v29, v28
	v_sub_f32_e32 v24, v25, v24
	v_add_f32_e32 v25, v31, v33
	v_sub_f32_e32 v28, v25, v31
	v_ldexp_f32 v31, v29, 1
	v_mul_f32_e32 v29, v29, v30
	v_mul_f32_e32 v29, v29, v32
	v_add_f32_e32 v30, v31, v29
	v_sub_f32_e32 v31, v30, v31
	v_ldexp_f32 v24, v24, 1
	v_sub_f32_e32 v29, v29, v31
	v_add_f32_e32 v24, v24, v29
	v_add_f32_e32 v29, v30, v24
	v_sub_f32_e32 v30, v29, v30
	v_sub_f32_e32 v24, v24, v30
	v_add_f32_e32 v30, v25, v29
	v_sub_f32_e32 v31, v30, v25
	v_sub_f32_e32 v32, v30, v31
	;; [unrolled: 1-line block ×5, first 2 shown]
	v_add_f32_e32 v25, v29, v25
	v_add_f32_e32 v29, v28, v24
	v_sub_f32_e32 v31, v29, v28
	v_sub_f32_e32 v32, v29, v31
	;; [unrolled: 1-line block ×4, first 2 shown]
	v_add_f32_e32 v25, v29, v25
	v_add_f32_e32 v24, v24, v28
	;; [unrolled: 1-line block ×3, first 2 shown]
	v_sub_f32_e32 v29, v28, v30
	v_sub_f32_e32 v25, v25, v29
	v_add_f32_e32 v24, v24, v25
	v_add_f32_e32 v24, v28, v24
	v_cmp_neq_f32_e32 vcc, s7, v27
	s_mov_b32 s7, 0x33800000
	v_cndmask_b32_e32 v24, v26, v24, vcc
	v_cmp_lt_f32_e64 vcc, |v27|, s7
	v_cndmask_b32_e32 v24, v24, v27, vcc
	v_add_f32_e32 v24, v23, v24
.LBB507_239:
	s_or_b64 exec, exec, s[4:5]
	v_bfe_u32 v23, v24, 16, 1
	s_movk_i32 s7, 0x7fff
	v_add3_u32 v23, v24, v23, s7
	v_cmp_o_f32_e32 vcc, v24, v24
	v_mov_b32_e32 v24, 0x7fc0
	v_cndmask_b32_sdwa v23, v24, v23, vcc dst_sel:DWORD dst_unused:UNUSED_PAD src0_sel:DWORD src1_sel:WORD_1
	v_lshlrev_b32_e32 v26, 16, v23
	v_max_f32_e32 v25, v26, v26
	v_min_f32_e32 v27, v25, v38
	v_cmp_u_f32_e32 vcc, v26, v26
	v_max_f32_e32 v25, v25, v38
	v_cndmask_b32_e32 v27, v27, v26, vcc
	v_cndmask_b32_e32 v25, v25, v26, vcc
	v_cndmask_b32_e64 v27, v27, v36, s[22:23]
	v_cndmask_b32_e64 v25, v25, v36, s[22:23]
	v_cmp_neq_f32_e32 vcc, v27, v25
	v_cmp_class_f32_e64 s[4:5], v27, s6
	s_or_b64 s[8:9], vcc, s[4:5]
	s_and_saveexec_b64 s[4:5], s[8:9]
	s_cbranch_execz .LBB507_241
; %bb.240:
	v_sub_f32_e32 v26, v27, v25
	s_mov_b32 s6, 0x3fb8aa3b
	v_mul_f32_e32 v27, 0x3fb8aa3b, v26
	v_fma_f32 v28, v26, s6, -v27
	v_rndne_f32_e32 v29, v27
	v_fmac_f32_e32 v28, 0x32a5705f, v26
	v_sub_f32_e32 v27, v27, v29
	v_add_f32_e32 v27, v27, v28
	v_exp_f32_e32 v27, v27
	v_cvt_i32_f32_e32 v28, v29
	s_mov_b32 s6, 0xc2ce8ed0
	v_cmp_ngt_f32_e32 vcc, s6, v26
	s_mov_b32 s6, 0x42b17218
	v_ldexp_f32 v27, v27, v28
	v_cndmask_b32_e32 v27, 0, v27, vcc
	v_mov_b32_e32 v28, 0x7f800000
	v_cmp_nlt_f32_e32 vcc, s6, v26
	v_cndmask_b32_e32 v29, v28, v27, vcc
	v_add_f32_e32 v30, 1.0, v29
	v_cvt_f64_f32_e32 v[26:27], v30
	v_add_f32_e32 v31, -1.0, v30
	v_sub_f32_e32 v32, v31, v30
	v_sub_f32_e32 v31, v29, v31
	v_frexp_exp_i32_f64_e32 v26, v[26:27]
	v_add_f32_e32 v27, 1.0, v32
	v_add_f32_e32 v27, v31, v27
	v_frexp_mant_f32_e32 v31, v30
	s_mov_b32 s8, 0x3f2aaaab
	v_cmp_gt_f32_e32 vcc, s8, v31
	s_mov_b32 s8, 0x3f317218
	s_mov_b32 s6, 0x7f800000
	v_subbrev_co_u32_e32 v26, vcc, 0, v26, vcc
	v_sub_u32_e32 v31, 0, v26
	v_ldexp_f32 v30, v30, v31
	v_ldexp_f32 v27, v27, v31
	v_add_f32_e32 v31, -1.0, v30
	v_add_f32_e32 v34, 1.0, v30
	v_add_f32_e32 v32, 1.0, v31
	v_add_f32_e32 v35, -1.0, v34
	v_sub_f32_e32 v32, v30, v32
	v_sub_f32_e32 v30, v30, v35
	v_add_f32_e32 v32, v27, v32
	v_add_f32_e32 v27, v27, v30
	;; [unrolled: 1-line block ×3, first 2 shown]
	v_rcp_f32_e32 v35, v30
	v_add_f32_e32 v33, v31, v32
	v_sub_f32_e32 v31, v31, v33
	v_add_f32_e32 v31, v32, v31
	v_sub_f32_e32 v32, v34, v30
	v_add_f32_e32 v27, v27, v32
	v_mul_f32_e32 v32, v33, v35
	v_mul_f32_e32 v34, v30, v32
	v_fma_f32 v36, v32, v30, -v34
	v_fmac_f32_e32 v36, v32, v27
	v_add_f32_e32 v37, v34, v36
	v_sub_f32_e32 v38, v33, v37
	v_sub_f32_e32 v33, v33, v38
	;; [unrolled: 1-line block ×4, first 2 shown]
	v_add_f32_e32 v31, v31, v33
	v_sub_f32_e32 v33, v34, v36
	v_add_f32_e32 v31, v33, v31
	v_add_f32_e32 v33, v38, v31
	v_mul_f32_e32 v34, v35, v33
	v_mul_f32_e32 v36, v30, v34
	v_fma_f32 v30, v34, v30, -v36
	v_fmac_f32_e32 v30, v34, v27
	v_sub_f32_e32 v27, v38, v33
	v_add_f32_e32 v27, v31, v27
	v_add_f32_e32 v31, v36, v30
	v_sub_f32_e32 v37, v33, v31
	v_sub_f32_e32 v33, v33, v37
	v_sub_f32_e32 v36, v31, v36
	v_sub_f32_e32 v31, v33, v31
	v_add_f32_e32 v27, v27, v31
	v_sub_f32_e32 v30, v36, v30
	v_add_f32_e32 v27, v30, v27
	v_add_f32_e32 v30, v32, v34
	;; [unrolled: 1-line block ×3, first 2 shown]
	v_sub_f32_e32 v31, v30, v32
	v_mul_f32_e32 v27, v35, v27
	v_sub_f32_e32 v31, v34, v31
	v_add_f32_e32 v27, v31, v27
	v_cvt_f32_i32_e32 v26, v26
	v_add_f32_e32 v31, v30, v27
	v_mul_f32_e32 v32, v31, v31
	v_mov_b32_e32 v33, 0x3ecc95a3
	v_fmac_f32_e32 v33, 0x3e9b6dac, v32
	v_mov_b32_e32 v34, 0x3f2aaada
	v_fmac_f32_e32 v34, v32, v33
	v_mul_f32_e32 v33, 0x3f317218, v26
	v_fma_f32 v35, v26, s8, -v33
	v_fmac_f32_e32 v35, 0xb102e308, v26
	v_sub_f32_e32 v26, v31, v30
	v_sub_f32_e32 v26, v27, v26
	v_add_f32_e32 v27, v33, v35
	v_sub_f32_e32 v30, v27, v33
	v_ldexp_f32 v33, v31, 1
	v_mul_f32_e32 v31, v31, v32
	v_mul_f32_e32 v31, v31, v34
	v_add_f32_e32 v32, v33, v31
	v_sub_f32_e32 v33, v32, v33
	v_ldexp_f32 v26, v26, 1
	v_sub_f32_e32 v31, v31, v33
	v_add_f32_e32 v26, v26, v31
	v_add_f32_e32 v31, v32, v26
	v_sub_f32_e32 v32, v31, v32
	v_sub_f32_e32 v26, v26, v32
	v_add_f32_e32 v32, v27, v31
	v_sub_f32_e32 v33, v32, v27
	v_sub_f32_e32 v34, v32, v33
	;; [unrolled: 1-line block ×5, first 2 shown]
	v_add_f32_e32 v27, v31, v27
	v_add_f32_e32 v31, v30, v26
	v_sub_f32_e32 v33, v31, v30
	v_sub_f32_e32 v34, v31, v33
	;; [unrolled: 1-line block ×4, first 2 shown]
	v_add_f32_e32 v27, v31, v27
	v_add_f32_e32 v26, v26, v30
	;; [unrolled: 1-line block ×3, first 2 shown]
	v_sub_f32_e32 v31, v30, v32
	v_sub_f32_e32 v27, v27, v31
	v_add_f32_e32 v26, v26, v27
	v_add_f32_e32 v26, v30, v26
	v_cmp_neq_f32_e32 vcc, s6, v29
	s_mov_b32 s6, 0x33800000
	v_cndmask_b32_e32 v26, v28, v26, vcc
	v_cmp_lt_f32_e64 vcc, |v29|, s6
	v_cndmask_b32_e32 v26, v26, v29, vcc
	v_add_f32_e32 v26, v25, v26
.LBB507_241:
	s_or_b64 exec, exec, s[4:5]
	v_bfe_u32 v25, v26, 16, 1
	v_add3_u32 v25, v26, v25, s7
	v_cmp_o_f32_e32 vcc, v26, v26
	v_cndmask_b32_sdwa v24, v24, v25, vcc dst_sel:DWORD dst_unused:UNUSED_PAD src0_sel:DWORD src1_sel:WORD_1
	v_lshlrev_b32_e32 v26, 16, v24
	v_max_f32_e32 v25, v26, v26
	v_min_f32_e32 v27, v25, v41
	v_cmp_u_f32_e32 vcc, v26, v26
	v_max_f32_e32 v25, v25, v41
	v_cndmask_b32_e32 v27, v27, v26, vcc
	v_cndmask_b32_e32 v25, v25, v26, vcc
	v_cndmask_b32_e64 v27, v27, v39, s[24:25]
	v_cndmask_b32_e64 v25, v25, v39, s[24:25]
	s_movk_i32 s6, 0x1f8
	v_cmp_neq_f32_e32 vcc, v27, v25
	v_cmp_class_f32_e64 s[4:5], v27, s6
	s_or_b64 s[8:9], vcc, s[4:5]
	s_and_saveexec_b64 s[4:5], s[8:9]
	s_cbranch_execz .LBB507_243
; %bb.242:
	v_sub_f32_e32 v26, v27, v25
	s_mov_b32 s7, 0x3fb8aa3b
	v_mul_f32_e32 v27, 0x3fb8aa3b, v26
	v_fma_f32 v28, v26, s7, -v27
	v_rndne_f32_e32 v29, v27
	v_fmac_f32_e32 v28, 0x32a5705f, v26
	v_sub_f32_e32 v27, v27, v29
	v_add_f32_e32 v27, v27, v28
	v_exp_f32_e32 v27, v27
	v_cvt_i32_f32_e32 v28, v29
	s_mov_b32 s7, 0xc2ce8ed0
	v_cmp_ngt_f32_e32 vcc, s7, v26
	s_mov_b32 s7, 0x42b17218
	v_ldexp_f32 v27, v27, v28
	v_cndmask_b32_e32 v27, 0, v27, vcc
	v_mov_b32_e32 v28, 0x7f800000
	v_cmp_nlt_f32_e32 vcc, s7, v26
	v_cndmask_b32_e32 v29, v28, v27, vcc
	v_add_f32_e32 v30, 1.0, v29
	v_cvt_f64_f32_e32 v[26:27], v30
	v_add_f32_e32 v31, -1.0, v30
	v_sub_f32_e32 v32, v31, v30
	v_sub_f32_e32 v31, v29, v31
	v_frexp_exp_i32_f64_e32 v26, v[26:27]
	v_add_f32_e32 v27, 1.0, v32
	v_add_f32_e32 v27, v31, v27
	v_frexp_mant_f32_e32 v31, v30
	s_mov_b32 s8, 0x3f2aaaab
	v_cmp_gt_f32_e32 vcc, s8, v31
	s_mov_b32 s8, 0x3f317218
	s_mov_b32 s7, 0x7f800000
	v_subbrev_co_u32_e32 v26, vcc, 0, v26, vcc
	v_sub_u32_e32 v31, 0, v26
	v_ldexp_f32 v30, v30, v31
	v_ldexp_f32 v27, v27, v31
	v_add_f32_e32 v31, -1.0, v30
	v_add_f32_e32 v34, 1.0, v30
	v_add_f32_e32 v32, 1.0, v31
	v_add_f32_e32 v35, -1.0, v34
	v_sub_f32_e32 v32, v30, v32
	v_sub_f32_e32 v30, v30, v35
	v_add_f32_e32 v32, v27, v32
	v_add_f32_e32 v27, v27, v30
	;; [unrolled: 1-line block ×3, first 2 shown]
	v_rcp_f32_e32 v35, v30
	v_add_f32_e32 v33, v31, v32
	v_sub_f32_e32 v31, v31, v33
	v_add_f32_e32 v31, v32, v31
	v_sub_f32_e32 v32, v34, v30
	v_add_f32_e32 v27, v27, v32
	v_mul_f32_e32 v32, v33, v35
	v_mul_f32_e32 v34, v30, v32
	v_fma_f32 v36, v32, v30, -v34
	v_fmac_f32_e32 v36, v32, v27
	v_add_f32_e32 v37, v34, v36
	v_sub_f32_e32 v38, v33, v37
	v_sub_f32_e32 v33, v33, v38
	;; [unrolled: 1-line block ×4, first 2 shown]
	v_add_f32_e32 v31, v31, v33
	v_sub_f32_e32 v33, v34, v36
	v_add_f32_e32 v31, v33, v31
	v_add_f32_e32 v33, v38, v31
	v_mul_f32_e32 v34, v35, v33
	v_mul_f32_e32 v36, v30, v34
	v_fma_f32 v30, v34, v30, -v36
	v_fmac_f32_e32 v30, v34, v27
	v_sub_f32_e32 v27, v38, v33
	v_add_f32_e32 v27, v31, v27
	v_add_f32_e32 v31, v36, v30
	v_sub_f32_e32 v37, v33, v31
	v_sub_f32_e32 v33, v33, v37
	;; [unrolled: 1-line block ×4, first 2 shown]
	v_add_f32_e32 v27, v27, v31
	v_sub_f32_e32 v30, v36, v30
	v_add_f32_e32 v27, v30, v27
	v_add_f32_e32 v30, v32, v34
	;; [unrolled: 1-line block ×3, first 2 shown]
	v_sub_f32_e32 v31, v30, v32
	v_mul_f32_e32 v27, v35, v27
	v_sub_f32_e32 v31, v34, v31
	v_add_f32_e32 v27, v31, v27
	v_cvt_f32_i32_e32 v26, v26
	v_add_f32_e32 v31, v30, v27
	v_mul_f32_e32 v32, v31, v31
	v_mov_b32_e32 v33, 0x3ecc95a3
	v_fmac_f32_e32 v33, 0x3e9b6dac, v32
	v_mov_b32_e32 v34, 0x3f2aaada
	v_fmac_f32_e32 v34, v32, v33
	v_mul_f32_e32 v33, 0x3f317218, v26
	v_fma_f32 v35, v26, s8, -v33
	v_fmac_f32_e32 v35, 0xb102e308, v26
	v_sub_f32_e32 v26, v31, v30
	v_sub_f32_e32 v26, v27, v26
	v_add_f32_e32 v27, v33, v35
	v_sub_f32_e32 v30, v27, v33
	v_ldexp_f32 v33, v31, 1
	v_mul_f32_e32 v31, v31, v32
	v_mul_f32_e32 v31, v31, v34
	v_add_f32_e32 v32, v33, v31
	v_sub_f32_e32 v33, v32, v33
	v_ldexp_f32 v26, v26, 1
	v_sub_f32_e32 v31, v31, v33
	v_add_f32_e32 v26, v26, v31
	v_add_f32_e32 v31, v32, v26
	v_sub_f32_e32 v32, v31, v32
	v_sub_f32_e32 v26, v26, v32
	v_add_f32_e32 v32, v27, v31
	v_sub_f32_e32 v33, v32, v27
	v_sub_f32_e32 v34, v32, v33
	;; [unrolled: 1-line block ×5, first 2 shown]
	v_add_f32_e32 v27, v31, v27
	v_add_f32_e32 v31, v30, v26
	v_sub_f32_e32 v33, v31, v30
	v_sub_f32_e32 v34, v31, v33
	;; [unrolled: 1-line block ×4, first 2 shown]
	v_add_f32_e32 v27, v31, v27
	v_add_f32_e32 v26, v26, v30
	v_add_f32_e32 v30, v32, v27
	v_sub_f32_e32 v31, v30, v32
	v_sub_f32_e32 v27, v27, v31
	v_add_f32_e32 v26, v26, v27
	v_add_f32_e32 v26, v30, v26
	v_cmp_neq_f32_e32 vcc, s7, v29
	s_mov_b32 s7, 0x33800000
	v_cndmask_b32_e32 v26, v28, v26, vcc
	v_cmp_lt_f32_e64 vcc, |v29|, s7
	v_cndmask_b32_e32 v26, v26, v29, vcc
	v_add_f32_e32 v26, v25, v26
.LBB507_243:
	s_or_b64 exec, exec, s[4:5]
	v_bfe_u32 v25, v26, 16, 1
	s_movk_i32 s7, 0x7fff
	v_add3_u32 v25, v26, v25, s7
	v_cmp_o_f32_e32 vcc, v26, v26
	v_mov_b32_e32 v26, 0x7fc0
	v_cndmask_b32_sdwa v25, v26, v25, vcc dst_sel:DWORD dst_unused:UNUSED_PAD src0_sel:DWORD src1_sel:WORD_1
	v_lshlrev_b32_e32 v28, 16, v25
	v_max_f32_e32 v27, v28, v28
	v_min_f32_e32 v29, v27, v42
	v_cmp_u_f32_e32 vcc, v28, v28
	v_max_f32_e32 v27, v27, v42
	v_cndmask_b32_e32 v29, v29, v28, vcc
	v_cndmask_b32_e32 v27, v27, v28, vcc
	v_cndmask_b32_e64 v29, v29, v40, s[26:27]
	v_cndmask_b32_e64 v27, v27, v40, s[26:27]
	v_cmp_neq_f32_e32 vcc, v29, v27
	v_cmp_class_f32_e64 s[4:5], v29, s6
	s_or_b64 s[8:9], vcc, s[4:5]
	s_and_saveexec_b64 s[4:5], s[8:9]
	s_cbranch_execz .LBB507_245
; %bb.244:
	v_sub_f32_e32 v28, v29, v27
	s_mov_b32 s6, 0x3fb8aa3b
	v_mul_f32_e32 v29, 0x3fb8aa3b, v28
	v_fma_f32 v30, v28, s6, -v29
	v_rndne_f32_e32 v31, v29
	v_fmac_f32_e32 v30, 0x32a5705f, v28
	v_sub_f32_e32 v29, v29, v31
	v_add_f32_e32 v29, v29, v30
	v_exp_f32_e32 v29, v29
	v_cvt_i32_f32_e32 v30, v31
	s_mov_b32 s6, 0xc2ce8ed0
	v_cmp_ngt_f32_e32 vcc, s6, v28
	s_mov_b32 s6, 0x42b17218
	v_ldexp_f32 v29, v29, v30
	v_cndmask_b32_e32 v29, 0, v29, vcc
	v_mov_b32_e32 v30, 0x7f800000
	v_cmp_nlt_f32_e32 vcc, s6, v28
	v_cndmask_b32_e32 v31, v30, v29, vcc
	v_add_f32_e32 v32, 1.0, v31
	v_cvt_f64_f32_e32 v[28:29], v32
	v_add_f32_e32 v33, -1.0, v32
	v_sub_f32_e32 v34, v33, v32
	v_sub_f32_e32 v33, v31, v33
	v_frexp_exp_i32_f64_e32 v28, v[28:29]
	v_add_f32_e32 v29, 1.0, v34
	v_add_f32_e32 v29, v33, v29
	v_frexp_mant_f32_e32 v33, v32
	s_mov_b32 s8, 0x3f2aaaab
	v_cmp_gt_f32_e32 vcc, s8, v33
	s_mov_b32 s8, 0x3f317218
	s_mov_b32 s6, 0x7f800000
	v_subbrev_co_u32_e32 v28, vcc, 0, v28, vcc
	v_sub_u32_e32 v33, 0, v28
	v_ldexp_f32 v32, v32, v33
	v_ldexp_f32 v29, v29, v33
	v_add_f32_e32 v33, -1.0, v32
	v_add_f32_e32 v36, 1.0, v32
	v_add_f32_e32 v34, 1.0, v33
	v_add_f32_e32 v37, -1.0, v36
	v_sub_f32_e32 v34, v32, v34
	v_sub_f32_e32 v32, v32, v37
	v_add_f32_e32 v34, v29, v34
	v_add_f32_e32 v29, v29, v32
	;; [unrolled: 1-line block ×3, first 2 shown]
	v_rcp_f32_e32 v37, v32
	v_add_f32_e32 v35, v33, v34
	v_sub_f32_e32 v33, v33, v35
	v_add_f32_e32 v33, v34, v33
	v_sub_f32_e32 v34, v36, v32
	v_add_f32_e32 v29, v29, v34
	v_mul_f32_e32 v34, v35, v37
	v_mul_f32_e32 v36, v32, v34
	v_fma_f32 v38, v34, v32, -v36
	v_fmac_f32_e32 v38, v34, v29
	v_add_f32_e32 v39, v36, v38
	v_sub_f32_e32 v40, v35, v39
	v_sub_f32_e32 v35, v35, v40
	;; [unrolled: 1-line block ×4, first 2 shown]
	v_add_f32_e32 v33, v33, v35
	v_sub_f32_e32 v35, v36, v38
	v_add_f32_e32 v33, v35, v33
	v_add_f32_e32 v35, v40, v33
	v_mul_f32_e32 v36, v37, v35
	v_mul_f32_e32 v38, v32, v36
	v_fma_f32 v32, v36, v32, -v38
	v_fmac_f32_e32 v32, v36, v29
	v_sub_f32_e32 v29, v40, v35
	v_add_f32_e32 v29, v33, v29
	v_add_f32_e32 v33, v38, v32
	v_sub_f32_e32 v39, v35, v33
	v_sub_f32_e32 v35, v35, v39
	;; [unrolled: 1-line block ×4, first 2 shown]
	v_add_f32_e32 v29, v29, v33
	v_sub_f32_e32 v32, v38, v32
	v_add_f32_e32 v29, v32, v29
	v_add_f32_e32 v32, v34, v36
	;; [unrolled: 1-line block ×3, first 2 shown]
	v_sub_f32_e32 v33, v32, v34
	v_mul_f32_e32 v29, v37, v29
	v_sub_f32_e32 v33, v36, v33
	v_add_f32_e32 v29, v33, v29
	v_cvt_f32_i32_e32 v28, v28
	v_add_f32_e32 v33, v32, v29
	v_mul_f32_e32 v34, v33, v33
	v_mov_b32_e32 v35, 0x3ecc95a3
	v_fmac_f32_e32 v35, 0x3e9b6dac, v34
	v_mov_b32_e32 v36, 0x3f2aaada
	v_fmac_f32_e32 v36, v34, v35
	v_mul_f32_e32 v35, 0x3f317218, v28
	v_fma_f32 v37, v28, s8, -v35
	v_fmac_f32_e32 v37, 0xb102e308, v28
	v_sub_f32_e32 v28, v33, v32
	v_sub_f32_e32 v28, v29, v28
	v_add_f32_e32 v29, v35, v37
	v_sub_f32_e32 v32, v29, v35
	v_ldexp_f32 v35, v33, 1
	v_mul_f32_e32 v33, v33, v34
	v_mul_f32_e32 v33, v33, v36
	v_add_f32_e32 v34, v35, v33
	v_sub_f32_e32 v35, v34, v35
	v_ldexp_f32 v28, v28, 1
	v_sub_f32_e32 v33, v33, v35
	v_add_f32_e32 v28, v28, v33
	v_add_f32_e32 v33, v34, v28
	v_sub_f32_e32 v34, v33, v34
	v_sub_f32_e32 v28, v28, v34
	v_add_f32_e32 v34, v29, v33
	v_sub_f32_e32 v35, v34, v29
	v_sub_f32_e32 v36, v34, v35
	v_sub_f32_e32 v32, v37, v32
	v_sub_f32_e32 v29, v29, v36
	v_sub_f32_e32 v33, v33, v35
	v_add_f32_e32 v29, v33, v29
	v_add_f32_e32 v33, v32, v28
	v_sub_f32_e32 v35, v33, v32
	v_sub_f32_e32 v36, v33, v35
	v_sub_f32_e32 v32, v32, v36
	v_sub_f32_e32 v28, v28, v35
	v_add_f32_e32 v29, v33, v29
	v_add_f32_e32 v28, v28, v32
	;; [unrolled: 1-line block ×3, first 2 shown]
	v_sub_f32_e32 v33, v32, v34
	v_sub_f32_e32 v29, v29, v33
	v_add_f32_e32 v28, v28, v29
	v_add_f32_e32 v28, v32, v28
	v_cmp_neq_f32_e32 vcc, s6, v31
	s_mov_b32 s6, 0x33800000
	v_cndmask_b32_e32 v28, v30, v28, vcc
	v_cmp_lt_f32_e64 vcc, |v31|, s6
	v_cndmask_b32_e32 v28, v28, v31, vcc
	v_add_f32_e32 v28, v27, v28
.LBB507_245:
	s_or_b64 exec, exec, s[4:5]
	v_bfe_u32 v27, v28, 16, 1
	v_add3_u32 v27, v28, v27, s7
	v_cmp_o_f32_e32 vcc, v28, v28
	v_cndmask_b32_sdwa v26, v26, v27, vcc dst_sel:DWORD dst_unused:UNUSED_PAD src0_sel:DWORD src1_sel:WORD_1
	v_lshlrev_b32_e32 v28, 16, v26
	v_max_f32_e32 v27, v28, v28
	v_min_f32_e32 v29, v27, v45
	v_cmp_u_f32_e32 vcc, v28, v28
	v_max_f32_e32 v27, v27, v45
	v_cndmask_b32_e32 v29, v29, v28, vcc
	v_cndmask_b32_e32 v27, v27, v28, vcc
	v_cndmask_b32_e64 v29, v29, v43, s[28:29]
	v_cndmask_b32_e64 v27, v27, v43, s[28:29]
	s_movk_i32 s6, 0x1f8
	v_cmp_neq_f32_e32 vcc, v29, v27
	v_cmp_class_f32_e64 s[4:5], v29, s6
	s_or_b64 s[8:9], vcc, s[4:5]
	s_and_saveexec_b64 s[4:5], s[8:9]
	s_cbranch_execz .LBB507_247
; %bb.246:
	v_sub_f32_e32 v28, v29, v27
	s_mov_b32 s7, 0x3fb8aa3b
	v_mul_f32_e32 v29, 0x3fb8aa3b, v28
	v_fma_f32 v30, v28, s7, -v29
	v_rndne_f32_e32 v31, v29
	v_fmac_f32_e32 v30, 0x32a5705f, v28
	v_sub_f32_e32 v29, v29, v31
	v_add_f32_e32 v29, v29, v30
	v_exp_f32_e32 v29, v29
	v_cvt_i32_f32_e32 v30, v31
	s_mov_b32 s7, 0xc2ce8ed0
	v_cmp_ngt_f32_e32 vcc, s7, v28
	s_mov_b32 s7, 0x42b17218
	v_ldexp_f32 v29, v29, v30
	v_cndmask_b32_e32 v29, 0, v29, vcc
	v_mov_b32_e32 v30, 0x7f800000
	v_cmp_nlt_f32_e32 vcc, s7, v28
	v_cndmask_b32_e32 v31, v30, v29, vcc
	v_add_f32_e32 v32, 1.0, v31
	v_cvt_f64_f32_e32 v[28:29], v32
	v_add_f32_e32 v33, -1.0, v32
	v_sub_f32_e32 v34, v33, v32
	v_sub_f32_e32 v33, v31, v33
	v_frexp_exp_i32_f64_e32 v28, v[28:29]
	v_add_f32_e32 v29, 1.0, v34
	v_add_f32_e32 v29, v33, v29
	v_frexp_mant_f32_e32 v33, v32
	s_mov_b32 s8, 0x3f2aaaab
	v_cmp_gt_f32_e32 vcc, s8, v33
	s_mov_b32 s8, 0x3f317218
	s_mov_b32 s7, 0x7f800000
	v_subbrev_co_u32_e32 v28, vcc, 0, v28, vcc
	v_sub_u32_e32 v33, 0, v28
	v_ldexp_f32 v32, v32, v33
	v_ldexp_f32 v29, v29, v33
	v_add_f32_e32 v33, -1.0, v32
	v_add_f32_e32 v36, 1.0, v32
	v_add_f32_e32 v34, 1.0, v33
	v_add_f32_e32 v37, -1.0, v36
	v_sub_f32_e32 v34, v32, v34
	v_sub_f32_e32 v32, v32, v37
	v_add_f32_e32 v34, v29, v34
	v_add_f32_e32 v29, v29, v32
	;; [unrolled: 1-line block ×3, first 2 shown]
	v_rcp_f32_e32 v37, v32
	v_add_f32_e32 v35, v33, v34
	v_sub_f32_e32 v33, v33, v35
	v_add_f32_e32 v33, v34, v33
	v_sub_f32_e32 v34, v36, v32
	v_add_f32_e32 v29, v29, v34
	v_mul_f32_e32 v34, v35, v37
	v_mul_f32_e32 v36, v32, v34
	v_fma_f32 v38, v34, v32, -v36
	v_fmac_f32_e32 v38, v34, v29
	v_add_f32_e32 v39, v36, v38
	v_sub_f32_e32 v40, v35, v39
	v_sub_f32_e32 v35, v35, v40
	;; [unrolled: 1-line block ×4, first 2 shown]
	v_add_f32_e32 v33, v33, v35
	v_sub_f32_e32 v35, v36, v38
	v_add_f32_e32 v33, v35, v33
	v_add_f32_e32 v35, v40, v33
	v_mul_f32_e32 v36, v37, v35
	v_mul_f32_e32 v38, v32, v36
	v_fma_f32 v32, v36, v32, -v38
	v_fmac_f32_e32 v32, v36, v29
	v_sub_f32_e32 v29, v40, v35
	v_add_f32_e32 v29, v33, v29
	v_add_f32_e32 v33, v38, v32
	v_sub_f32_e32 v39, v35, v33
	v_sub_f32_e32 v35, v35, v39
	;; [unrolled: 1-line block ×4, first 2 shown]
	v_add_f32_e32 v29, v29, v33
	v_sub_f32_e32 v32, v38, v32
	v_add_f32_e32 v29, v32, v29
	v_add_f32_e32 v32, v34, v36
	;; [unrolled: 1-line block ×3, first 2 shown]
	v_sub_f32_e32 v33, v32, v34
	v_mul_f32_e32 v29, v37, v29
	v_sub_f32_e32 v33, v36, v33
	v_add_f32_e32 v29, v33, v29
	v_cvt_f32_i32_e32 v28, v28
	v_add_f32_e32 v33, v32, v29
	v_mul_f32_e32 v34, v33, v33
	v_mov_b32_e32 v35, 0x3ecc95a3
	v_fmac_f32_e32 v35, 0x3e9b6dac, v34
	v_mov_b32_e32 v36, 0x3f2aaada
	v_fmac_f32_e32 v36, v34, v35
	v_mul_f32_e32 v35, 0x3f317218, v28
	v_fma_f32 v37, v28, s8, -v35
	v_fmac_f32_e32 v37, 0xb102e308, v28
	v_sub_f32_e32 v28, v33, v32
	v_sub_f32_e32 v28, v29, v28
	v_add_f32_e32 v29, v35, v37
	v_sub_f32_e32 v32, v29, v35
	v_ldexp_f32 v35, v33, 1
	v_mul_f32_e32 v33, v33, v34
	v_mul_f32_e32 v33, v33, v36
	v_add_f32_e32 v34, v35, v33
	v_sub_f32_e32 v35, v34, v35
	v_ldexp_f32 v28, v28, 1
	v_sub_f32_e32 v33, v33, v35
	v_add_f32_e32 v28, v28, v33
	v_add_f32_e32 v33, v34, v28
	v_sub_f32_e32 v34, v33, v34
	v_sub_f32_e32 v28, v28, v34
	v_add_f32_e32 v34, v29, v33
	v_sub_f32_e32 v35, v34, v29
	v_sub_f32_e32 v36, v34, v35
	;; [unrolled: 1-line block ×5, first 2 shown]
	v_add_f32_e32 v29, v33, v29
	v_add_f32_e32 v33, v32, v28
	v_sub_f32_e32 v35, v33, v32
	v_sub_f32_e32 v36, v33, v35
	;; [unrolled: 1-line block ×4, first 2 shown]
	v_add_f32_e32 v29, v33, v29
	v_add_f32_e32 v28, v28, v32
	;; [unrolled: 1-line block ×3, first 2 shown]
	v_sub_f32_e32 v33, v32, v34
	v_sub_f32_e32 v29, v29, v33
	v_add_f32_e32 v28, v28, v29
	v_add_f32_e32 v28, v32, v28
	v_cmp_neq_f32_e32 vcc, s7, v31
	s_mov_b32 s7, 0x33800000
	v_cndmask_b32_e32 v28, v30, v28, vcc
	v_cmp_lt_f32_e64 vcc, |v31|, s7
	v_cndmask_b32_e32 v28, v28, v31, vcc
	v_add_f32_e32 v28, v27, v28
.LBB507_247:
	s_or_b64 exec, exec, s[4:5]
	v_bfe_u32 v27, v28, 16, 1
	s_movk_i32 s7, 0x7fff
	v_add3_u32 v27, v28, v27, s7
	v_cmp_o_f32_e32 vcc, v28, v28
	v_mov_b32_e32 v28, 0x7fc0
	v_cndmask_b32_sdwa v27, v28, v27, vcc dst_sel:DWORD dst_unused:UNUSED_PAD src0_sel:DWORD src1_sel:WORD_1
	v_lshlrev_b32_e32 v30, 16, v27
	v_max_f32_e32 v29, v30, v30
	v_min_f32_e32 v31, v29, v46
	v_cmp_u_f32_e32 vcc, v30, v30
	v_max_f32_e32 v29, v29, v46
	v_cndmask_b32_e32 v31, v31, v30, vcc
	v_cndmask_b32_e32 v29, v29, v30, vcc
	v_cndmask_b32_e64 v31, v31, v44, s[30:31]
	v_cndmask_b32_e64 v29, v29, v44, s[30:31]
	v_cmp_neq_f32_e32 vcc, v31, v29
	v_cmp_class_f32_e64 s[4:5], v31, s6
	s_or_b64 s[8:9], vcc, s[4:5]
	s_and_saveexec_b64 s[4:5], s[8:9]
	s_cbranch_execz .LBB507_249
; %bb.248:
	v_sub_f32_e32 v30, v31, v29
	s_mov_b32 s6, 0x3fb8aa3b
	v_mul_f32_e32 v31, 0x3fb8aa3b, v30
	v_fma_f32 v32, v30, s6, -v31
	v_rndne_f32_e32 v33, v31
	v_fmac_f32_e32 v32, 0x32a5705f, v30
	v_sub_f32_e32 v31, v31, v33
	v_add_f32_e32 v31, v31, v32
	v_exp_f32_e32 v31, v31
	v_cvt_i32_f32_e32 v32, v33
	s_mov_b32 s6, 0xc2ce8ed0
	v_cmp_ngt_f32_e32 vcc, s6, v30
	s_mov_b32 s6, 0x42b17218
	v_ldexp_f32 v31, v31, v32
	v_cndmask_b32_e32 v31, 0, v31, vcc
	v_mov_b32_e32 v32, 0x7f800000
	v_cmp_nlt_f32_e32 vcc, s6, v30
	v_cndmask_b32_e32 v33, v32, v31, vcc
	v_add_f32_e32 v34, 1.0, v33
	v_cvt_f64_f32_e32 v[30:31], v34
	v_add_f32_e32 v35, -1.0, v34
	v_sub_f32_e32 v36, v35, v34
	v_sub_f32_e32 v35, v33, v35
	v_frexp_exp_i32_f64_e32 v30, v[30:31]
	v_add_f32_e32 v31, 1.0, v36
	v_add_f32_e32 v31, v35, v31
	v_frexp_mant_f32_e32 v35, v34
	s_mov_b32 s8, 0x3f2aaaab
	v_cmp_gt_f32_e32 vcc, s8, v35
	s_mov_b32 s8, 0x3f317218
	s_mov_b32 s6, 0x7f800000
	v_subbrev_co_u32_e32 v30, vcc, 0, v30, vcc
	v_sub_u32_e32 v35, 0, v30
	v_ldexp_f32 v34, v34, v35
	v_ldexp_f32 v31, v31, v35
	v_add_f32_e32 v35, -1.0, v34
	v_add_f32_e32 v38, 1.0, v34
	v_add_f32_e32 v36, 1.0, v35
	v_add_f32_e32 v39, -1.0, v38
	v_sub_f32_e32 v36, v34, v36
	v_sub_f32_e32 v34, v34, v39
	v_add_f32_e32 v36, v31, v36
	v_add_f32_e32 v31, v31, v34
	;; [unrolled: 1-line block ×3, first 2 shown]
	v_rcp_f32_e32 v39, v34
	v_add_f32_e32 v37, v35, v36
	v_sub_f32_e32 v35, v35, v37
	v_add_f32_e32 v35, v36, v35
	v_sub_f32_e32 v36, v38, v34
	v_add_f32_e32 v31, v31, v36
	v_mul_f32_e32 v36, v37, v39
	v_mul_f32_e32 v38, v34, v36
	v_fma_f32 v40, v36, v34, -v38
	v_fmac_f32_e32 v40, v36, v31
	v_add_f32_e32 v41, v38, v40
	v_sub_f32_e32 v42, v37, v41
	v_sub_f32_e32 v37, v37, v42
	;; [unrolled: 1-line block ×4, first 2 shown]
	v_add_f32_e32 v35, v35, v37
	v_sub_f32_e32 v37, v38, v40
	v_add_f32_e32 v35, v37, v35
	v_add_f32_e32 v37, v42, v35
	v_mul_f32_e32 v38, v39, v37
	v_mul_f32_e32 v40, v34, v38
	v_fma_f32 v34, v38, v34, -v40
	v_fmac_f32_e32 v34, v38, v31
	v_sub_f32_e32 v31, v42, v37
	v_add_f32_e32 v31, v35, v31
	v_add_f32_e32 v35, v40, v34
	v_sub_f32_e32 v41, v37, v35
	v_sub_f32_e32 v37, v37, v41
	;; [unrolled: 1-line block ×4, first 2 shown]
	v_add_f32_e32 v31, v31, v35
	v_sub_f32_e32 v34, v40, v34
	v_add_f32_e32 v31, v34, v31
	v_add_f32_e32 v34, v36, v38
	;; [unrolled: 1-line block ×3, first 2 shown]
	v_sub_f32_e32 v35, v34, v36
	v_mul_f32_e32 v31, v39, v31
	v_sub_f32_e32 v35, v38, v35
	v_add_f32_e32 v31, v35, v31
	v_cvt_f32_i32_e32 v30, v30
	v_add_f32_e32 v35, v34, v31
	v_mul_f32_e32 v36, v35, v35
	v_mov_b32_e32 v37, 0x3ecc95a3
	v_fmac_f32_e32 v37, 0x3e9b6dac, v36
	v_mov_b32_e32 v38, 0x3f2aaada
	v_fmac_f32_e32 v38, v36, v37
	v_mul_f32_e32 v37, 0x3f317218, v30
	v_fma_f32 v39, v30, s8, -v37
	v_fmac_f32_e32 v39, 0xb102e308, v30
	v_sub_f32_e32 v30, v35, v34
	v_sub_f32_e32 v30, v31, v30
	v_add_f32_e32 v31, v37, v39
	v_sub_f32_e32 v34, v31, v37
	v_ldexp_f32 v37, v35, 1
	v_mul_f32_e32 v35, v35, v36
	v_mul_f32_e32 v35, v35, v38
	v_add_f32_e32 v36, v37, v35
	v_sub_f32_e32 v37, v36, v37
	v_ldexp_f32 v30, v30, 1
	v_sub_f32_e32 v35, v35, v37
	v_add_f32_e32 v30, v30, v35
	v_add_f32_e32 v35, v36, v30
	v_sub_f32_e32 v36, v35, v36
	v_sub_f32_e32 v30, v30, v36
	v_add_f32_e32 v36, v31, v35
	v_sub_f32_e32 v37, v36, v31
	v_sub_f32_e32 v38, v36, v37
	;; [unrolled: 1-line block ×5, first 2 shown]
	v_add_f32_e32 v31, v35, v31
	v_add_f32_e32 v35, v34, v30
	v_sub_f32_e32 v37, v35, v34
	v_sub_f32_e32 v38, v35, v37
	;; [unrolled: 1-line block ×4, first 2 shown]
	v_add_f32_e32 v31, v35, v31
	v_add_f32_e32 v30, v30, v34
	;; [unrolled: 1-line block ×3, first 2 shown]
	v_sub_f32_e32 v35, v34, v36
	v_sub_f32_e32 v31, v31, v35
	v_add_f32_e32 v30, v30, v31
	v_add_f32_e32 v30, v34, v30
	v_cmp_neq_f32_e32 vcc, s6, v33
	s_mov_b32 s6, 0x33800000
	v_cndmask_b32_e32 v30, v32, v30, vcc
	v_cmp_lt_f32_e64 vcc, |v33|, s6
	v_cndmask_b32_e32 v30, v30, v33, vcc
	v_add_f32_e32 v30, v29, v30
.LBB507_249:
	s_or_b64 exec, exec, s[4:5]
	v_bfe_u32 v29, v30, 16, 1
	v_add3_u32 v29, v30, v29, s7
	v_cmp_o_f32_e32 vcc, v30, v30
	v_cndmask_b32_sdwa v28, v28, v29, vcc dst_sel:DWORD dst_unused:UNUSED_PAD src0_sel:DWORD src1_sel:WORD_1
	v_lshlrev_b32_e32 v30, 16, v28
	v_max_f32_e32 v29, v30, v30
	v_min_f32_e32 v31, v29, v49
	v_cmp_u_f32_e32 vcc, v30, v30
	v_max_f32_e32 v29, v29, v49
	v_cndmask_b32_e32 v31, v31, v30, vcc
	v_cndmask_b32_e32 v29, v29, v30, vcc
	v_cndmask_b32_e64 v31, v31, v47, s[34:35]
	v_cndmask_b32_e64 v29, v29, v47, s[34:35]
	s_movk_i32 s6, 0x1f8
	v_cmp_neq_f32_e32 vcc, v31, v29
	v_cmp_class_f32_e64 s[4:5], v31, s6
	s_or_b64 s[8:9], vcc, s[4:5]
	s_and_saveexec_b64 s[4:5], s[8:9]
	s_cbranch_execz .LBB507_251
; %bb.250:
	v_sub_f32_e32 v30, v31, v29
	s_mov_b32 s7, 0x3fb8aa3b
	v_mul_f32_e32 v31, 0x3fb8aa3b, v30
	v_fma_f32 v32, v30, s7, -v31
	v_rndne_f32_e32 v33, v31
	v_fmac_f32_e32 v32, 0x32a5705f, v30
	v_sub_f32_e32 v31, v31, v33
	v_add_f32_e32 v31, v31, v32
	v_exp_f32_e32 v31, v31
	v_cvt_i32_f32_e32 v32, v33
	s_mov_b32 s7, 0xc2ce8ed0
	v_cmp_ngt_f32_e32 vcc, s7, v30
	s_mov_b32 s7, 0x42b17218
	v_ldexp_f32 v31, v31, v32
	v_cndmask_b32_e32 v31, 0, v31, vcc
	v_mov_b32_e32 v32, 0x7f800000
	v_cmp_nlt_f32_e32 vcc, s7, v30
	v_cndmask_b32_e32 v33, v32, v31, vcc
	v_add_f32_e32 v34, 1.0, v33
	v_cvt_f64_f32_e32 v[30:31], v34
	v_add_f32_e32 v35, -1.0, v34
	v_sub_f32_e32 v36, v35, v34
	v_sub_f32_e32 v35, v33, v35
	v_frexp_exp_i32_f64_e32 v30, v[30:31]
	v_add_f32_e32 v31, 1.0, v36
	v_add_f32_e32 v31, v35, v31
	v_frexp_mant_f32_e32 v35, v34
	s_mov_b32 s8, 0x3f2aaaab
	v_cmp_gt_f32_e32 vcc, s8, v35
	s_mov_b32 s8, 0x3f317218
	s_mov_b32 s7, 0x7f800000
	v_subbrev_co_u32_e32 v30, vcc, 0, v30, vcc
	v_sub_u32_e32 v35, 0, v30
	v_ldexp_f32 v34, v34, v35
	v_ldexp_f32 v31, v31, v35
	v_add_f32_e32 v35, -1.0, v34
	v_add_f32_e32 v38, 1.0, v34
	v_add_f32_e32 v36, 1.0, v35
	v_add_f32_e32 v39, -1.0, v38
	v_sub_f32_e32 v36, v34, v36
	v_sub_f32_e32 v34, v34, v39
	v_add_f32_e32 v36, v31, v36
	v_add_f32_e32 v31, v31, v34
	;; [unrolled: 1-line block ×3, first 2 shown]
	v_rcp_f32_e32 v39, v34
	v_add_f32_e32 v37, v35, v36
	v_sub_f32_e32 v35, v35, v37
	v_add_f32_e32 v35, v36, v35
	v_sub_f32_e32 v36, v38, v34
	v_add_f32_e32 v31, v31, v36
	v_mul_f32_e32 v36, v37, v39
	v_mul_f32_e32 v38, v34, v36
	v_fma_f32 v40, v36, v34, -v38
	v_fmac_f32_e32 v40, v36, v31
	v_add_f32_e32 v41, v38, v40
	v_sub_f32_e32 v42, v37, v41
	v_sub_f32_e32 v37, v37, v42
	v_sub_f32_e32 v38, v41, v38
	v_sub_f32_e32 v37, v37, v41
	v_add_f32_e32 v35, v35, v37
	v_sub_f32_e32 v37, v38, v40
	v_add_f32_e32 v35, v37, v35
	v_add_f32_e32 v37, v42, v35
	v_mul_f32_e32 v38, v39, v37
	v_mul_f32_e32 v40, v34, v38
	v_fma_f32 v34, v38, v34, -v40
	v_fmac_f32_e32 v34, v38, v31
	v_sub_f32_e32 v31, v42, v37
	v_add_f32_e32 v31, v35, v31
	v_add_f32_e32 v35, v40, v34
	v_sub_f32_e32 v41, v37, v35
	v_sub_f32_e32 v37, v37, v41
	;; [unrolled: 1-line block ×4, first 2 shown]
	v_add_f32_e32 v31, v31, v35
	v_sub_f32_e32 v34, v40, v34
	v_add_f32_e32 v31, v34, v31
	v_add_f32_e32 v34, v36, v38
	;; [unrolled: 1-line block ×3, first 2 shown]
	v_sub_f32_e32 v35, v34, v36
	v_mul_f32_e32 v31, v39, v31
	v_sub_f32_e32 v35, v38, v35
	v_add_f32_e32 v31, v35, v31
	v_cvt_f32_i32_e32 v30, v30
	v_add_f32_e32 v35, v34, v31
	v_mul_f32_e32 v36, v35, v35
	v_mov_b32_e32 v37, 0x3ecc95a3
	v_fmac_f32_e32 v37, 0x3e9b6dac, v36
	v_mov_b32_e32 v38, 0x3f2aaada
	v_fmac_f32_e32 v38, v36, v37
	v_mul_f32_e32 v37, 0x3f317218, v30
	v_fma_f32 v39, v30, s8, -v37
	v_fmac_f32_e32 v39, 0xb102e308, v30
	v_sub_f32_e32 v30, v35, v34
	v_sub_f32_e32 v30, v31, v30
	v_add_f32_e32 v31, v37, v39
	v_sub_f32_e32 v34, v31, v37
	v_ldexp_f32 v37, v35, 1
	v_mul_f32_e32 v35, v35, v36
	v_mul_f32_e32 v35, v35, v38
	v_add_f32_e32 v36, v37, v35
	v_sub_f32_e32 v37, v36, v37
	v_ldexp_f32 v30, v30, 1
	v_sub_f32_e32 v35, v35, v37
	v_add_f32_e32 v30, v30, v35
	v_add_f32_e32 v35, v36, v30
	v_sub_f32_e32 v36, v35, v36
	v_sub_f32_e32 v30, v30, v36
	v_add_f32_e32 v36, v31, v35
	v_sub_f32_e32 v37, v36, v31
	v_sub_f32_e32 v38, v36, v37
	;; [unrolled: 1-line block ×5, first 2 shown]
	v_add_f32_e32 v31, v35, v31
	v_add_f32_e32 v35, v34, v30
	v_sub_f32_e32 v37, v35, v34
	v_sub_f32_e32 v38, v35, v37
	;; [unrolled: 1-line block ×4, first 2 shown]
	v_add_f32_e32 v31, v35, v31
	v_add_f32_e32 v30, v30, v34
	;; [unrolled: 1-line block ×3, first 2 shown]
	v_sub_f32_e32 v35, v34, v36
	v_sub_f32_e32 v31, v31, v35
	v_add_f32_e32 v30, v30, v31
	v_add_f32_e32 v30, v34, v30
	v_cmp_neq_f32_e32 vcc, s7, v33
	s_mov_b32 s7, 0x33800000
	v_cndmask_b32_e32 v30, v32, v30, vcc
	v_cmp_lt_f32_e64 vcc, |v33|, s7
	v_cndmask_b32_e32 v30, v30, v33, vcc
	v_add_f32_e32 v30, v29, v30
.LBB507_251:
	s_or_b64 exec, exec, s[4:5]
	v_bfe_u32 v29, v30, 16, 1
	s_movk_i32 s7, 0x7fff
	v_add3_u32 v29, v30, v29, s7
	v_cmp_o_f32_e32 vcc, v30, v30
	v_mov_b32_e32 v30, 0x7fc0
	v_cndmask_b32_sdwa v29, v30, v29, vcc dst_sel:DWORD dst_unused:UNUSED_PAD src0_sel:DWORD src1_sel:WORD_1
	v_lshlrev_b32_e32 v32, 16, v29
	v_max_f32_e32 v31, v32, v32
	v_min_f32_e32 v33, v31, v50
	v_cmp_u_f32_e32 vcc, v32, v32
	v_max_f32_e32 v31, v31, v50
	v_cndmask_b32_e32 v33, v33, v32, vcc
	v_cndmask_b32_e32 v31, v31, v32, vcc
	v_cndmask_b32_e64 v33, v33, v48, s[36:37]
	v_cndmask_b32_e64 v31, v31, v48, s[36:37]
	v_cmp_neq_f32_e32 vcc, v33, v31
	v_cmp_class_f32_e64 s[4:5], v33, s6
	s_or_b64 s[8:9], vcc, s[4:5]
	s_and_saveexec_b64 s[4:5], s[8:9]
	s_cbranch_execz .LBB507_253
; %bb.252:
	v_sub_f32_e32 v32, v33, v31
	s_mov_b32 s6, 0x3fb8aa3b
	v_mul_f32_e32 v33, 0x3fb8aa3b, v32
	v_fma_f32 v34, v32, s6, -v33
	v_rndne_f32_e32 v35, v33
	v_fmac_f32_e32 v34, 0x32a5705f, v32
	v_sub_f32_e32 v33, v33, v35
	v_add_f32_e32 v33, v33, v34
	v_exp_f32_e32 v33, v33
	v_cvt_i32_f32_e32 v34, v35
	s_mov_b32 s6, 0xc2ce8ed0
	v_cmp_ngt_f32_e32 vcc, s6, v32
	s_mov_b32 s6, 0x42b17218
	v_ldexp_f32 v33, v33, v34
	v_cndmask_b32_e32 v33, 0, v33, vcc
	v_mov_b32_e32 v34, 0x7f800000
	v_cmp_nlt_f32_e32 vcc, s6, v32
	v_cndmask_b32_e32 v35, v34, v33, vcc
	v_add_f32_e32 v36, 1.0, v35
	v_cvt_f64_f32_e32 v[32:33], v36
	v_add_f32_e32 v37, -1.0, v36
	v_sub_f32_e32 v38, v37, v36
	v_sub_f32_e32 v37, v35, v37
	v_frexp_exp_i32_f64_e32 v32, v[32:33]
	v_add_f32_e32 v33, 1.0, v38
	v_add_f32_e32 v33, v37, v33
	v_frexp_mant_f32_e32 v37, v36
	s_mov_b32 s8, 0x3f2aaaab
	v_cmp_gt_f32_e32 vcc, s8, v37
	s_mov_b32 s8, 0x3f317218
	s_mov_b32 s6, 0x7f800000
	v_subbrev_co_u32_e32 v32, vcc, 0, v32, vcc
	v_sub_u32_e32 v37, 0, v32
	v_ldexp_f32 v36, v36, v37
	v_ldexp_f32 v33, v33, v37
	v_add_f32_e32 v37, -1.0, v36
	v_add_f32_e32 v40, 1.0, v36
	v_add_f32_e32 v38, 1.0, v37
	v_add_f32_e32 v41, -1.0, v40
	v_sub_f32_e32 v38, v36, v38
	v_sub_f32_e32 v36, v36, v41
	v_add_f32_e32 v38, v33, v38
	v_add_f32_e32 v33, v33, v36
	;; [unrolled: 1-line block ×3, first 2 shown]
	v_rcp_f32_e32 v41, v36
	v_add_f32_e32 v39, v37, v38
	v_sub_f32_e32 v37, v37, v39
	v_add_f32_e32 v37, v38, v37
	v_sub_f32_e32 v38, v40, v36
	v_add_f32_e32 v33, v33, v38
	v_mul_f32_e32 v38, v39, v41
	v_mul_f32_e32 v40, v36, v38
	v_fma_f32 v42, v38, v36, -v40
	v_fmac_f32_e32 v42, v38, v33
	v_add_f32_e32 v43, v40, v42
	v_sub_f32_e32 v44, v39, v43
	v_sub_f32_e32 v39, v39, v44
	;; [unrolled: 1-line block ×4, first 2 shown]
	v_add_f32_e32 v37, v37, v39
	v_sub_f32_e32 v39, v40, v42
	v_add_f32_e32 v37, v39, v37
	v_add_f32_e32 v39, v44, v37
	v_mul_f32_e32 v40, v41, v39
	v_mul_f32_e32 v42, v36, v40
	v_fma_f32 v36, v40, v36, -v42
	v_fmac_f32_e32 v36, v40, v33
	v_sub_f32_e32 v33, v44, v39
	v_add_f32_e32 v33, v37, v33
	v_add_f32_e32 v37, v42, v36
	v_sub_f32_e32 v43, v39, v37
	v_sub_f32_e32 v39, v39, v43
	v_sub_f32_e32 v42, v37, v42
	v_sub_f32_e32 v37, v39, v37
	v_add_f32_e32 v33, v33, v37
	v_sub_f32_e32 v36, v42, v36
	v_add_f32_e32 v33, v36, v33
	v_add_f32_e32 v36, v38, v40
	;; [unrolled: 1-line block ×3, first 2 shown]
	v_sub_f32_e32 v37, v36, v38
	v_mul_f32_e32 v33, v41, v33
	v_sub_f32_e32 v37, v40, v37
	v_add_f32_e32 v33, v37, v33
	v_cvt_f32_i32_e32 v32, v32
	v_add_f32_e32 v37, v36, v33
	v_mul_f32_e32 v38, v37, v37
	v_mov_b32_e32 v39, 0x3ecc95a3
	v_fmac_f32_e32 v39, 0x3e9b6dac, v38
	v_mov_b32_e32 v40, 0x3f2aaada
	v_fmac_f32_e32 v40, v38, v39
	v_mul_f32_e32 v39, 0x3f317218, v32
	v_fma_f32 v41, v32, s8, -v39
	v_fmac_f32_e32 v41, 0xb102e308, v32
	v_sub_f32_e32 v32, v37, v36
	v_sub_f32_e32 v32, v33, v32
	v_add_f32_e32 v33, v39, v41
	v_sub_f32_e32 v36, v33, v39
	v_ldexp_f32 v39, v37, 1
	v_mul_f32_e32 v37, v37, v38
	v_mul_f32_e32 v37, v37, v40
	v_add_f32_e32 v38, v39, v37
	v_sub_f32_e32 v39, v38, v39
	v_ldexp_f32 v32, v32, 1
	v_sub_f32_e32 v37, v37, v39
	v_add_f32_e32 v32, v32, v37
	v_add_f32_e32 v37, v38, v32
	v_sub_f32_e32 v38, v37, v38
	v_sub_f32_e32 v32, v32, v38
	v_add_f32_e32 v38, v33, v37
	v_sub_f32_e32 v39, v38, v33
	v_sub_f32_e32 v40, v38, v39
	;; [unrolled: 1-line block ×5, first 2 shown]
	v_add_f32_e32 v33, v37, v33
	v_add_f32_e32 v37, v36, v32
	v_sub_f32_e32 v39, v37, v36
	v_sub_f32_e32 v40, v37, v39
	v_sub_f32_e32 v36, v36, v40
	v_sub_f32_e32 v32, v32, v39
	v_add_f32_e32 v33, v37, v33
	v_add_f32_e32 v32, v32, v36
	;; [unrolled: 1-line block ×3, first 2 shown]
	v_sub_f32_e32 v37, v36, v38
	v_sub_f32_e32 v33, v33, v37
	v_add_f32_e32 v32, v32, v33
	v_add_f32_e32 v32, v36, v32
	v_cmp_neq_f32_e32 vcc, s6, v35
	s_mov_b32 s6, 0x33800000
	v_cndmask_b32_e32 v32, v34, v32, vcc
	v_cmp_lt_f32_e64 vcc, |v35|, s6
	v_cndmask_b32_e32 v32, v32, v35, vcc
	v_add_f32_e32 v32, v31, v32
.LBB507_253:
	s_or_b64 exec, exec, s[4:5]
	v_bfe_u32 v31, v32, 16, 1
	v_add3_u32 v31, v32, v31, s7
	v_cmp_o_f32_e32 vcc, v32, v32
	v_cndmask_b32_sdwa v30, v30, v31, vcc dst_sel:DWORD dst_unused:UNUSED_PAD src0_sel:DWORD src1_sel:WORD_1
	v_lshlrev_b32_e32 v32, 16, v30
	v_max_f32_e32 v31, v32, v32
	v_min_f32_e32 v33, v31, v53
	v_cmp_u_f32_e32 vcc, v32, v32
	v_max_f32_e32 v31, v31, v53
	v_cndmask_b32_e32 v33, v33, v32, vcc
	v_cndmask_b32_e32 v31, v31, v32, vcc
	v_cndmask_b32_e64 v33, v33, v51, s[38:39]
	v_cndmask_b32_e64 v31, v31, v51, s[38:39]
	s_movk_i32 s6, 0x1f8
	v_cmp_neq_f32_e32 vcc, v33, v31
	v_cmp_class_f32_e64 s[4:5], v33, s6
	s_or_b64 s[8:9], vcc, s[4:5]
	s_and_saveexec_b64 s[4:5], s[8:9]
	s_cbranch_execz .LBB507_255
; %bb.254:
	v_sub_f32_e32 v32, v33, v31
	s_mov_b32 s7, 0x3fb8aa3b
	v_mul_f32_e32 v33, 0x3fb8aa3b, v32
	v_fma_f32 v34, v32, s7, -v33
	v_rndne_f32_e32 v35, v33
	v_fmac_f32_e32 v34, 0x32a5705f, v32
	v_sub_f32_e32 v33, v33, v35
	v_add_f32_e32 v33, v33, v34
	v_exp_f32_e32 v33, v33
	v_cvt_i32_f32_e32 v34, v35
	s_mov_b32 s7, 0xc2ce8ed0
	v_cmp_ngt_f32_e32 vcc, s7, v32
	s_mov_b32 s7, 0x42b17218
	v_ldexp_f32 v33, v33, v34
	v_cndmask_b32_e32 v33, 0, v33, vcc
	v_mov_b32_e32 v34, 0x7f800000
	v_cmp_nlt_f32_e32 vcc, s7, v32
	v_cndmask_b32_e32 v35, v34, v33, vcc
	v_add_f32_e32 v36, 1.0, v35
	v_cvt_f64_f32_e32 v[32:33], v36
	v_add_f32_e32 v37, -1.0, v36
	v_sub_f32_e32 v38, v37, v36
	v_sub_f32_e32 v37, v35, v37
	v_frexp_exp_i32_f64_e32 v32, v[32:33]
	v_add_f32_e32 v33, 1.0, v38
	v_add_f32_e32 v33, v37, v33
	v_frexp_mant_f32_e32 v37, v36
	s_mov_b32 s8, 0x3f2aaaab
	v_cmp_gt_f32_e32 vcc, s8, v37
	s_mov_b32 s8, 0x3f317218
	s_mov_b32 s7, 0x7f800000
	v_subbrev_co_u32_e32 v32, vcc, 0, v32, vcc
	v_sub_u32_e32 v37, 0, v32
	v_ldexp_f32 v36, v36, v37
	v_ldexp_f32 v33, v33, v37
	v_add_f32_e32 v37, -1.0, v36
	v_add_f32_e32 v40, 1.0, v36
	v_add_f32_e32 v38, 1.0, v37
	v_add_f32_e32 v41, -1.0, v40
	v_sub_f32_e32 v38, v36, v38
	v_sub_f32_e32 v36, v36, v41
	v_add_f32_e32 v38, v33, v38
	v_add_f32_e32 v33, v33, v36
	;; [unrolled: 1-line block ×3, first 2 shown]
	v_rcp_f32_e32 v41, v36
	v_add_f32_e32 v39, v37, v38
	v_sub_f32_e32 v37, v37, v39
	v_add_f32_e32 v37, v38, v37
	v_sub_f32_e32 v38, v40, v36
	v_add_f32_e32 v33, v33, v38
	v_mul_f32_e32 v38, v39, v41
	v_mul_f32_e32 v40, v36, v38
	v_fma_f32 v42, v38, v36, -v40
	v_fmac_f32_e32 v42, v38, v33
	v_add_f32_e32 v43, v40, v42
	v_sub_f32_e32 v44, v39, v43
	v_sub_f32_e32 v39, v39, v44
	;; [unrolled: 1-line block ×4, first 2 shown]
	v_add_f32_e32 v37, v37, v39
	v_sub_f32_e32 v39, v40, v42
	v_add_f32_e32 v37, v39, v37
	v_add_f32_e32 v39, v44, v37
	v_mul_f32_e32 v40, v41, v39
	v_mul_f32_e32 v42, v36, v40
	v_fma_f32 v36, v40, v36, -v42
	v_fmac_f32_e32 v36, v40, v33
	v_sub_f32_e32 v33, v44, v39
	v_add_f32_e32 v33, v37, v33
	v_add_f32_e32 v37, v42, v36
	v_sub_f32_e32 v43, v39, v37
	v_sub_f32_e32 v39, v39, v43
	;; [unrolled: 1-line block ×4, first 2 shown]
	v_add_f32_e32 v33, v33, v37
	v_sub_f32_e32 v36, v42, v36
	v_add_f32_e32 v33, v36, v33
	v_add_f32_e32 v36, v38, v40
	;; [unrolled: 1-line block ×3, first 2 shown]
	v_sub_f32_e32 v37, v36, v38
	v_mul_f32_e32 v33, v41, v33
	v_sub_f32_e32 v37, v40, v37
	v_add_f32_e32 v33, v37, v33
	v_cvt_f32_i32_e32 v32, v32
	v_add_f32_e32 v37, v36, v33
	v_mul_f32_e32 v38, v37, v37
	v_mov_b32_e32 v39, 0x3ecc95a3
	v_fmac_f32_e32 v39, 0x3e9b6dac, v38
	v_mov_b32_e32 v40, 0x3f2aaada
	v_fmac_f32_e32 v40, v38, v39
	v_mul_f32_e32 v39, 0x3f317218, v32
	v_fma_f32 v41, v32, s8, -v39
	v_fmac_f32_e32 v41, 0xb102e308, v32
	v_sub_f32_e32 v32, v37, v36
	v_sub_f32_e32 v32, v33, v32
	v_add_f32_e32 v33, v39, v41
	v_sub_f32_e32 v36, v33, v39
	v_ldexp_f32 v39, v37, 1
	v_mul_f32_e32 v37, v37, v38
	v_mul_f32_e32 v37, v37, v40
	v_add_f32_e32 v38, v39, v37
	v_sub_f32_e32 v39, v38, v39
	v_ldexp_f32 v32, v32, 1
	v_sub_f32_e32 v37, v37, v39
	v_add_f32_e32 v32, v32, v37
	v_add_f32_e32 v37, v38, v32
	v_sub_f32_e32 v38, v37, v38
	v_sub_f32_e32 v32, v32, v38
	v_add_f32_e32 v38, v33, v37
	v_sub_f32_e32 v39, v38, v33
	v_sub_f32_e32 v40, v38, v39
	;; [unrolled: 1-line block ×5, first 2 shown]
	v_add_f32_e32 v33, v37, v33
	v_add_f32_e32 v37, v36, v32
	v_sub_f32_e32 v39, v37, v36
	v_sub_f32_e32 v40, v37, v39
	;; [unrolled: 1-line block ×4, first 2 shown]
	v_add_f32_e32 v33, v37, v33
	v_add_f32_e32 v32, v32, v36
	v_add_f32_e32 v36, v38, v33
	v_sub_f32_e32 v37, v36, v38
	v_sub_f32_e32 v33, v33, v37
	v_add_f32_e32 v32, v32, v33
	v_add_f32_e32 v32, v36, v32
	v_cmp_neq_f32_e32 vcc, s7, v35
	s_mov_b32 s7, 0x33800000
	v_cndmask_b32_e32 v32, v34, v32, vcc
	v_cmp_lt_f32_e64 vcc, |v35|, s7
	v_cndmask_b32_e32 v32, v32, v35, vcc
	v_add_f32_e32 v32, v31, v32
.LBB507_255:
	s_or_b64 exec, exec, s[4:5]
	v_bfe_u32 v31, v32, 16, 1
	s_movk_i32 s7, 0x7fff
	v_add3_u32 v31, v32, v31, s7
	v_cmp_o_f32_e32 vcc, v32, v32
	v_mov_b32_e32 v32, 0x7fc0
	v_cndmask_b32_sdwa v31, v32, v31, vcc dst_sel:DWORD dst_unused:UNUSED_PAD src0_sel:DWORD src1_sel:WORD_1
	v_lshlrev_b32_e32 v34, 16, v31
	v_max_f32_e32 v33, v34, v34
	v_min_f32_e32 v35, v33, v54
	v_cmp_u_f32_e32 vcc, v34, v34
	v_max_f32_e32 v33, v33, v54
	v_cndmask_b32_e32 v35, v35, v34, vcc
	v_cndmask_b32_e32 v33, v33, v34, vcc
	v_cndmask_b32_e64 v35, v35, v52, s[40:41]
	v_cndmask_b32_e64 v33, v33, v52, s[40:41]
	v_cmp_neq_f32_e32 vcc, v35, v33
	v_cmp_class_f32_e64 s[4:5], v35, s6
	s_or_b64 s[8:9], vcc, s[4:5]
	s_and_saveexec_b64 s[4:5], s[8:9]
	s_cbranch_execz .LBB507_257
; %bb.256:
	v_sub_f32_e32 v34, v35, v33
	s_mov_b32 s6, 0x3fb8aa3b
	v_mul_f32_e32 v35, 0x3fb8aa3b, v34
	v_fma_f32 v36, v34, s6, -v35
	v_rndne_f32_e32 v37, v35
	v_fmac_f32_e32 v36, 0x32a5705f, v34
	v_sub_f32_e32 v35, v35, v37
	v_add_f32_e32 v35, v35, v36
	v_exp_f32_e32 v35, v35
	v_cvt_i32_f32_e32 v36, v37
	s_mov_b32 s6, 0xc2ce8ed0
	v_cmp_ngt_f32_e32 vcc, s6, v34
	s_mov_b32 s6, 0x42b17218
	v_ldexp_f32 v35, v35, v36
	v_cndmask_b32_e32 v35, 0, v35, vcc
	v_mov_b32_e32 v36, 0x7f800000
	v_cmp_nlt_f32_e32 vcc, s6, v34
	v_cndmask_b32_e32 v37, v36, v35, vcc
	v_add_f32_e32 v38, 1.0, v37
	v_cvt_f64_f32_e32 v[34:35], v38
	v_add_f32_e32 v39, -1.0, v38
	v_sub_f32_e32 v40, v39, v38
	v_sub_f32_e32 v39, v37, v39
	v_frexp_exp_i32_f64_e32 v34, v[34:35]
	v_add_f32_e32 v35, 1.0, v40
	v_add_f32_e32 v35, v39, v35
	v_frexp_mant_f32_e32 v39, v38
	s_mov_b32 s8, 0x3f2aaaab
	v_cmp_gt_f32_e32 vcc, s8, v39
	s_mov_b32 s8, 0x3f317218
	s_mov_b32 s6, 0x7f800000
	v_subbrev_co_u32_e32 v34, vcc, 0, v34, vcc
	v_sub_u32_e32 v39, 0, v34
	v_ldexp_f32 v38, v38, v39
	v_ldexp_f32 v35, v35, v39
	v_add_f32_e32 v39, -1.0, v38
	v_add_f32_e32 v42, 1.0, v38
	v_add_f32_e32 v40, 1.0, v39
	v_add_f32_e32 v43, -1.0, v42
	v_sub_f32_e32 v40, v38, v40
	v_sub_f32_e32 v38, v38, v43
	v_add_f32_e32 v40, v35, v40
	v_add_f32_e32 v35, v35, v38
	;; [unrolled: 1-line block ×3, first 2 shown]
	v_rcp_f32_e32 v43, v38
	v_add_f32_e32 v41, v39, v40
	v_sub_f32_e32 v39, v39, v41
	v_add_f32_e32 v39, v40, v39
	v_sub_f32_e32 v40, v42, v38
	v_add_f32_e32 v35, v35, v40
	v_mul_f32_e32 v40, v41, v43
	v_mul_f32_e32 v42, v38, v40
	v_fma_f32 v44, v40, v38, -v42
	v_fmac_f32_e32 v44, v40, v35
	v_add_f32_e32 v45, v42, v44
	v_sub_f32_e32 v46, v41, v45
	v_sub_f32_e32 v41, v41, v46
	;; [unrolled: 1-line block ×4, first 2 shown]
	v_add_f32_e32 v39, v39, v41
	v_sub_f32_e32 v41, v42, v44
	v_add_f32_e32 v39, v41, v39
	v_add_f32_e32 v41, v46, v39
	v_mul_f32_e32 v42, v43, v41
	v_mul_f32_e32 v44, v38, v42
	v_fma_f32 v38, v42, v38, -v44
	v_fmac_f32_e32 v38, v42, v35
	v_sub_f32_e32 v35, v46, v41
	v_add_f32_e32 v35, v39, v35
	v_add_f32_e32 v39, v44, v38
	v_sub_f32_e32 v45, v41, v39
	v_sub_f32_e32 v41, v41, v45
	;; [unrolled: 1-line block ×4, first 2 shown]
	v_add_f32_e32 v35, v35, v39
	v_sub_f32_e32 v38, v44, v38
	v_add_f32_e32 v35, v38, v35
	v_add_f32_e32 v38, v40, v42
	;; [unrolled: 1-line block ×3, first 2 shown]
	v_sub_f32_e32 v39, v38, v40
	v_mul_f32_e32 v35, v43, v35
	v_sub_f32_e32 v39, v42, v39
	v_add_f32_e32 v35, v39, v35
	v_cvt_f32_i32_e32 v34, v34
	v_add_f32_e32 v39, v38, v35
	v_mul_f32_e32 v40, v39, v39
	v_mov_b32_e32 v41, 0x3ecc95a3
	v_fmac_f32_e32 v41, 0x3e9b6dac, v40
	v_mov_b32_e32 v42, 0x3f2aaada
	v_fmac_f32_e32 v42, v40, v41
	v_mul_f32_e32 v41, 0x3f317218, v34
	v_fma_f32 v43, v34, s8, -v41
	v_fmac_f32_e32 v43, 0xb102e308, v34
	v_sub_f32_e32 v34, v39, v38
	v_sub_f32_e32 v34, v35, v34
	v_add_f32_e32 v35, v41, v43
	v_sub_f32_e32 v38, v35, v41
	v_ldexp_f32 v41, v39, 1
	v_mul_f32_e32 v39, v39, v40
	v_mul_f32_e32 v39, v39, v42
	v_add_f32_e32 v40, v41, v39
	v_sub_f32_e32 v41, v40, v41
	v_ldexp_f32 v34, v34, 1
	v_sub_f32_e32 v39, v39, v41
	v_add_f32_e32 v34, v34, v39
	v_add_f32_e32 v39, v40, v34
	v_sub_f32_e32 v40, v39, v40
	v_sub_f32_e32 v34, v34, v40
	v_add_f32_e32 v40, v35, v39
	v_sub_f32_e32 v41, v40, v35
	v_sub_f32_e32 v42, v40, v41
	;; [unrolled: 1-line block ×5, first 2 shown]
	v_add_f32_e32 v35, v39, v35
	v_add_f32_e32 v39, v38, v34
	v_sub_f32_e32 v41, v39, v38
	v_sub_f32_e32 v42, v39, v41
	;; [unrolled: 1-line block ×4, first 2 shown]
	v_add_f32_e32 v35, v39, v35
	v_add_f32_e32 v34, v34, v38
	;; [unrolled: 1-line block ×3, first 2 shown]
	v_sub_f32_e32 v39, v38, v40
	v_sub_f32_e32 v35, v35, v39
	v_add_f32_e32 v34, v34, v35
	v_add_f32_e32 v34, v38, v34
	v_cmp_neq_f32_e32 vcc, s6, v37
	s_mov_b32 s6, 0x33800000
	v_cndmask_b32_e32 v34, v36, v34, vcc
	v_cmp_lt_f32_e64 vcc, |v37|, s6
	v_cndmask_b32_e32 v34, v34, v37, vcc
	v_add_f32_e32 v34, v33, v34
.LBB507_257:
	s_or_b64 exec, exec, s[4:5]
	v_bfe_u32 v33, v34, 16, 1
	v_add3_u32 v33, v34, v33, s7
	v_cmp_o_f32_e32 vcc, v34, v34
	v_cndmask_b32_sdwa v32, v32, v33, vcc dst_sel:DWORD dst_unused:UNUSED_PAD src0_sel:DWORD src1_sel:WORD_1
	v_lshlrev_b32_e32 v34, 16, v32
	v_max_f32_e32 v33, v34, v34
	v_min_f32_e32 v35, v33, v57
	v_cmp_u_f32_e32 vcc, v34, v34
	v_max_f32_e32 v33, v33, v57
	v_cndmask_b32_e32 v35, v35, v34, vcc
	v_cndmask_b32_e32 v33, v33, v34, vcc
	v_cndmask_b32_e64 v35, v35, v55, s[42:43]
	v_cndmask_b32_e64 v33, v33, v55, s[42:43]
	s_movk_i32 s6, 0x1f8
	v_cmp_neq_f32_e32 vcc, v35, v33
	v_cmp_class_f32_e64 s[4:5], v35, s6
	s_or_b64 s[8:9], vcc, s[4:5]
	s_and_saveexec_b64 s[4:5], s[8:9]
	s_cbranch_execz .LBB507_259
; %bb.258:
	v_sub_f32_e32 v34, v35, v33
	s_mov_b32 s7, 0x3fb8aa3b
	v_mul_f32_e32 v35, 0x3fb8aa3b, v34
	v_fma_f32 v36, v34, s7, -v35
	v_rndne_f32_e32 v37, v35
	v_fmac_f32_e32 v36, 0x32a5705f, v34
	v_sub_f32_e32 v35, v35, v37
	v_add_f32_e32 v35, v35, v36
	v_exp_f32_e32 v35, v35
	v_cvt_i32_f32_e32 v36, v37
	s_mov_b32 s7, 0xc2ce8ed0
	v_cmp_ngt_f32_e32 vcc, s7, v34
	s_mov_b32 s7, 0x42b17218
	v_ldexp_f32 v35, v35, v36
	v_cndmask_b32_e32 v35, 0, v35, vcc
	v_mov_b32_e32 v36, 0x7f800000
	v_cmp_nlt_f32_e32 vcc, s7, v34
	v_cndmask_b32_e32 v37, v36, v35, vcc
	v_add_f32_e32 v38, 1.0, v37
	v_cvt_f64_f32_e32 v[34:35], v38
	v_add_f32_e32 v39, -1.0, v38
	v_sub_f32_e32 v40, v39, v38
	v_sub_f32_e32 v39, v37, v39
	v_frexp_exp_i32_f64_e32 v34, v[34:35]
	v_add_f32_e32 v35, 1.0, v40
	v_add_f32_e32 v35, v39, v35
	v_frexp_mant_f32_e32 v39, v38
	s_mov_b32 s8, 0x3f2aaaab
	v_cmp_gt_f32_e32 vcc, s8, v39
	s_mov_b32 s8, 0x3f317218
	s_mov_b32 s7, 0x7f800000
	v_subbrev_co_u32_e32 v34, vcc, 0, v34, vcc
	v_sub_u32_e32 v39, 0, v34
	v_ldexp_f32 v38, v38, v39
	v_ldexp_f32 v35, v35, v39
	v_add_f32_e32 v39, -1.0, v38
	v_add_f32_e32 v42, 1.0, v38
	v_add_f32_e32 v40, 1.0, v39
	v_add_f32_e32 v43, -1.0, v42
	v_sub_f32_e32 v40, v38, v40
	v_sub_f32_e32 v38, v38, v43
	v_add_f32_e32 v40, v35, v40
	v_add_f32_e32 v35, v35, v38
	;; [unrolled: 1-line block ×3, first 2 shown]
	v_rcp_f32_e32 v43, v38
	v_add_f32_e32 v41, v39, v40
	v_sub_f32_e32 v39, v39, v41
	v_add_f32_e32 v39, v40, v39
	v_sub_f32_e32 v40, v42, v38
	v_add_f32_e32 v35, v35, v40
	v_mul_f32_e32 v40, v41, v43
	v_mul_f32_e32 v42, v38, v40
	v_fma_f32 v44, v40, v38, -v42
	v_fmac_f32_e32 v44, v40, v35
	v_add_f32_e32 v45, v42, v44
	v_sub_f32_e32 v46, v41, v45
	v_sub_f32_e32 v41, v41, v46
	;; [unrolled: 1-line block ×4, first 2 shown]
	v_add_f32_e32 v39, v39, v41
	v_sub_f32_e32 v41, v42, v44
	v_add_f32_e32 v39, v41, v39
	v_add_f32_e32 v41, v46, v39
	v_mul_f32_e32 v42, v43, v41
	v_mul_f32_e32 v44, v38, v42
	v_fma_f32 v38, v42, v38, -v44
	v_fmac_f32_e32 v38, v42, v35
	v_sub_f32_e32 v35, v46, v41
	v_add_f32_e32 v35, v39, v35
	v_add_f32_e32 v39, v44, v38
	v_sub_f32_e32 v45, v41, v39
	v_sub_f32_e32 v41, v41, v45
	;; [unrolled: 1-line block ×4, first 2 shown]
	v_add_f32_e32 v35, v35, v39
	v_sub_f32_e32 v38, v44, v38
	v_add_f32_e32 v35, v38, v35
	v_add_f32_e32 v38, v40, v42
	;; [unrolled: 1-line block ×3, first 2 shown]
	v_sub_f32_e32 v39, v38, v40
	v_mul_f32_e32 v35, v43, v35
	v_sub_f32_e32 v39, v42, v39
	v_add_f32_e32 v35, v39, v35
	v_cvt_f32_i32_e32 v34, v34
	v_add_f32_e32 v39, v38, v35
	v_mul_f32_e32 v40, v39, v39
	v_mov_b32_e32 v41, 0x3ecc95a3
	v_fmac_f32_e32 v41, 0x3e9b6dac, v40
	v_mov_b32_e32 v42, 0x3f2aaada
	v_fmac_f32_e32 v42, v40, v41
	v_mul_f32_e32 v41, 0x3f317218, v34
	v_fma_f32 v43, v34, s8, -v41
	v_fmac_f32_e32 v43, 0xb102e308, v34
	v_sub_f32_e32 v34, v39, v38
	v_sub_f32_e32 v34, v35, v34
	v_add_f32_e32 v35, v41, v43
	v_sub_f32_e32 v38, v35, v41
	v_ldexp_f32 v41, v39, 1
	v_mul_f32_e32 v39, v39, v40
	v_mul_f32_e32 v39, v39, v42
	v_add_f32_e32 v40, v41, v39
	v_sub_f32_e32 v41, v40, v41
	v_ldexp_f32 v34, v34, 1
	v_sub_f32_e32 v39, v39, v41
	v_add_f32_e32 v34, v34, v39
	v_add_f32_e32 v39, v40, v34
	v_sub_f32_e32 v40, v39, v40
	v_sub_f32_e32 v34, v34, v40
	v_add_f32_e32 v40, v35, v39
	v_sub_f32_e32 v41, v40, v35
	v_sub_f32_e32 v42, v40, v41
	;; [unrolled: 1-line block ×5, first 2 shown]
	v_add_f32_e32 v35, v39, v35
	v_add_f32_e32 v39, v38, v34
	v_sub_f32_e32 v41, v39, v38
	v_sub_f32_e32 v42, v39, v41
	;; [unrolled: 1-line block ×4, first 2 shown]
	v_add_f32_e32 v35, v39, v35
	v_add_f32_e32 v34, v34, v38
	;; [unrolled: 1-line block ×3, first 2 shown]
	v_sub_f32_e32 v39, v38, v40
	v_sub_f32_e32 v35, v35, v39
	v_add_f32_e32 v34, v34, v35
	v_add_f32_e32 v34, v38, v34
	v_cmp_neq_f32_e32 vcc, s7, v37
	s_mov_b32 s7, 0x33800000
	v_cndmask_b32_e32 v34, v36, v34, vcc
	v_cmp_lt_f32_e64 vcc, |v37|, s7
	v_cndmask_b32_e32 v34, v34, v37, vcc
	v_add_f32_e32 v34, v33, v34
.LBB507_259:
	s_or_b64 exec, exec, s[4:5]
	v_bfe_u32 v33, v34, 16, 1
	s_movk_i32 s7, 0x7fff
	v_add3_u32 v33, v34, v33, s7
	v_cmp_o_f32_e32 vcc, v34, v34
	v_mov_b32_e32 v34, 0x7fc0
	v_cndmask_b32_sdwa v33, v34, v33, vcc dst_sel:DWORD dst_unused:UNUSED_PAD src0_sel:DWORD src1_sel:WORD_1
	v_lshlrev_b32_e32 v36, 16, v33
	v_max_f32_e32 v35, v36, v36
	v_min_f32_e32 v37, v35, v58
	v_cmp_u_f32_e32 vcc, v36, v36
	v_max_f32_e32 v35, v35, v58
	v_cndmask_b32_e32 v37, v37, v36, vcc
	v_cndmask_b32_e32 v35, v35, v36, vcc
	v_cndmask_b32_e64 v37, v37, v56, s[44:45]
	v_cndmask_b32_e64 v35, v35, v56, s[44:45]
	v_cmp_neq_f32_e32 vcc, v37, v35
	v_cmp_class_f32_e64 s[4:5], v37, s6
	s_or_b64 s[8:9], vcc, s[4:5]
	s_and_saveexec_b64 s[4:5], s[8:9]
	s_cbranch_execz .LBB507_261
; %bb.260:
	v_sub_f32_e32 v36, v37, v35
	s_mov_b32 s6, 0x3fb8aa3b
	v_mul_f32_e32 v37, 0x3fb8aa3b, v36
	v_fma_f32 v38, v36, s6, -v37
	v_rndne_f32_e32 v39, v37
	v_fmac_f32_e32 v38, 0x32a5705f, v36
	v_sub_f32_e32 v37, v37, v39
	v_add_f32_e32 v37, v37, v38
	v_exp_f32_e32 v37, v37
	v_cvt_i32_f32_e32 v38, v39
	s_mov_b32 s6, 0xc2ce8ed0
	v_cmp_ngt_f32_e32 vcc, s6, v36
	s_mov_b32 s6, 0x42b17218
	v_ldexp_f32 v37, v37, v38
	v_cndmask_b32_e32 v37, 0, v37, vcc
	v_mov_b32_e32 v38, 0x7f800000
	v_cmp_nlt_f32_e32 vcc, s6, v36
	v_cndmask_b32_e32 v39, v38, v37, vcc
	v_add_f32_e32 v40, 1.0, v39
	v_cvt_f64_f32_e32 v[36:37], v40
	v_add_f32_e32 v41, -1.0, v40
	v_sub_f32_e32 v42, v41, v40
	v_sub_f32_e32 v41, v39, v41
	v_frexp_exp_i32_f64_e32 v36, v[36:37]
	v_add_f32_e32 v37, 1.0, v42
	v_add_f32_e32 v37, v41, v37
	v_frexp_mant_f32_e32 v41, v40
	s_mov_b32 s8, 0x3f2aaaab
	v_cmp_gt_f32_e32 vcc, s8, v41
	s_mov_b32 s8, 0x3f317218
	s_mov_b32 s6, 0x7f800000
	v_subbrev_co_u32_e32 v36, vcc, 0, v36, vcc
	v_sub_u32_e32 v41, 0, v36
	v_ldexp_f32 v40, v40, v41
	v_ldexp_f32 v37, v37, v41
	v_add_f32_e32 v41, -1.0, v40
	v_add_f32_e32 v44, 1.0, v40
	v_add_f32_e32 v42, 1.0, v41
	v_add_f32_e32 v45, -1.0, v44
	v_sub_f32_e32 v42, v40, v42
	v_sub_f32_e32 v40, v40, v45
	v_add_f32_e32 v42, v37, v42
	v_add_f32_e32 v37, v37, v40
	;; [unrolled: 1-line block ×3, first 2 shown]
	v_rcp_f32_e32 v45, v40
	v_add_f32_e32 v43, v41, v42
	v_sub_f32_e32 v41, v41, v43
	v_add_f32_e32 v41, v42, v41
	v_sub_f32_e32 v42, v44, v40
	v_add_f32_e32 v37, v37, v42
	v_mul_f32_e32 v42, v43, v45
	v_mul_f32_e32 v44, v40, v42
	v_fma_f32 v46, v42, v40, -v44
	v_fmac_f32_e32 v46, v42, v37
	v_add_f32_e32 v47, v44, v46
	v_sub_f32_e32 v48, v43, v47
	v_sub_f32_e32 v43, v43, v48
	;; [unrolled: 1-line block ×4, first 2 shown]
	v_add_f32_e32 v41, v41, v43
	v_sub_f32_e32 v43, v44, v46
	v_add_f32_e32 v41, v43, v41
	v_add_f32_e32 v43, v48, v41
	v_mul_f32_e32 v44, v45, v43
	v_mul_f32_e32 v46, v40, v44
	v_fma_f32 v40, v44, v40, -v46
	v_fmac_f32_e32 v40, v44, v37
	v_sub_f32_e32 v37, v48, v43
	v_add_f32_e32 v37, v41, v37
	v_add_f32_e32 v41, v46, v40
	v_sub_f32_e32 v47, v43, v41
	v_sub_f32_e32 v43, v43, v47
	;; [unrolled: 1-line block ×4, first 2 shown]
	v_add_f32_e32 v37, v37, v41
	v_sub_f32_e32 v40, v46, v40
	v_add_f32_e32 v37, v40, v37
	v_add_f32_e32 v40, v42, v44
	;; [unrolled: 1-line block ×3, first 2 shown]
	v_sub_f32_e32 v41, v40, v42
	v_mul_f32_e32 v37, v45, v37
	v_sub_f32_e32 v41, v44, v41
	v_add_f32_e32 v37, v41, v37
	v_cvt_f32_i32_e32 v36, v36
	v_add_f32_e32 v41, v40, v37
	v_mul_f32_e32 v42, v41, v41
	v_mov_b32_e32 v43, 0x3ecc95a3
	v_fmac_f32_e32 v43, 0x3e9b6dac, v42
	v_mov_b32_e32 v44, 0x3f2aaada
	v_fmac_f32_e32 v44, v42, v43
	v_mul_f32_e32 v43, 0x3f317218, v36
	v_fma_f32 v45, v36, s8, -v43
	v_fmac_f32_e32 v45, 0xb102e308, v36
	v_sub_f32_e32 v36, v41, v40
	v_sub_f32_e32 v36, v37, v36
	v_add_f32_e32 v37, v43, v45
	v_sub_f32_e32 v40, v37, v43
	v_ldexp_f32 v43, v41, 1
	v_mul_f32_e32 v41, v41, v42
	v_mul_f32_e32 v41, v41, v44
	v_add_f32_e32 v42, v43, v41
	v_sub_f32_e32 v43, v42, v43
	v_ldexp_f32 v36, v36, 1
	v_sub_f32_e32 v41, v41, v43
	v_add_f32_e32 v36, v36, v41
	v_add_f32_e32 v41, v42, v36
	v_sub_f32_e32 v42, v41, v42
	v_sub_f32_e32 v36, v36, v42
	v_add_f32_e32 v42, v37, v41
	v_sub_f32_e32 v43, v42, v37
	v_sub_f32_e32 v44, v42, v43
	v_sub_f32_e32 v40, v45, v40
	v_sub_f32_e32 v37, v37, v44
	v_sub_f32_e32 v41, v41, v43
	v_add_f32_e32 v37, v41, v37
	v_add_f32_e32 v41, v40, v36
	v_sub_f32_e32 v43, v41, v40
	v_sub_f32_e32 v44, v41, v43
	;; [unrolled: 1-line block ×4, first 2 shown]
	v_add_f32_e32 v37, v41, v37
	v_add_f32_e32 v36, v36, v40
	;; [unrolled: 1-line block ×3, first 2 shown]
	v_sub_f32_e32 v41, v40, v42
	v_sub_f32_e32 v37, v37, v41
	v_add_f32_e32 v36, v36, v37
	v_add_f32_e32 v36, v40, v36
	v_cmp_neq_f32_e32 vcc, s6, v39
	s_mov_b32 s6, 0x33800000
	v_cndmask_b32_e32 v36, v38, v36, vcc
	v_cmp_lt_f32_e64 vcc, |v39|, s6
	v_cndmask_b32_e32 v36, v36, v39, vcc
	v_add_f32_e32 v36, v35, v36
.LBB507_261:
	s_or_b64 exec, exec, s[4:5]
	v_bfe_u32 v35, v36, 16, 1
	v_add3_u32 v35, v36, v35, s7
	v_cmp_o_f32_e32 vcc, v36, v36
	v_cndmask_b32_sdwa v34, v34, v35, vcc dst_sel:DWORD dst_unused:UNUSED_PAD src0_sel:DWORD src1_sel:WORD_1
	v_lshlrev_b32_e32 v36, 16, v34
	v_max_f32_e32 v35, v36, v36
	v_min_f32_e32 v37, v35, v61
	v_cmp_u_f32_e32 vcc, v36, v36
	v_max_f32_e32 v35, v35, v61
	v_cndmask_b32_e32 v37, v37, v36, vcc
	v_cndmask_b32_e32 v35, v35, v36, vcc
	v_cndmask_b32_e64 v37, v37, v59, s[46:47]
	v_cndmask_b32_e64 v35, v35, v59, s[46:47]
	s_movk_i32 s6, 0x1f8
	v_cmp_neq_f32_e32 vcc, v37, v35
	v_cmp_class_f32_e64 s[4:5], v37, s6
	s_or_b64 s[8:9], vcc, s[4:5]
	s_and_saveexec_b64 s[4:5], s[8:9]
	s_cbranch_execz .LBB507_263
; %bb.262:
	v_sub_f32_e32 v36, v37, v35
	s_mov_b32 s7, 0x3fb8aa3b
	v_mul_f32_e32 v37, 0x3fb8aa3b, v36
	v_fma_f32 v38, v36, s7, -v37
	v_rndne_f32_e32 v39, v37
	v_fmac_f32_e32 v38, 0x32a5705f, v36
	v_sub_f32_e32 v37, v37, v39
	v_add_f32_e32 v37, v37, v38
	v_exp_f32_e32 v37, v37
	v_cvt_i32_f32_e32 v38, v39
	s_mov_b32 s7, 0xc2ce8ed0
	v_cmp_ngt_f32_e32 vcc, s7, v36
	s_mov_b32 s7, 0x42b17218
	v_ldexp_f32 v37, v37, v38
	v_cndmask_b32_e32 v37, 0, v37, vcc
	v_mov_b32_e32 v38, 0x7f800000
	v_cmp_nlt_f32_e32 vcc, s7, v36
	v_cndmask_b32_e32 v39, v38, v37, vcc
	v_add_f32_e32 v40, 1.0, v39
	v_cvt_f64_f32_e32 v[36:37], v40
	v_add_f32_e32 v41, -1.0, v40
	v_sub_f32_e32 v42, v41, v40
	v_sub_f32_e32 v41, v39, v41
	v_frexp_exp_i32_f64_e32 v36, v[36:37]
	v_add_f32_e32 v37, 1.0, v42
	v_add_f32_e32 v37, v41, v37
	v_frexp_mant_f32_e32 v41, v40
	s_mov_b32 s8, 0x3f2aaaab
	v_cmp_gt_f32_e32 vcc, s8, v41
	s_mov_b32 s8, 0x3f317218
	s_mov_b32 s7, 0x7f800000
	v_subbrev_co_u32_e32 v36, vcc, 0, v36, vcc
	v_sub_u32_e32 v41, 0, v36
	v_ldexp_f32 v40, v40, v41
	v_ldexp_f32 v37, v37, v41
	v_add_f32_e32 v41, -1.0, v40
	v_add_f32_e32 v44, 1.0, v40
	v_add_f32_e32 v42, 1.0, v41
	v_add_f32_e32 v45, -1.0, v44
	v_sub_f32_e32 v42, v40, v42
	v_sub_f32_e32 v40, v40, v45
	v_add_f32_e32 v42, v37, v42
	v_add_f32_e32 v37, v37, v40
	;; [unrolled: 1-line block ×3, first 2 shown]
	v_rcp_f32_e32 v45, v40
	v_add_f32_e32 v43, v41, v42
	v_sub_f32_e32 v41, v41, v43
	v_add_f32_e32 v41, v42, v41
	v_sub_f32_e32 v42, v44, v40
	v_add_f32_e32 v37, v37, v42
	v_mul_f32_e32 v42, v43, v45
	v_mul_f32_e32 v44, v40, v42
	v_fma_f32 v46, v42, v40, -v44
	v_fmac_f32_e32 v46, v42, v37
	v_add_f32_e32 v47, v44, v46
	v_sub_f32_e32 v48, v43, v47
	v_sub_f32_e32 v43, v43, v48
	;; [unrolled: 1-line block ×4, first 2 shown]
	v_add_f32_e32 v41, v41, v43
	v_sub_f32_e32 v43, v44, v46
	v_add_f32_e32 v41, v43, v41
	v_add_f32_e32 v43, v48, v41
	v_mul_f32_e32 v44, v45, v43
	v_mul_f32_e32 v46, v40, v44
	v_fma_f32 v40, v44, v40, -v46
	v_fmac_f32_e32 v40, v44, v37
	v_sub_f32_e32 v37, v48, v43
	v_add_f32_e32 v37, v41, v37
	v_add_f32_e32 v41, v46, v40
	v_sub_f32_e32 v47, v43, v41
	v_sub_f32_e32 v43, v43, v47
	;; [unrolled: 1-line block ×4, first 2 shown]
	v_add_f32_e32 v37, v37, v41
	v_sub_f32_e32 v40, v46, v40
	v_add_f32_e32 v37, v40, v37
	v_add_f32_e32 v40, v42, v44
	;; [unrolled: 1-line block ×3, first 2 shown]
	v_sub_f32_e32 v41, v40, v42
	v_mul_f32_e32 v37, v45, v37
	v_sub_f32_e32 v41, v44, v41
	v_add_f32_e32 v37, v41, v37
	v_cvt_f32_i32_e32 v36, v36
	v_add_f32_e32 v41, v40, v37
	v_mul_f32_e32 v42, v41, v41
	v_mov_b32_e32 v43, 0x3ecc95a3
	v_fmac_f32_e32 v43, 0x3e9b6dac, v42
	v_mov_b32_e32 v44, 0x3f2aaada
	v_fmac_f32_e32 v44, v42, v43
	v_mul_f32_e32 v43, 0x3f317218, v36
	v_fma_f32 v45, v36, s8, -v43
	v_fmac_f32_e32 v45, 0xb102e308, v36
	v_sub_f32_e32 v36, v41, v40
	v_sub_f32_e32 v36, v37, v36
	v_add_f32_e32 v37, v43, v45
	v_sub_f32_e32 v40, v37, v43
	v_ldexp_f32 v43, v41, 1
	v_mul_f32_e32 v41, v41, v42
	v_mul_f32_e32 v41, v41, v44
	v_add_f32_e32 v42, v43, v41
	v_sub_f32_e32 v43, v42, v43
	v_ldexp_f32 v36, v36, 1
	v_sub_f32_e32 v41, v41, v43
	v_add_f32_e32 v36, v36, v41
	v_add_f32_e32 v41, v42, v36
	v_sub_f32_e32 v42, v41, v42
	v_sub_f32_e32 v36, v36, v42
	v_add_f32_e32 v42, v37, v41
	v_sub_f32_e32 v43, v42, v37
	v_sub_f32_e32 v44, v42, v43
	;; [unrolled: 1-line block ×5, first 2 shown]
	v_add_f32_e32 v37, v41, v37
	v_add_f32_e32 v41, v40, v36
	v_sub_f32_e32 v43, v41, v40
	v_sub_f32_e32 v44, v41, v43
	;; [unrolled: 1-line block ×4, first 2 shown]
	v_add_f32_e32 v37, v41, v37
	v_add_f32_e32 v36, v36, v40
	;; [unrolled: 1-line block ×3, first 2 shown]
	v_sub_f32_e32 v41, v40, v42
	v_sub_f32_e32 v37, v37, v41
	v_add_f32_e32 v36, v36, v37
	v_add_f32_e32 v36, v40, v36
	v_cmp_neq_f32_e32 vcc, s7, v39
	s_mov_b32 s7, 0x33800000
	v_cndmask_b32_e32 v36, v38, v36, vcc
	v_cmp_lt_f32_e64 vcc, |v39|, s7
	v_cndmask_b32_e32 v36, v36, v39, vcc
	v_add_f32_e32 v36, v35, v36
.LBB507_263:
	s_or_b64 exec, exec, s[4:5]
	v_bfe_u32 v35, v36, 16, 1
	s_movk_i32 s7, 0x7fff
	v_add3_u32 v35, v36, v35, s7
	v_cmp_o_f32_e32 vcc, v36, v36
	v_mov_b32_e32 v36, 0x7fc0
	v_cndmask_b32_sdwa v35, v36, v35, vcc dst_sel:DWORD dst_unused:UNUSED_PAD src0_sel:DWORD src1_sel:WORD_1
	v_lshlrev_b32_e32 v38, 16, v35
	v_max_f32_e32 v37, v38, v38
	v_min_f32_e32 v39, v37, v62
	v_cmp_u_f32_e32 vcc, v38, v38
	v_max_f32_e32 v37, v37, v62
	v_cndmask_b32_e32 v39, v39, v38, vcc
	v_cndmask_b32_e32 v37, v37, v38, vcc
	v_cndmask_b32_e64 v39, v39, v60, s[48:49]
	v_cndmask_b32_e64 v37, v37, v60, s[48:49]
	v_cmp_neq_f32_e32 vcc, v39, v37
	v_cmp_class_f32_e64 s[4:5], v39, s6
	s_or_b64 s[8:9], vcc, s[4:5]
	s_and_saveexec_b64 s[4:5], s[8:9]
	s_cbranch_execz .LBB507_265
; %bb.264:
	v_sub_f32_e32 v38, v39, v37
	s_mov_b32 s6, 0x3fb8aa3b
	v_mul_f32_e32 v39, 0x3fb8aa3b, v38
	v_fma_f32 v40, v38, s6, -v39
	v_rndne_f32_e32 v41, v39
	v_fmac_f32_e32 v40, 0x32a5705f, v38
	v_sub_f32_e32 v39, v39, v41
	v_add_f32_e32 v39, v39, v40
	v_exp_f32_e32 v39, v39
	v_cvt_i32_f32_e32 v40, v41
	s_mov_b32 s6, 0xc2ce8ed0
	v_cmp_ngt_f32_e32 vcc, s6, v38
	s_mov_b32 s6, 0x42b17218
	v_ldexp_f32 v39, v39, v40
	v_cndmask_b32_e32 v39, 0, v39, vcc
	v_mov_b32_e32 v40, 0x7f800000
	v_cmp_nlt_f32_e32 vcc, s6, v38
	v_cndmask_b32_e32 v41, v40, v39, vcc
	v_add_f32_e32 v42, 1.0, v41
	v_cvt_f64_f32_e32 v[38:39], v42
	v_add_f32_e32 v43, -1.0, v42
	v_sub_f32_e32 v44, v43, v42
	v_sub_f32_e32 v43, v41, v43
	v_frexp_exp_i32_f64_e32 v38, v[38:39]
	v_add_f32_e32 v39, 1.0, v44
	v_add_f32_e32 v39, v43, v39
	v_frexp_mant_f32_e32 v43, v42
	s_mov_b32 s8, 0x3f2aaaab
	v_cmp_gt_f32_e32 vcc, s8, v43
	s_mov_b32 s8, 0x3f317218
	s_mov_b32 s6, 0x7f800000
	v_subbrev_co_u32_e32 v38, vcc, 0, v38, vcc
	v_sub_u32_e32 v43, 0, v38
	v_ldexp_f32 v42, v42, v43
	v_ldexp_f32 v39, v39, v43
	v_add_f32_e32 v43, -1.0, v42
	v_add_f32_e32 v46, 1.0, v42
	v_add_f32_e32 v44, 1.0, v43
	v_add_f32_e32 v47, -1.0, v46
	v_sub_f32_e32 v44, v42, v44
	v_sub_f32_e32 v42, v42, v47
	v_add_f32_e32 v44, v39, v44
	v_add_f32_e32 v39, v39, v42
	v_add_f32_e32 v42, v46, v39
	v_rcp_f32_e32 v47, v42
	v_add_f32_e32 v45, v43, v44
	v_sub_f32_e32 v43, v43, v45
	v_add_f32_e32 v43, v44, v43
	v_sub_f32_e32 v44, v46, v42
	v_add_f32_e32 v39, v39, v44
	v_mul_f32_e32 v44, v45, v47
	v_mul_f32_e32 v46, v42, v44
	v_fma_f32 v48, v44, v42, -v46
	v_fmac_f32_e32 v48, v44, v39
	v_add_f32_e32 v49, v46, v48
	v_sub_f32_e32 v50, v45, v49
	v_sub_f32_e32 v45, v45, v50
	;; [unrolled: 1-line block ×4, first 2 shown]
	v_add_f32_e32 v43, v43, v45
	v_sub_f32_e32 v45, v46, v48
	v_add_f32_e32 v43, v45, v43
	v_add_f32_e32 v45, v50, v43
	v_mul_f32_e32 v46, v47, v45
	v_mul_f32_e32 v48, v42, v46
	v_fma_f32 v42, v46, v42, -v48
	v_fmac_f32_e32 v42, v46, v39
	v_sub_f32_e32 v39, v50, v45
	v_add_f32_e32 v39, v43, v39
	v_add_f32_e32 v43, v48, v42
	v_sub_f32_e32 v49, v45, v43
	v_sub_f32_e32 v45, v45, v49
	;; [unrolled: 1-line block ×4, first 2 shown]
	v_add_f32_e32 v39, v39, v43
	v_sub_f32_e32 v42, v48, v42
	v_add_f32_e32 v39, v42, v39
	v_add_f32_e32 v42, v44, v46
	;; [unrolled: 1-line block ×3, first 2 shown]
	v_sub_f32_e32 v43, v42, v44
	v_mul_f32_e32 v39, v47, v39
	v_sub_f32_e32 v43, v46, v43
	v_add_f32_e32 v39, v43, v39
	v_cvt_f32_i32_e32 v38, v38
	v_add_f32_e32 v43, v42, v39
	v_mul_f32_e32 v44, v43, v43
	v_mov_b32_e32 v45, 0x3ecc95a3
	v_fmac_f32_e32 v45, 0x3e9b6dac, v44
	v_mov_b32_e32 v46, 0x3f2aaada
	v_fmac_f32_e32 v46, v44, v45
	v_mul_f32_e32 v45, 0x3f317218, v38
	v_fma_f32 v47, v38, s8, -v45
	v_fmac_f32_e32 v47, 0xb102e308, v38
	v_sub_f32_e32 v38, v43, v42
	v_sub_f32_e32 v38, v39, v38
	v_add_f32_e32 v39, v45, v47
	v_sub_f32_e32 v42, v39, v45
	v_ldexp_f32 v45, v43, 1
	v_mul_f32_e32 v43, v43, v44
	v_mul_f32_e32 v43, v43, v46
	v_add_f32_e32 v44, v45, v43
	v_sub_f32_e32 v45, v44, v45
	v_ldexp_f32 v38, v38, 1
	v_sub_f32_e32 v43, v43, v45
	v_add_f32_e32 v38, v38, v43
	v_add_f32_e32 v43, v44, v38
	v_sub_f32_e32 v44, v43, v44
	v_sub_f32_e32 v38, v38, v44
	v_add_f32_e32 v44, v39, v43
	v_sub_f32_e32 v45, v44, v39
	v_sub_f32_e32 v46, v44, v45
	;; [unrolled: 1-line block ×5, first 2 shown]
	v_add_f32_e32 v39, v43, v39
	v_add_f32_e32 v43, v42, v38
	v_sub_f32_e32 v45, v43, v42
	v_sub_f32_e32 v46, v43, v45
	;; [unrolled: 1-line block ×4, first 2 shown]
	v_add_f32_e32 v39, v43, v39
	v_add_f32_e32 v38, v38, v42
	v_add_f32_e32 v42, v44, v39
	v_sub_f32_e32 v43, v42, v44
	v_sub_f32_e32 v39, v39, v43
	v_add_f32_e32 v38, v38, v39
	v_add_f32_e32 v38, v42, v38
	v_cmp_neq_f32_e32 vcc, s6, v41
	s_mov_b32 s6, 0x33800000
	v_cndmask_b32_e32 v38, v40, v38, vcc
	v_cmp_lt_f32_e64 vcc, |v41|, s6
	v_cndmask_b32_e32 v38, v38, v41, vcc
	v_add_f32_e32 v38, v37, v38
.LBB507_265:
	s_or_b64 exec, exec, s[4:5]
	v_bfe_u32 v37, v38, 16, 1
	v_add3_u32 v37, v38, v37, s7
	v_cmp_o_f32_e32 vcc, v38, v38
	v_cndmask_b32_sdwa v36, v36, v37, vcc dst_sel:DWORD dst_unused:UNUSED_PAD src0_sel:DWORD src1_sel:WORD_1
	v_lshlrev_b32_e32 v38, 16, v36
	v_max_f32_e32 v37, v38, v38
	v_min_f32_e32 v39, v37, v65
	v_cmp_u_f32_e32 vcc, v38, v38
	v_max_f32_e32 v37, v37, v65
	v_cndmask_b32_e32 v39, v39, v38, vcc
	v_cndmask_b32_e32 v37, v37, v38, vcc
	v_cndmask_b32_e64 v39, v39, v63, s[50:51]
	v_cndmask_b32_e64 v37, v37, v63, s[50:51]
	s_movk_i32 s6, 0x1f8
	v_cmp_neq_f32_e32 vcc, v39, v37
	v_cmp_class_f32_e64 s[4:5], v39, s6
	s_or_b64 s[8:9], vcc, s[4:5]
	s_and_saveexec_b64 s[4:5], s[8:9]
	s_cbranch_execz .LBB507_267
; %bb.266:
	v_sub_f32_e32 v38, v39, v37
	s_mov_b32 s7, 0x3fb8aa3b
	v_mul_f32_e32 v39, 0x3fb8aa3b, v38
	v_fma_f32 v40, v38, s7, -v39
	v_rndne_f32_e32 v41, v39
	v_fmac_f32_e32 v40, 0x32a5705f, v38
	v_sub_f32_e32 v39, v39, v41
	v_add_f32_e32 v39, v39, v40
	v_exp_f32_e32 v39, v39
	v_cvt_i32_f32_e32 v40, v41
	s_mov_b32 s7, 0xc2ce8ed0
	v_cmp_ngt_f32_e32 vcc, s7, v38
	s_mov_b32 s7, 0x42b17218
	v_ldexp_f32 v39, v39, v40
	v_cndmask_b32_e32 v39, 0, v39, vcc
	v_mov_b32_e32 v40, 0x7f800000
	v_cmp_nlt_f32_e32 vcc, s7, v38
	v_cndmask_b32_e32 v41, v40, v39, vcc
	v_add_f32_e32 v42, 1.0, v41
	v_cvt_f64_f32_e32 v[38:39], v42
	v_add_f32_e32 v43, -1.0, v42
	v_sub_f32_e32 v44, v43, v42
	v_sub_f32_e32 v43, v41, v43
	v_frexp_exp_i32_f64_e32 v38, v[38:39]
	v_add_f32_e32 v39, 1.0, v44
	v_add_f32_e32 v39, v43, v39
	v_frexp_mant_f32_e32 v43, v42
	s_mov_b32 s8, 0x3f2aaaab
	v_cmp_gt_f32_e32 vcc, s8, v43
	s_mov_b32 s8, 0x3f317218
	s_mov_b32 s7, 0x7f800000
	v_subbrev_co_u32_e32 v38, vcc, 0, v38, vcc
	v_sub_u32_e32 v43, 0, v38
	v_ldexp_f32 v42, v42, v43
	v_ldexp_f32 v39, v39, v43
	v_add_f32_e32 v43, -1.0, v42
	v_add_f32_e32 v46, 1.0, v42
	v_add_f32_e32 v44, 1.0, v43
	v_add_f32_e32 v47, -1.0, v46
	v_sub_f32_e32 v44, v42, v44
	v_sub_f32_e32 v42, v42, v47
	v_add_f32_e32 v44, v39, v44
	v_add_f32_e32 v39, v39, v42
	;; [unrolled: 1-line block ×3, first 2 shown]
	v_rcp_f32_e32 v47, v42
	v_add_f32_e32 v45, v43, v44
	v_sub_f32_e32 v43, v43, v45
	v_add_f32_e32 v43, v44, v43
	v_sub_f32_e32 v44, v46, v42
	v_add_f32_e32 v39, v39, v44
	v_mul_f32_e32 v44, v45, v47
	v_mul_f32_e32 v46, v42, v44
	v_fma_f32 v48, v44, v42, -v46
	v_fmac_f32_e32 v48, v44, v39
	v_add_f32_e32 v49, v46, v48
	v_sub_f32_e32 v50, v45, v49
	v_sub_f32_e32 v45, v45, v50
	;; [unrolled: 1-line block ×4, first 2 shown]
	v_add_f32_e32 v43, v43, v45
	v_sub_f32_e32 v45, v46, v48
	v_add_f32_e32 v43, v45, v43
	v_add_f32_e32 v45, v50, v43
	v_mul_f32_e32 v46, v47, v45
	v_mul_f32_e32 v48, v42, v46
	v_fma_f32 v42, v46, v42, -v48
	v_fmac_f32_e32 v42, v46, v39
	v_sub_f32_e32 v39, v50, v45
	v_add_f32_e32 v39, v43, v39
	v_add_f32_e32 v43, v48, v42
	v_sub_f32_e32 v49, v45, v43
	v_sub_f32_e32 v45, v45, v49
	;; [unrolled: 1-line block ×4, first 2 shown]
	v_add_f32_e32 v39, v39, v43
	v_sub_f32_e32 v42, v48, v42
	v_add_f32_e32 v39, v42, v39
	v_add_f32_e32 v42, v44, v46
	;; [unrolled: 1-line block ×3, first 2 shown]
	v_sub_f32_e32 v43, v42, v44
	v_mul_f32_e32 v39, v47, v39
	v_sub_f32_e32 v43, v46, v43
	v_add_f32_e32 v39, v43, v39
	v_cvt_f32_i32_e32 v38, v38
	v_add_f32_e32 v43, v42, v39
	v_mul_f32_e32 v44, v43, v43
	v_mov_b32_e32 v45, 0x3ecc95a3
	v_fmac_f32_e32 v45, 0x3e9b6dac, v44
	v_mov_b32_e32 v46, 0x3f2aaada
	v_fmac_f32_e32 v46, v44, v45
	v_mul_f32_e32 v45, 0x3f317218, v38
	v_fma_f32 v47, v38, s8, -v45
	v_fmac_f32_e32 v47, 0xb102e308, v38
	v_sub_f32_e32 v38, v43, v42
	v_sub_f32_e32 v38, v39, v38
	v_add_f32_e32 v39, v45, v47
	v_sub_f32_e32 v42, v39, v45
	v_ldexp_f32 v45, v43, 1
	v_mul_f32_e32 v43, v43, v44
	v_mul_f32_e32 v43, v43, v46
	v_add_f32_e32 v44, v45, v43
	v_sub_f32_e32 v45, v44, v45
	v_ldexp_f32 v38, v38, 1
	v_sub_f32_e32 v43, v43, v45
	v_add_f32_e32 v38, v38, v43
	v_add_f32_e32 v43, v44, v38
	v_sub_f32_e32 v44, v43, v44
	v_sub_f32_e32 v38, v38, v44
	v_add_f32_e32 v44, v39, v43
	v_sub_f32_e32 v45, v44, v39
	v_sub_f32_e32 v46, v44, v45
	;; [unrolled: 1-line block ×5, first 2 shown]
	v_add_f32_e32 v39, v43, v39
	v_add_f32_e32 v43, v42, v38
	v_sub_f32_e32 v45, v43, v42
	v_sub_f32_e32 v46, v43, v45
	;; [unrolled: 1-line block ×4, first 2 shown]
	v_add_f32_e32 v39, v43, v39
	v_add_f32_e32 v38, v38, v42
	;; [unrolled: 1-line block ×3, first 2 shown]
	v_sub_f32_e32 v43, v42, v44
	v_sub_f32_e32 v39, v39, v43
	v_add_f32_e32 v38, v38, v39
	v_add_f32_e32 v38, v42, v38
	v_cmp_neq_f32_e32 vcc, s7, v41
	s_mov_b32 s7, 0x33800000
	v_cndmask_b32_e32 v38, v40, v38, vcc
	v_cmp_lt_f32_e64 vcc, |v41|, s7
	v_cndmask_b32_e32 v38, v38, v41, vcc
	v_add_f32_e32 v38, v37, v38
.LBB507_267:
	s_or_b64 exec, exec, s[4:5]
	v_bfe_u32 v37, v38, 16, 1
	s_movk_i32 s7, 0x7fff
	v_add3_u32 v37, v38, v37, s7
	v_cmp_o_f32_e32 vcc, v38, v38
	v_mov_b32_e32 v38, 0x7fc0
	v_cndmask_b32_sdwa v37, v38, v37, vcc dst_sel:DWORD dst_unused:UNUSED_PAD src0_sel:DWORD src1_sel:WORD_1
	v_lshlrev_b32_e32 v40, 16, v37
	v_max_f32_e32 v39, v40, v40
	v_min_f32_e32 v41, v39, v66
	v_cmp_u_f32_e32 vcc, v40, v40
	v_max_f32_e32 v39, v39, v66
	v_cndmask_b32_e32 v41, v41, v40, vcc
	v_cndmask_b32_e32 v39, v39, v40, vcc
	v_cndmask_b32_e64 v41, v41, v64, s[52:53]
	v_cndmask_b32_e64 v39, v39, v64, s[52:53]
	v_cmp_neq_f32_e32 vcc, v41, v39
	v_cmp_class_f32_e64 s[4:5], v41, s6
	s_or_b64 s[8:9], vcc, s[4:5]
	s_and_saveexec_b64 s[4:5], s[8:9]
	s_cbranch_execz .LBB507_269
; %bb.268:
	v_sub_f32_e32 v40, v41, v39
	s_mov_b32 s6, 0x3fb8aa3b
	v_mul_f32_e32 v41, 0x3fb8aa3b, v40
	v_fma_f32 v42, v40, s6, -v41
	v_rndne_f32_e32 v43, v41
	v_fmac_f32_e32 v42, 0x32a5705f, v40
	v_sub_f32_e32 v41, v41, v43
	v_add_f32_e32 v41, v41, v42
	v_exp_f32_e32 v41, v41
	v_cvt_i32_f32_e32 v42, v43
	s_mov_b32 s6, 0xc2ce8ed0
	v_cmp_ngt_f32_e32 vcc, s6, v40
	s_mov_b32 s6, 0x42b17218
	v_ldexp_f32 v41, v41, v42
	v_cndmask_b32_e32 v41, 0, v41, vcc
	v_mov_b32_e32 v42, 0x7f800000
	v_cmp_nlt_f32_e32 vcc, s6, v40
	v_cndmask_b32_e32 v43, v42, v41, vcc
	v_add_f32_e32 v44, 1.0, v43
	v_cvt_f64_f32_e32 v[40:41], v44
	v_add_f32_e32 v45, -1.0, v44
	v_sub_f32_e32 v46, v45, v44
	v_sub_f32_e32 v45, v43, v45
	v_frexp_exp_i32_f64_e32 v40, v[40:41]
	v_add_f32_e32 v41, 1.0, v46
	v_add_f32_e32 v41, v45, v41
	v_frexp_mant_f32_e32 v45, v44
	s_mov_b32 s8, 0x3f2aaaab
	v_cmp_gt_f32_e32 vcc, s8, v45
	s_mov_b32 s8, 0x3f317218
	s_mov_b32 s6, 0x7f800000
	v_subbrev_co_u32_e32 v40, vcc, 0, v40, vcc
	v_sub_u32_e32 v45, 0, v40
	v_ldexp_f32 v44, v44, v45
	v_ldexp_f32 v41, v41, v45
	v_add_f32_e32 v45, -1.0, v44
	v_add_f32_e32 v48, 1.0, v44
	v_add_f32_e32 v46, 1.0, v45
	v_add_f32_e32 v49, -1.0, v48
	v_sub_f32_e32 v46, v44, v46
	v_sub_f32_e32 v44, v44, v49
	v_add_f32_e32 v46, v41, v46
	v_add_f32_e32 v41, v41, v44
	;; [unrolled: 1-line block ×3, first 2 shown]
	v_rcp_f32_e32 v49, v44
	v_add_f32_e32 v47, v45, v46
	v_sub_f32_e32 v45, v45, v47
	v_add_f32_e32 v45, v46, v45
	v_sub_f32_e32 v46, v48, v44
	v_add_f32_e32 v41, v41, v46
	v_mul_f32_e32 v46, v47, v49
	v_mul_f32_e32 v48, v44, v46
	v_fma_f32 v50, v46, v44, -v48
	v_fmac_f32_e32 v50, v46, v41
	v_add_f32_e32 v51, v48, v50
	v_sub_f32_e32 v52, v47, v51
	v_sub_f32_e32 v47, v47, v52
	;; [unrolled: 1-line block ×4, first 2 shown]
	v_add_f32_e32 v45, v45, v47
	v_sub_f32_e32 v47, v48, v50
	v_add_f32_e32 v45, v47, v45
	v_add_f32_e32 v47, v52, v45
	v_mul_f32_e32 v48, v49, v47
	v_mul_f32_e32 v50, v44, v48
	v_fma_f32 v44, v48, v44, -v50
	v_fmac_f32_e32 v44, v48, v41
	v_sub_f32_e32 v41, v52, v47
	v_add_f32_e32 v41, v45, v41
	v_add_f32_e32 v45, v50, v44
	v_sub_f32_e32 v51, v47, v45
	v_sub_f32_e32 v47, v47, v51
	;; [unrolled: 1-line block ×4, first 2 shown]
	v_add_f32_e32 v41, v41, v45
	v_sub_f32_e32 v44, v50, v44
	v_add_f32_e32 v41, v44, v41
	v_add_f32_e32 v44, v46, v48
	;; [unrolled: 1-line block ×3, first 2 shown]
	v_sub_f32_e32 v45, v44, v46
	v_mul_f32_e32 v41, v49, v41
	v_sub_f32_e32 v45, v48, v45
	v_add_f32_e32 v41, v45, v41
	v_cvt_f32_i32_e32 v40, v40
	v_add_f32_e32 v45, v44, v41
	v_mul_f32_e32 v46, v45, v45
	v_mov_b32_e32 v47, 0x3ecc95a3
	v_fmac_f32_e32 v47, 0x3e9b6dac, v46
	v_mov_b32_e32 v48, 0x3f2aaada
	v_fmac_f32_e32 v48, v46, v47
	v_mul_f32_e32 v47, 0x3f317218, v40
	v_fma_f32 v49, v40, s8, -v47
	v_fmac_f32_e32 v49, 0xb102e308, v40
	v_sub_f32_e32 v40, v45, v44
	v_sub_f32_e32 v40, v41, v40
	v_add_f32_e32 v41, v47, v49
	v_sub_f32_e32 v44, v41, v47
	v_ldexp_f32 v47, v45, 1
	v_mul_f32_e32 v45, v45, v46
	v_mul_f32_e32 v45, v45, v48
	v_add_f32_e32 v46, v47, v45
	v_sub_f32_e32 v47, v46, v47
	v_ldexp_f32 v40, v40, 1
	v_sub_f32_e32 v45, v45, v47
	v_add_f32_e32 v40, v40, v45
	v_add_f32_e32 v45, v46, v40
	v_sub_f32_e32 v46, v45, v46
	v_sub_f32_e32 v40, v40, v46
	v_add_f32_e32 v46, v41, v45
	v_sub_f32_e32 v47, v46, v41
	v_sub_f32_e32 v48, v46, v47
	;; [unrolled: 1-line block ×5, first 2 shown]
	v_add_f32_e32 v41, v45, v41
	v_add_f32_e32 v45, v44, v40
	v_sub_f32_e32 v47, v45, v44
	v_sub_f32_e32 v48, v45, v47
	;; [unrolled: 1-line block ×4, first 2 shown]
	v_add_f32_e32 v41, v45, v41
	v_add_f32_e32 v40, v40, v44
	v_add_f32_e32 v44, v46, v41
	v_sub_f32_e32 v45, v44, v46
	v_sub_f32_e32 v41, v41, v45
	v_add_f32_e32 v40, v40, v41
	v_add_f32_e32 v40, v44, v40
	v_cmp_neq_f32_e32 vcc, s6, v43
	s_mov_b32 s6, 0x33800000
	v_cndmask_b32_e32 v40, v42, v40, vcc
	v_cmp_lt_f32_e64 vcc, |v43|, s6
	v_cndmask_b32_e32 v40, v40, v43, vcc
	v_add_f32_e32 v40, v39, v40
.LBB507_269:
	s_or_b64 exec, exec, s[4:5]
	v_bfe_u32 v39, v40, 16, 1
	v_add3_u32 v39, v40, v39, s7
	v_cmp_o_f32_e32 vcc, v40, v40
	v_cndmask_b32_sdwa v38, v38, v39, vcc dst_sel:DWORD dst_unused:UNUSED_PAD src0_sel:DWORD src1_sel:WORD_1
	s_branch .LBB507_413
.LBB507_270:
	s_cmp_lg_u64 s[68:69], 0
	s_cselect_b64 s[4:5], -1, 0
	s_and_b64 s[6:7], s[60:61], s[4:5]
	v_mov_b32_e32 v13, v9
	s_and_saveexec_b64 s[4:5], s[6:7]
	s_cbranch_execz .LBB507_274
; %bb.271:
	v_mov_b32_e32 v13, 0
	global_load_ushort v13, v13, s[64:65]
	v_lshlrev_b32_e32 v16, 16, v9
	v_max_f32_e32 v15, v16, v16
	s_movk_i32 s6, 0x1f8
	s_waitcnt vmcnt(0)
	v_lshlrev_b32_e32 v14, 16, v13
	v_max_f32_e32 v13, v14, v14
	v_min_f32_e32 v17, v13, v15
	v_max_f32_e32 v13, v13, v15
	v_cmp_u_f32_e32 vcc, v14, v14
	v_cndmask_b32_e32 v15, v17, v14, vcc
	v_cndmask_b32_e32 v13, v13, v14, vcc
	v_cmp_u_f32_e32 vcc, v16, v16
	v_cndmask_b32_e32 v15, v15, v16, vcc
	v_cndmask_b32_e32 v13, v13, v16, vcc
	v_cmp_neq_f32_e32 vcc, v15, v13
	v_cmp_class_f32_e64 s[6:7], v15, s6
	s_or_b64 s[8:9], vcc, s[6:7]
	s_and_saveexec_b64 s[6:7], s[8:9]
	s_cbranch_execz .LBB507_273
; %bb.272:
	v_sub_f32_e32 v14, v15, v13
	s_mov_b32 s8, 0x3fb8aa3b
	v_mul_f32_e32 v15, 0x3fb8aa3b, v14
	v_fma_f32 v16, v14, s8, -v15
	v_rndne_f32_e32 v17, v15
	v_fmac_f32_e32 v16, 0x32a5705f, v14
	v_sub_f32_e32 v15, v15, v17
	v_add_f32_e32 v15, v15, v16
	v_exp_f32_e32 v15, v15
	v_cvt_i32_f32_e32 v16, v17
	s_mov_b32 s8, 0xc2ce8ed0
	v_cmp_ngt_f32_e32 vcc, s8, v14
	s_mov_b32 s8, 0x42b17218
	v_ldexp_f32 v15, v15, v16
	v_cndmask_b32_e32 v15, 0, v15, vcc
	v_mov_b32_e32 v16, 0x7f800000
	v_cmp_nlt_f32_e32 vcc, s8, v14
	v_cndmask_b32_e32 v17, v16, v15, vcc
	v_add_f32_e32 v18, 1.0, v17
	v_cvt_f64_f32_e32 v[14:15], v18
	v_add_f32_e32 v21, -1.0, v18
	v_sub_f32_e32 v22, v21, v18
	v_sub_f32_e32 v21, v17, v21
	v_frexp_exp_i32_f64_e32 v14, v[14:15]
	v_add_f32_e32 v15, 1.0, v22
	v_add_f32_e32 v15, v21, v15
	v_frexp_mant_f32_e32 v21, v18
	s_mov_b32 s9, 0x3f2aaaab
	v_cmp_gt_f32_e32 vcc, s9, v21
	s_mov_b32 s9, 0x3f317218
	s_mov_b32 s8, 0x7f800000
	v_subbrev_co_u32_e32 v14, vcc, 0, v14, vcc
	v_sub_u32_e32 v21, 0, v14
	v_ldexp_f32 v18, v18, v21
	v_ldexp_f32 v15, v15, v21
	v_add_f32_e32 v21, -1.0, v18
	v_add_f32_e32 v24, 1.0, v18
	v_add_f32_e32 v22, 1.0, v21
	v_add_f32_e32 v25, -1.0, v24
	v_sub_f32_e32 v22, v18, v22
	v_sub_f32_e32 v18, v18, v25
	v_add_f32_e32 v22, v15, v22
	v_add_f32_e32 v15, v15, v18
	;; [unrolled: 1-line block ×3, first 2 shown]
	v_rcp_f32_e32 v25, v18
	v_add_f32_e32 v23, v21, v22
	v_sub_f32_e32 v21, v21, v23
	v_add_f32_e32 v21, v22, v21
	v_sub_f32_e32 v22, v24, v18
	v_add_f32_e32 v15, v15, v22
	v_mul_f32_e32 v22, v23, v25
	v_mul_f32_e32 v24, v18, v22
	v_fma_f32 v26, v22, v18, -v24
	v_fmac_f32_e32 v26, v22, v15
	v_add_f32_e32 v27, v24, v26
	v_sub_f32_e32 v28, v23, v27
	v_sub_f32_e32 v23, v23, v28
	;; [unrolled: 1-line block ×4, first 2 shown]
	v_add_f32_e32 v21, v21, v23
	v_sub_f32_e32 v23, v24, v26
	v_add_f32_e32 v21, v23, v21
	v_add_f32_e32 v23, v28, v21
	v_mul_f32_e32 v24, v25, v23
	v_mul_f32_e32 v26, v18, v24
	v_fma_f32 v18, v24, v18, -v26
	v_fmac_f32_e32 v18, v24, v15
	v_sub_f32_e32 v15, v28, v23
	v_add_f32_e32 v15, v21, v15
	v_add_f32_e32 v21, v26, v18
	v_sub_f32_e32 v27, v23, v21
	v_sub_f32_e32 v23, v23, v27
	;; [unrolled: 1-line block ×4, first 2 shown]
	v_add_f32_e32 v15, v15, v21
	v_sub_f32_e32 v18, v26, v18
	v_add_f32_e32 v15, v18, v15
	v_add_f32_e32 v18, v22, v24
	;; [unrolled: 1-line block ×3, first 2 shown]
	v_sub_f32_e32 v21, v18, v22
	v_mul_f32_e32 v15, v25, v15
	v_sub_f32_e32 v21, v24, v21
	v_add_f32_e32 v15, v21, v15
	v_cvt_f32_i32_e32 v14, v14
	v_add_f32_e32 v21, v18, v15
	v_mul_f32_e32 v22, v21, v21
	v_mov_b32_e32 v23, 0x3ecc95a3
	v_fmac_f32_e32 v23, 0x3e9b6dac, v22
	v_mov_b32_e32 v24, 0x3f2aaada
	v_fmac_f32_e32 v24, v22, v23
	v_mul_f32_e32 v23, 0x3f317218, v14
	v_fma_f32 v25, v14, s9, -v23
	v_fmac_f32_e32 v25, 0xb102e308, v14
	v_sub_f32_e32 v14, v21, v18
	v_sub_f32_e32 v14, v15, v14
	v_add_f32_e32 v15, v23, v25
	v_sub_f32_e32 v18, v15, v23
	v_ldexp_f32 v23, v21, 1
	v_mul_f32_e32 v21, v21, v22
	v_mul_f32_e32 v21, v21, v24
	v_add_f32_e32 v22, v23, v21
	v_sub_f32_e32 v23, v22, v23
	v_ldexp_f32 v14, v14, 1
	v_sub_f32_e32 v21, v21, v23
	v_add_f32_e32 v14, v14, v21
	v_add_f32_e32 v21, v22, v14
	v_sub_f32_e32 v22, v21, v22
	v_sub_f32_e32 v14, v14, v22
	v_add_f32_e32 v22, v15, v21
	v_sub_f32_e32 v23, v22, v15
	v_sub_f32_e32 v24, v22, v23
	;; [unrolled: 1-line block ×5, first 2 shown]
	v_add_f32_e32 v15, v21, v15
	v_add_f32_e32 v21, v18, v14
	v_sub_f32_e32 v23, v21, v18
	v_sub_f32_e32 v24, v21, v23
	;; [unrolled: 1-line block ×4, first 2 shown]
	v_add_f32_e32 v15, v21, v15
	v_add_f32_e32 v14, v14, v18
	;; [unrolled: 1-line block ×3, first 2 shown]
	v_sub_f32_e32 v21, v18, v22
	v_sub_f32_e32 v15, v15, v21
	v_add_f32_e32 v14, v14, v15
	v_add_f32_e32 v14, v18, v14
	v_cmp_neq_f32_e32 vcc, s8, v17
	s_mov_b32 s8, 0x33800000
	v_cndmask_b32_e32 v14, v16, v14, vcc
	v_cmp_lt_f32_e64 vcc, |v17|, s8
	v_cndmask_b32_e32 v14, v14, v17, vcc
	v_add_f32_e32 v14, v13, v14
.LBB507_273:
	s_or_b64 exec, exec, s[6:7]
	v_bfe_u32 v13, v14, 16, 1
	s_movk_i32 s6, 0x7fff
	v_add3_u32 v13, v14, v13, s6
	v_cmp_o_f32_e32 vcc, v14, v14
	v_mov_b32_e32 v14, 0x7fc0
	v_cndmask_b32_sdwa v13, v14, v13, vcc dst_sel:DWORD dst_unused:UNUSED_PAD src0_sel:DWORD src1_sel:WORD_1
.LBB507_274:
	s_or_b64 exec, exec, s[4:5]
	v_mov_b32_e32 v15, 16
	v_lshlrev_b32_e32 v50, 16, v13
	v_lshlrev_b32_sdwa v9, v15, v9 dst_sel:DWORD dst_unused:UNUSED_PAD src0_sel:DWORD src1_sel:WORD_1
	v_max_f32_e32 v14, v9, v9
	v_max_f32_e32 v52, v50, v50
	v_min_f32_e32 v51, v52, v14
	v_cmp_u_f32_e64 s[54:55], v50, v50
	v_cndmask_b32_e64 v16, v51, v50, s[54:55]
	v_cmp_u_f32_e64 s[6:7], v9, v9
	v_max_f32_e32 v53, v52, v14
	v_cndmask_b32_e64 v17, v16, v9, s[6:7]
	v_cndmask_b32_e64 v16, v53, v50, s[54:55]
	;; [unrolled: 1-line block ×3, first 2 shown]
	s_movk_i32 s10, 0x1f8
	v_cmp_neq_f32_e32 vcc, v17, v16
	v_cmp_class_f32_e64 s[4:5], v17, s10
	s_or_b64 s[8:9], vcc, s[4:5]
	v_mov_b32_e32 v18, v50
	s_and_saveexec_b64 s[4:5], s[8:9]
	s_cbranch_execz .LBB507_276
; %bb.275:
	v_sub_f32_e32 v17, v17, v16
	s_mov_b32 s8, 0x3fb8aa3b
	v_mul_f32_e32 v18, 0x3fb8aa3b, v17
	v_fma_f32 v21, v17, s8, -v18
	v_rndne_f32_e32 v22, v18
	v_fmac_f32_e32 v21, 0x32a5705f, v17
	v_sub_f32_e32 v18, v18, v22
	v_add_f32_e32 v18, v18, v21
	v_exp_f32_e32 v18, v18
	v_cvt_i32_f32_e32 v21, v22
	s_mov_b32 s8, 0xc2ce8ed0
	v_cmp_ngt_f32_e32 vcc, s8, v17
	s_mov_b32 s8, 0x42b17218
	v_ldexp_f32 v18, v18, v21
	v_cndmask_b32_e32 v18, 0, v18, vcc
	v_mov_b32_e32 v21, 0x7f800000
	v_cmp_nlt_f32_e32 vcc, s8, v17
	v_cndmask_b32_e32 v22, v21, v18, vcc
	v_add_f32_e32 v23, 1.0, v22
	v_cvt_f64_f32_e32 v[17:18], v23
	v_add_f32_e32 v24, -1.0, v23
	v_sub_f32_e32 v25, v24, v23
	v_sub_f32_e32 v24, v22, v24
	v_frexp_exp_i32_f64_e32 v17, v[17:18]
	v_add_f32_e32 v18, 1.0, v25
	v_add_f32_e32 v18, v24, v18
	v_frexp_mant_f32_e32 v24, v23
	s_mov_b32 s9, 0x3f2aaaab
	v_cmp_gt_f32_e32 vcc, s9, v24
	s_mov_b32 s9, 0x3f317218
	s_mov_b32 s8, 0x7f800000
	v_subbrev_co_u32_e32 v17, vcc, 0, v17, vcc
	v_sub_u32_e32 v24, 0, v17
	v_ldexp_f32 v23, v23, v24
	v_ldexp_f32 v18, v18, v24
	v_add_f32_e32 v24, -1.0, v23
	v_add_f32_e32 v27, 1.0, v23
	v_add_f32_e32 v25, 1.0, v24
	v_add_f32_e32 v28, -1.0, v27
	v_sub_f32_e32 v25, v23, v25
	v_sub_f32_e32 v23, v23, v28
	v_add_f32_e32 v25, v18, v25
	v_add_f32_e32 v18, v18, v23
	;; [unrolled: 1-line block ×3, first 2 shown]
	v_rcp_f32_e32 v28, v23
	v_add_f32_e32 v26, v24, v25
	v_sub_f32_e32 v24, v24, v26
	v_add_f32_e32 v24, v25, v24
	v_sub_f32_e32 v25, v27, v23
	v_add_f32_e32 v18, v18, v25
	v_mul_f32_e32 v25, v26, v28
	v_mul_f32_e32 v27, v23, v25
	v_fma_f32 v29, v25, v23, -v27
	v_fmac_f32_e32 v29, v25, v18
	v_add_f32_e32 v30, v27, v29
	v_sub_f32_e32 v31, v26, v30
	v_sub_f32_e32 v26, v26, v31
	;; [unrolled: 1-line block ×4, first 2 shown]
	v_add_f32_e32 v24, v24, v26
	v_sub_f32_e32 v26, v27, v29
	v_add_f32_e32 v24, v26, v24
	v_add_f32_e32 v26, v31, v24
	v_mul_f32_e32 v27, v28, v26
	v_mul_f32_e32 v29, v23, v27
	v_fma_f32 v23, v27, v23, -v29
	v_fmac_f32_e32 v23, v27, v18
	v_sub_f32_e32 v18, v31, v26
	v_add_f32_e32 v18, v24, v18
	v_add_f32_e32 v24, v29, v23
	v_sub_f32_e32 v30, v26, v24
	v_sub_f32_e32 v26, v26, v30
	;; [unrolled: 1-line block ×4, first 2 shown]
	v_add_f32_e32 v18, v18, v24
	v_sub_f32_e32 v23, v29, v23
	v_add_f32_e32 v18, v23, v18
	v_add_f32_e32 v23, v25, v27
	;; [unrolled: 1-line block ×3, first 2 shown]
	v_sub_f32_e32 v24, v23, v25
	v_mul_f32_e32 v18, v28, v18
	v_sub_f32_e32 v24, v27, v24
	v_add_f32_e32 v18, v24, v18
	v_cvt_f32_i32_e32 v17, v17
	v_add_f32_e32 v24, v23, v18
	v_mul_f32_e32 v25, v24, v24
	v_mov_b32_e32 v26, 0x3ecc95a3
	v_fmac_f32_e32 v26, 0x3e9b6dac, v25
	v_mov_b32_e32 v27, 0x3f2aaada
	v_fmac_f32_e32 v27, v25, v26
	v_mul_f32_e32 v26, 0x3f317218, v17
	v_fma_f32 v28, v17, s9, -v26
	v_fmac_f32_e32 v28, 0xb102e308, v17
	v_sub_f32_e32 v17, v24, v23
	v_sub_f32_e32 v17, v18, v17
	v_add_f32_e32 v18, v26, v28
	v_sub_f32_e32 v23, v18, v26
	v_ldexp_f32 v26, v24, 1
	v_mul_f32_e32 v24, v24, v25
	v_mul_f32_e32 v24, v24, v27
	v_add_f32_e32 v25, v26, v24
	v_sub_f32_e32 v26, v25, v26
	v_ldexp_f32 v17, v17, 1
	v_sub_f32_e32 v24, v24, v26
	v_add_f32_e32 v17, v17, v24
	v_add_f32_e32 v24, v25, v17
	v_sub_f32_e32 v25, v24, v25
	v_sub_f32_e32 v17, v17, v25
	v_add_f32_e32 v25, v18, v24
	v_sub_f32_e32 v26, v25, v18
	v_sub_f32_e32 v27, v25, v26
	;; [unrolled: 1-line block ×5, first 2 shown]
	v_add_f32_e32 v18, v24, v18
	v_add_f32_e32 v24, v23, v17
	v_sub_f32_e32 v26, v24, v23
	v_sub_f32_e32 v27, v24, v26
	;; [unrolled: 1-line block ×4, first 2 shown]
	v_add_f32_e32 v18, v24, v18
	v_add_f32_e32 v17, v17, v23
	;; [unrolled: 1-line block ×3, first 2 shown]
	v_sub_f32_e32 v24, v23, v25
	v_sub_f32_e32 v18, v18, v24
	v_add_f32_e32 v17, v17, v18
	v_add_f32_e32 v17, v23, v17
	v_cmp_neq_f32_e32 vcc, s8, v22
	s_mov_b32 s8, 0x33800000
	v_cndmask_b32_e32 v17, v21, v17, vcc
	v_cmp_lt_f32_e64 vcc, |v22|, s8
	v_cndmask_b32_e32 v17, v17, v22, vcc
	v_add_f32_e32 v18, v16, v17
.LBB507_276:
	s_or_b64 exec, exec, s[4:5]
	v_bfe_u32 v16, v18, 16, 1
	s_movk_i32 s11, 0x7fff
	v_add3_u32 v16, v18, v16, s11
	v_and_b32_e32 v16, 0xffff0000, v16
	v_mov_b32_e32 v17, 0x7fc00000
	v_cmp_o_f32_e32 vcc, v18, v18
	v_cndmask_b32_e32 v21, v17, v16, vcc
	v_lshlrev_b32_sdwa v15, v15, v10 dst_sel:DWORD dst_unused:UNUSED_PAD src0_sel:DWORD src1_sel:WORD_0
	v_max_f32_e32 v18, v21, v21
	v_max_f32_e32 v16, v15, v15
	v_min_f32_e32 v22, v18, v16
	v_cmp_u_f32_e32 vcc, v21, v21
	v_max_f32_e32 v18, v18, v16
	v_cndmask_b32_e32 v22, v22, v21, vcc
	v_cmp_u_f32_e64 s[8:9], v15, v15
	v_cndmask_b32_e32 v18, v18, v21, vcc
	v_cndmask_b32_e64 v22, v22, v15, s[8:9]
	v_cndmask_b32_e64 v18, v18, v15, s[8:9]
	v_cmp_neq_f32_e32 vcc, v22, v18
	v_cmp_class_f32_e64 s[4:5], v22, s10
	s_or_b64 s[12:13], vcc, s[4:5]
	s_and_saveexec_b64 s[4:5], s[12:13]
	s_cbranch_execz .LBB507_278
; %bb.277:
	v_sub_f32_e32 v21, v22, v18
	s_mov_b32 s10, 0x3fb8aa3b
	v_mul_f32_e32 v22, 0x3fb8aa3b, v21
	v_fma_f32 v23, v21, s10, -v22
	v_rndne_f32_e32 v24, v22
	v_fmac_f32_e32 v23, 0x32a5705f, v21
	v_sub_f32_e32 v22, v22, v24
	v_add_f32_e32 v22, v22, v23
	v_exp_f32_e32 v22, v22
	v_cvt_i32_f32_e32 v23, v24
	s_mov_b32 s10, 0xc2ce8ed0
	v_cmp_ngt_f32_e32 vcc, s10, v21
	s_mov_b32 s10, 0x42b17218
	v_ldexp_f32 v22, v22, v23
	v_cndmask_b32_e32 v22, 0, v22, vcc
	v_mov_b32_e32 v23, 0x7f800000
	v_cmp_nlt_f32_e32 vcc, s10, v21
	v_cndmask_b32_e32 v24, v23, v22, vcc
	v_add_f32_e32 v25, 1.0, v24
	v_cvt_f64_f32_e32 v[21:22], v25
	v_add_f32_e32 v26, -1.0, v25
	v_sub_f32_e32 v27, v26, v25
	v_sub_f32_e32 v26, v24, v26
	v_frexp_exp_i32_f64_e32 v21, v[21:22]
	v_add_f32_e32 v22, 1.0, v27
	v_add_f32_e32 v22, v26, v22
	v_frexp_mant_f32_e32 v26, v25
	s_mov_b32 s12, 0x3f2aaaab
	v_cmp_gt_f32_e32 vcc, s12, v26
	s_mov_b32 s12, 0x3f317218
	s_mov_b32 s10, 0x7f800000
	v_subbrev_co_u32_e32 v21, vcc, 0, v21, vcc
	v_sub_u32_e32 v26, 0, v21
	v_ldexp_f32 v25, v25, v26
	v_ldexp_f32 v22, v22, v26
	v_add_f32_e32 v26, -1.0, v25
	v_add_f32_e32 v29, 1.0, v25
	v_add_f32_e32 v27, 1.0, v26
	v_add_f32_e32 v30, -1.0, v29
	v_sub_f32_e32 v27, v25, v27
	v_sub_f32_e32 v25, v25, v30
	v_add_f32_e32 v27, v22, v27
	v_add_f32_e32 v22, v22, v25
	;; [unrolled: 1-line block ×3, first 2 shown]
	v_rcp_f32_e32 v30, v25
	v_add_f32_e32 v28, v26, v27
	v_sub_f32_e32 v26, v26, v28
	v_add_f32_e32 v26, v27, v26
	v_sub_f32_e32 v27, v29, v25
	v_add_f32_e32 v22, v22, v27
	v_mul_f32_e32 v27, v28, v30
	v_mul_f32_e32 v29, v25, v27
	v_fma_f32 v31, v27, v25, -v29
	v_fmac_f32_e32 v31, v27, v22
	v_add_f32_e32 v32, v29, v31
	v_sub_f32_e32 v33, v28, v32
	v_sub_f32_e32 v28, v28, v33
	;; [unrolled: 1-line block ×4, first 2 shown]
	v_add_f32_e32 v26, v26, v28
	v_sub_f32_e32 v28, v29, v31
	v_add_f32_e32 v26, v28, v26
	v_add_f32_e32 v28, v33, v26
	v_mul_f32_e32 v29, v30, v28
	v_mul_f32_e32 v31, v25, v29
	v_fma_f32 v25, v29, v25, -v31
	v_fmac_f32_e32 v25, v29, v22
	v_sub_f32_e32 v22, v33, v28
	v_add_f32_e32 v22, v26, v22
	v_add_f32_e32 v26, v31, v25
	v_sub_f32_e32 v32, v28, v26
	v_sub_f32_e32 v28, v28, v32
	;; [unrolled: 1-line block ×4, first 2 shown]
	v_add_f32_e32 v22, v22, v26
	v_sub_f32_e32 v25, v31, v25
	v_add_f32_e32 v22, v25, v22
	v_add_f32_e32 v25, v27, v29
	;; [unrolled: 1-line block ×3, first 2 shown]
	v_sub_f32_e32 v26, v25, v27
	v_mul_f32_e32 v22, v30, v22
	v_sub_f32_e32 v26, v29, v26
	v_add_f32_e32 v22, v26, v22
	v_cvt_f32_i32_e32 v21, v21
	v_add_f32_e32 v26, v25, v22
	v_mul_f32_e32 v27, v26, v26
	v_mov_b32_e32 v28, 0x3ecc95a3
	v_fmac_f32_e32 v28, 0x3e9b6dac, v27
	v_mov_b32_e32 v29, 0x3f2aaada
	v_fmac_f32_e32 v29, v27, v28
	v_mul_f32_e32 v28, 0x3f317218, v21
	v_fma_f32 v30, v21, s12, -v28
	v_fmac_f32_e32 v30, 0xb102e308, v21
	v_sub_f32_e32 v21, v26, v25
	v_sub_f32_e32 v21, v22, v21
	v_add_f32_e32 v22, v28, v30
	v_sub_f32_e32 v25, v22, v28
	v_ldexp_f32 v28, v26, 1
	v_mul_f32_e32 v26, v26, v27
	v_mul_f32_e32 v26, v26, v29
	v_add_f32_e32 v27, v28, v26
	v_sub_f32_e32 v28, v27, v28
	v_ldexp_f32 v21, v21, 1
	v_sub_f32_e32 v26, v26, v28
	v_add_f32_e32 v21, v21, v26
	v_add_f32_e32 v26, v27, v21
	v_sub_f32_e32 v27, v26, v27
	v_sub_f32_e32 v21, v21, v27
	v_add_f32_e32 v27, v22, v26
	v_sub_f32_e32 v28, v27, v22
	v_sub_f32_e32 v29, v27, v28
	;; [unrolled: 1-line block ×5, first 2 shown]
	v_add_f32_e32 v22, v26, v22
	v_add_f32_e32 v26, v25, v21
	v_sub_f32_e32 v28, v26, v25
	v_sub_f32_e32 v29, v26, v28
	;; [unrolled: 1-line block ×4, first 2 shown]
	v_add_f32_e32 v22, v26, v22
	v_add_f32_e32 v21, v21, v25
	;; [unrolled: 1-line block ×3, first 2 shown]
	v_sub_f32_e32 v26, v25, v27
	v_sub_f32_e32 v22, v22, v26
	v_add_f32_e32 v21, v21, v22
	v_add_f32_e32 v21, v25, v21
	v_cmp_neq_f32_e32 vcc, s10, v24
	s_mov_b32 s10, 0x33800000
	v_cndmask_b32_e32 v21, v23, v21, vcc
	v_cmp_lt_f32_e64 vcc, |v24|, s10
	v_cndmask_b32_e32 v21, v21, v24, vcc
	v_add_f32_e32 v21, v18, v21
.LBB507_278:
	s_or_b64 exec, exec, s[4:5]
	v_bfe_u32 v18, v21, 16, 1
	v_add3_u32 v18, v21, v18, s11
	v_and_b32_e32 v18, 0xffff0000, v18
	v_cmp_o_f32_e32 vcc, v21, v21
	v_cndmask_b32_e32 v23, v17, v18, vcc
	v_mov_b32_e32 v17, 16
	v_lshlrev_b32_sdwa v10, v17, v10 dst_sel:DWORD dst_unused:UNUSED_PAD src0_sel:DWORD src1_sel:WORD_1
	v_max_f32_e32 v21, v23, v23
	v_max_f32_e32 v18, v10, v10
	v_min_f32_e32 v22, v21, v18
	v_cmp_u_f32_e32 vcc, v23, v23
	v_max_f32_e32 v21, v21, v18
	v_cndmask_b32_e32 v22, v22, v23, vcc
	v_cmp_u_f32_e64 s[10:11], v10, v10
	v_cndmask_b32_e32 v21, v21, v23, vcc
	v_cndmask_b32_e64 v22, v22, v10, s[10:11]
	v_cndmask_b32_e64 v21, v21, v10, s[10:11]
	s_movk_i32 s14, 0x1f8
	v_cmp_neq_f32_e32 vcc, v22, v21
	v_cmp_class_f32_e64 s[4:5], v22, s14
	s_or_b64 s[12:13], vcc, s[4:5]
	s_and_saveexec_b64 s[4:5], s[12:13]
	s_cbranch_execz .LBB507_280
; %bb.279:
	v_sub_f32_e32 v22, v22, v21
	s_mov_b32 s12, 0x3fb8aa3b
	v_mul_f32_e32 v23, 0x3fb8aa3b, v22
	v_fma_f32 v24, v22, s12, -v23
	v_rndne_f32_e32 v25, v23
	v_fmac_f32_e32 v24, 0x32a5705f, v22
	v_sub_f32_e32 v23, v23, v25
	v_add_f32_e32 v23, v23, v24
	v_exp_f32_e32 v23, v23
	v_cvt_i32_f32_e32 v24, v25
	s_mov_b32 s12, 0xc2ce8ed0
	v_cmp_ngt_f32_e32 vcc, s12, v22
	s_mov_b32 s12, 0x42b17218
	v_ldexp_f32 v23, v23, v24
	v_cndmask_b32_e32 v23, 0, v23, vcc
	v_mov_b32_e32 v24, 0x7f800000
	v_cmp_nlt_f32_e32 vcc, s12, v22
	v_cndmask_b32_e32 v25, v24, v23, vcc
	v_add_f32_e32 v26, 1.0, v25
	v_cvt_f64_f32_e32 v[22:23], v26
	v_add_f32_e32 v27, -1.0, v26
	v_sub_f32_e32 v28, v27, v26
	v_sub_f32_e32 v27, v25, v27
	v_frexp_exp_i32_f64_e32 v22, v[22:23]
	v_add_f32_e32 v23, 1.0, v28
	v_add_f32_e32 v23, v27, v23
	v_frexp_mant_f32_e32 v27, v26
	s_mov_b32 s13, 0x3f2aaaab
	v_cmp_gt_f32_e32 vcc, s13, v27
	s_mov_b32 s13, 0x3f317218
	s_mov_b32 s12, 0x7f800000
	v_subbrev_co_u32_e32 v22, vcc, 0, v22, vcc
	v_sub_u32_e32 v27, 0, v22
	v_ldexp_f32 v26, v26, v27
	v_ldexp_f32 v23, v23, v27
	v_add_f32_e32 v27, -1.0, v26
	v_add_f32_e32 v30, 1.0, v26
	v_add_f32_e32 v28, 1.0, v27
	v_add_f32_e32 v31, -1.0, v30
	v_sub_f32_e32 v28, v26, v28
	v_sub_f32_e32 v26, v26, v31
	v_add_f32_e32 v28, v23, v28
	v_add_f32_e32 v23, v23, v26
	;; [unrolled: 1-line block ×3, first 2 shown]
	v_rcp_f32_e32 v31, v26
	v_add_f32_e32 v29, v27, v28
	v_sub_f32_e32 v27, v27, v29
	v_add_f32_e32 v27, v28, v27
	v_sub_f32_e32 v28, v30, v26
	v_add_f32_e32 v23, v23, v28
	v_mul_f32_e32 v28, v29, v31
	v_mul_f32_e32 v30, v26, v28
	v_fma_f32 v32, v28, v26, -v30
	v_fmac_f32_e32 v32, v28, v23
	v_add_f32_e32 v33, v30, v32
	v_sub_f32_e32 v34, v29, v33
	v_sub_f32_e32 v29, v29, v34
	;; [unrolled: 1-line block ×4, first 2 shown]
	v_add_f32_e32 v27, v27, v29
	v_sub_f32_e32 v29, v30, v32
	v_add_f32_e32 v27, v29, v27
	v_add_f32_e32 v29, v34, v27
	v_mul_f32_e32 v30, v31, v29
	v_mul_f32_e32 v32, v26, v30
	v_fma_f32 v26, v30, v26, -v32
	v_fmac_f32_e32 v26, v30, v23
	v_sub_f32_e32 v23, v34, v29
	v_add_f32_e32 v23, v27, v23
	v_add_f32_e32 v27, v32, v26
	v_sub_f32_e32 v33, v29, v27
	v_sub_f32_e32 v29, v29, v33
	;; [unrolled: 1-line block ×4, first 2 shown]
	v_add_f32_e32 v23, v23, v27
	v_sub_f32_e32 v26, v32, v26
	v_add_f32_e32 v23, v26, v23
	v_add_f32_e32 v26, v28, v30
	;; [unrolled: 1-line block ×3, first 2 shown]
	v_sub_f32_e32 v27, v26, v28
	v_mul_f32_e32 v23, v31, v23
	v_sub_f32_e32 v27, v30, v27
	v_add_f32_e32 v23, v27, v23
	v_cvt_f32_i32_e32 v22, v22
	v_add_f32_e32 v27, v26, v23
	v_mul_f32_e32 v28, v27, v27
	v_mov_b32_e32 v29, 0x3ecc95a3
	v_fmac_f32_e32 v29, 0x3e9b6dac, v28
	v_mov_b32_e32 v30, 0x3f2aaada
	v_fmac_f32_e32 v30, v28, v29
	v_mul_f32_e32 v29, 0x3f317218, v22
	v_fma_f32 v31, v22, s13, -v29
	v_fmac_f32_e32 v31, 0xb102e308, v22
	v_sub_f32_e32 v22, v27, v26
	v_sub_f32_e32 v22, v23, v22
	v_add_f32_e32 v23, v29, v31
	v_sub_f32_e32 v26, v23, v29
	v_ldexp_f32 v29, v27, 1
	v_mul_f32_e32 v27, v27, v28
	v_mul_f32_e32 v27, v27, v30
	v_add_f32_e32 v28, v29, v27
	v_sub_f32_e32 v29, v28, v29
	v_ldexp_f32 v22, v22, 1
	v_sub_f32_e32 v27, v27, v29
	v_add_f32_e32 v22, v22, v27
	v_add_f32_e32 v27, v28, v22
	v_sub_f32_e32 v28, v27, v28
	v_sub_f32_e32 v22, v22, v28
	v_add_f32_e32 v28, v23, v27
	v_sub_f32_e32 v29, v28, v23
	v_sub_f32_e32 v30, v28, v29
	;; [unrolled: 1-line block ×5, first 2 shown]
	v_add_f32_e32 v23, v27, v23
	v_add_f32_e32 v27, v26, v22
	v_sub_f32_e32 v29, v27, v26
	v_sub_f32_e32 v30, v27, v29
	;; [unrolled: 1-line block ×4, first 2 shown]
	v_add_f32_e32 v23, v27, v23
	v_add_f32_e32 v22, v22, v26
	;; [unrolled: 1-line block ×3, first 2 shown]
	v_sub_f32_e32 v27, v26, v28
	v_sub_f32_e32 v23, v23, v27
	v_add_f32_e32 v22, v22, v23
	v_add_f32_e32 v22, v26, v22
	v_cmp_neq_f32_e32 vcc, s12, v25
	s_mov_b32 s12, 0x33800000
	v_cndmask_b32_e32 v22, v24, v22, vcc
	v_cmp_lt_f32_e64 vcc, |v25|, s12
	v_cndmask_b32_e32 v22, v22, v25, vcc
	v_add_f32_e32 v23, v21, v22
.LBB507_280:
	s_or_b64 exec, exec, s[4:5]
	v_bfe_u32 v21, v23, 16, 1
	s_movk_i32 s15, 0x7fff
	v_add3_u32 v21, v23, v21, s15
	v_and_b32_e32 v21, 0xffff0000, v21
	v_mov_b32_e32 v22, 0x7fc00000
	v_cmp_o_f32_e32 vcc, v23, v23
	v_cndmask_b32_e32 v24, v22, v21, vcc
	v_lshlrev_b32_sdwa v17, v17, v11 dst_sel:DWORD dst_unused:UNUSED_PAD src0_sel:DWORD src1_sel:WORD_0
	v_max_f32_e32 v23, v24, v24
	v_max_f32_e32 v21, v17, v17
	v_min_f32_e32 v25, v23, v21
	v_cmp_u_f32_e32 vcc, v24, v24
	v_max_f32_e32 v23, v23, v21
	v_cndmask_b32_e32 v25, v25, v24, vcc
	v_cmp_u_f32_e64 s[12:13], v17, v17
	v_cndmask_b32_e32 v23, v23, v24, vcc
	v_cndmask_b32_e64 v25, v25, v17, s[12:13]
	v_cndmask_b32_e64 v23, v23, v17, s[12:13]
	v_cmp_neq_f32_e32 vcc, v25, v23
	v_cmp_class_f32_e64 s[4:5], v25, s14
	s_or_b64 s[16:17], vcc, s[4:5]
	s_and_saveexec_b64 s[4:5], s[16:17]
	s_cbranch_execz .LBB507_282
; %bb.281:
	v_sub_f32_e32 v24, v25, v23
	s_mov_b32 s14, 0x3fb8aa3b
	v_mul_f32_e32 v25, 0x3fb8aa3b, v24
	v_fma_f32 v26, v24, s14, -v25
	v_rndne_f32_e32 v27, v25
	v_fmac_f32_e32 v26, 0x32a5705f, v24
	v_sub_f32_e32 v25, v25, v27
	v_add_f32_e32 v25, v25, v26
	v_exp_f32_e32 v25, v25
	v_cvt_i32_f32_e32 v26, v27
	s_mov_b32 s14, 0xc2ce8ed0
	v_cmp_ngt_f32_e32 vcc, s14, v24
	s_mov_b32 s14, 0x42b17218
	v_ldexp_f32 v25, v25, v26
	v_cndmask_b32_e32 v25, 0, v25, vcc
	v_mov_b32_e32 v26, 0x7f800000
	v_cmp_nlt_f32_e32 vcc, s14, v24
	v_cndmask_b32_e32 v27, v26, v25, vcc
	v_add_f32_e32 v28, 1.0, v27
	v_cvt_f64_f32_e32 v[24:25], v28
	v_add_f32_e32 v29, -1.0, v28
	v_sub_f32_e32 v30, v29, v28
	v_sub_f32_e32 v29, v27, v29
	v_frexp_exp_i32_f64_e32 v24, v[24:25]
	v_add_f32_e32 v25, 1.0, v30
	v_add_f32_e32 v25, v29, v25
	v_frexp_mant_f32_e32 v29, v28
	s_mov_b32 s16, 0x3f2aaaab
	v_cmp_gt_f32_e32 vcc, s16, v29
	s_mov_b32 s16, 0x3f317218
	s_mov_b32 s14, 0x7f800000
	v_subbrev_co_u32_e32 v24, vcc, 0, v24, vcc
	v_sub_u32_e32 v29, 0, v24
	v_ldexp_f32 v28, v28, v29
	v_ldexp_f32 v25, v25, v29
	v_add_f32_e32 v29, -1.0, v28
	v_add_f32_e32 v32, 1.0, v28
	v_add_f32_e32 v30, 1.0, v29
	v_add_f32_e32 v33, -1.0, v32
	v_sub_f32_e32 v30, v28, v30
	v_sub_f32_e32 v28, v28, v33
	v_add_f32_e32 v30, v25, v30
	v_add_f32_e32 v25, v25, v28
	;; [unrolled: 1-line block ×3, first 2 shown]
	v_rcp_f32_e32 v33, v28
	v_add_f32_e32 v31, v29, v30
	v_sub_f32_e32 v29, v29, v31
	v_add_f32_e32 v29, v30, v29
	v_sub_f32_e32 v30, v32, v28
	v_add_f32_e32 v25, v25, v30
	v_mul_f32_e32 v30, v31, v33
	v_mul_f32_e32 v32, v28, v30
	v_fma_f32 v34, v30, v28, -v32
	v_fmac_f32_e32 v34, v30, v25
	v_add_f32_e32 v35, v32, v34
	v_sub_f32_e32 v36, v31, v35
	v_sub_f32_e32 v31, v31, v36
	;; [unrolled: 1-line block ×4, first 2 shown]
	v_add_f32_e32 v29, v29, v31
	v_sub_f32_e32 v31, v32, v34
	v_add_f32_e32 v29, v31, v29
	v_add_f32_e32 v31, v36, v29
	v_mul_f32_e32 v32, v33, v31
	v_mul_f32_e32 v34, v28, v32
	v_fma_f32 v28, v32, v28, -v34
	v_fmac_f32_e32 v28, v32, v25
	v_sub_f32_e32 v25, v36, v31
	v_add_f32_e32 v25, v29, v25
	v_add_f32_e32 v29, v34, v28
	v_sub_f32_e32 v35, v31, v29
	v_sub_f32_e32 v31, v31, v35
	;; [unrolled: 1-line block ×4, first 2 shown]
	v_add_f32_e32 v25, v25, v29
	v_sub_f32_e32 v28, v34, v28
	v_add_f32_e32 v25, v28, v25
	v_add_f32_e32 v28, v30, v32
	;; [unrolled: 1-line block ×3, first 2 shown]
	v_sub_f32_e32 v29, v28, v30
	v_mul_f32_e32 v25, v33, v25
	v_sub_f32_e32 v29, v32, v29
	v_add_f32_e32 v25, v29, v25
	v_cvt_f32_i32_e32 v24, v24
	v_add_f32_e32 v29, v28, v25
	v_mul_f32_e32 v30, v29, v29
	v_mov_b32_e32 v31, 0x3ecc95a3
	v_fmac_f32_e32 v31, 0x3e9b6dac, v30
	v_mov_b32_e32 v32, 0x3f2aaada
	v_fmac_f32_e32 v32, v30, v31
	v_mul_f32_e32 v31, 0x3f317218, v24
	v_fma_f32 v33, v24, s16, -v31
	v_fmac_f32_e32 v33, 0xb102e308, v24
	v_sub_f32_e32 v24, v29, v28
	v_sub_f32_e32 v24, v25, v24
	v_add_f32_e32 v25, v31, v33
	v_sub_f32_e32 v28, v25, v31
	v_ldexp_f32 v31, v29, 1
	v_mul_f32_e32 v29, v29, v30
	v_mul_f32_e32 v29, v29, v32
	v_add_f32_e32 v30, v31, v29
	v_sub_f32_e32 v31, v30, v31
	v_ldexp_f32 v24, v24, 1
	v_sub_f32_e32 v29, v29, v31
	v_add_f32_e32 v24, v24, v29
	v_add_f32_e32 v29, v30, v24
	v_sub_f32_e32 v30, v29, v30
	v_sub_f32_e32 v24, v24, v30
	v_add_f32_e32 v30, v25, v29
	v_sub_f32_e32 v31, v30, v25
	v_sub_f32_e32 v32, v30, v31
	;; [unrolled: 1-line block ×5, first 2 shown]
	v_add_f32_e32 v25, v29, v25
	v_add_f32_e32 v29, v28, v24
	v_sub_f32_e32 v31, v29, v28
	v_sub_f32_e32 v32, v29, v31
	;; [unrolled: 1-line block ×4, first 2 shown]
	v_add_f32_e32 v25, v29, v25
	v_add_f32_e32 v24, v24, v28
	;; [unrolled: 1-line block ×3, first 2 shown]
	v_sub_f32_e32 v29, v28, v30
	v_sub_f32_e32 v25, v25, v29
	v_add_f32_e32 v24, v24, v25
	v_add_f32_e32 v24, v28, v24
	v_cmp_neq_f32_e32 vcc, s14, v27
	s_mov_b32 s14, 0x33800000
	v_cndmask_b32_e32 v24, v26, v24, vcc
	v_cmp_lt_f32_e64 vcc, |v27|, s14
	v_cndmask_b32_e32 v24, v24, v27, vcc
	v_add_f32_e32 v24, v23, v24
.LBB507_282:
	s_or_b64 exec, exec, s[4:5]
	v_bfe_u32 v23, v24, 16, 1
	v_add3_u32 v23, v24, v23, s15
	v_and_b32_e32 v23, 0xffff0000, v23
	v_cmp_o_f32_e32 vcc, v24, v24
	v_cndmask_b32_e32 v26, v22, v23, vcc
	v_mov_b32_e32 v22, 16
	v_lshlrev_b32_sdwa v11, v22, v11 dst_sel:DWORD dst_unused:UNUSED_PAD src0_sel:DWORD src1_sel:WORD_1
	v_max_f32_e32 v24, v26, v26
	v_max_f32_e32 v23, v11, v11
	v_min_f32_e32 v25, v24, v23
	v_cmp_u_f32_e32 vcc, v26, v26
	v_max_f32_e32 v24, v24, v23
	v_cndmask_b32_e32 v25, v25, v26, vcc
	v_cmp_u_f32_e64 s[14:15], v11, v11
	v_cndmask_b32_e32 v24, v24, v26, vcc
	v_cndmask_b32_e64 v25, v25, v11, s[14:15]
	v_cndmask_b32_e64 v24, v24, v11, s[14:15]
	s_movk_i32 s18, 0x1f8
	v_cmp_neq_f32_e32 vcc, v25, v24
	v_cmp_class_f32_e64 s[4:5], v25, s18
	s_or_b64 s[16:17], vcc, s[4:5]
	s_and_saveexec_b64 s[4:5], s[16:17]
	s_cbranch_execz .LBB507_284
; %bb.283:
	v_sub_f32_e32 v25, v25, v24
	s_mov_b32 s16, 0x3fb8aa3b
	v_mul_f32_e32 v26, 0x3fb8aa3b, v25
	v_fma_f32 v27, v25, s16, -v26
	v_rndne_f32_e32 v28, v26
	v_fmac_f32_e32 v27, 0x32a5705f, v25
	v_sub_f32_e32 v26, v26, v28
	v_add_f32_e32 v26, v26, v27
	v_exp_f32_e32 v26, v26
	v_cvt_i32_f32_e32 v27, v28
	s_mov_b32 s16, 0xc2ce8ed0
	v_cmp_ngt_f32_e32 vcc, s16, v25
	s_mov_b32 s16, 0x42b17218
	v_ldexp_f32 v26, v26, v27
	v_cndmask_b32_e32 v26, 0, v26, vcc
	v_mov_b32_e32 v27, 0x7f800000
	v_cmp_nlt_f32_e32 vcc, s16, v25
	v_cndmask_b32_e32 v28, v27, v26, vcc
	v_add_f32_e32 v29, 1.0, v28
	v_cvt_f64_f32_e32 v[25:26], v29
	v_add_f32_e32 v30, -1.0, v29
	v_sub_f32_e32 v31, v30, v29
	v_sub_f32_e32 v30, v28, v30
	v_frexp_exp_i32_f64_e32 v25, v[25:26]
	v_add_f32_e32 v26, 1.0, v31
	v_add_f32_e32 v26, v30, v26
	v_frexp_mant_f32_e32 v30, v29
	s_mov_b32 s17, 0x3f2aaaab
	v_cmp_gt_f32_e32 vcc, s17, v30
	s_mov_b32 s17, 0x3f317218
	s_mov_b32 s16, 0x7f800000
	v_subbrev_co_u32_e32 v25, vcc, 0, v25, vcc
	v_sub_u32_e32 v30, 0, v25
	v_ldexp_f32 v29, v29, v30
	v_ldexp_f32 v26, v26, v30
	v_add_f32_e32 v30, -1.0, v29
	v_add_f32_e32 v33, 1.0, v29
	v_add_f32_e32 v31, 1.0, v30
	v_add_f32_e32 v34, -1.0, v33
	v_sub_f32_e32 v31, v29, v31
	v_sub_f32_e32 v29, v29, v34
	v_add_f32_e32 v31, v26, v31
	v_add_f32_e32 v26, v26, v29
	;; [unrolled: 1-line block ×3, first 2 shown]
	v_rcp_f32_e32 v34, v29
	v_add_f32_e32 v32, v30, v31
	v_sub_f32_e32 v30, v30, v32
	v_add_f32_e32 v30, v31, v30
	v_sub_f32_e32 v31, v33, v29
	v_add_f32_e32 v26, v26, v31
	v_mul_f32_e32 v31, v32, v34
	v_mul_f32_e32 v33, v29, v31
	v_fma_f32 v35, v31, v29, -v33
	v_fmac_f32_e32 v35, v31, v26
	v_add_f32_e32 v36, v33, v35
	v_sub_f32_e32 v37, v32, v36
	v_sub_f32_e32 v32, v32, v37
	;; [unrolled: 1-line block ×4, first 2 shown]
	v_add_f32_e32 v30, v30, v32
	v_sub_f32_e32 v32, v33, v35
	v_add_f32_e32 v30, v32, v30
	v_add_f32_e32 v32, v37, v30
	v_mul_f32_e32 v33, v34, v32
	v_mul_f32_e32 v35, v29, v33
	v_fma_f32 v29, v33, v29, -v35
	v_fmac_f32_e32 v29, v33, v26
	v_sub_f32_e32 v26, v37, v32
	v_add_f32_e32 v26, v30, v26
	v_add_f32_e32 v30, v35, v29
	v_sub_f32_e32 v36, v32, v30
	v_sub_f32_e32 v32, v32, v36
	;; [unrolled: 1-line block ×4, first 2 shown]
	v_add_f32_e32 v26, v26, v30
	v_sub_f32_e32 v29, v35, v29
	v_add_f32_e32 v26, v29, v26
	v_add_f32_e32 v29, v31, v33
	;; [unrolled: 1-line block ×3, first 2 shown]
	v_sub_f32_e32 v30, v29, v31
	v_mul_f32_e32 v26, v34, v26
	v_sub_f32_e32 v30, v33, v30
	v_add_f32_e32 v26, v30, v26
	v_cvt_f32_i32_e32 v25, v25
	v_add_f32_e32 v30, v29, v26
	v_mul_f32_e32 v31, v30, v30
	v_mov_b32_e32 v32, 0x3ecc95a3
	v_fmac_f32_e32 v32, 0x3e9b6dac, v31
	v_mov_b32_e32 v33, 0x3f2aaada
	v_fmac_f32_e32 v33, v31, v32
	v_mul_f32_e32 v32, 0x3f317218, v25
	v_fma_f32 v34, v25, s17, -v32
	v_fmac_f32_e32 v34, 0xb102e308, v25
	v_sub_f32_e32 v25, v30, v29
	v_sub_f32_e32 v25, v26, v25
	v_add_f32_e32 v26, v32, v34
	v_sub_f32_e32 v29, v26, v32
	v_ldexp_f32 v32, v30, 1
	v_mul_f32_e32 v30, v30, v31
	v_mul_f32_e32 v30, v30, v33
	v_add_f32_e32 v31, v32, v30
	v_sub_f32_e32 v32, v31, v32
	v_ldexp_f32 v25, v25, 1
	v_sub_f32_e32 v30, v30, v32
	v_add_f32_e32 v25, v25, v30
	v_add_f32_e32 v30, v31, v25
	v_sub_f32_e32 v31, v30, v31
	v_sub_f32_e32 v25, v25, v31
	v_add_f32_e32 v31, v26, v30
	v_sub_f32_e32 v32, v31, v26
	v_sub_f32_e32 v33, v31, v32
	;; [unrolled: 1-line block ×5, first 2 shown]
	v_add_f32_e32 v26, v30, v26
	v_add_f32_e32 v30, v29, v25
	v_sub_f32_e32 v32, v30, v29
	v_sub_f32_e32 v33, v30, v32
	;; [unrolled: 1-line block ×4, first 2 shown]
	v_add_f32_e32 v26, v30, v26
	v_add_f32_e32 v25, v25, v29
	;; [unrolled: 1-line block ×3, first 2 shown]
	v_sub_f32_e32 v30, v29, v31
	v_sub_f32_e32 v26, v26, v30
	v_add_f32_e32 v25, v25, v26
	v_add_f32_e32 v25, v29, v25
	v_cmp_neq_f32_e32 vcc, s16, v28
	s_mov_b32 s16, 0x33800000
	v_cndmask_b32_e32 v25, v27, v25, vcc
	v_cmp_lt_f32_e64 vcc, |v28|, s16
	v_cndmask_b32_e32 v25, v25, v28, vcc
	v_add_f32_e32 v26, v24, v25
.LBB507_284:
	s_or_b64 exec, exec, s[4:5]
	v_bfe_u32 v24, v26, 16, 1
	s_movk_i32 s19, 0x7fff
	v_add3_u32 v24, v26, v24, s19
	v_and_b32_e32 v24, 0xffff0000, v24
	v_mov_b32_e32 v25, 0x7fc00000
	v_cmp_o_f32_e32 vcc, v26, v26
	v_cndmask_b32_e32 v27, v25, v24, vcc
	v_lshlrev_b32_sdwa v22, v22, v12 dst_sel:DWORD dst_unused:UNUSED_PAD src0_sel:DWORD src1_sel:WORD_0
	v_max_f32_e32 v26, v27, v27
	v_max_f32_e32 v24, v22, v22
	v_min_f32_e32 v28, v26, v24
	v_cmp_u_f32_e32 vcc, v27, v27
	v_max_f32_e32 v26, v26, v24
	v_cndmask_b32_e32 v28, v28, v27, vcc
	v_cmp_u_f32_e64 s[16:17], v22, v22
	v_cndmask_b32_e32 v26, v26, v27, vcc
	v_cndmask_b32_e64 v28, v28, v22, s[16:17]
	v_cndmask_b32_e64 v26, v26, v22, s[16:17]
	v_cmp_neq_f32_e32 vcc, v28, v26
	v_cmp_class_f32_e64 s[4:5], v28, s18
	s_or_b64 s[20:21], vcc, s[4:5]
	s_and_saveexec_b64 s[4:5], s[20:21]
	s_cbranch_execz .LBB507_286
; %bb.285:
	v_sub_f32_e32 v27, v28, v26
	s_mov_b32 s18, 0x3fb8aa3b
	v_mul_f32_e32 v28, 0x3fb8aa3b, v27
	v_fma_f32 v29, v27, s18, -v28
	v_rndne_f32_e32 v30, v28
	v_fmac_f32_e32 v29, 0x32a5705f, v27
	v_sub_f32_e32 v28, v28, v30
	v_add_f32_e32 v28, v28, v29
	v_exp_f32_e32 v28, v28
	v_cvt_i32_f32_e32 v29, v30
	s_mov_b32 s18, 0xc2ce8ed0
	v_cmp_ngt_f32_e32 vcc, s18, v27
	s_mov_b32 s18, 0x42b17218
	v_ldexp_f32 v28, v28, v29
	v_cndmask_b32_e32 v28, 0, v28, vcc
	v_mov_b32_e32 v29, 0x7f800000
	v_cmp_nlt_f32_e32 vcc, s18, v27
	v_cndmask_b32_e32 v30, v29, v28, vcc
	v_add_f32_e32 v31, 1.0, v30
	v_cvt_f64_f32_e32 v[27:28], v31
	v_add_f32_e32 v32, -1.0, v31
	v_sub_f32_e32 v33, v32, v31
	v_sub_f32_e32 v32, v30, v32
	v_frexp_exp_i32_f64_e32 v27, v[27:28]
	v_add_f32_e32 v28, 1.0, v33
	v_add_f32_e32 v28, v32, v28
	v_frexp_mant_f32_e32 v32, v31
	s_mov_b32 s20, 0x3f2aaaab
	v_cmp_gt_f32_e32 vcc, s20, v32
	s_mov_b32 s20, 0x3f317218
	s_mov_b32 s18, 0x7f800000
	v_subbrev_co_u32_e32 v27, vcc, 0, v27, vcc
	v_sub_u32_e32 v32, 0, v27
	v_ldexp_f32 v31, v31, v32
	v_ldexp_f32 v28, v28, v32
	v_add_f32_e32 v32, -1.0, v31
	v_add_f32_e32 v35, 1.0, v31
	v_add_f32_e32 v33, 1.0, v32
	v_add_f32_e32 v36, -1.0, v35
	v_sub_f32_e32 v33, v31, v33
	v_sub_f32_e32 v31, v31, v36
	v_add_f32_e32 v33, v28, v33
	v_add_f32_e32 v28, v28, v31
	;; [unrolled: 1-line block ×3, first 2 shown]
	v_rcp_f32_e32 v36, v31
	v_add_f32_e32 v34, v32, v33
	v_sub_f32_e32 v32, v32, v34
	v_add_f32_e32 v32, v33, v32
	v_sub_f32_e32 v33, v35, v31
	v_add_f32_e32 v28, v28, v33
	v_mul_f32_e32 v33, v34, v36
	v_mul_f32_e32 v35, v31, v33
	v_fma_f32 v37, v33, v31, -v35
	v_fmac_f32_e32 v37, v33, v28
	v_add_f32_e32 v38, v35, v37
	v_sub_f32_e32 v39, v34, v38
	v_sub_f32_e32 v34, v34, v39
	;; [unrolled: 1-line block ×4, first 2 shown]
	v_add_f32_e32 v32, v32, v34
	v_sub_f32_e32 v34, v35, v37
	v_add_f32_e32 v32, v34, v32
	v_add_f32_e32 v34, v39, v32
	v_mul_f32_e32 v35, v36, v34
	v_mul_f32_e32 v37, v31, v35
	v_fma_f32 v31, v35, v31, -v37
	v_fmac_f32_e32 v31, v35, v28
	v_sub_f32_e32 v28, v39, v34
	v_add_f32_e32 v28, v32, v28
	v_add_f32_e32 v32, v37, v31
	v_sub_f32_e32 v38, v34, v32
	v_sub_f32_e32 v34, v34, v38
	;; [unrolled: 1-line block ×4, first 2 shown]
	v_add_f32_e32 v28, v28, v32
	v_sub_f32_e32 v31, v37, v31
	v_add_f32_e32 v28, v31, v28
	v_add_f32_e32 v31, v33, v35
	;; [unrolled: 1-line block ×3, first 2 shown]
	v_sub_f32_e32 v32, v31, v33
	v_mul_f32_e32 v28, v36, v28
	v_sub_f32_e32 v32, v35, v32
	v_add_f32_e32 v28, v32, v28
	v_cvt_f32_i32_e32 v27, v27
	v_add_f32_e32 v32, v31, v28
	v_mul_f32_e32 v33, v32, v32
	v_mov_b32_e32 v34, 0x3ecc95a3
	v_fmac_f32_e32 v34, 0x3e9b6dac, v33
	v_mov_b32_e32 v35, 0x3f2aaada
	v_fmac_f32_e32 v35, v33, v34
	v_mul_f32_e32 v34, 0x3f317218, v27
	v_fma_f32 v36, v27, s20, -v34
	v_fmac_f32_e32 v36, 0xb102e308, v27
	v_sub_f32_e32 v27, v32, v31
	v_sub_f32_e32 v27, v28, v27
	v_add_f32_e32 v28, v34, v36
	v_sub_f32_e32 v31, v28, v34
	v_ldexp_f32 v34, v32, 1
	v_mul_f32_e32 v32, v32, v33
	v_mul_f32_e32 v32, v32, v35
	v_add_f32_e32 v33, v34, v32
	v_sub_f32_e32 v34, v33, v34
	v_ldexp_f32 v27, v27, 1
	v_sub_f32_e32 v32, v32, v34
	v_add_f32_e32 v27, v27, v32
	v_add_f32_e32 v32, v33, v27
	v_sub_f32_e32 v33, v32, v33
	v_sub_f32_e32 v27, v27, v33
	v_add_f32_e32 v33, v28, v32
	v_sub_f32_e32 v34, v33, v28
	v_sub_f32_e32 v35, v33, v34
	;; [unrolled: 1-line block ×5, first 2 shown]
	v_add_f32_e32 v28, v32, v28
	v_add_f32_e32 v32, v31, v27
	v_sub_f32_e32 v34, v32, v31
	v_sub_f32_e32 v35, v32, v34
	;; [unrolled: 1-line block ×4, first 2 shown]
	v_add_f32_e32 v28, v32, v28
	v_add_f32_e32 v27, v27, v31
	;; [unrolled: 1-line block ×3, first 2 shown]
	v_sub_f32_e32 v32, v31, v33
	v_sub_f32_e32 v28, v28, v32
	v_add_f32_e32 v27, v27, v28
	v_add_f32_e32 v27, v31, v27
	v_cmp_neq_f32_e32 vcc, s18, v30
	s_mov_b32 s18, 0x33800000
	v_cndmask_b32_e32 v27, v29, v27, vcc
	v_cmp_lt_f32_e64 vcc, |v30|, s18
	v_cndmask_b32_e32 v27, v27, v30, vcc
	v_add_f32_e32 v27, v26, v27
.LBB507_286:
	s_or_b64 exec, exec, s[4:5]
	v_bfe_u32 v26, v27, 16, 1
	v_add3_u32 v26, v27, v26, s19
	v_and_b32_e32 v26, 0xffff0000, v26
	v_cmp_o_f32_e32 vcc, v27, v27
	v_cndmask_b32_e32 v29, v25, v26, vcc
	v_mov_b32_e32 v25, 16
	v_lshlrev_b32_sdwa v12, v25, v12 dst_sel:DWORD dst_unused:UNUSED_PAD src0_sel:DWORD src1_sel:WORD_1
	v_max_f32_e32 v27, v29, v29
	v_max_f32_e32 v26, v12, v12
	v_min_f32_e32 v28, v27, v26
	v_cmp_u_f32_e32 vcc, v29, v29
	v_max_f32_e32 v27, v27, v26
	v_cndmask_b32_e32 v28, v28, v29, vcc
	v_cmp_u_f32_e64 s[18:19], v12, v12
	v_cndmask_b32_e32 v27, v27, v29, vcc
	v_cndmask_b32_e64 v28, v28, v12, s[18:19]
	v_cndmask_b32_e64 v27, v27, v12, s[18:19]
	s_movk_i32 s22, 0x1f8
	v_cmp_neq_f32_e32 vcc, v28, v27
	v_cmp_class_f32_e64 s[4:5], v28, s22
	s_or_b64 s[20:21], vcc, s[4:5]
	s_and_saveexec_b64 s[4:5], s[20:21]
	s_cbranch_execz .LBB507_288
; %bb.287:
	v_sub_f32_e32 v28, v28, v27
	s_mov_b32 s20, 0x3fb8aa3b
	v_mul_f32_e32 v29, 0x3fb8aa3b, v28
	v_fma_f32 v30, v28, s20, -v29
	v_rndne_f32_e32 v31, v29
	v_fmac_f32_e32 v30, 0x32a5705f, v28
	v_sub_f32_e32 v29, v29, v31
	v_add_f32_e32 v29, v29, v30
	v_exp_f32_e32 v29, v29
	v_cvt_i32_f32_e32 v30, v31
	s_mov_b32 s20, 0xc2ce8ed0
	v_cmp_ngt_f32_e32 vcc, s20, v28
	s_mov_b32 s20, 0x42b17218
	v_ldexp_f32 v29, v29, v30
	v_cndmask_b32_e32 v29, 0, v29, vcc
	v_mov_b32_e32 v30, 0x7f800000
	v_cmp_nlt_f32_e32 vcc, s20, v28
	v_cndmask_b32_e32 v31, v30, v29, vcc
	v_add_f32_e32 v32, 1.0, v31
	v_cvt_f64_f32_e32 v[28:29], v32
	v_add_f32_e32 v33, -1.0, v32
	v_sub_f32_e32 v34, v33, v32
	v_sub_f32_e32 v33, v31, v33
	v_frexp_exp_i32_f64_e32 v28, v[28:29]
	v_add_f32_e32 v29, 1.0, v34
	v_add_f32_e32 v29, v33, v29
	v_frexp_mant_f32_e32 v33, v32
	s_mov_b32 s21, 0x3f2aaaab
	v_cmp_gt_f32_e32 vcc, s21, v33
	s_mov_b32 s21, 0x3f317218
	s_mov_b32 s20, 0x7f800000
	v_subbrev_co_u32_e32 v28, vcc, 0, v28, vcc
	v_sub_u32_e32 v33, 0, v28
	v_ldexp_f32 v32, v32, v33
	v_ldexp_f32 v29, v29, v33
	v_add_f32_e32 v33, -1.0, v32
	v_add_f32_e32 v36, 1.0, v32
	v_add_f32_e32 v34, 1.0, v33
	v_add_f32_e32 v37, -1.0, v36
	v_sub_f32_e32 v34, v32, v34
	v_sub_f32_e32 v32, v32, v37
	v_add_f32_e32 v34, v29, v34
	v_add_f32_e32 v29, v29, v32
	;; [unrolled: 1-line block ×3, first 2 shown]
	v_rcp_f32_e32 v37, v32
	v_add_f32_e32 v35, v33, v34
	v_sub_f32_e32 v33, v33, v35
	v_add_f32_e32 v33, v34, v33
	v_sub_f32_e32 v34, v36, v32
	v_add_f32_e32 v29, v29, v34
	v_mul_f32_e32 v34, v35, v37
	v_mul_f32_e32 v36, v32, v34
	v_fma_f32 v38, v34, v32, -v36
	v_fmac_f32_e32 v38, v34, v29
	v_add_f32_e32 v39, v36, v38
	v_sub_f32_e32 v40, v35, v39
	v_sub_f32_e32 v35, v35, v40
	;; [unrolled: 1-line block ×4, first 2 shown]
	v_add_f32_e32 v33, v33, v35
	v_sub_f32_e32 v35, v36, v38
	v_add_f32_e32 v33, v35, v33
	v_add_f32_e32 v35, v40, v33
	v_mul_f32_e32 v36, v37, v35
	v_mul_f32_e32 v38, v32, v36
	v_fma_f32 v32, v36, v32, -v38
	v_fmac_f32_e32 v32, v36, v29
	v_sub_f32_e32 v29, v40, v35
	v_add_f32_e32 v29, v33, v29
	v_add_f32_e32 v33, v38, v32
	v_sub_f32_e32 v39, v35, v33
	v_sub_f32_e32 v35, v35, v39
	;; [unrolled: 1-line block ×4, first 2 shown]
	v_add_f32_e32 v29, v29, v33
	v_sub_f32_e32 v32, v38, v32
	v_add_f32_e32 v29, v32, v29
	v_add_f32_e32 v32, v34, v36
	;; [unrolled: 1-line block ×3, first 2 shown]
	v_sub_f32_e32 v33, v32, v34
	v_mul_f32_e32 v29, v37, v29
	v_sub_f32_e32 v33, v36, v33
	v_add_f32_e32 v29, v33, v29
	v_cvt_f32_i32_e32 v28, v28
	v_add_f32_e32 v33, v32, v29
	v_mul_f32_e32 v34, v33, v33
	v_mov_b32_e32 v35, 0x3ecc95a3
	v_fmac_f32_e32 v35, 0x3e9b6dac, v34
	v_mov_b32_e32 v36, 0x3f2aaada
	v_fmac_f32_e32 v36, v34, v35
	v_mul_f32_e32 v35, 0x3f317218, v28
	v_fma_f32 v37, v28, s21, -v35
	v_fmac_f32_e32 v37, 0xb102e308, v28
	v_sub_f32_e32 v28, v33, v32
	v_sub_f32_e32 v28, v29, v28
	v_add_f32_e32 v29, v35, v37
	v_sub_f32_e32 v32, v29, v35
	v_ldexp_f32 v35, v33, 1
	v_mul_f32_e32 v33, v33, v34
	v_mul_f32_e32 v33, v33, v36
	v_add_f32_e32 v34, v35, v33
	v_sub_f32_e32 v35, v34, v35
	v_ldexp_f32 v28, v28, 1
	v_sub_f32_e32 v33, v33, v35
	v_add_f32_e32 v28, v28, v33
	v_add_f32_e32 v33, v34, v28
	v_sub_f32_e32 v34, v33, v34
	v_sub_f32_e32 v28, v28, v34
	v_add_f32_e32 v34, v29, v33
	v_sub_f32_e32 v35, v34, v29
	v_sub_f32_e32 v36, v34, v35
	;; [unrolled: 1-line block ×5, first 2 shown]
	v_add_f32_e32 v29, v33, v29
	v_add_f32_e32 v33, v32, v28
	v_sub_f32_e32 v35, v33, v32
	v_sub_f32_e32 v36, v33, v35
	;; [unrolled: 1-line block ×4, first 2 shown]
	v_add_f32_e32 v29, v33, v29
	v_add_f32_e32 v28, v28, v32
	;; [unrolled: 1-line block ×3, first 2 shown]
	v_sub_f32_e32 v33, v32, v34
	v_sub_f32_e32 v29, v29, v33
	v_add_f32_e32 v28, v28, v29
	v_add_f32_e32 v28, v32, v28
	v_cmp_neq_f32_e32 vcc, s20, v31
	s_mov_b32 s20, 0x33800000
	v_cndmask_b32_e32 v28, v30, v28, vcc
	v_cmp_lt_f32_e64 vcc, |v31|, s20
	v_cndmask_b32_e32 v28, v28, v31, vcc
	v_add_f32_e32 v29, v27, v28
.LBB507_288:
	s_or_b64 exec, exec, s[4:5]
	v_bfe_u32 v27, v29, 16, 1
	s_movk_i32 s23, 0x7fff
	v_add3_u32 v27, v29, v27, s23
	v_and_b32_e32 v27, 0xffff0000, v27
	v_mov_b32_e32 v28, 0x7fc00000
	v_cmp_o_f32_e32 vcc, v29, v29
	v_cndmask_b32_e32 v30, v28, v27, vcc
	v_lshlrev_b32_sdwa v25, v25, v5 dst_sel:DWORD dst_unused:UNUSED_PAD src0_sel:DWORD src1_sel:WORD_0
	v_max_f32_e32 v29, v30, v30
	v_max_f32_e32 v27, v25, v25
	v_min_f32_e32 v31, v29, v27
	v_cmp_u_f32_e32 vcc, v30, v30
	v_max_f32_e32 v29, v29, v27
	v_cndmask_b32_e32 v31, v31, v30, vcc
	v_cmp_u_f32_e64 s[20:21], v25, v25
	v_cndmask_b32_e32 v29, v29, v30, vcc
	v_cndmask_b32_e64 v31, v31, v25, s[20:21]
	v_cndmask_b32_e64 v29, v29, v25, s[20:21]
	v_cmp_neq_f32_e32 vcc, v31, v29
	v_cmp_class_f32_e64 s[4:5], v31, s22
	s_or_b64 s[24:25], vcc, s[4:5]
	s_and_saveexec_b64 s[4:5], s[24:25]
	s_cbranch_execz .LBB507_290
; %bb.289:
	v_sub_f32_e32 v30, v31, v29
	s_mov_b32 s22, 0x3fb8aa3b
	v_mul_f32_e32 v31, 0x3fb8aa3b, v30
	v_fma_f32 v32, v30, s22, -v31
	v_rndne_f32_e32 v33, v31
	v_fmac_f32_e32 v32, 0x32a5705f, v30
	v_sub_f32_e32 v31, v31, v33
	v_add_f32_e32 v31, v31, v32
	v_exp_f32_e32 v31, v31
	v_cvt_i32_f32_e32 v32, v33
	s_mov_b32 s22, 0xc2ce8ed0
	v_cmp_ngt_f32_e32 vcc, s22, v30
	s_mov_b32 s22, 0x42b17218
	v_ldexp_f32 v31, v31, v32
	v_cndmask_b32_e32 v31, 0, v31, vcc
	v_mov_b32_e32 v32, 0x7f800000
	v_cmp_nlt_f32_e32 vcc, s22, v30
	v_cndmask_b32_e32 v33, v32, v31, vcc
	v_add_f32_e32 v34, 1.0, v33
	v_cvt_f64_f32_e32 v[30:31], v34
	v_add_f32_e32 v35, -1.0, v34
	v_sub_f32_e32 v36, v35, v34
	v_sub_f32_e32 v35, v33, v35
	v_frexp_exp_i32_f64_e32 v30, v[30:31]
	v_add_f32_e32 v31, 1.0, v36
	v_add_f32_e32 v31, v35, v31
	v_frexp_mant_f32_e32 v35, v34
	s_mov_b32 s24, 0x3f2aaaab
	v_cmp_gt_f32_e32 vcc, s24, v35
	s_mov_b32 s24, 0x3f317218
	s_mov_b32 s22, 0x7f800000
	v_subbrev_co_u32_e32 v30, vcc, 0, v30, vcc
	v_sub_u32_e32 v35, 0, v30
	v_ldexp_f32 v34, v34, v35
	v_ldexp_f32 v31, v31, v35
	v_add_f32_e32 v35, -1.0, v34
	v_add_f32_e32 v38, 1.0, v34
	v_add_f32_e32 v36, 1.0, v35
	v_add_f32_e32 v39, -1.0, v38
	v_sub_f32_e32 v36, v34, v36
	v_sub_f32_e32 v34, v34, v39
	v_add_f32_e32 v36, v31, v36
	v_add_f32_e32 v31, v31, v34
	;; [unrolled: 1-line block ×3, first 2 shown]
	v_rcp_f32_e32 v39, v34
	v_add_f32_e32 v37, v35, v36
	v_sub_f32_e32 v35, v35, v37
	v_add_f32_e32 v35, v36, v35
	v_sub_f32_e32 v36, v38, v34
	v_add_f32_e32 v31, v31, v36
	v_mul_f32_e32 v36, v37, v39
	v_mul_f32_e32 v38, v34, v36
	v_fma_f32 v40, v36, v34, -v38
	v_fmac_f32_e32 v40, v36, v31
	v_add_f32_e32 v41, v38, v40
	v_sub_f32_e32 v42, v37, v41
	v_sub_f32_e32 v37, v37, v42
	;; [unrolled: 1-line block ×4, first 2 shown]
	v_add_f32_e32 v35, v35, v37
	v_sub_f32_e32 v37, v38, v40
	v_add_f32_e32 v35, v37, v35
	v_add_f32_e32 v37, v42, v35
	v_mul_f32_e32 v38, v39, v37
	v_mul_f32_e32 v40, v34, v38
	v_fma_f32 v34, v38, v34, -v40
	v_fmac_f32_e32 v34, v38, v31
	v_sub_f32_e32 v31, v42, v37
	v_add_f32_e32 v31, v35, v31
	v_add_f32_e32 v35, v40, v34
	v_sub_f32_e32 v41, v37, v35
	v_sub_f32_e32 v37, v37, v41
	;; [unrolled: 1-line block ×4, first 2 shown]
	v_add_f32_e32 v31, v31, v35
	v_sub_f32_e32 v34, v40, v34
	v_add_f32_e32 v31, v34, v31
	v_add_f32_e32 v34, v36, v38
	;; [unrolled: 1-line block ×3, first 2 shown]
	v_sub_f32_e32 v35, v34, v36
	v_mul_f32_e32 v31, v39, v31
	v_sub_f32_e32 v35, v38, v35
	v_add_f32_e32 v31, v35, v31
	v_cvt_f32_i32_e32 v30, v30
	v_add_f32_e32 v35, v34, v31
	v_mul_f32_e32 v36, v35, v35
	v_mov_b32_e32 v37, 0x3ecc95a3
	v_fmac_f32_e32 v37, 0x3e9b6dac, v36
	v_mov_b32_e32 v38, 0x3f2aaada
	v_fmac_f32_e32 v38, v36, v37
	v_mul_f32_e32 v37, 0x3f317218, v30
	v_fma_f32 v39, v30, s24, -v37
	v_fmac_f32_e32 v39, 0xb102e308, v30
	v_sub_f32_e32 v30, v35, v34
	v_sub_f32_e32 v30, v31, v30
	v_add_f32_e32 v31, v37, v39
	v_sub_f32_e32 v34, v31, v37
	v_ldexp_f32 v37, v35, 1
	v_mul_f32_e32 v35, v35, v36
	v_mul_f32_e32 v35, v35, v38
	v_add_f32_e32 v36, v37, v35
	v_sub_f32_e32 v37, v36, v37
	v_ldexp_f32 v30, v30, 1
	v_sub_f32_e32 v35, v35, v37
	v_add_f32_e32 v30, v30, v35
	v_add_f32_e32 v35, v36, v30
	v_sub_f32_e32 v36, v35, v36
	v_sub_f32_e32 v30, v30, v36
	v_add_f32_e32 v36, v31, v35
	v_sub_f32_e32 v37, v36, v31
	v_sub_f32_e32 v38, v36, v37
	;; [unrolled: 1-line block ×5, first 2 shown]
	v_add_f32_e32 v31, v35, v31
	v_add_f32_e32 v35, v34, v30
	v_sub_f32_e32 v37, v35, v34
	v_sub_f32_e32 v38, v35, v37
	;; [unrolled: 1-line block ×4, first 2 shown]
	v_add_f32_e32 v31, v35, v31
	v_add_f32_e32 v30, v30, v34
	v_add_f32_e32 v34, v36, v31
	v_sub_f32_e32 v35, v34, v36
	v_sub_f32_e32 v31, v31, v35
	v_add_f32_e32 v30, v30, v31
	v_add_f32_e32 v30, v34, v30
	v_cmp_neq_f32_e32 vcc, s22, v33
	s_mov_b32 s22, 0x33800000
	v_cndmask_b32_e32 v30, v32, v30, vcc
	v_cmp_lt_f32_e64 vcc, |v33|, s22
	v_cndmask_b32_e32 v30, v30, v33, vcc
	v_add_f32_e32 v30, v29, v30
.LBB507_290:
	s_or_b64 exec, exec, s[4:5]
	v_bfe_u32 v29, v30, 16, 1
	v_add3_u32 v29, v30, v29, s23
	v_and_b32_e32 v29, 0xffff0000, v29
	v_cmp_o_f32_e32 vcc, v30, v30
	v_cndmask_b32_e32 v32, v28, v29, vcc
	v_mov_b32_e32 v28, 16
	v_lshlrev_b32_sdwa v5, v28, v5 dst_sel:DWORD dst_unused:UNUSED_PAD src0_sel:DWORD src1_sel:WORD_1
	v_max_f32_e32 v30, v32, v32
	v_max_f32_e32 v29, v5, v5
	v_min_f32_e32 v31, v30, v29
	v_cmp_u_f32_e32 vcc, v32, v32
	v_max_f32_e32 v30, v30, v29
	v_cndmask_b32_e32 v31, v31, v32, vcc
	v_cmp_u_f32_e64 s[22:23], v5, v5
	v_cndmask_b32_e32 v30, v30, v32, vcc
	v_cndmask_b32_e64 v31, v31, v5, s[22:23]
	v_cndmask_b32_e64 v30, v30, v5, s[22:23]
	s_movk_i32 s26, 0x1f8
	v_cmp_neq_f32_e32 vcc, v31, v30
	v_cmp_class_f32_e64 s[4:5], v31, s26
	s_or_b64 s[24:25], vcc, s[4:5]
	s_and_saveexec_b64 s[4:5], s[24:25]
	s_cbranch_execz .LBB507_292
; %bb.291:
	v_sub_f32_e32 v31, v31, v30
	s_mov_b32 s24, 0x3fb8aa3b
	v_mul_f32_e32 v32, 0x3fb8aa3b, v31
	v_fma_f32 v33, v31, s24, -v32
	v_rndne_f32_e32 v34, v32
	v_fmac_f32_e32 v33, 0x32a5705f, v31
	v_sub_f32_e32 v32, v32, v34
	v_add_f32_e32 v32, v32, v33
	v_exp_f32_e32 v32, v32
	v_cvt_i32_f32_e32 v33, v34
	s_mov_b32 s24, 0xc2ce8ed0
	v_cmp_ngt_f32_e32 vcc, s24, v31
	s_mov_b32 s24, 0x42b17218
	v_ldexp_f32 v32, v32, v33
	v_cndmask_b32_e32 v32, 0, v32, vcc
	v_mov_b32_e32 v33, 0x7f800000
	v_cmp_nlt_f32_e32 vcc, s24, v31
	v_cndmask_b32_e32 v34, v33, v32, vcc
	v_add_f32_e32 v35, 1.0, v34
	v_cvt_f64_f32_e32 v[31:32], v35
	v_add_f32_e32 v36, -1.0, v35
	v_sub_f32_e32 v37, v36, v35
	v_sub_f32_e32 v36, v34, v36
	v_frexp_exp_i32_f64_e32 v31, v[31:32]
	v_add_f32_e32 v32, 1.0, v37
	v_add_f32_e32 v32, v36, v32
	v_frexp_mant_f32_e32 v36, v35
	s_mov_b32 s25, 0x3f2aaaab
	v_cmp_gt_f32_e32 vcc, s25, v36
	s_mov_b32 s25, 0x3f317218
	s_mov_b32 s24, 0x7f800000
	v_subbrev_co_u32_e32 v31, vcc, 0, v31, vcc
	v_sub_u32_e32 v36, 0, v31
	v_ldexp_f32 v35, v35, v36
	v_ldexp_f32 v32, v32, v36
	v_add_f32_e32 v36, -1.0, v35
	v_add_f32_e32 v39, 1.0, v35
	v_add_f32_e32 v37, 1.0, v36
	v_add_f32_e32 v40, -1.0, v39
	v_sub_f32_e32 v37, v35, v37
	v_sub_f32_e32 v35, v35, v40
	v_add_f32_e32 v37, v32, v37
	v_add_f32_e32 v32, v32, v35
	v_add_f32_e32 v35, v39, v32
	v_rcp_f32_e32 v40, v35
	v_add_f32_e32 v38, v36, v37
	v_sub_f32_e32 v36, v36, v38
	v_add_f32_e32 v36, v37, v36
	v_sub_f32_e32 v37, v39, v35
	v_add_f32_e32 v32, v32, v37
	v_mul_f32_e32 v37, v38, v40
	v_mul_f32_e32 v39, v35, v37
	v_fma_f32 v41, v37, v35, -v39
	v_fmac_f32_e32 v41, v37, v32
	v_add_f32_e32 v42, v39, v41
	v_sub_f32_e32 v43, v38, v42
	v_sub_f32_e32 v38, v38, v43
	v_sub_f32_e32 v39, v42, v39
	v_sub_f32_e32 v38, v38, v42
	v_add_f32_e32 v36, v36, v38
	v_sub_f32_e32 v38, v39, v41
	v_add_f32_e32 v36, v38, v36
	v_add_f32_e32 v38, v43, v36
	v_mul_f32_e32 v39, v40, v38
	v_mul_f32_e32 v41, v35, v39
	v_fma_f32 v35, v39, v35, -v41
	v_fmac_f32_e32 v35, v39, v32
	v_sub_f32_e32 v32, v43, v38
	v_add_f32_e32 v32, v36, v32
	v_add_f32_e32 v36, v41, v35
	v_sub_f32_e32 v42, v38, v36
	v_sub_f32_e32 v38, v38, v42
	;; [unrolled: 1-line block ×4, first 2 shown]
	v_add_f32_e32 v32, v32, v36
	v_sub_f32_e32 v35, v41, v35
	v_add_f32_e32 v32, v35, v32
	v_add_f32_e32 v35, v37, v39
	;; [unrolled: 1-line block ×3, first 2 shown]
	v_sub_f32_e32 v36, v35, v37
	v_mul_f32_e32 v32, v40, v32
	v_sub_f32_e32 v36, v39, v36
	v_add_f32_e32 v32, v36, v32
	v_cvt_f32_i32_e32 v31, v31
	v_add_f32_e32 v36, v35, v32
	v_mul_f32_e32 v37, v36, v36
	v_mov_b32_e32 v38, 0x3ecc95a3
	v_fmac_f32_e32 v38, 0x3e9b6dac, v37
	v_mov_b32_e32 v39, 0x3f2aaada
	v_fmac_f32_e32 v39, v37, v38
	v_mul_f32_e32 v38, 0x3f317218, v31
	v_fma_f32 v40, v31, s25, -v38
	v_fmac_f32_e32 v40, 0xb102e308, v31
	v_sub_f32_e32 v31, v36, v35
	v_sub_f32_e32 v31, v32, v31
	v_add_f32_e32 v32, v38, v40
	v_sub_f32_e32 v35, v32, v38
	v_ldexp_f32 v38, v36, 1
	v_mul_f32_e32 v36, v36, v37
	v_mul_f32_e32 v36, v36, v39
	v_add_f32_e32 v37, v38, v36
	v_sub_f32_e32 v38, v37, v38
	v_ldexp_f32 v31, v31, 1
	v_sub_f32_e32 v36, v36, v38
	v_add_f32_e32 v31, v31, v36
	v_add_f32_e32 v36, v37, v31
	v_sub_f32_e32 v37, v36, v37
	v_sub_f32_e32 v31, v31, v37
	v_add_f32_e32 v37, v32, v36
	v_sub_f32_e32 v38, v37, v32
	v_sub_f32_e32 v39, v37, v38
	;; [unrolled: 1-line block ×5, first 2 shown]
	v_add_f32_e32 v32, v36, v32
	v_add_f32_e32 v36, v35, v31
	v_sub_f32_e32 v38, v36, v35
	v_sub_f32_e32 v39, v36, v38
	;; [unrolled: 1-line block ×4, first 2 shown]
	v_add_f32_e32 v32, v36, v32
	v_add_f32_e32 v31, v31, v35
	;; [unrolled: 1-line block ×3, first 2 shown]
	v_sub_f32_e32 v36, v35, v37
	v_sub_f32_e32 v32, v32, v36
	v_add_f32_e32 v31, v31, v32
	v_add_f32_e32 v31, v35, v31
	v_cmp_neq_f32_e32 vcc, s24, v34
	s_mov_b32 s24, 0x33800000
	v_cndmask_b32_e32 v31, v33, v31, vcc
	v_cmp_lt_f32_e64 vcc, |v34|, s24
	v_cndmask_b32_e32 v31, v31, v34, vcc
	v_add_f32_e32 v32, v30, v31
.LBB507_292:
	s_or_b64 exec, exec, s[4:5]
	v_bfe_u32 v30, v32, 16, 1
	s_movk_i32 s27, 0x7fff
	v_add3_u32 v30, v32, v30, s27
	v_and_b32_e32 v30, 0xffff0000, v30
	v_mov_b32_e32 v31, 0x7fc00000
	v_cmp_o_f32_e32 vcc, v32, v32
	v_cndmask_b32_e32 v33, v31, v30, vcc
	v_lshlrev_b32_sdwa v28, v28, v6 dst_sel:DWORD dst_unused:UNUSED_PAD src0_sel:DWORD src1_sel:WORD_0
	v_max_f32_e32 v32, v33, v33
	v_max_f32_e32 v30, v28, v28
	v_min_f32_e32 v34, v32, v30
	v_cmp_u_f32_e32 vcc, v33, v33
	v_max_f32_e32 v32, v32, v30
	v_cndmask_b32_e32 v34, v34, v33, vcc
	v_cmp_u_f32_e64 s[24:25], v28, v28
	v_cndmask_b32_e32 v32, v32, v33, vcc
	v_cndmask_b32_e64 v34, v34, v28, s[24:25]
	v_cndmask_b32_e64 v32, v32, v28, s[24:25]
	v_cmp_neq_f32_e32 vcc, v34, v32
	v_cmp_class_f32_e64 s[4:5], v34, s26
	s_or_b64 s[28:29], vcc, s[4:5]
	s_and_saveexec_b64 s[4:5], s[28:29]
	s_cbranch_execz .LBB507_294
; %bb.293:
	v_sub_f32_e32 v33, v34, v32
	s_mov_b32 s26, 0x3fb8aa3b
	v_mul_f32_e32 v34, 0x3fb8aa3b, v33
	v_fma_f32 v35, v33, s26, -v34
	v_rndne_f32_e32 v36, v34
	v_fmac_f32_e32 v35, 0x32a5705f, v33
	v_sub_f32_e32 v34, v34, v36
	v_add_f32_e32 v34, v34, v35
	v_exp_f32_e32 v34, v34
	v_cvt_i32_f32_e32 v35, v36
	s_mov_b32 s26, 0xc2ce8ed0
	v_cmp_ngt_f32_e32 vcc, s26, v33
	s_mov_b32 s26, 0x42b17218
	v_ldexp_f32 v34, v34, v35
	v_cndmask_b32_e32 v34, 0, v34, vcc
	v_mov_b32_e32 v35, 0x7f800000
	v_cmp_nlt_f32_e32 vcc, s26, v33
	v_cndmask_b32_e32 v36, v35, v34, vcc
	v_add_f32_e32 v37, 1.0, v36
	v_cvt_f64_f32_e32 v[33:34], v37
	v_add_f32_e32 v38, -1.0, v37
	v_sub_f32_e32 v39, v38, v37
	v_sub_f32_e32 v38, v36, v38
	v_frexp_exp_i32_f64_e32 v33, v[33:34]
	v_add_f32_e32 v34, 1.0, v39
	v_add_f32_e32 v34, v38, v34
	v_frexp_mant_f32_e32 v38, v37
	s_mov_b32 s28, 0x3f2aaaab
	v_cmp_gt_f32_e32 vcc, s28, v38
	s_mov_b32 s28, 0x3f317218
	s_mov_b32 s26, 0x7f800000
	v_subbrev_co_u32_e32 v33, vcc, 0, v33, vcc
	v_sub_u32_e32 v38, 0, v33
	v_ldexp_f32 v37, v37, v38
	v_ldexp_f32 v34, v34, v38
	v_add_f32_e32 v38, -1.0, v37
	v_add_f32_e32 v41, 1.0, v37
	v_add_f32_e32 v39, 1.0, v38
	v_add_f32_e32 v42, -1.0, v41
	v_sub_f32_e32 v39, v37, v39
	v_sub_f32_e32 v37, v37, v42
	v_add_f32_e32 v39, v34, v39
	v_add_f32_e32 v34, v34, v37
	;; [unrolled: 1-line block ×3, first 2 shown]
	v_rcp_f32_e32 v42, v37
	v_add_f32_e32 v40, v38, v39
	v_sub_f32_e32 v38, v38, v40
	v_add_f32_e32 v38, v39, v38
	v_sub_f32_e32 v39, v41, v37
	v_add_f32_e32 v34, v34, v39
	v_mul_f32_e32 v39, v40, v42
	v_mul_f32_e32 v41, v37, v39
	v_fma_f32 v43, v39, v37, -v41
	v_fmac_f32_e32 v43, v39, v34
	v_add_f32_e32 v44, v41, v43
	v_sub_f32_e32 v45, v40, v44
	v_sub_f32_e32 v40, v40, v45
	;; [unrolled: 1-line block ×4, first 2 shown]
	v_add_f32_e32 v38, v38, v40
	v_sub_f32_e32 v40, v41, v43
	v_add_f32_e32 v38, v40, v38
	v_add_f32_e32 v40, v45, v38
	v_mul_f32_e32 v41, v42, v40
	v_mul_f32_e32 v43, v37, v41
	v_fma_f32 v37, v41, v37, -v43
	v_fmac_f32_e32 v37, v41, v34
	v_sub_f32_e32 v34, v45, v40
	v_add_f32_e32 v34, v38, v34
	v_add_f32_e32 v38, v43, v37
	v_sub_f32_e32 v44, v40, v38
	v_sub_f32_e32 v40, v40, v44
	;; [unrolled: 1-line block ×4, first 2 shown]
	v_add_f32_e32 v34, v34, v38
	v_sub_f32_e32 v37, v43, v37
	v_add_f32_e32 v34, v37, v34
	v_add_f32_e32 v37, v39, v41
	v_add_f32_e32 v34, v44, v34
	v_sub_f32_e32 v38, v37, v39
	v_mul_f32_e32 v34, v42, v34
	v_sub_f32_e32 v38, v41, v38
	v_add_f32_e32 v34, v38, v34
	v_cvt_f32_i32_e32 v33, v33
	v_add_f32_e32 v38, v37, v34
	v_mul_f32_e32 v39, v38, v38
	v_mov_b32_e32 v40, 0x3ecc95a3
	v_fmac_f32_e32 v40, 0x3e9b6dac, v39
	v_mov_b32_e32 v41, 0x3f2aaada
	v_fmac_f32_e32 v41, v39, v40
	v_mul_f32_e32 v40, 0x3f317218, v33
	v_fma_f32 v42, v33, s28, -v40
	v_fmac_f32_e32 v42, 0xb102e308, v33
	v_sub_f32_e32 v33, v38, v37
	v_sub_f32_e32 v33, v34, v33
	v_add_f32_e32 v34, v40, v42
	v_sub_f32_e32 v37, v34, v40
	v_ldexp_f32 v40, v38, 1
	v_mul_f32_e32 v38, v38, v39
	v_mul_f32_e32 v38, v38, v41
	v_add_f32_e32 v39, v40, v38
	v_sub_f32_e32 v40, v39, v40
	v_ldexp_f32 v33, v33, 1
	v_sub_f32_e32 v38, v38, v40
	v_add_f32_e32 v33, v33, v38
	v_add_f32_e32 v38, v39, v33
	v_sub_f32_e32 v39, v38, v39
	v_sub_f32_e32 v33, v33, v39
	v_add_f32_e32 v39, v34, v38
	v_sub_f32_e32 v40, v39, v34
	v_sub_f32_e32 v41, v39, v40
	;; [unrolled: 1-line block ×5, first 2 shown]
	v_add_f32_e32 v34, v38, v34
	v_add_f32_e32 v38, v37, v33
	v_sub_f32_e32 v40, v38, v37
	v_sub_f32_e32 v41, v38, v40
	;; [unrolled: 1-line block ×4, first 2 shown]
	v_add_f32_e32 v34, v38, v34
	v_add_f32_e32 v33, v33, v37
	;; [unrolled: 1-line block ×3, first 2 shown]
	v_sub_f32_e32 v38, v37, v39
	v_sub_f32_e32 v34, v34, v38
	v_add_f32_e32 v33, v33, v34
	v_add_f32_e32 v33, v37, v33
	v_cmp_neq_f32_e32 vcc, s26, v36
	s_mov_b32 s26, 0x33800000
	v_cndmask_b32_e32 v33, v35, v33, vcc
	v_cmp_lt_f32_e64 vcc, |v36|, s26
	v_cndmask_b32_e32 v33, v33, v36, vcc
	v_add_f32_e32 v33, v32, v33
.LBB507_294:
	s_or_b64 exec, exec, s[4:5]
	v_bfe_u32 v32, v33, 16, 1
	v_add3_u32 v32, v33, v32, s27
	v_and_b32_e32 v32, 0xffff0000, v32
	v_cmp_o_f32_e32 vcc, v33, v33
	v_cndmask_b32_e32 v35, v31, v32, vcc
	v_mov_b32_e32 v31, 16
	v_lshlrev_b32_sdwa v6, v31, v6 dst_sel:DWORD dst_unused:UNUSED_PAD src0_sel:DWORD src1_sel:WORD_1
	v_max_f32_e32 v33, v35, v35
	v_max_f32_e32 v32, v6, v6
	v_min_f32_e32 v34, v33, v32
	v_cmp_u_f32_e32 vcc, v35, v35
	v_max_f32_e32 v33, v33, v32
	v_cndmask_b32_e32 v34, v34, v35, vcc
	v_cmp_u_f32_e64 s[26:27], v6, v6
	v_cndmask_b32_e32 v33, v33, v35, vcc
	v_cndmask_b32_e64 v34, v34, v6, s[26:27]
	v_cndmask_b32_e64 v33, v33, v6, s[26:27]
	s_movk_i32 s30, 0x1f8
	v_cmp_neq_f32_e32 vcc, v34, v33
	v_cmp_class_f32_e64 s[4:5], v34, s30
	s_or_b64 s[28:29], vcc, s[4:5]
	s_and_saveexec_b64 s[4:5], s[28:29]
	s_cbranch_execz .LBB507_296
; %bb.295:
	v_sub_f32_e32 v34, v34, v33
	s_mov_b32 s28, 0x3fb8aa3b
	v_mul_f32_e32 v35, 0x3fb8aa3b, v34
	v_fma_f32 v36, v34, s28, -v35
	v_rndne_f32_e32 v37, v35
	v_fmac_f32_e32 v36, 0x32a5705f, v34
	v_sub_f32_e32 v35, v35, v37
	v_add_f32_e32 v35, v35, v36
	v_exp_f32_e32 v35, v35
	v_cvt_i32_f32_e32 v36, v37
	s_mov_b32 s28, 0xc2ce8ed0
	v_cmp_ngt_f32_e32 vcc, s28, v34
	s_mov_b32 s28, 0x42b17218
	v_ldexp_f32 v35, v35, v36
	v_cndmask_b32_e32 v35, 0, v35, vcc
	v_mov_b32_e32 v36, 0x7f800000
	v_cmp_nlt_f32_e32 vcc, s28, v34
	v_cndmask_b32_e32 v37, v36, v35, vcc
	v_add_f32_e32 v38, 1.0, v37
	v_cvt_f64_f32_e32 v[34:35], v38
	v_add_f32_e32 v39, -1.0, v38
	v_sub_f32_e32 v40, v39, v38
	v_sub_f32_e32 v39, v37, v39
	v_frexp_exp_i32_f64_e32 v34, v[34:35]
	v_add_f32_e32 v35, 1.0, v40
	v_add_f32_e32 v35, v39, v35
	v_frexp_mant_f32_e32 v39, v38
	s_mov_b32 s29, 0x3f2aaaab
	v_cmp_gt_f32_e32 vcc, s29, v39
	s_mov_b32 s29, 0x3f317218
	s_mov_b32 s28, 0x7f800000
	v_subbrev_co_u32_e32 v34, vcc, 0, v34, vcc
	v_sub_u32_e32 v39, 0, v34
	v_ldexp_f32 v38, v38, v39
	v_ldexp_f32 v35, v35, v39
	v_add_f32_e32 v39, -1.0, v38
	v_add_f32_e32 v42, 1.0, v38
	v_add_f32_e32 v40, 1.0, v39
	v_add_f32_e32 v43, -1.0, v42
	v_sub_f32_e32 v40, v38, v40
	v_sub_f32_e32 v38, v38, v43
	v_add_f32_e32 v40, v35, v40
	v_add_f32_e32 v35, v35, v38
	;; [unrolled: 1-line block ×3, first 2 shown]
	v_rcp_f32_e32 v43, v38
	v_add_f32_e32 v41, v39, v40
	v_sub_f32_e32 v39, v39, v41
	v_add_f32_e32 v39, v40, v39
	v_sub_f32_e32 v40, v42, v38
	v_add_f32_e32 v35, v35, v40
	v_mul_f32_e32 v40, v41, v43
	v_mul_f32_e32 v42, v38, v40
	v_fma_f32 v44, v40, v38, -v42
	v_fmac_f32_e32 v44, v40, v35
	v_add_f32_e32 v45, v42, v44
	v_sub_f32_e32 v46, v41, v45
	v_sub_f32_e32 v41, v41, v46
	;; [unrolled: 1-line block ×4, first 2 shown]
	v_add_f32_e32 v39, v39, v41
	v_sub_f32_e32 v41, v42, v44
	v_add_f32_e32 v39, v41, v39
	v_add_f32_e32 v41, v46, v39
	v_mul_f32_e32 v42, v43, v41
	v_mul_f32_e32 v44, v38, v42
	v_fma_f32 v38, v42, v38, -v44
	v_fmac_f32_e32 v38, v42, v35
	v_sub_f32_e32 v35, v46, v41
	v_add_f32_e32 v35, v39, v35
	v_add_f32_e32 v39, v44, v38
	v_sub_f32_e32 v45, v41, v39
	v_sub_f32_e32 v41, v41, v45
	;; [unrolled: 1-line block ×4, first 2 shown]
	v_add_f32_e32 v35, v35, v39
	v_sub_f32_e32 v38, v44, v38
	v_add_f32_e32 v35, v38, v35
	v_add_f32_e32 v38, v40, v42
	;; [unrolled: 1-line block ×3, first 2 shown]
	v_sub_f32_e32 v39, v38, v40
	v_mul_f32_e32 v35, v43, v35
	v_sub_f32_e32 v39, v42, v39
	v_add_f32_e32 v35, v39, v35
	v_cvt_f32_i32_e32 v34, v34
	v_add_f32_e32 v39, v38, v35
	v_mul_f32_e32 v40, v39, v39
	v_mov_b32_e32 v41, 0x3ecc95a3
	v_fmac_f32_e32 v41, 0x3e9b6dac, v40
	v_mov_b32_e32 v42, 0x3f2aaada
	v_fmac_f32_e32 v42, v40, v41
	v_mul_f32_e32 v41, 0x3f317218, v34
	v_fma_f32 v43, v34, s29, -v41
	v_fmac_f32_e32 v43, 0xb102e308, v34
	v_sub_f32_e32 v34, v39, v38
	v_sub_f32_e32 v34, v35, v34
	v_add_f32_e32 v35, v41, v43
	v_sub_f32_e32 v38, v35, v41
	v_ldexp_f32 v41, v39, 1
	v_mul_f32_e32 v39, v39, v40
	v_mul_f32_e32 v39, v39, v42
	v_add_f32_e32 v40, v41, v39
	v_sub_f32_e32 v41, v40, v41
	v_ldexp_f32 v34, v34, 1
	v_sub_f32_e32 v39, v39, v41
	v_add_f32_e32 v34, v34, v39
	v_add_f32_e32 v39, v40, v34
	v_sub_f32_e32 v40, v39, v40
	v_sub_f32_e32 v34, v34, v40
	v_add_f32_e32 v40, v35, v39
	v_sub_f32_e32 v41, v40, v35
	v_sub_f32_e32 v42, v40, v41
	;; [unrolled: 1-line block ×5, first 2 shown]
	v_add_f32_e32 v35, v39, v35
	v_add_f32_e32 v39, v38, v34
	v_sub_f32_e32 v41, v39, v38
	v_sub_f32_e32 v42, v39, v41
	;; [unrolled: 1-line block ×4, first 2 shown]
	v_add_f32_e32 v35, v39, v35
	v_add_f32_e32 v34, v34, v38
	;; [unrolled: 1-line block ×3, first 2 shown]
	v_sub_f32_e32 v39, v38, v40
	v_sub_f32_e32 v35, v35, v39
	v_add_f32_e32 v34, v34, v35
	v_add_f32_e32 v34, v38, v34
	v_cmp_neq_f32_e32 vcc, s28, v37
	s_mov_b32 s28, 0x33800000
	v_cndmask_b32_e32 v34, v36, v34, vcc
	v_cmp_lt_f32_e64 vcc, |v37|, s28
	v_cndmask_b32_e32 v34, v34, v37, vcc
	v_add_f32_e32 v35, v33, v34
.LBB507_296:
	s_or_b64 exec, exec, s[4:5]
	v_bfe_u32 v33, v35, 16, 1
	s_movk_i32 s31, 0x7fff
	v_add3_u32 v33, v35, v33, s31
	v_and_b32_e32 v33, 0xffff0000, v33
	v_mov_b32_e32 v34, 0x7fc00000
	v_cmp_o_f32_e32 vcc, v35, v35
	v_cndmask_b32_e32 v36, v34, v33, vcc
	v_lshlrev_b32_sdwa v31, v31, v7 dst_sel:DWORD dst_unused:UNUSED_PAD src0_sel:DWORD src1_sel:WORD_0
	v_max_f32_e32 v35, v36, v36
	v_max_f32_e32 v33, v31, v31
	v_min_f32_e32 v37, v35, v33
	v_cmp_u_f32_e32 vcc, v36, v36
	v_max_f32_e32 v35, v35, v33
	v_cndmask_b32_e32 v37, v37, v36, vcc
	v_cmp_u_f32_e64 s[28:29], v31, v31
	v_cndmask_b32_e32 v35, v35, v36, vcc
	v_cndmask_b32_e64 v37, v37, v31, s[28:29]
	v_cndmask_b32_e64 v35, v35, v31, s[28:29]
	v_cmp_neq_f32_e32 vcc, v37, v35
	v_cmp_class_f32_e64 s[4:5], v37, s30
	s_or_b64 s[34:35], vcc, s[4:5]
	s_and_saveexec_b64 s[4:5], s[34:35]
	s_cbranch_execz .LBB507_298
; %bb.297:
	v_sub_f32_e32 v36, v37, v35
	s_mov_b32 s30, 0x3fb8aa3b
	v_mul_f32_e32 v37, 0x3fb8aa3b, v36
	v_fma_f32 v38, v36, s30, -v37
	v_rndne_f32_e32 v39, v37
	v_fmac_f32_e32 v38, 0x32a5705f, v36
	v_sub_f32_e32 v37, v37, v39
	v_add_f32_e32 v37, v37, v38
	v_exp_f32_e32 v37, v37
	v_cvt_i32_f32_e32 v38, v39
	s_mov_b32 s30, 0xc2ce8ed0
	v_cmp_ngt_f32_e32 vcc, s30, v36
	s_mov_b32 s30, 0x42b17218
	v_ldexp_f32 v37, v37, v38
	v_cndmask_b32_e32 v37, 0, v37, vcc
	v_mov_b32_e32 v38, 0x7f800000
	v_cmp_nlt_f32_e32 vcc, s30, v36
	v_cndmask_b32_e32 v39, v38, v37, vcc
	v_add_f32_e32 v40, 1.0, v39
	v_cvt_f64_f32_e32 v[36:37], v40
	v_add_f32_e32 v41, -1.0, v40
	v_sub_f32_e32 v42, v41, v40
	v_sub_f32_e32 v41, v39, v41
	v_frexp_exp_i32_f64_e32 v36, v[36:37]
	v_add_f32_e32 v37, 1.0, v42
	v_add_f32_e32 v37, v41, v37
	v_frexp_mant_f32_e32 v41, v40
	s_mov_b32 s34, 0x3f2aaaab
	v_cmp_gt_f32_e32 vcc, s34, v41
	s_mov_b32 s34, 0x3f317218
	s_mov_b32 s30, 0x7f800000
	v_subbrev_co_u32_e32 v36, vcc, 0, v36, vcc
	v_sub_u32_e32 v41, 0, v36
	v_ldexp_f32 v40, v40, v41
	v_ldexp_f32 v37, v37, v41
	v_add_f32_e32 v41, -1.0, v40
	v_add_f32_e32 v44, 1.0, v40
	v_add_f32_e32 v42, 1.0, v41
	v_add_f32_e32 v45, -1.0, v44
	v_sub_f32_e32 v42, v40, v42
	v_sub_f32_e32 v40, v40, v45
	v_add_f32_e32 v42, v37, v42
	v_add_f32_e32 v37, v37, v40
	;; [unrolled: 1-line block ×3, first 2 shown]
	v_rcp_f32_e32 v45, v40
	v_add_f32_e32 v43, v41, v42
	v_sub_f32_e32 v41, v41, v43
	v_add_f32_e32 v41, v42, v41
	v_sub_f32_e32 v42, v44, v40
	v_add_f32_e32 v37, v37, v42
	v_mul_f32_e32 v42, v43, v45
	v_mul_f32_e32 v44, v40, v42
	v_fma_f32 v46, v42, v40, -v44
	v_fmac_f32_e32 v46, v42, v37
	v_add_f32_e32 v47, v44, v46
	v_sub_f32_e32 v48, v43, v47
	v_sub_f32_e32 v43, v43, v48
	;; [unrolled: 1-line block ×4, first 2 shown]
	v_add_f32_e32 v41, v41, v43
	v_sub_f32_e32 v43, v44, v46
	v_add_f32_e32 v41, v43, v41
	v_add_f32_e32 v43, v48, v41
	v_mul_f32_e32 v44, v45, v43
	v_mul_f32_e32 v46, v40, v44
	v_fma_f32 v40, v44, v40, -v46
	v_fmac_f32_e32 v40, v44, v37
	v_sub_f32_e32 v37, v48, v43
	v_add_f32_e32 v37, v41, v37
	v_add_f32_e32 v41, v46, v40
	v_sub_f32_e32 v47, v43, v41
	v_sub_f32_e32 v43, v43, v47
	;; [unrolled: 1-line block ×4, first 2 shown]
	v_add_f32_e32 v37, v37, v41
	v_sub_f32_e32 v40, v46, v40
	v_add_f32_e32 v37, v40, v37
	v_add_f32_e32 v40, v42, v44
	;; [unrolled: 1-line block ×3, first 2 shown]
	v_sub_f32_e32 v41, v40, v42
	v_mul_f32_e32 v37, v45, v37
	v_sub_f32_e32 v41, v44, v41
	v_add_f32_e32 v37, v41, v37
	v_cvt_f32_i32_e32 v36, v36
	v_add_f32_e32 v41, v40, v37
	v_mul_f32_e32 v42, v41, v41
	v_mov_b32_e32 v43, 0x3ecc95a3
	v_fmac_f32_e32 v43, 0x3e9b6dac, v42
	v_mov_b32_e32 v44, 0x3f2aaada
	v_fmac_f32_e32 v44, v42, v43
	v_mul_f32_e32 v43, 0x3f317218, v36
	v_fma_f32 v45, v36, s34, -v43
	v_fmac_f32_e32 v45, 0xb102e308, v36
	v_sub_f32_e32 v36, v41, v40
	v_sub_f32_e32 v36, v37, v36
	v_add_f32_e32 v37, v43, v45
	v_sub_f32_e32 v40, v37, v43
	v_ldexp_f32 v43, v41, 1
	v_mul_f32_e32 v41, v41, v42
	v_mul_f32_e32 v41, v41, v44
	v_add_f32_e32 v42, v43, v41
	v_sub_f32_e32 v43, v42, v43
	v_ldexp_f32 v36, v36, 1
	v_sub_f32_e32 v41, v41, v43
	v_add_f32_e32 v36, v36, v41
	v_add_f32_e32 v41, v42, v36
	v_sub_f32_e32 v42, v41, v42
	v_sub_f32_e32 v36, v36, v42
	v_add_f32_e32 v42, v37, v41
	v_sub_f32_e32 v43, v42, v37
	v_sub_f32_e32 v44, v42, v43
	;; [unrolled: 1-line block ×5, first 2 shown]
	v_add_f32_e32 v37, v41, v37
	v_add_f32_e32 v41, v40, v36
	v_sub_f32_e32 v43, v41, v40
	v_sub_f32_e32 v44, v41, v43
	;; [unrolled: 1-line block ×4, first 2 shown]
	v_add_f32_e32 v37, v41, v37
	v_add_f32_e32 v36, v36, v40
	v_add_f32_e32 v40, v42, v37
	v_sub_f32_e32 v41, v40, v42
	v_sub_f32_e32 v37, v37, v41
	v_add_f32_e32 v36, v36, v37
	v_add_f32_e32 v36, v40, v36
	v_cmp_neq_f32_e32 vcc, s30, v39
	s_mov_b32 s30, 0x33800000
	v_cndmask_b32_e32 v36, v38, v36, vcc
	v_cmp_lt_f32_e64 vcc, |v39|, s30
	v_cndmask_b32_e32 v36, v36, v39, vcc
	v_add_f32_e32 v36, v35, v36
.LBB507_298:
	s_or_b64 exec, exec, s[4:5]
	v_bfe_u32 v35, v36, 16, 1
	v_add3_u32 v35, v36, v35, s31
	v_and_b32_e32 v35, 0xffff0000, v35
	v_cmp_o_f32_e32 vcc, v36, v36
	v_cndmask_b32_e32 v38, v34, v35, vcc
	v_mov_b32_e32 v34, 16
	v_lshlrev_b32_sdwa v7, v34, v7 dst_sel:DWORD dst_unused:UNUSED_PAD src0_sel:DWORD src1_sel:WORD_1
	v_max_f32_e32 v36, v38, v38
	v_max_f32_e32 v35, v7, v7
	v_min_f32_e32 v37, v36, v35
	v_cmp_u_f32_e32 vcc, v38, v38
	v_max_f32_e32 v36, v36, v35
	v_cndmask_b32_e32 v37, v37, v38, vcc
	v_cmp_u_f32_e64 s[30:31], v7, v7
	v_cndmask_b32_e32 v36, v36, v38, vcc
	v_cndmask_b32_e64 v37, v37, v7, s[30:31]
	v_cndmask_b32_e64 v36, v36, v7, s[30:31]
	s_movk_i32 s36, 0x1f8
	v_cmp_neq_f32_e32 vcc, v37, v36
	v_cmp_class_f32_e64 s[4:5], v37, s36
	s_or_b64 s[34:35], vcc, s[4:5]
	s_and_saveexec_b64 s[4:5], s[34:35]
	s_cbranch_execz .LBB507_300
; %bb.299:
	v_sub_f32_e32 v37, v37, v36
	s_mov_b32 s34, 0x3fb8aa3b
	v_mul_f32_e32 v38, 0x3fb8aa3b, v37
	v_fma_f32 v39, v37, s34, -v38
	v_rndne_f32_e32 v40, v38
	v_fmac_f32_e32 v39, 0x32a5705f, v37
	v_sub_f32_e32 v38, v38, v40
	v_add_f32_e32 v38, v38, v39
	v_exp_f32_e32 v38, v38
	v_cvt_i32_f32_e32 v39, v40
	s_mov_b32 s34, 0xc2ce8ed0
	v_cmp_ngt_f32_e32 vcc, s34, v37
	s_mov_b32 s34, 0x42b17218
	v_ldexp_f32 v38, v38, v39
	v_cndmask_b32_e32 v38, 0, v38, vcc
	v_mov_b32_e32 v39, 0x7f800000
	v_cmp_nlt_f32_e32 vcc, s34, v37
	v_cndmask_b32_e32 v40, v39, v38, vcc
	v_add_f32_e32 v41, 1.0, v40
	v_cvt_f64_f32_e32 v[37:38], v41
	v_add_f32_e32 v42, -1.0, v41
	v_sub_f32_e32 v43, v42, v41
	v_sub_f32_e32 v42, v40, v42
	v_frexp_exp_i32_f64_e32 v37, v[37:38]
	v_add_f32_e32 v38, 1.0, v43
	v_add_f32_e32 v38, v42, v38
	v_frexp_mant_f32_e32 v42, v41
	s_mov_b32 s35, 0x3f2aaaab
	v_cmp_gt_f32_e32 vcc, s35, v42
	s_mov_b32 s35, 0x3f317218
	s_mov_b32 s34, 0x7f800000
	v_subbrev_co_u32_e32 v37, vcc, 0, v37, vcc
	v_sub_u32_e32 v42, 0, v37
	v_ldexp_f32 v41, v41, v42
	v_ldexp_f32 v38, v38, v42
	v_add_f32_e32 v42, -1.0, v41
	v_add_f32_e32 v45, 1.0, v41
	v_add_f32_e32 v43, 1.0, v42
	v_add_f32_e32 v46, -1.0, v45
	v_sub_f32_e32 v43, v41, v43
	v_sub_f32_e32 v41, v41, v46
	v_add_f32_e32 v43, v38, v43
	v_add_f32_e32 v38, v38, v41
	;; [unrolled: 1-line block ×3, first 2 shown]
	v_rcp_f32_e32 v46, v41
	v_add_f32_e32 v44, v42, v43
	v_sub_f32_e32 v42, v42, v44
	v_add_f32_e32 v42, v43, v42
	v_sub_f32_e32 v43, v45, v41
	v_add_f32_e32 v38, v38, v43
	v_mul_f32_e32 v43, v44, v46
	v_mul_f32_e32 v45, v41, v43
	v_fma_f32 v47, v43, v41, -v45
	v_fmac_f32_e32 v47, v43, v38
	v_add_f32_e32 v48, v45, v47
	v_sub_f32_e32 v49, v44, v48
	v_sub_f32_e32 v44, v44, v49
	;; [unrolled: 1-line block ×4, first 2 shown]
	v_add_f32_e32 v42, v42, v44
	v_sub_f32_e32 v44, v45, v47
	v_add_f32_e32 v42, v44, v42
	v_add_f32_e32 v44, v49, v42
	v_mul_f32_e32 v45, v46, v44
	v_mul_f32_e32 v47, v41, v45
	v_fma_f32 v41, v45, v41, -v47
	v_fmac_f32_e32 v41, v45, v38
	v_sub_f32_e32 v38, v49, v44
	v_add_f32_e32 v38, v42, v38
	v_add_f32_e32 v42, v47, v41
	v_sub_f32_e32 v48, v44, v42
	v_sub_f32_e32 v44, v44, v48
	;; [unrolled: 1-line block ×4, first 2 shown]
	v_add_f32_e32 v38, v38, v42
	v_sub_f32_e32 v41, v47, v41
	v_add_f32_e32 v38, v41, v38
	v_add_f32_e32 v41, v43, v45
	;; [unrolled: 1-line block ×3, first 2 shown]
	v_sub_f32_e32 v42, v41, v43
	v_mul_f32_e32 v38, v46, v38
	v_sub_f32_e32 v42, v45, v42
	v_add_f32_e32 v38, v42, v38
	v_cvt_f32_i32_e32 v37, v37
	v_add_f32_e32 v42, v41, v38
	v_mul_f32_e32 v43, v42, v42
	v_mov_b32_e32 v44, 0x3ecc95a3
	v_fmac_f32_e32 v44, 0x3e9b6dac, v43
	v_mov_b32_e32 v45, 0x3f2aaada
	v_fmac_f32_e32 v45, v43, v44
	v_mul_f32_e32 v44, 0x3f317218, v37
	v_fma_f32 v46, v37, s35, -v44
	v_fmac_f32_e32 v46, 0xb102e308, v37
	v_sub_f32_e32 v37, v42, v41
	v_sub_f32_e32 v37, v38, v37
	v_add_f32_e32 v38, v44, v46
	v_sub_f32_e32 v41, v38, v44
	v_ldexp_f32 v44, v42, 1
	v_mul_f32_e32 v42, v42, v43
	v_mul_f32_e32 v42, v42, v45
	v_add_f32_e32 v43, v44, v42
	v_sub_f32_e32 v44, v43, v44
	v_ldexp_f32 v37, v37, 1
	v_sub_f32_e32 v42, v42, v44
	v_add_f32_e32 v37, v37, v42
	v_add_f32_e32 v42, v43, v37
	v_sub_f32_e32 v43, v42, v43
	v_sub_f32_e32 v37, v37, v43
	v_add_f32_e32 v43, v38, v42
	v_sub_f32_e32 v44, v43, v38
	v_sub_f32_e32 v45, v43, v44
	;; [unrolled: 1-line block ×5, first 2 shown]
	v_add_f32_e32 v38, v42, v38
	v_add_f32_e32 v42, v41, v37
	v_sub_f32_e32 v44, v42, v41
	v_sub_f32_e32 v45, v42, v44
	;; [unrolled: 1-line block ×4, first 2 shown]
	v_add_f32_e32 v38, v42, v38
	v_add_f32_e32 v37, v37, v41
	;; [unrolled: 1-line block ×3, first 2 shown]
	v_sub_f32_e32 v42, v41, v43
	v_sub_f32_e32 v38, v38, v42
	v_add_f32_e32 v37, v37, v38
	v_add_f32_e32 v37, v41, v37
	v_cmp_neq_f32_e32 vcc, s34, v40
	s_mov_b32 s34, 0x33800000
	v_cndmask_b32_e32 v37, v39, v37, vcc
	v_cmp_lt_f32_e64 vcc, |v40|, s34
	v_cndmask_b32_e32 v37, v37, v40, vcc
	v_add_f32_e32 v38, v36, v37
.LBB507_300:
	s_or_b64 exec, exec, s[4:5]
	v_bfe_u32 v36, v38, 16, 1
	s_movk_i32 s37, 0x7fff
	v_add3_u32 v36, v38, v36, s37
	v_and_b32_e32 v36, 0xffff0000, v36
	v_mov_b32_e32 v37, 0x7fc00000
	v_cmp_o_f32_e32 vcc, v38, v38
	v_cndmask_b32_e32 v39, v37, v36, vcc
	v_lshlrev_b32_sdwa v34, v34, v8 dst_sel:DWORD dst_unused:UNUSED_PAD src0_sel:DWORD src1_sel:WORD_0
	v_max_f32_e32 v38, v39, v39
	v_max_f32_e32 v36, v34, v34
	v_min_f32_e32 v40, v38, v36
	v_cmp_u_f32_e32 vcc, v39, v39
	v_max_f32_e32 v38, v38, v36
	v_cndmask_b32_e32 v40, v40, v39, vcc
	v_cmp_u_f32_e64 s[34:35], v34, v34
	v_cndmask_b32_e32 v38, v38, v39, vcc
	v_cndmask_b32_e64 v40, v40, v34, s[34:35]
	v_cndmask_b32_e64 v38, v38, v34, s[34:35]
	v_cmp_neq_f32_e32 vcc, v40, v38
	v_cmp_class_f32_e64 s[4:5], v40, s36
	s_or_b64 s[38:39], vcc, s[4:5]
	s_and_saveexec_b64 s[4:5], s[38:39]
	s_cbranch_execz .LBB507_302
; %bb.301:
	v_sub_f32_e32 v39, v40, v38
	s_mov_b32 s36, 0x3fb8aa3b
	v_mul_f32_e32 v40, 0x3fb8aa3b, v39
	v_fma_f32 v41, v39, s36, -v40
	v_rndne_f32_e32 v42, v40
	v_fmac_f32_e32 v41, 0x32a5705f, v39
	v_sub_f32_e32 v40, v40, v42
	v_add_f32_e32 v40, v40, v41
	v_exp_f32_e32 v40, v40
	v_cvt_i32_f32_e32 v41, v42
	s_mov_b32 s36, 0xc2ce8ed0
	v_cmp_ngt_f32_e32 vcc, s36, v39
	s_mov_b32 s36, 0x42b17218
	v_ldexp_f32 v40, v40, v41
	v_cndmask_b32_e32 v40, 0, v40, vcc
	v_mov_b32_e32 v41, 0x7f800000
	v_cmp_nlt_f32_e32 vcc, s36, v39
	v_cndmask_b32_e32 v42, v41, v40, vcc
	v_add_f32_e32 v43, 1.0, v42
	v_cvt_f64_f32_e32 v[39:40], v43
	v_add_f32_e32 v44, -1.0, v43
	v_sub_f32_e32 v45, v44, v43
	v_sub_f32_e32 v44, v42, v44
	v_frexp_exp_i32_f64_e32 v39, v[39:40]
	v_add_f32_e32 v40, 1.0, v45
	v_add_f32_e32 v40, v44, v40
	v_frexp_mant_f32_e32 v44, v43
	s_mov_b32 s38, 0x3f2aaaab
	v_cmp_gt_f32_e32 vcc, s38, v44
	s_mov_b32 s38, 0x3f317218
	s_mov_b32 s36, 0x7f800000
	v_subbrev_co_u32_e32 v39, vcc, 0, v39, vcc
	v_sub_u32_e32 v44, 0, v39
	v_ldexp_f32 v43, v43, v44
	v_ldexp_f32 v40, v40, v44
	v_add_f32_e32 v44, -1.0, v43
	v_add_f32_e32 v47, 1.0, v43
	v_add_f32_e32 v45, 1.0, v44
	v_add_f32_e32 v48, -1.0, v47
	v_sub_f32_e32 v45, v43, v45
	v_sub_f32_e32 v43, v43, v48
	v_add_f32_e32 v45, v40, v45
	v_add_f32_e32 v40, v40, v43
	;; [unrolled: 1-line block ×3, first 2 shown]
	v_rcp_f32_e32 v48, v43
	v_add_f32_e32 v46, v44, v45
	v_sub_f32_e32 v44, v44, v46
	v_add_f32_e32 v44, v45, v44
	v_sub_f32_e32 v45, v47, v43
	v_add_f32_e32 v40, v40, v45
	v_mul_f32_e32 v45, v46, v48
	v_mul_f32_e32 v47, v43, v45
	v_fma_f32 v49, v45, v43, -v47
	v_fmac_f32_e32 v49, v45, v40
	v_add_f32_e32 v54, v47, v49
	v_sub_f32_e32 v55, v46, v54
	v_sub_f32_e32 v46, v46, v55
	;; [unrolled: 1-line block ×4, first 2 shown]
	v_add_f32_e32 v44, v44, v46
	v_sub_f32_e32 v46, v47, v49
	v_add_f32_e32 v44, v46, v44
	v_add_f32_e32 v46, v55, v44
	v_mul_f32_e32 v47, v48, v46
	v_mul_f32_e32 v49, v43, v47
	v_fma_f32 v43, v47, v43, -v49
	v_fmac_f32_e32 v43, v47, v40
	v_sub_f32_e32 v40, v55, v46
	v_add_f32_e32 v40, v44, v40
	v_add_f32_e32 v44, v49, v43
	v_sub_f32_e32 v54, v46, v44
	v_sub_f32_e32 v46, v46, v54
	;; [unrolled: 1-line block ×4, first 2 shown]
	v_add_f32_e32 v40, v40, v44
	v_sub_f32_e32 v43, v49, v43
	v_add_f32_e32 v40, v43, v40
	v_add_f32_e32 v43, v45, v47
	;; [unrolled: 1-line block ×3, first 2 shown]
	v_sub_f32_e32 v44, v43, v45
	v_mul_f32_e32 v40, v48, v40
	v_sub_f32_e32 v44, v47, v44
	v_add_f32_e32 v40, v44, v40
	v_cvt_f32_i32_e32 v39, v39
	v_add_f32_e32 v44, v43, v40
	v_mul_f32_e32 v45, v44, v44
	v_mov_b32_e32 v46, 0x3ecc95a3
	v_fmac_f32_e32 v46, 0x3e9b6dac, v45
	v_mov_b32_e32 v47, 0x3f2aaada
	v_fmac_f32_e32 v47, v45, v46
	v_mul_f32_e32 v46, 0x3f317218, v39
	v_fma_f32 v48, v39, s38, -v46
	v_fmac_f32_e32 v48, 0xb102e308, v39
	v_sub_f32_e32 v39, v44, v43
	v_sub_f32_e32 v39, v40, v39
	v_add_f32_e32 v40, v46, v48
	v_sub_f32_e32 v43, v40, v46
	v_ldexp_f32 v46, v44, 1
	v_mul_f32_e32 v44, v44, v45
	v_mul_f32_e32 v44, v44, v47
	v_add_f32_e32 v45, v46, v44
	v_sub_f32_e32 v46, v45, v46
	v_ldexp_f32 v39, v39, 1
	v_sub_f32_e32 v44, v44, v46
	v_add_f32_e32 v39, v39, v44
	v_add_f32_e32 v44, v45, v39
	v_sub_f32_e32 v45, v44, v45
	v_sub_f32_e32 v39, v39, v45
	v_add_f32_e32 v45, v40, v44
	v_sub_f32_e32 v46, v45, v40
	v_sub_f32_e32 v47, v45, v46
	;; [unrolled: 1-line block ×5, first 2 shown]
	v_add_f32_e32 v40, v44, v40
	v_add_f32_e32 v44, v43, v39
	v_sub_f32_e32 v46, v44, v43
	v_sub_f32_e32 v47, v44, v46
	;; [unrolled: 1-line block ×4, first 2 shown]
	v_add_f32_e32 v40, v44, v40
	v_add_f32_e32 v39, v39, v43
	;; [unrolled: 1-line block ×3, first 2 shown]
	v_sub_f32_e32 v44, v43, v45
	v_sub_f32_e32 v40, v40, v44
	v_add_f32_e32 v39, v39, v40
	v_add_f32_e32 v39, v43, v39
	v_cmp_neq_f32_e32 vcc, s36, v42
	s_mov_b32 s36, 0x33800000
	v_cndmask_b32_e32 v39, v41, v39, vcc
	v_cmp_lt_f32_e64 vcc, |v42|, s36
	v_cndmask_b32_e32 v39, v39, v42, vcc
	v_add_f32_e32 v39, v38, v39
.LBB507_302:
	s_or_b64 exec, exec, s[4:5]
	v_bfe_u32 v38, v39, 16, 1
	v_add3_u32 v38, v39, v38, s37
	v_and_b32_e32 v38, 0xffff0000, v38
	v_cmp_o_f32_e32 vcc, v39, v39
	v_cndmask_b32_e32 v41, v37, v38, vcc
	v_mov_b32_e32 v37, 16
	v_lshlrev_b32_sdwa v8, v37, v8 dst_sel:DWORD dst_unused:UNUSED_PAD src0_sel:DWORD src1_sel:WORD_1
	v_max_f32_e32 v39, v41, v41
	v_max_f32_e32 v38, v8, v8
	v_min_f32_e32 v40, v39, v38
	v_cmp_u_f32_e32 vcc, v41, v41
	v_max_f32_e32 v39, v39, v38
	v_cndmask_b32_e32 v40, v40, v41, vcc
	v_cmp_u_f32_e64 s[36:37], v8, v8
	v_cndmask_b32_e32 v39, v39, v41, vcc
	v_cndmask_b32_e64 v40, v40, v8, s[36:37]
	v_cndmask_b32_e64 v39, v39, v8, s[36:37]
	s_movk_i32 s40, 0x1f8
	v_cmp_neq_f32_e32 vcc, v40, v39
	v_cmp_class_f32_e64 s[4:5], v40, s40
	s_or_b64 s[38:39], vcc, s[4:5]
	s_and_saveexec_b64 s[4:5], s[38:39]
	s_cbranch_execz .LBB507_304
; %bb.303:
	v_sub_f32_e32 v40, v40, v39
	s_mov_b32 s38, 0x3fb8aa3b
	v_mul_f32_e32 v41, 0x3fb8aa3b, v40
	v_fma_f32 v42, v40, s38, -v41
	v_rndne_f32_e32 v43, v41
	v_fmac_f32_e32 v42, 0x32a5705f, v40
	v_sub_f32_e32 v41, v41, v43
	v_add_f32_e32 v41, v41, v42
	v_exp_f32_e32 v41, v41
	v_cvt_i32_f32_e32 v42, v43
	s_mov_b32 s38, 0xc2ce8ed0
	v_cmp_ngt_f32_e32 vcc, s38, v40
	s_mov_b32 s38, 0x42b17218
	v_ldexp_f32 v41, v41, v42
	v_cndmask_b32_e32 v41, 0, v41, vcc
	v_mov_b32_e32 v42, 0x7f800000
	v_cmp_nlt_f32_e32 vcc, s38, v40
	v_cndmask_b32_e32 v43, v42, v41, vcc
	v_add_f32_e32 v44, 1.0, v43
	v_cvt_f64_f32_e32 v[40:41], v44
	v_add_f32_e32 v45, -1.0, v44
	v_sub_f32_e32 v46, v45, v44
	v_sub_f32_e32 v45, v43, v45
	v_frexp_exp_i32_f64_e32 v40, v[40:41]
	v_add_f32_e32 v41, 1.0, v46
	v_add_f32_e32 v41, v45, v41
	v_frexp_mant_f32_e32 v45, v44
	s_mov_b32 s39, 0x3f2aaaab
	v_cmp_gt_f32_e32 vcc, s39, v45
	s_mov_b32 s39, 0x3f317218
	s_mov_b32 s38, 0x7f800000
	v_subbrev_co_u32_e32 v40, vcc, 0, v40, vcc
	v_sub_u32_e32 v45, 0, v40
	v_ldexp_f32 v44, v44, v45
	v_ldexp_f32 v41, v41, v45
	v_add_f32_e32 v45, -1.0, v44
	v_add_f32_e32 v48, 1.0, v44
	v_add_f32_e32 v46, 1.0, v45
	v_add_f32_e32 v49, -1.0, v48
	v_sub_f32_e32 v46, v44, v46
	v_sub_f32_e32 v44, v44, v49
	v_add_f32_e32 v46, v41, v46
	v_add_f32_e32 v41, v41, v44
	;; [unrolled: 1-line block ×3, first 2 shown]
	v_rcp_f32_e32 v49, v44
	v_add_f32_e32 v47, v45, v46
	v_sub_f32_e32 v45, v45, v47
	v_add_f32_e32 v45, v46, v45
	v_sub_f32_e32 v46, v48, v44
	v_add_f32_e32 v41, v41, v46
	v_mul_f32_e32 v46, v47, v49
	v_mul_f32_e32 v48, v44, v46
	v_fma_f32 v54, v46, v44, -v48
	v_fmac_f32_e32 v54, v46, v41
	v_add_f32_e32 v55, v48, v54
	v_sub_f32_e32 v56, v47, v55
	v_sub_f32_e32 v47, v47, v56
	;; [unrolled: 1-line block ×4, first 2 shown]
	v_add_f32_e32 v45, v45, v47
	v_sub_f32_e32 v47, v48, v54
	v_add_f32_e32 v45, v47, v45
	v_add_f32_e32 v47, v56, v45
	v_mul_f32_e32 v48, v49, v47
	v_mul_f32_e32 v54, v44, v48
	v_fma_f32 v44, v48, v44, -v54
	v_fmac_f32_e32 v44, v48, v41
	v_sub_f32_e32 v41, v56, v47
	v_add_f32_e32 v41, v45, v41
	v_add_f32_e32 v45, v54, v44
	v_sub_f32_e32 v55, v47, v45
	v_sub_f32_e32 v47, v47, v55
	;; [unrolled: 1-line block ×4, first 2 shown]
	v_add_f32_e32 v41, v41, v45
	v_sub_f32_e32 v44, v54, v44
	v_add_f32_e32 v41, v44, v41
	v_add_f32_e32 v44, v46, v48
	;; [unrolled: 1-line block ×3, first 2 shown]
	v_sub_f32_e32 v45, v44, v46
	v_mul_f32_e32 v41, v49, v41
	v_sub_f32_e32 v45, v48, v45
	v_add_f32_e32 v41, v45, v41
	v_cvt_f32_i32_e32 v40, v40
	v_add_f32_e32 v45, v44, v41
	v_mul_f32_e32 v46, v45, v45
	v_mov_b32_e32 v47, 0x3ecc95a3
	v_fmac_f32_e32 v47, 0x3e9b6dac, v46
	v_mov_b32_e32 v48, 0x3f2aaada
	v_fmac_f32_e32 v48, v46, v47
	v_mul_f32_e32 v47, 0x3f317218, v40
	v_fma_f32 v49, v40, s39, -v47
	v_fmac_f32_e32 v49, 0xb102e308, v40
	v_sub_f32_e32 v40, v45, v44
	v_sub_f32_e32 v40, v41, v40
	v_add_f32_e32 v41, v47, v49
	v_sub_f32_e32 v44, v41, v47
	v_ldexp_f32 v47, v45, 1
	v_mul_f32_e32 v45, v45, v46
	v_mul_f32_e32 v45, v45, v48
	v_add_f32_e32 v46, v47, v45
	v_sub_f32_e32 v47, v46, v47
	v_ldexp_f32 v40, v40, 1
	v_sub_f32_e32 v45, v45, v47
	v_add_f32_e32 v40, v40, v45
	v_add_f32_e32 v45, v46, v40
	v_sub_f32_e32 v46, v45, v46
	v_sub_f32_e32 v40, v40, v46
	v_add_f32_e32 v46, v41, v45
	v_sub_f32_e32 v47, v46, v41
	v_sub_f32_e32 v48, v46, v47
	;; [unrolled: 1-line block ×5, first 2 shown]
	v_add_f32_e32 v41, v45, v41
	v_add_f32_e32 v45, v44, v40
	v_sub_f32_e32 v47, v45, v44
	v_sub_f32_e32 v48, v45, v47
	;; [unrolled: 1-line block ×4, first 2 shown]
	v_add_f32_e32 v41, v45, v41
	v_add_f32_e32 v40, v40, v44
	;; [unrolled: 1-line block ×3, first 2 shown]
	v_sub_f32_e32 v45, v44, v46
	v_sub_f32_e32 v41, v41, v45
	v_add_f32_e32 v40, v40, v41
	v_add_f32_e32 v40, v44, v40
	v_cmp_neq_f32_e32 vcc, s38, v43
	s_mov_b32 s38, 0x33800000
	v_cndmask_b32_e32 v40, v42, v40, vcc
	v_cmp_lt_f32_e64 vcc, |v43|, s38
	v_cndmask_b32_e32 v40, v40, v43, vcc
	v_add_f32_e32 v41, v39, v40
.LBB507_304:
	s_or_b64 exec, exec, s[4:5]
	v_bfe_u32 v39, v41, 16, 1
	s_movk_i32 s41, 0x7fff
	v_add3_u32 v39, v41, v39, s41
	v_and_b32_e32 v39, 0xffff0000, v39
	v_mov_b32_e32 v40, 0x7fc00000
	v_cmp_o_f32_e32 vcc, v41, v41
	v_cndmask_b32_e32 v42, v40, v39, vcc
	v_lshlrev_b32_sdwa v37, v37, v1 dst_sel:DWORD dst_unused:UNUSED_PAD src0_sel:DWORD src1_sel:WORD_0
	v_max_f32_e32 v41, v42, v42
	v_max_f32_e32 v39, v37, v37
	v_min_f32_e32 v43, v41, v39
	v_cmp_u_f32_e32 vcc, v42, v42
	v_max_f32_e32 v41, v41, v39
	v_cndmask_b32_e32 v43, v43, v42, vcc
	v_cmp_u_f32_e64 s[38:39], v37, v37
	v_cndmask_b32_e32 v41, v41, v42, vcc
	v_cndmask_b32_e64 v43, v43, v37, s[38:39]
	v_cndmask_b32_e64 v41, v41, v37, s[38:39]
	v_cmp_neq_f32_e32 vcc, v43, v41
	v_cmp_class_f32_e64 s[4:5], v43, s40
	s_or_b64 s[42:43], vcc, s[4:5]
	s_and_saveexec_b64 s[4:5], s[42:43]
	s_cbranch_execz .LBB507_306
; %bb.305:
	v_sub_f32_e32 v42, v43, v41
	s_mov_b32 s40, 0x3fb8aa3b
	v_mul_f32_e32 v43, 0x3fb8aa3b, v42
	v_fma_f32 v44, v42, s40, -v43
	v_rndne_f32_e32 v45, v43
	v_fmac_f32_e32 v44, 0x32a5705f, v42
	v_sub_f32_e32 v43, v43, v45
	v_add_f32_e32 v43, v43, v44
	v_exp_f32_e32 v43, v43
	v_cvt_i32_f32_e32 v44, v45
	s_mov_b32 s40, 0xc2ce8ed0
	v_cmp_ngt_f32_e32 vcc, s40, v42
	s_mov_b32 s40, 0x42b17218
	v_ldexp_f32 v43, v43, v44
	v_cndmask_b32_e32 v43, 0, v43, vcc
	v_mov_b32_e32 v44, 0x7f800000
	v_cmp_nlt_f32_e32 vcc, s40, v42
	v_cndmask_b32_e32 v45, v44, v43, vcc
	v_add_f32_e32 v46, 1.0, v45
	v_cvt_f64_f32_e32 v[42:43], v46
	v_add_f32_e32 v47, -1.0, v46
	v_sub_f32_e32 v48, v47, v46
	v_sub_f32_e32 v47, v45, v47
	v_frexp_exp_i32_f64_e32 v42, v[42:43]
	v_add_f32_e32 v43, 1.0, v48
	v_add_f32_e32 v43, v47, v43
	v_frexp_mant_f32_e32 v47, v46
	s_mov_b32 s42, 0x3f2aaaab
	v_cmp_gt_f32_e32 vcc, s42, v47
	s_mov_b32 s42, 0x3f317218
	s_mov_b32 s40, 0x7f800000
	v_subbrev_co_u32_e32 v42, vcc, 0, v42, vcc
	v_sub_u32_e32 v47, 0, v42
	v_ldexp_f32 v46, v46, v47
	v_ldexp_f32 v43, v43, v47
	v_add_f32_e32 v47, -1.0, v46
	v_add_f32_e32 v54, 1.0, v46
	v_add_f32_e32 v48, 1.0, v47
	v_add_f32_e32 v55, -1.0, v54
	v_sub_f32_e32 v48, v46, v48
	v_sub_f32_e32 v46, v46, v55
	v_add_f32_e32 v48, v43, v48
	v_add_f32_e32 v43, v43, v46
	;; [unrolled: 1-line block ×3, first 2 shown]
	v_rcp_f32_e32 v55, v46
	v_add_f32_e32 v49, v47, v48
	v_sub_f32_e32 v47, v47, v49
	v_add_f32_e32 v47, v48, v47
	v_sub_f32_e32 v48, v54, v46
	v_add_f32_e32 v43, v43, v48
	v_mul_f32_e32 v48, v49, v55
	v_mul_f32_e32 v54, v46, v48
	v_fma_f32 v56, v48, v46, -v54
	v_fmac_f32_e32 v56, v48, v43
	v_add_f32_e32 v57, v54, v56
	v_sub_f32_e32 v58, v49, v57
	v_sub_f32_e32 v49, v49, v58
	;; [unrolled: 1-line block ×4, first 2 shown]
	v_add_f32_e32 v47, v47, v49
	v_sub_f32_e32 v49, v54, v56
	v_add_f32_e32 v47, v49, v47
	v_add_f32_e32 v49, v58, v47
	v_mul_f32_e32 v54, v55, v49
	v_mul_f32_e32 v56, v46, v54
	v_fma_f32 v46, v54, v46, -v56
	v_fmac_f32_e32 v46, v54, v43
	v_sub_f32_e32 v43, v58, v49
	v_add_f32_e32 v43, v47, v43
	v_add_f32_e32 v47, v56, v46
	v_sub_f32_e32 v57, v49, v47
	v_sub_f32_e32 v49, v49, v57
	v_sub_f32_e32 v56, v47, v56
	v_sub_f32_e32 v47, v49, v47
	v_add_f32_e32 v43, v43, v47
	v_sub_f32_e32 v46, v56, v46
	v_add_f32_e32 v43, v46, v43
	v_add_f32_e32 v46, v48, v54
	;; [unrolled: 1-line block ×3, first 2 shown]
	v_sub_f32_e32 v47, v46, v48
	v_mul_f32_e32 v43, v55, v43
	v_sub_f32_e32 v47, v54, v47
	v_add_f32_e32 v43, v47, v43
	v_cvt_f32_i32_e32 v42, v42
	v_add_f32_e32 v47, v46, v43
	v_mul_f32_e32 v48, v47, v47
	v_mov_b32_e32 v49, 0x3ecc95a3
	v_fmac_f32_e32 v49, 0x3e9b6dac, v48
	v_mov_b32_e32 v54, 0x3f2aaada
	v_fmac_f32_e32 v54, v48, v49
	v_mul_f32_e32 v49, 0x3f317218, v42
	v_fma_f32 v55, v42, s42, -v49
	v_fmac_f32_e32 v55, 0xb102e308, v42
	v_sub_f32_e32 v42, v47, v46
	v_sub_f32_e32 v42, v43, v42
	v_add_f32_e32 v43, v49, v55
	v_sub_f32_e32 v46, v43, v49
	v_ldexp_f32 v49, v47, 1
	v_mul_f32_e32 v47, v47, v48
	v_mul_f32_e32 v47, v47, v54
	v_add_f32_e32 v48, v49, v47
	v_sub_f32_e32 v49, v48, v49
	v_ldexp_f32 v42, v42, 1
	v_sub_f32_e32 v47, v47, v49
	v_add_f32_e32 v42, v42, v47
	v_add_f32_e32 v47, v48, v42
	v_sub_f32_e32 v48, v47, v48
	v_sub_f32_e32 v42, v42, v48
	v_add_f32_e32 v48, v43, v47
	v_sub_f32_e32 v49, v48, v43
	v_sub_f32_e32 v54, v48, v49
	;; [unrolled: 1-line block ×5, first 2 shown]
	v_add_f32_e32 v43, v47, v43
	v_add_f32_e32 v47, v46, v42
	v_sub_f32_e32 v49, v47, v46
	v_sub_f32_e32 v54, v47, v49
	v_sub_f32_e32 v46, v46, v54
	v_sub_f32_e32 v42, v42, v49
	v_add_f32_e32 v43, v47, v43
	v_add_f32_e32 v42, v42, v46
	v_add_f32_e32 v46, v48, v43
	v_sub_f32_e32 v47, v46, v48
	v_sub_f32_e32 v43, v43, v47
	v_add_f32_e32 v42, v42, v43
	v_add_f32_e32 v42, v46, v42
	v_cmp_neq_f32_e32 vcc, s40, v45
	s_mov_b32 s40, 0x33800000
	v_cndmask_b32_e32 v42, v44, v42, vcc
	v_cmp_lt_f32_e64 vcc, |v45|, s40
	v_cndmask_b32_e32 v42, v42, v45, vcc
	v_add_f32_e32 v42, v41, v42
.LBB507_306:
	s_or_b64 exec, exec, s[4:5]
	v_bfe_u32 v41, v42, 16, 1
	v_add3_u32 v41, v42, v41, s41
	v_and_b32_e32 v41, 0xffff0000, v41
	v_cmp_o_f32_e32 vcc, v42, v42
	v_cndmask_b32_e32 v44, v40, v41, vcc
	v_mov_b32_e32 v40, 16
	v_lshlrev_b32_sdwa v1, v40, v1 dst_sel:DWORD dst_unused:UNUSED_PAD src0_sel:DWORD src1_sel:WORD_1
	v_max_f32_e32 v42, v44, v44
	v_max_f32_e32 v41, v1, v1
	v_min_f32_e32 v43, v42, v41
	v_cmp_u_f32_e32 vcc, v44, v44
	v_max_f32_e32 v42, v42, v41
	v_cndmask_b32_e32 v43, v43, v44, vcc
	v_cmp_u_f32_e64 s[40:41], v1, v1
	v_cndmask_b32_e32 v42, v42, v44, vcc
	v_cndmask_b32_e64 v43, v43, v1, s[40:41]
	v_cndmask_b32_e64 v42, v42, v1, s[40:41]
	s_movk_i32 s44, 0x1f8
	v_cmp_neq_f32_e32 vcc, v43, v42
	v_cmp_class_f32_e64 s[4:5], v43, s44
	s_or_b64 s[42:43], vcc, s[4:5]
	s_and_saveexec_b64 s[4:5], s[42:43]
	s_cbranch_execz .LBB507_308
; %bb.307:
	v_sub_f32_e32 v43, v43, v42
	s_mov_b32 s42, 0x3fb8aa3b
	v_mul_f32_e32 v44, 0x3fb8aa3b, v43
	v_fma_f32 v45, v43, s42, -v44
	v_rndne_f32_e32 v46, v44
	v_fmac_f32_e32 v45, 0x32a5705f, v43
	v_sub_f32_e32 v44, v44, v46
	v_add_f32_e32 v44, v44, v45
	v_exp_f32_e32 v44, v44
	v_cvt_i32_f32_e32 v45, v46
	s_mov_b32 s42, 0xc2ce8ed0
	v_cmp_ngt_f32_e32 vcc, s42, v43
	s_mov_b32 s42, 0x42b17218
	v_ldexp_f32 v44, v44, v45
	v_cndmask_b32_e32 v44, 0, v44, vcc
	v_mov_b32_e32 v45, 0x7f800000
	v_cmp_nlt_f32_e32 vcc, s42, v43
	v_cndmask_b32_e32 v46, v45, v44, vcc
	v_add_f32_e32 v47, 1.0, v46
	v_cvt_f64_f32_e32 v[43:44], v47
	v_add_f32_e32 v48, -1.0, v47
	v_sub_f32_e32 v49, v48, v47
	v_sub_f32_e32 v48, v46, v48
	v_frexp_exp_i32_f64_e32 v43, v[43:44]
	v_add_f32_e32 v44, 1.0, v49
	v_add_f32_e32 v44, v48, v44
	v_frexp_mant_f32_e32 v48, v47
	s_mov_b32 s43, 0x3f2aaaab
	v_cmp_gt_f32_e32 vcc, s43, v48
	s_mov_b32 s43, 0x3f317218
	s_mov_b32 s42, 0x7f800000
	v_subbrev_co_u32_e32 v43, vcc, 0, v43, vcc
	v_sub_u32_e32 v48, 0, v43
	v_ldexp_f32 v47, v47, v48
	v_ldexp_f32 v44, v44, v48
	v_add_f32_e32 v48, -1.0, v47
	v_add_f32_e32 v55, 1.0, v47
	v_add_f32_e32 v49, 1.0, v48
	v_add_f32_e32 v56, -1.0, v55
	v_sub_f32_e32 v49, v47, v49
	v_sub_f32_e32 v47, v47, v56
	v_add_f32_e32 v49, v44, v49
	v_add_f32_e32 v44, v44, v47
	;; [unrolled: 1-line block ×3, first 2 shown]
	v_rcp_f32_e32 v56, v47
	v_add_f32_e32 v54, v48, v49
	v_sub_f32_e32 v48, v48, v54
	v_add_f32_e32 v48, v49, v48
	v_sub_f32_e32 v49, v55, v47
	v_add_f32_e32 v44, v44, v49
	v_mul_f32_e32 v49, v54, v56
	v_mul_f32_e32 v55, v47, v49
	v_fma_f32 v57, v49, v47, -v55
	v_fmac_f32_e32 v57, v49, v44
	v_add_f32_e32 v58, v55, v57
	v_sub_f32_e32 v59, v54, v58
	v_sub_f32_e32 v54, v54, v59
	;; [unrolled: 1-line block ×4, first 2 shown]
	v_add_f32_e32 v48, v48, v54
	v_sub_f32_e32 v54, v55, v57
	v_add_f32_e32 v48, v54, v48
	v_add_f32_e32 v54, v59, v48
	v_mul_f32_e32 v55, v56, v54
	v_mul_f32_e32 v57, v47, v55
	v_fma_f32 v47, v55, v47, -v57
	v_fmac_f32_e32 v47, v55, v44
	v_sub_f32_e32 v44, v59, v54
	v_add_f32_e32 v44, v48, v44
	v_add_f32_e32 v48, v57, v47
	v_sub_f32_e32 v58, v54, v48
	v_sub_f32_e32 v54, v54, v58
	;; [unrolled: 1-line block ×4, first 2 shown]
	v_add_f32_e32 v44, v44, v48
	v_sub_f32_e32 v47, v57, v47
	v_add_f32_e32 v44, v47, v44
	v_add_f32_e32 v47, v49, v55
	;; [unrolled: 1-line block ×3, first 2 shown]
	v_sub_f32_e32 v48, v47, v49
	v_mul_f32_e32 v44, v56, v44
	v_sub_f32_e32 v48, v55, v48
	v_add_f32_e32 v44, v48, v44
	v_cvt_f32_i32_e32 v43, v43
	v_add_f32_e32 v48, v47, v44
	v_mul_f32_e32 v49, v48, v48
	v_mov_b32_e32 v54, 0x3ecc95a3
	v_fmac_f32_e32 v54, 0x3e9b6dac, v49
	v_mov_b32_e32 v55, 0x3f2aaada
	v_fmac_f32_e32 v55, v49, v54
	v_mul_f32_e32 v54, 0x3f317218, v43
	v_fma_f32 v56, v43, s43, -v54
	v_fmac_f32_e32 v56, 0xb102e308, v43
	v_sub_f32_e32 v43, v48, v47
	v_sub_f32_e32 v43, v44, v43
	v_add_f32_e32 v44, v54, v56
	v_sub_f32_e32 v47, v44, v54
	v_ldexp_f32 v54, v48, 1
	v_mul_f32_e32 v48, v48, v49
	v_mul_f32_e32 v48, v48, v55
	v_add_f32_e32 v49, v54, v48
	v_sub_f32_e32 v54, v49, v54
	v_ldexp_f32 v43, v43, 1
	v_sub_f32_e32 v48, v48, v54
	v_add_f32_e32 v43, v43, v48
	v_add_f32_e32 v48, v49, v43
	v_sub_f32_e32 v49, v48, v49
	v_sub_f32_e32 v43, v43, v49
	v_add_f32_e32 v49, v44, v48
	v_sub_f32_e32 v54, v49, v44
	v_sub_f32_e32 v55, v49, v54
	;; [unrolled: 1-line block ×5, first 2 shown]
	v_add_f32_e32 v44, v48, v44
	v_add_f32_e32 v48, v47, v43
	v_sub_f32_e32 v54, v48, v47
	v_sub_f32_e32 v55, v48, v54
	;; [unrolled: 1-line block ×4, first 2 shown]
	v_add_f32_e32 v44, v48, v44
	v_add_f32_e32 v43, v43, v47
	;; [unrolled: 1-line block ×3, first 2 shown]
	v_sub_f32_e32 v48, v47, v49
	v_sub_f32_e32 v44, v44, v48
	v_add_f32_e32 v43, v43, v44
	v_add_f32_e32 v43, v47, v43
	v_cmp_neq_f32_e32 vcc, s42, v46
	s_mov_b32 s42, 0x33800000
	v_cndmask_b32_e32 v43, v45, v43, vcc
	v_cmp_lt_f32_e64 vcc, |v46|, s42
	v_cndmask_b32_e32 v43, v43, v46, vcc
	v_add_f32_e32 v44, v42, v43
.LBB507_308:
	s_or_b64 exec, exec, s[4:5]
	v_bfe_u32 v42, v44, 16, 1
	s_movk_i32 s45, 0x7fff
	v_add3_u32 v42, v44, v42, s45
	v_and_b32_e32 v42, 0xffff0000, v42
	v_mov_b32_e32 v43, 0x7fc00000
	v_cmp_o_f32_e32 vcc, v44, v44
	v_cndmask_b32_e32 v45, v43, v42, vcc
	v_lshlrev_b32_sdwa v40, v40, v2 dst_sel:DWORD dst_unused:UNUSED_PAD src0_sel:DWORD src1_sel:WORD_0
	v_max_f32_e32 v44, v45, v45
	v_max_f32_e32 v42, v40, v40
	v_min_f32_e32 v46, v44, v42
	v_cmp_u_f32_e32 vcc, v45, v45
	v_max_f32_e32 v44, v44, v42
	v_cndmask_b32_e32 v46, v46, v45, vcc
	v_cmp_u_f32_e64 s[42:43], v40, v40
	v_cndmask_b32_e32 v44, v44, v45, vcc
	v_cndmask_b32_e64 v46, v46, v40, s[42:43]
	v_cndmask_b32_e64 v44, v44, v40, s[42:43]
	v_cmp_neq_f32_e32 vcc, v46, v44
	v_cmp_class_f32_e64 s[4:5], v46, s44
	s_or_b64 s[46:47], vcc, s[4:5]
	s_and_saveexec_b64 s[4:5], s[46:47]
	s_cbranch_execz .LBB507_310
; %bb.309:
	v_sub_f32_e32 v45, v46, v44
	s_mov_b32 s44, 0x3fb8aa3b
	v_mul_f32_e32 v46, 0x3fb8aa3b, v45
	v_fma_f32 v47, v45, s44, -v46
	v_rndne_f32_e32 v48, v46
	v_fmac_f32_e32 v47, 0x32a5705f, v45
	v_sub_f32_e32 v46, v46, v48
	v_add_f32_e32 v46, v46, v47
	v_exp_f32_e32 v46, v46
	v_cvt_i32_f32_e32 v47, v48
	s_mov_b32 s44, 0xc2ce8ed0
	v_cmp_ngt_f32_e32 vcc, s44, v45
	s_mov_b32 s44, 0x42b17218
	v_ldexp_f32 v46, v46, v47
	v_cndmask_b32_e32 v46, 0, v46, vcc
	v_mov_b32_e32 v47, 0x7f800000
	v_cmp_nlt_f32_e32 vcc, s44, v45
	v_cndmask_b32_e32 v48, v47, v46, vcc
	v_add_f32_e32 v49, 1.0, v48
	v_cvt_f64_f32_e32 v[45:46], v49
	v_add_f32_e32 v54, -1.0, v49
	v_sub_f32_e32 v55, v54, v49
	v_sub_f32_e32 v54, v48, v54
	v_frexp_exp_i32_f64_e32 v45, v[45:46]
	v_add_f32_e32 v46, 1.0, v55
	v_add_f32_e32 v46, v54, v46
	v_frexp_mant_f32_e32 v54, v49
	s_mov_b32 s46, 0x3f2aaaab
	v_cmp_gt_f32_e32 vcc, s46, v54
	s_mov_b32 s46, 0x3f317218
	s_mov_b32 s44, 0x7f800000
	v_subbrev_co_u32_e32 v45, vcc, 0, v45, vcc
	v_sub_u32_e32 v54, 0, v45
	v_ldexp_f32 v49, v49, v54
	v_ldexp_f32 v46, v46, v54
	v_add_f32_e32 v54, -1.0, v49
	v_add_f32_e32 v57, 1.0, v49
	v_add_f32_e32 v55, 1.0, v54
	v_add_f32_e32 v58, -1.0, v57
	v_sub_f32_e32 v55, v49, v55
	v_sub_f32_e32 v49, v49, v58
	v_add_f32_e32 v55, v46, v55
	v_add_f32_e32 v46, v46, v49
	;; [unrolled: 1-line block ×3, first 2 shown]
	v_rcp_f32_e32 v58, v49
	v_add_f32_e32 v56, v54, v55
	v_sub_f32_e32 v54, v54, v56
	v_add_f32_e32 v54, v55, v54
	v_sub_f32_e32 v55, v57, v49
	v_add_f32_e32 v46, v46, v55
	v_mul_f32_e32 v55, v56, v58
	v_mul_f32_e32 v57, v49, v55
	v_fma_f32 v59, v55, v49, -v57
	v_fmac_f32_e32 v59, v55, v46
	v_add_f32_e32 v60, v57, v59
	v_sub_f32_e32 v61, v56, v60
	v_sub_f32_e32 v56, v56, v61
	;; [unrolled: 1-line block ×4, first 2 shown]
	v_add_f32_e32 v54, v54, v56
	v_sub_f32_e32 v56, v57, v59
	v_add_f32_e32 v54, v56, v54
	v_add_f32_e32 v56, v61, v54
	v_mul_f32_e32 v57, v58, v56
	v_mul_f32_e32 v59, v49, v57
	v_fma_f32 v49, v57, v49, -v59
	v_fmac_f32_e32 v49, v57, v46
	v_sub_f32_e32 v46, v61, v56
	v_add_f32_e32 v46, v54, v46
	v_add_f32_e32 v54, v59, v49
	v_sub_f32_e32 v60, v56, v54
	v_sub_f32_e32 v56, v56, v60
	;; [unrolled: 1-line block ×4, first 2 shown]
	v_add_f32_e32 v46, v46, v54
	v_sub_f32_e32 v49, v59, v49
	v_add_f32_e32 v46, v49, v46
	v_add_f32_e32 v49, v55, v57
	v_add_f32_e32 v46, v60, v46
	v_sub_f32_e32 v54, v49, v55
	v_mul_f32_e32 v46, v58, v46
	v_sub_f32_e32 v54, v57, v54
	v_add_f32_e32 v46, v54, v46
	v_cvt_f32_i32_e32 v45, v45
	v_add_f32_e32 v54, v49, v46
	v_mul_f32_e32 v55, v54, v54
	v_mov_b32_e32 v56, 0x3ecc95a3
	v_fmac_f32_e32 v56, 0x3e9b6dac, v55
	v_mov_b32_e32 v57, 0x3f2aaada
	v_fmac_f32_e32 v57, v55, v56
	v_mul_f32_e32 v56, 0x3f317218, v45
	v_fma_f32 v58, v45, s46, -v56
	v_fmac_f32_e32 v58, 0xb102e308, v45
	v_sub_f32_e32 v45, v54, v49
	v_sub_f32_e32 v45, v46, v45
	v_add_f32_e32 v46, v56, v58
	v_sub_f32_e32 v49, v46, v56
	v_ldexp_f32 v56, v54, 1
	v_mul_f32_e32 v54, v54, v55
	v_mul_f32_e32 v54, v54, v57
	v_add_f32_e32 v55, v56, v54
	v_sub_f32_e32 v56, v55, v56
	v_ldexp_f32 v45, v45, 1
	v_sub_f32_e32 v54, v54, v56
	v_add_f32_e32 v45, v45, v54
	v_add_f32_e32 v54, v55, v45
	v_sub_f32_e32 v55, v54, v55
	v_sub_f32_e32 v45, v45, v55
	v_add_f32_e32 v55, v46, v54
	v_sub_f32_e32 v56, v55, v46
	v_sub_f32_e32 v57, v55, v56
	;; [unrolled: 1-line block ×5, first 2 shown]
	v_add_f32_e32 v46, v54, v46
	v_add_f32_e32 v54, v49, v45
	v_sub_f32_e32 v56, v54, v49
	v_sub_f32_e32 v57, v54, v56
	;; [unrolled: 1-line block ×4, first 2 shown]
	v_add_f32_e32 v46, v54, v46
	v_add_f32_e32 v45, v45, v49
	;; [unrolled: 1-line block ×3, first 2 shown]
	v_sub_f32_e32 v54, v49, v55
	v_sub_f32_e32 v46, v46, v54
	v_add_f32_e32 v45, v45, v46
	v_add_f32_e32 v45, v49, v45
	v_cmp_neq_f32_e32 vcc, s44, v48
	s_mov_b32 s44, 0x33800000
	v_cndmask_b32_e32 v45, v47, v45, vcc
	v_cmp_lt_f32_e64 vcc, |v48|, s44
	v_cndmask_b32_e32 v45, v45, v48, vcc
	v_add_f32_e32 v45, v44, v45
.LBB507_310:
	s_or_b64 exec, exec, s[4:5]
	v_bfe_u32 v44, v45, 16, 1
	v_add3_u32 v44, v45, v44, s45
	v_and_b32_e32 v44, 0xffff0000, v44
	v_cmp_o_f32_e32 vcc, v45, v45
	v_cndmask_b32_e32 v47, v43, v44, vcc
	v_mov_b32_e32 v43, 16
	v_lshlrev_b32_sdwa v2, v43, v2 dst_sel:DWORD dst_unused:UNUSED_PAD src0_sel:DWORD src1_sel:WORD_1
	v_max_f32_e32 v45, v47, v47
	v_max_f32_e32 v44, v2, v2
	v_min_f32_e32 v46, v45, v44
	v_cmp_u_f32_e32 vcc, v47, v47
	v_max_f32_e32 v45, v45, v44
	v_cndmask_b32_e32 v46, v46, v47, vcc
	v_cmp_u_f32_e64 s[44:45], v2, v2
	v_cndmask_b32_e32 v45, v45, v47, vcc
	v_cndmask_b32_e64 v46, v46, v2, s[44:45]
	v_cndmask_b32_e64 v45, v45, v2, s[44:45]
	s_movk_i32 s48, 0x1f8
	v_cmp_neq_f32_e32 vcc, v46, v45
	v_cmp_class_f32_e64 s[4:5], v46, s48
	s_or_b64 s[46:47], vcc, s[4:5]
	s_and_saveexec_b64 s[4:5], s[46:47]
	s_cbranch_execz .LBB507_312
; %bb.311:
	v_sub_f32_e32 v46, v46, v45
	s_mov_b32 s46, 0x3fb8aa3b
	v_mul_f32_e32 v47, 0x3fb8aa3b, v46
	v_fma_f32 v48, v46, s46, -v47
	v_rndne_f32_e32 v49, v47
	v_fmac_f32_e32 v48, 0x32a5705f, v46
	v_sub_f32_e32 v47, v47, v49
	v_add_f32_e32 v47, v47, v48
	v_exp_f32_e32 v47, v47
	v_cvt_i32_f32_e32 v48, v49
	s_mov_b32 s46, 0xc2ce8ed0
	v_cmp_ngt_f32_e32 vcc, s46, v46
	s_mov_b32 s46, 0x42b17218
	v_ldexp_f32 v47, v47, v48
	v_cndmask_b32_e32 v47, 0, v47, vcc
	v_mov_b32_e32 v48, 0x7f800000
	v_cmp_nlt_f32_e32 vcc, s46, v46
	v_cndmask_b32_e32 v49, v48, v47, vcc
	v_add_f32_e32 v54, 1.0, v49
	v_cvt_f64_f32_e32 v[46:47], v54
	v_add_f32_e32 v55, -1.0, v54
	v_sub_f32_e32 v56, v55, v54
	v_sub_f32_e32 v55, v49, v55
	v_frexp_exp_i32_f64_e32 v46, v[46:47]
	v_add_f32_e32 v47, 1.0, v56
	v_add_f32_e32 v47, v55, v47
	v_frexp_mant_f32_e32 v55, v54
	s_mov_b32 s47, 0x3f2aaaab
	v_cmp_gt_f32_e32 vcc, s47, v55
	s_mov_b32 s47, 0x3f317218
	s_mov_b32 s46, 0x7f800000
	v_subbrev_co_u32_e32 v46, vcc, 0, v46, vcc
	v_sub_u32_e32 v55, 0, v46
	v_ldexp_f32 v54, v54, v55
	v_ldexp_f32 v47, v47, v55
	v_add_f32_e32 v55, -1.0, v54
	v_add_f32_e32 v58, 1.0, v54
	v_add_f32_e32 v56, 1.0, v55
	v_add_f32_e32 v59, -1.0, v58
	v_sub_f32_e32 v56, v54, v56
	v_sub_f32_e32 v54, v54, v59
	v_add_f32_e32 v56, v47, v56
	v_add_f32_e32 v47, v47, v54
	;; [unrolled: 1-line block ×3, first 2 shown]
	v_rcp_f32_e32 v59, v54
	v_add_f32_e32 v57, v55, v56
	v_sub_f32_e32 v55, v55, v57
	v_add_f32_e32 v55, v56, v55
	v_sub_f32_e32 v56, v58, v54
	v_add_f32_e32 v47, v47, v56
	v_mul_f32_e32 v56, v57, v59
	v_mul_f32_e32 v58, v54, v56
	v_fma_f32 v60, v56, v54, -v58
	v_fmac_f32_e32 v60, v56, v47
	v_add_f32_e32 v61, v58, v60
	v_sub_f32_e32 v62, v57, v61
	v_sub_f32_e32 v57, v57, v62
	;; [unrolled: 1-line block ×4, first 2 shown]
	v_add_f32_e32 v55, v55, v57
	v_sub_f32_e32 v57, v58, v60
	v_add_f32_e32 v55, v57, v55
	v_add_f32_e32 v57, v62, v55
	v_mul_f32_e32 v58, v59, v57
	v_mul_f32_e32 v60, v54, v58
	v_fma_f32 v54, v58, v54, -v60
	v_fmac_f32_e32 v54, v58, v47
	v_sub_f32_e32 v47, v62, v57
	v_add_f32_e32 v47, v55, v47
	v_add_f32_e32 v55, v60, v54
	v_sub_f32_e32 v61, v57, v55
	v_sub_f32_e32 v57, v57, v61
	;; [unrolled: 1-line block ×4, first 2 shown]
	v_add_f32_e32 v47, v47, v55
	v_sub_f32_e32 v54, v60, v54
	v_add_f32_e32 v47, v54, v47
	v_add_f32_e32 v54, v56, v58
	;; [unrolled: 1-line block ×3, first 2 shown]
	v_sub_f32_e32 v55, v54, v56
	v_mul_f32_e32 v47, v59, v47
	v_sub_f32_e32 v55, v58, v55
	v_add_f32_e32 v47, v55, v47
	v_cvt_f32_i32_e32 v46, v46
	v_add_f32_e32 v55, v54, v47
	v_mul_f32_e32 v56, v55, v55
	v_mov_b32_e32 v57, 0x3ecc95a3
	v_fmac_f32_e32 v57, 0x3e9b6dac, v56
	v_mov_b32_e32 v58, 0x3f2aaada
	v_fmac_f32_e32 v58, v56, v57
	v_mul_f32_e32 v57, 0x3f317218, v46
	v_fma_f32 v59, v46, s47, -v57
	v_fmac_f32_e32 v59, 0xb102e308, v46
	v_sub_f32_e32 v46, v55, v54
	v_sub_f32_e32 v46, v47, v46
	v_add_f32_e32 v47, v57, v59
	v_sub_f32_e32 v54, v47, v57
	v_ldexp_f32 v57, v55, 1
	v_mul_f32_e32 v55, v55, v56
	v_mul_f32_e32 v55, v55, v58
	v_add_f32_e32 v56, v57, v55
	v_sub_f32_e32 v57, v56, v57
	v_ldexp_f32 v46, v46, 1
	v_sub_f32_e32 v55, v55, v57
	v_add_f32_e32 v46, v46, v55
	v_add_f32_e32 v55, v56, v46
	v_sub_f32_e32 v56, v55, v56
	v_sub_f32_e32 v46, v46, v56
	v_add_f32_e32 v56, v47, v55
	v_sub_f32_e32 v57, v56, v47
	v_sub_f32_e32 v58, v56, v57
	;; [unrolled: 1-line block ×5, first 2 shown]
	v_add_f32_e32 v47, v55, v47
	v_add_f32_e32 v55, v54, v46
	v_sub_f32_e32 v57, v55, v54
	v_sub_f32_e32 v58, v55, v57
	;; [unrolled: 1-line block ×4, first 2 shown]
	v_add_f32_e32 v47, v55, v47
	v_add_f32_e32 v46, v46, v54
	;; [unrolled: 1-line block ×3, first 2 shown]
	v_sub_f32_e32 v55, v54, v56
	v_sub_f32_e32 v47, v47, v55
	v_add_f32_e32 v46, v46, v47
	v_add_f32_e32 v46, v54, v46
	v_cmp_neq_f32_e32 vcc, s46, v49
	s_mov_b32 s46, 0x33800000
	v_cndmask_b32_e32 v46, v48, v46, vcc
	v_cmp_lt_f32_e64 vcc, |v49|, s46
	v_cndmask_b32_e32 v46, v46, v49, vcc
	v_add_f32_e32 v47, v45, v46
.LBB507_312:
	s_or_b64 exec, exec, s[4:5]
	v_bfe_u32 v45, v47, 16, 1
	s_movk_i32 s49, 0x7fff
	v_add3_u32 v45, v47, v45, s49
	v_and_b32_e32 v45, 0xffff0000, v45
	v_mov_b32_e32 v46, 0x7fc00000
	v_cmp_o_f32_e32 vcc, v47, v47
	v_cndmask_b32_e32 v48, v46, v45, vcc
	v_lshlrev_b32_sdwa v43, v43, v3 dst_sel:DWORD dst_unused:UNUSED_PAD src0_sel:DWORD src1_sel:WORD_0
	v_max_f32_e32 v47, v48, v48
	v_max_f32_e32 v45, v43, v43
	v_min_f32_e32 v49, v47, v45
	v_cmp_u_f32_e32 vcc, v48, v48
	v_max_f32_e32 v47, v47, v45
	v_cndmask_b32_e32 v49, v49, v48, vcc
	v_cmp_u_f32_e64 s[46:47], v43, v43
	v_cndmask_b32_e32 v47, v47, v48, vcc
	v_cndmask_b32_e64 v49, v49, v43, s[46:47]
	v_cndmask_b32_e64 v47, v47, v43, s[46:47]
	v_cmp_neq_f32_e32 vcc, v49, v47
	v_cmp_class_f32_e64 s[4:5], v49, s48
	s_or_b64 s[50:51], vcc, s[4:5]
	s_and_saveexec_b64 s[4:5], s[50:51]
	s_cbranch_execz .LBB507_314
; %bb.313:
	v_sub_f32_e32 v48, v49, v47
	s_mov_b32 s48, 0x3fb8aa3b
	v_mul_f32_e32 v49, 0x3fb8aa3b, v48
	v_fma_f32 v54, v48, s48, -v49
	v_rndne_f32_e32 v55, v49
	v_fmac_f32_e32 v54, 0x32a5705f, v48
	v_sub_f32_e32 v49, v49, v55
	v_add_f32_e32 v49, v49, v54
	v_exp_f32_e32 v49, v49
	v_cvt_i32_f32_e32 v54, v55
	s_mov_b32 s48, 0xc2ce8ed0
	v_cmp_ngt_f32_e32 vcc, s48, v48
	s_mov_b32 s48, 0x42b17218
	v_ldexp_f32 v49, v49, v54
	v_cndmask_b32_e32 v49, 0, v49, vcc
	v_mov_b32_e32 v54, 0x7f800000
	v_cmp_nlt_f32_e32 vcc, s48, v48
	v_cndmask_b32_e32 v55, v54, v49, vcc
	v_add_f32_e32 v56, 1.0, v55
	v_cvt_f64_f32_e32 v[48:49], v56
	v_add_f32_e32 v57, -1.0, v56
	v_sub_f32_e32 v58, v57, v56
	v_sub_f32_e32 v57, v55, v57
	v_frexp_exp_i32_f64_e32 v48, v[48:49]
	v_add_f32_e32 v49, 1.0, v58
	v_add_f32_e32 v49, v57, v49
	v_frexp_mant_f32_e32 v57, v56
	s_mov_b32 s50, 0x3f2aaaab
	v_cmp_gt_f32_e32 vcc, s50, v57
	s_mov_b32 s50, 0x3f317218
	s_mov_b32 s48, 0x7f800000
	v_subbrev_co_u32_e32 v48, vcc, 0, v48, vcc
	v_sub_u32_e32 v57, 0, v48
	v_ldexp_f32 v56, v56, v57
	v_ldexp_f32 v49, v49, v57
	v_add_f32_e32 v57, -1.0, v56
	v_add_f32_e32 v60, 1.0, v56
	v_add_f32_e32 v58, 1.0, v57
	v_add_f32_e32 v61, -1.0, v60
	v_sub_f32_e32 v58, v56, v58
	v_sub_f32_e32 v56, v56, v61
	v_add_f32_e32 v58, v49, v58
	v_add_f32_e32 v49, v49, v56
	;; [unrolled: 1-line block ×3, first 2 shown]
	v_rcp_f32_e32 v61, v56
	v_add_f32_e32 v59, v57, v58
	v_sub_f32_e32 v57, v57, v59
	v_add_f32_e32 v57, v58, v57
	v_sub_f32_e32 v58, v60, v56
	v_add_f32_e32 v49, v49, v58
	v_mul_f32_e32 v58, v59, v61
	v_mul_f32_e32 v60, v56, v58
	v_fma_f32 v62, v58, v56, -v60
	v_fmac_f32_e32 v62, v58, v49
	v_add_f32_e32 v63, v60, v62
	v_sub_f32_e32 v64, v59, v63
	v_sub_f32_e32 v59, v59, v64
	;; [unrolled: 1-line block ×4, first 2 shown]
	v_add_f32_e32 v57, v57, v59
	v_sub_f32_e32 v59, v60, v62
	v_add_f32_e32 v57, v59, v57
	v_add_f32_e32 v59, v64, v57
	v_mul_f32_e32 v60, v61, v59
	v_mul_f32_e32 v62, v56, v60
	v_fma_f32 v56, v60, v56, -v62
	v_fmac_f32_e32 v56, v60, v49
	v_sub_f32_e32 v49, v64, v59
	v_add_f32_e32 v49, v57, v49
	v_add_f32_e32 v57, v62, v56
	v_sub_f32_e32 v63, v59, v57
	v_sub_f32_e32 v59, v59, v63
	;; [unrolled: 1-line block ×4, first 2 shown]
	v_add_f32_e32 v49, v49, v57
	v_sub_f32_e32 v56, v62, v56
	v_add_f32_e32 v49, v56, v49
	v_add_f32_e32 v56, v58, v60
	;; [unrolled: 1-line block ×3, first 2 shown]
	v_sub_f32_e32 v57, v56, v58
	v_mul_f32_e32 v49, v61, v49
	v_sub_f32_e32 v57, v60, v57
	v_add_f32_e32 v49, v57, v49
	v_cvt_f32_i32_e32 v48, v48
	v_add_f32_e32 v57, v56, v49
	v_mul_f32_e32 v58, v57, v57
	v_mov_b32_e32 v59, 0x3ecc95a3
	v_fmac_f32_e32 v59, 0x3e9b6dac, v58
	v_mov_b32_e32 v60, 0x3f2aaada
	v_fmac_f32_e32 v60, v58, v59
	v_mul_f32_e32 v59, 0x3f317218, v48
	v_fma_f32 v61, v48, s50, -v59
	v_fmac_f32_e32 v61, 0xb102e308, v48
	v_sub_f32_e32 v48, v57, v56
	v_sub_f32_e32 v48, v49, v48
	v_add_f32_e32 v49, v59, v61
	v_sub_f32_e32 v56, v49, v59
	v_ldexp_f32 v59, v57, 1
	v_mul_f32_e32 v57, v57, v58
	v_mul_f32_e32 v57, v57, v60
	v_add_f32_e32 v58, v59, v57
	v_sub_f32_e32 v59, v58, v59
	v_ldexp_f32 v48, v48, 1
	v_sub_f32_e32 v57, v57, v59
	v_add_f32_e32 v48, v48, v57
	v_add_f32_e32 v57, v58, v48
	v_sub_f32_e32 v58, v57, v58
	v_sub_f32_e32 v48, v48, v58
	v_add_f32_e32 v58, v49, v57
	v_sub_f32_e32 v59, v58, v49
	v_sub_f32_e32 v60, v58, v59
	;; [unrolled: 1-line block ×5, first 2 shown]
	v_add_f32_e32 v49, v57, v49
	v_add_f32_e32 v57, v56, v48
	v_sub_f32_e32 v59, v57, v56
	v_sub_f32_e32 v60, v57, v59
	v_sub_f32_e32 v56, v56, v60
	v_sub_f32_e32 v48, v48, v59
	v_add_f32_e32 v49, v57, v49
	v_add_f32_e32 v48, v48, v56
	;; [unrolled: 1-line block ×3, first 2 shown]
	v_sub_f32_e32 v57, v56, v58
	v_sub_f32_e32 v49, v49, v57
	v_add_f32_e32 v48, v48, v49
	v_add_f32_e32 v48, v56, v48
	v_cmp_neq_f32_e32 vcc, s48, v55
	s_mov_b32 s48, 0x33800000
	v_cndmask_b32_e32 v48, v54, v48, vcc
	v_cmp_lt_f32_e64 vcc, |v55|, s48
	v_cndmask_b32_e32 v48, v48, v55, vcc
	v_add_f32_e32 v48, v47, v48
.LBB507_314:
	s_or_b64 exec, exec, s[4:5]
	v_bfe_u32 v47, v48, 16, 1
	v_add3_u32 v47, v48, v47, s49
	v_and_b32_e32 v47, 0xffff0000, v47
	v_cmp_o_f32_e32 vcc, v48, v48
	v_cndmask_b32_e32 v54, v46, v47, vcc
	v_mov_b32_e32 v46, 16
	v_lshlrev_b32_sdwa v3, v46, v3 dst_sel:DWORD dst_unused:UNUSED_PAD src0_sel:DWORD src1_sel:WORD_1
	v_max_f32_e32 v48, v54, v54
	v_max_f32_e32 v47, v3, v3
	v_min_f32_e32 v49, v48, v47
	v_cmp_u_f32_e32 vcc, v54, v54
	v_max_f32_e32 v48, v48, v47
	v_cndmask_b32_e32 v49, v49, v54, vcc
	v_cmp_u_f32_e64 s[48:49], v3, v3
	v_cndmask_b32_e32 v48, v48, v54, vcc
	v_cndmask_b32_e64 v49, v49, v3, s[48:49]
	v_cndmask_b32_e64 v48, v48, v3, s[48:49]
	s_movk_i32 s52, 0x1f8
	v_cmp_neq_f32_e32 vcc, v49, v48
	v_cmp_class_f32_e64 s[4:5], v49, s52
	s_or_b64 s[50:51], vcc, s[4:5]
	s_and_saveexec_b64 s[4:5], s[50:51]
	s_cbranch_execz .LBB507_316
; %bb.315:
	v_sub_f32_e32 v49, v49, v48
	s_mov_b32 s50, 0x3fb8aa3b
	v_mul_f32_e32 v54, 0x3fb8aa3b, v49
	v_fma_f32 v55, v49, s50, -v54
	v_rndne_f32_e32 v56, v54
	v_fmac_f32_e32 v55, 0x32a5705f, v49
	v_sub_f32_e32 v54, v54, v56
	v_add_f32_e32 v54, v54, v55
	v_exp_f32_e32 v54, v54
	v_cvt_i32_f32_e32 v55, v56
	s_mov_b32 s50, 0xc2ce8ed0
	v_cmp_ngt_f32_e32 vcc, s50, v49
	s_mov_b32 s50, 0x42b17218
	v_ldexp_f32 v54, v54, v55
	v_cndmask_b32_e32 v54, 0, v54, vcc
	v_mov_b32_e32 v56, 0x7f800000
	v_cmp_nlt_f32_e32 vcc, s50, v49
	v_cndmask_b32_e32 v49, v56, v54, vcc
	v_add_f32_e32 v57, 1.0, v49
	v_cvt_f64_f32_e32 v[54:55], v57
	v_add_f32_e32 v58, -1.0, v57
	v_sub_f32_e32 v59, v58, v57
	v_sub_f32_e32 v58, v49, v58
	v_frexp_exp_i32_f64_e32 v54, v[54:55]
	v_add_f32_e32 v55, 1.0, v59
	v_add_f32_e32 v55, v58, v55
	v_frexp_mant_f32_e32 v58, v57
	s_mov_b32 s51, 0x3f2aaaab
	v_cmp_gt_f32_e32 vcc, s51, v58
	s_mov_b32 s51, 0x3f317218
	s_mov_b32 s50, 0x7f800000
	v_subbrev_co_u32_e32 v54, vcc, 0, v54, vcc
	v_sub_u32_e32 v58, 0, v54
	v_ldexp_f32 v57, v57, v58
	v_ldexp_f32 v55, v55, v58
	v_add_f32_e32 v58, -1.0, v57
	v_add_f32_e32 v61, 1.0, v57
	v_add_f32_e32 v59, 1.0, v58
	v_add_f32_e32 v62, -1.0, v61
	v_sub_f32_e32 v59, v57, v59
	v_sub_f32_e32 v57, v57, v62
	v_add_f32_e32 v59, v55, v59
	v_add_f32_e32 v55, v55, v57
	;; [unrolled: 1-line block ×3, first 2 shown]
	v_rcp_f32_e32 v62, v57
	v_add_f32_e32 v60, v58, v59
	v_sub_f32_e32 v58, v58, v60
	v_add_f32_e32 v58, v59, v58
	v_sub_f32_e32 v59, v61, v57
	v_add_f32_e32 v55, v55, v59
	v_mul_f32_e32 v59, v60, v62
	v_mul_f32_e32 v61, v57, v59
	v_fma_f32 v63, v59, v57, -v61
	v_fmac_f32_e32 v63, v59, v55
	v_add_f32_e32 v64, v61, v63
	v_sub_f32_e32 v65, v60, v64
	v_sub_f32_e32 v60, v60, v65
	;; [unrolled: 1-line block ×4, first 2 shown]
	v_add_f32_e32 v58, v58, v60
	v_sub_f32_e32 v60, v61, v63
	v_add_f32_e32 v58, v60, v58
	v_add_f32_e32 v60, v65, v58
	v_mul_f32_e32 v61, v62, v60
	v_mul_f32_e32 v63, v57, v61
	v_fma_f32 v57, v61, v57, -v63
	v_fmac_f32_e32 v57, v61, v55
	v_sub_f32_e32 v55, v65, v60
	v_add_f32_e32 v55, v58, v55
	v_add_f32_e32 v58, v63, v57
	v_sub_f32_e32 v64, v60, v58
	v_sub_f32_e32 v60, v60, v64
	v_sub_f32_e32 v63, v58, v63
	v_sub_f32_e32 v58, v60, v58
	v_add_f32_e32 v55, v55, v58
	v_sub_f32_e32 v57, v63, v57
	v_add_f32_e32 v55, v57, v55
	v_add_f32_e32 v57, v59, v61
	;; [unrolled: 1-line block ×3, first 2 shown]
	v_sub_f32_e32 v58, v57, v59
	v_mul_f32_e32 v55, v62, v55
	v_sub_f32_e32 v58, v61, v58
	v_add_f32_e32 v55, v58, v55
	v_cvt_f32_i32_e32 v54, v54
	v_add_f32_e32 v58, v57, v55
	v_mul_f32_e32 v59, v58, v58
	v_mov_b32_e32 v60, 0x3ecc95a3
	v_fmac_f32_e32 v60, 0x3e9b6dac, v59
	v_mov_b32_e32 v61, 0x3f2aaada
	v_fmac_f32_e32 v61, v59, v60
	v_mul_f32_e32 v60, 0x3f317218, v54
	v_fma_f32 v62, v54, s51, -v60
	v_fmac_f32_e32 v62, 0xb102e308, v54
	v_sub_f32_e32 v54, v58, v57
	v_sub_f32_e32 v54, v55, v54
	v_add_f32_e32 v55, v60, v62
	v_sub_f32_e32 v57, v55, v60
	v_ldexp_f32 v60, v58, 1
	v_mul_f32_e32 v58, v58, v59
	v_mul_f32_e32 v58, v58, v61
	v_add_f32_e32 v59, v60, v58
	v_sub_f32_e32 v60, v59, v60
	v_ldexp_f32 v54, v54, 1
	v_sub_f32_e32 v58, v58, v60
	v_add_f32_e32 v54, v54, v58
	v_add_f32_e32 v58, v59, v54
	v_sub_f32_e32 v59, v58, v59
	v_sub_f32_e32 v54, v54, v59
	v_add_f32_e32 v59, v55, v58
	v_sub_f32_e32 v60, v59, v55
	v_sub_f32_e32 v61, v59, v60
	;; [unrolled: 1-line block ×5, first 2 shown]
	v_add_f32_e32 v55, v58, v55
	v_add_f32_e32 v58, v57, v54
	v_sub_f32_e32 v60, v58, v57
	v_sub_f32_e32 v61, v58, v60
	;; [unrolled: 1-line block ×4, first 2 shown]
	v_add_f32_e32 v55, v58, v55
	v_add_f32_e32 v54, v54, v57
	;; [unrolled: 1-line block ×3, first 2 shown]
	v_sub_f32_e32 v58, v57, v59
	v_sub_f32_e32 v55, v55, v58
	v_add_f32_e32 v54, v54, v55
	v_add_f32_e32 v54, v57, v54
	v_cmp_neq_f32_e32 vcc, s50, v49
	s_mov_b32 s50, 0x33800000
	v_cndmask_b32_e32 v54, v56, v54, vcc
	v_cmp_lt_f32_e64 vcc, |v49|, s50
	v_cndmask_b32_e32 v49, v54, v49, vcc
	v_add_f32_e32 v54, v48, v49
.LBB507_316:
	s_or_b64 exec, exec, s[4:5]
	v_bfe_u32 v48, v54, 16, 1
	s_movk_i32 s53, 0x7fff
	v_add3_u32 v48, v54, v48, s53
	v_and_b32_e32 v48, 0xffff0000, v48
	v_mov_b32_e32 v49, 0x7fc00000
	v_cmp_o_f32_e32 vcc, v54, v54
	v_cndmask_b32_e32 v55, v49, v48, vcc
	v_lshlrev_b32_sdwa v46, v46, v4 dst_sel:DWORD dst_unused:UNUSED_PAD src0_sel:DWORD src1_sel:WORD_0
	v_max_f32_e32 v54, v55, v55
	v_max_f32_e32 v48, v46, v46
	v_min_f32_e32 v56, v54, v48
	v_cmp_u_f32_e32 vcc, v55, v55
	v_max_f32_e32 v54, v54, v48
	v_cndmask_b32_e32 v56, v56, v55, vcc
	v_cmp_u_f32_e64 s[50:51], v46, v46
	v_cndmask_b32_e32 v54, v54, v55, vcc
	v_cndmask_b32_e64 v56, v56, v46, s[50:51]
	v_cndmask_b32_e64 v54, v54, v46, s[50:51]
	v_cmp_neq_f32_e32 vcc, v56, v54
	v_cmp_class_f32_e64 s[4:5], v56, s52
	s_or_b64 s[56:57], vcc, s[4:5]
	s_and_saveexec_b64 s[4:5], s[56:57]
	s_cbranch_execz .LBB507_318
; %bb.317:
	v_sub_f32_e32 v55, v56, v54
	s_mov_b32 s52, 0x3fb8aa3b
	v_mul_f32_e32 v56, 0x3fb8aa3b, v55
	v_fma_f32 v57, v55, s52, -v56
	v_rndne_f32_e32 v58, v56
	v_fmac_f32_e32 v57, 0x32a5705f, v55
	v_sub_f32_e32 v56, v56, v58
	v_add_f32_e32 v56, v56, v57
	v_exp_f32_e32 v56, v56
	v_cvt_i32_f32_e32 v57, v58
	s_mov_b32 s52, 0xc2ce8ed0
	v_cmp_ngt_f32_e32 vcc, s52, v55
	s_mov_b32 s52, 0x42b17218
	v_ldexp_f32 v56, v56, v57
	v_cndmask_b32_e32 v56, 0, v56, vcc
	v_mov_b32_e32 v57, 0x7f800000
	v_cmp_nlt_f32_e32 vcc, s52, v55
	v_cndmask_b32_e32 v58, v57, v56, vcc
	v_add_f32_e32 v59, 1.0, v58
	v_cvt_f64_f32_e32 v[55:56], v59
	v_add_f32_e32 v60, -1.0, v59
	v_sub_f32_e32 v61, v60, v59
	v_sub_f32_e32 v60, v58, v60
	v_frexp_exp_i32_f64_e32 v55, v[55:56]
	v_add_f32_e32 v56, 1.0, v61
	v_add_f32_e32 v56, v60, v56
	v_frexp_mant_f32_e32 v60, v59
	s_mov_b32 s56, 0x3f2aaaab
	v_cmp_gt_f32_e32 vcc, s56, v60
	s_mov_b32 s56, 0x3f317218
	s_mov_b32 s52, 0x7f800000
	v_subbrev_co_u32_e32 v55, vcc, 0, v55, vcc
	v_sub_u32_e32 v60, 0, v55
	v_ldexp_f32 v59, v59, v60
	v_ldexp_f32 v56, v56, v60
	v_add_f32_e32 v60, -1.0, v59
	v_add_f32_e32 v63, 1.0, v59
	v_add_f32_e32 v61, 1.0, v60
	v_add_f32_e32 v64, -1.0, v63
	v_sub_f32_e32 v61, v59, v61
	v_sub_f32_e32 v59, v59, v64
	v_add_f32_e32 v61, v56, v61
	v_add_f32_e32 v56, v56, v59
	;; [unrolled: 1-line block ×3, first 2 shown]
	v_rcp_f32_e32 v64, v59
	v_add_f32_e32 v62, v60, v61
	v_sub_f32_e32 v60, v60, v62
	v_add_f32_e32 v60, v61, v60
	v_sub_f32_e32 v61, v63, v59
	v_add_f32_e32 v56, v56, v61
	v_mul_f32_e32 v61, v62, v64
	v_mul_f32_e32 v63, v59, v61
	v_fma_f32 v65, v61, v59, -v63
	v_fmac_f32_e32 v65, v61, v56
	v_add_f32_e32 v66, v63, v65
	v_sub_f32_e32 v67, v62, v66
	v_sub_f32_e32 v62, v62, v67
	;; [unrolled: 1-line block ×4, first 2 shown]
	v_add_f32_e32 v60, v60, v62
	v_sub_f32_e32 v62, v63, v65
	v_add_f32_e32 v60, v62, v60
	v_add_f32_e32 v62, v67, v60
	v_mul_f32_e32 v63, v64, v62
	v_mul_f32_e32 v65, v59, v63
	v_fma_f32 v59, v63, v59, -v65
	v_fmac_f32_e32 v59, v63, v56
	v_sub_f32_e32 v56, v67, v62
	v_add_f32_e32 v56, v60, v56
	v_add_f32_e32 v60, v65, v59
	v_sub_f32_e32 v66, v62, v60
	v_sub_f32_e32 v62, v62, v66
	;; [unrolled: 1-line block ×4, first 2 shown]
	v_add_f32_e32 v56, v56, v60
	v_sub_f32_e32 v59, v65, v59
	v_add_f32_e32 v56, v59, v56
	v_add_f32_e32 v59, v61, v63
	v_add_f32_e32 v56, v66, v56
	v_sub_f32_e32 v60, v59, v61
	v_mul_f32_e32 v56, v64, v56
	v_sub_f32_e32 v60, v63, v60
	v_add_f32_e32 v56, v60, v56
	v_cvt_f32_i32_e32 v55, v55
	v_add_f32_e32 v60, v59, v56
	v_mul_f32_e32 v61, v60, v60
	v_mov_b32_e32 v62, 0x3ecc95a3
	v_fmac_f32_e32 v62, 0x3e9b6dac, v61
	v_mov_b32_e32 v63, 0x3f2aaada
	v_fmac_f32_e32 v63, v61, v62
	v_mul_f32_e32 v62, 0x3f317218, v55
	v_fma_f32 v64, v55, s56, -v62
	v_fmac_f32_e32 v64, 0xb102e308, v55
	v_sub_f32_e32 v55, v60, v59
	v_sub_f32_e32 v55, v56, v55
	v_add_f32_e32 v56, v62, v64
	v_sub_f32_e32 v59, v56, v62
	v_ldexp_f32 v62, v60, 1
	v_mul_f32_e32 v60, v60, v61
	v_mul_f32_e32 v60, v60, v63
	v_add_f32_e32 v61, v62, v60
	v_sub_f32_e32 v62, v61, v62
	v_ldexp_f32 v55, v55, 1
	v_sub_f32_e32 v60, v60, v62
	v_add_f32_e32 v55, v55, v60
	v_add_f32_e32 v60, v61, v55
	v_sub_f32_e32 v61, v60, v61
	v_sub_f32_e32 v55, v55, v61
	v_add_f32_e32 v61, v56, v60
	v_sub_f32_e32 v62, v61, v56
	v_sub_f32_e32 v63, v61, v62
	;; [unrolled: 1-line block ×5, first 2 shown]
	v_add_f32_e32 v56, v60, v56
	v_add_f32_e32 v60, v59, v55
	v_sub_f32_e32 v62, v60, v59
	v_sub_f32_e32 v63, v60, v62
	;; [unrolled: 1-line block ×4, first 2 shown]
	v_add_f32_e32 v56, v60, v56
	v_add_f32_e32 v55, v55, v59
	;; [unrolled: 1-line block ×3, first 2 shown]
	v_sub_f32_e32 v60, v59, v61
	v_sub_f32_e32 v56, v56, v60
	v_add_f32_e32 v55, v55, v56
	v_add_f32_e32 v55, v59, v55
	v_cmp_neq_f32_e32 vcc, s52, v58
	s_mov_b32 s52, 0x33800000
	v_cndmask_b32_e32 v55, v57, v55, vcc
	v_cmp_lt_f32_e64 vcc, |v58|, s52
	v_cndmask_b32_e32 v55, v55, v58, vcc
	v_add_f32_e32 v55, v54, v55
.LBB507_318:
	s_or_b64 exec, exec, s[4:5]
	v_bfe_u32 v54, v55, 16, 1
	v_add3_u32 v54, v55, v54, s53
	v_and_b32_e32 v54, 0xffff0000, v54
	v_cmp_o_f32_e32 vcc, v55, v55
	v_cndmask_b32_e32 v55, v49, v54, vcc
	v_mov_b32_e32 v49, 16
	v_lshlrev_b32_sdwa v4, v49, v4 dst_sel:DWORD dst_unused:UNUSED_PAD src0_sel:DWORD src1_sel:WORD_1
	v_max_f32_e32 v54, v55, v55
	v_max_f32_e32 v49, v4, v4
	v_min_f32_e32 v56, v54, v49
	v_cmp_u_f32_e32 vcc, v55, v55
	v_max_f32_e32 v54, v54, v49
	v_cndmask_b32_e32 v56, v56, v55, vcc
	v_cmp_u_f32_e64 s[52:53], v4, v4
	v_cndmask_b32_e32 v54, v54, v55, vcc
	v_cndmask_b32_e64 v56, v56, v4, s[52:53]
	v_cndmask_b32_e64 v54, v54, v4, s[52:53]
	s_movk_i32 s4, 0x1f8
	v_cmp_neq_f32_e32 vcc, v56, v54
	v_cmp_class_f32_e64 s[4:5], v56, s4
	s_or_b64 s[56:57], vcc, s[4:5]
	s_and_saveexec_b64 s[4:5], s[56:57]
	s_cbranch_execz .LBB507_320
; %bb.319:
	v_sub_f32_e32 v55, v56, v54
	s_mov_b32 s56, 0x3fb8aa3b
	v_mul_f32_e32 v56, 0x3fb8aa3b, v55
	v_fma_f32 v57, v55, s56, -v56
	v_rndne_f32_e32 v58, v56
	v_fmac_f32_e32 v57, 0x32a5705f, v55
	v_sub_f32_e32 v56, v56, v58
	v_add_f32_e32 v56, v56, v57
	v_exp_f32_e32 v56, v56
	v_cvt_i32_f32_e32 v57, v58
	s_mov_b32 s56, 0xc2ce8ed0
	v_cmp_ngt_f32_e32 vcc, s56, v55
	s_mov_b32 s56, 0x42b17218
	v_ldexp_f32 v56, v56, v57
	v_cndmask_b32_e32 v56, 0, v56, vcc
	v_mov_b32_e32 v57, 0x7f800000
	v_cmp_nlt_f32_e32 vcc, s56, v55
	v_cndmask_b32_e32 v58, v57, v56, vcc
	v_add_f32_e32 v59, 1.0, v58
	v_cvt_f64_f32_e32 v[55:56], v59
	v_add_f32_e32 v60, -1.0, v59
	v_sub_f32_e32 v61, v60, v59
	v_sub_f32_e32 v60, v58, v60
	v_frexp_exp_i32_f64_e32 v55, v[55:56]
	v_add_f32_e32 v56, 1.0, v61
	v_add_f32_e32 v56, v60, v56
	v_frexp_mant_f32_e32 v60, v59
	s_mov_b32 s57, 0x3f2aaaab
	v_cmp_gt_f32_e32 vcc, s57, v60
	s_mov_b32 s57, 0x3f317218
	s_mov_b32 s56, 0x7f800000
	v_subbrev_co_u32_e32 v55, vcc, 0, v55, vcc
	v_sub_u32_e32 v60, 0, v55
	v_ldexp_f32 v59, v59, v60
	v_ldexp_f32 v56, v56, v60
	v_add_f32_e32 v60, -1.0, v59
	v_add_f32_e32 v63, 1.0, v59
	v_add_f32_e32 v61, 1.0, v60
	v_add_f32_e32 v64, -1.0, v63
	v_sub_f32_e32 v61, v59, v61
	v_sub_f32_e32 v59, v59, v64
	v_add_f32_e32 v61, v56, v61
	v_add_f32_e32 v56, v56, v59
	;; [unrolled: 1-line block ×3, first 2 shown]
	v_rcp_f32_e32 v64, v59
	v_add_f32_e32 v62, v60, v61
	v_sub_f32_e32 v60, v60, v62
	v_add_f32_e32 v60, v61, v60
	v_sub_f32_e32 v61, v63, v59
	v_add_f32_e32 v56, v56, v61
	v_mul_f32_e32 v61, v62, v64
	v_mul_f32_e32 v63, v59, v61
	v_fma_f32 v65, v61, v59, -v63
	v_fmac_f32_e32 v65, v61, v56
	v_add_f32_e32 v66, v63, v65
	v_sub_f32_e32 v67, v62, v66
	v_sub_f32_e32 v62, v62, v67
	;; [unrolled: 1-line block ×4, first 2 shown]
	v_add_f32_e32 v60, v60, v62
	v_sub_f32_e32 v62, v63, v65
	v_add_f32_e32 v60, v62, v60
	v_add_f32_e32 v62, v67, v60
	v_mul_f32_e32 v63, v64, v62
	v_mul_f32_e32 v65, v59, v63
	v_fma_f32 v59, v63, v59, -v65
	v_fmac_f32_e32 v59, v63, v56
	v_sub_f32_e32 v56, v67, v62
	v_add_f32_e32 v56, v60, v56
	v_add_f32_e32 v60, v65, v59
	v_sub_f32_e32 v66, v62, v60
	v_sub_f32_e32 v62, v62, v66
	;; [unrolled: 1-line block ×4, first 2 shown]
	v_add_f32_e32 v56, v56, v60
	v_sub_f32_e32 v59, v65, v59
	v_add_f32_e32 v56, v59, v56
	v_add_f32_e32 v59, v61, v63
	v_add_f32_e32 v56, v66, v56
	v_sub_f32_e32 v60, v59, v61
	v_mul_f32_e32 v56, v64, v56
	v_sub_f32_e32 v60, v63, v60
	v_add_f32_e32 v56, v60, v56
	v_cvt_f32_i32_e32 v55, v55
	v_add_f32_e32 v60, v59, v56
	v_mul_f32_e32 v61, v60, v60
	v_mov_b32_e32 v62, 0x3ecc95a3
	v_fmac_f32_e32 v62, 0x3e9b6dac, v61
	v_mov_b32_e32 v63, 0x3f2aaada
	v_fmac_f32_e32 v63, v61, v62
	v_mul_f32_e32 v62, 0x3f317218, v55
	v_fma_f32 v64, v55, s57, -v62
	v_fmac_f32_e32 v64, 0xb102e308, v55
	v_sub_f32_e32 v55, v60, v59
	v_sub_f32_e32 v55, v56, v55
	v_add_f32_e32 v56, v62, v64
	v_sub_f32_e32 v59, v56, v62
	v_ldexp_f32 v62, v60, 1
	v_mul_f32_e32 v60, v60, v61
	v_mul_f32_e32 v60, v60, v63
	v_add_f32_e32 v61, v62, v60
	v_sub_f32_e32 v62, v61, v62
	v_ldexp_f32 v55, v55, 1
	v_sub_f32_e32 v60, v60, v62
	v_add_f32_e32 v55, v55, v60
	v_add_f32_e32 v60, v61, v55
	v_sub_f32_e32 v61, v60, v61
	v_sub_f32_e32 v55, v55, v61
	v_add_f32_e32 v61, v56, v60
	v_sub_f32_e32 v62, v61, v56
	v_sub_f32_e32 v63, v61, v62
	;; [unrolled: 1-line block ×5, first 2 shown]
	v_add_f32_e32 v56, v60, v56
	v_add_f32_e32 v60, v59, v55
	v_sub_f32_e32 v62, v60, v59
	v_sub_f32_e32 v63, v60, v62
	;; [unrolled: 1-line block ×4, first 2 shown]
	v_add_f32_e32 v56, v60, v56
	v_add_f32_e32 v55, v55, v59
	v_add_f32_e32 v59, v61, v56
	v_sub_f32_e32 v60, v59, v61
	v_sub_f32_e32 v56, v56, v60
	v_add_f32_e32 v55, v55, v56
	v_add_f32_e32 v55, v59, v55
	v_cmp_neq_f32_e32 vcc, s56, v58
	s_mov_b32 s56, 0x33800000
	v_cndmask_b32_e32 v55, v57, v55, vcc
	v_cmp_lt_f32_e64 vcc, |v58|, s56
	v_cndmask_b32_e32 v55, v55, v58, vcc
	v_add_f32_e32 v55, v54, v55
.LBB507_320:
	s_or_b64 exec, exec, s[4:5]
	v_bfe_u32 v54, v55, 16, 1
	s_movk_i32 s4, 0x7fff
	v_add3_u32 v54, v55, v54, s4
	v_cmp_o_f32_e32 vcc, v55, v55
	v_mov_b32_e32 v55, 0x7fc0
	v_cndmask_b32_sdwa v55, v55, v54, vcc dst_sel:DWORD dst_unused:UNUSED_PAD src0_sel:DWORD src1_sel:WORD_1
	v_lshrrev_b32_e32 v54, 4, v0
	v_and_b32_e32 v54, 14, v54
	v_lshl_add_u32 v54, v0, 1, v54
	v_cmp_gt_u32_e32 vcc, 64, v0
	ds_write_b16 v54, v55
	s_waitcnt lgkmcnt(0)
	s_barrier
	s_and_saveexec_b64 s[58:59], vcc
	s_cbranch_execz .LBB507_360
; %bb.321:
	v_lshrrev_b32_e32 v54, 2, v0
	v_and_b32_e32 v54, 62, v54
	v_lshlrev_b32_e32 v56, 3, v0
	v_add_u32_e32 v54, v54, v56
	ds_read_u16 v56, v54
	ds_read_u16 v57, v54 offset:2
	s_movk_i32 s65, 0x1f8
	s_waitcnt lgkmcnt(1)
	v_lshlrev_b32_e32 v56, 16, v56
	s_waitcnt lgkmcnt(0)
	v_lshlrev_b32_e32 v58, 16, v57
	v_max_f32_e32 v59, v58, v58
	v_max_f32_e32 v57, v56, v56
	v_min_f32_e32 v60, v57, v59
	v_cmp_u_f32_e64 s[56:57], v56, v56
	v_max_f32_e32 v59, v57, v59
	v_cndmask_b32_e64 v60, v60, v56, s[56:57]
	v_cmp_u_f32_e32 vcc, v58, v58
	v_cndmask_b32_e64 v59, v59, v56, s[56:57]
	v_cndmask_b32_e32 v60, v60, v58, vcc
	v_cndmask_b32_e32 v58, v59, v58, vcc
	v_cmp_neq_f32_e32 vcc, v60, v58
	v_cmp_class_f32_e64 s[4:5], v60, s65
	s_or_b64 s[68:69], vcc, s[4:5]
	v_mov_b32_e32 v59, v56
	s_and_saveexec_b64 s[4:5], s[68:69]
	s_cbranch_execz .LBB507_323
; %bb.322:
	v_sub_f32_e32 v59, v60, v58
	s_mov_b32 s64, 0x3fb8aa3b
	v_mul_f32_e32 v60, 0x3fb8aa3b, v59
	v_fma_f32 v61, v59, s64, -v60
	v_rndne_f32_e32 v62, v60
	v_fmac_f32_e32 v61, 0x32a5705f, v59
	v_sub_f32_e32 v60, v60, v62
	v_add_f32_e32 v60, v60, v61
	v_exp_f32_e32 v60, v60
	v_cvt_i32_f32_e32 v61, v62
	s_mov_b32 s64, 0xc2ce8ed0
	v_cmp_ngt_f32_e32 vcc, s64, v59
	s_mov_b32 s64, 0x42b17218
	v_ldexp_f32 v60, v60, v61
	v_cndmask_b32_e32 v60, 0, v60, vcc
	v_mov_b32_e32 v61, 0x7f800000
	v_cmp_nlt_f32_e32 vcc, s64, v59
	v_cndmask_b32_e32 v62, v61, v60, vcc
	v_add_f32_e32 v63, 1.0, v62
	v_cvt_f64_f32_e32 v[59:60], v63
	v_add_f32_e32 v64, -1.0, v63
	v_sub_f32_e32 v65, v64, v63
	v_sub_f32_e32 v64, v62, v64
	v_frexp_exp_i32_f64_e32 v59, v[59:60]
	v_add_f32_e32 v60, 1.0, v65
	v_add_f32_e32 v60, v64, v60
	v_frexp_mant_f32_e32 v64, v63
	s_mov_b32 s68, 0x3f2aaaab
	v_cmp_gt_f32_e32 vcc, s68, v64
	s_mov_b32 s68, 0x3f317218
	s_mov_b32 s64, 0x7f800000
	v_subbrev_co_u32_e32 v59, vcc, 0, v59, vcc
	v_sub_u32_e32 v64, 0, v59
	v_ldexp_f32 v63, v63, v64
	v_ldexp_f32 v60, v60, v64
	v_add_f32_e32 v64, -1.0, v63
	v_add_f32_e32 v67, 1.0, v63
	v_add_f32_e32 v65, 1.0, v64
	v_add_f32_e32 v68, -1.0, v67
	v_sub_f32_e32 v65, v63, v65
	v_sub_f32_e32 v63, v63, v68
	v_add_f32_e32 v65, v60, v65
	v_add_f32_e32 v60, v60, v63
	;; [unrolled: 1-line block ×3, first 2 shown]
	v_rcp_f32_e32 v68, v63
	v_add_f32_e32 v66, v64, v65
	v_sub_f32_e32 v64, v64, v66
	v_add_f32_e32 v64, v65, v64
	v_sub_f32_e32 v65, v67, v63
	v_add_f32_e32 v60, v60, v65
	v_mul_f32_e32 v65, v66, v68
	v_mul_f32_e32 v67, v63, v65
	v_fma_f32 v69, v65, v63, -v67
	v_fmac_f32_e32 v69, v65, v60
	v_add_f32_e32 v70, v67, v69
	v_sub_f32_e32 v71, v66, v70
	v_sub_f32_e32 v66, v66, v71
	;; [unrolled: 1-line block ×4, first 2 shown]
	v_add_f32_e32 v64, v64, v66
	v_sub_f32_e32 v66, v67, v69
	v_add_f32_e32 v64, v66, v64
	v_add_f32_e32 v66, v71, v64
	v_mul_f32_e32 v67, v68, v66
	v_mul_f32_e32 v69, v63, v67
	v_fma_f32 v63, v67, v63, -v69
	v_fmac_f32_e32 v63, v67, v60
	v_sub_f32_e32 v60, v71, v66
	v_add_f32_e32 v60, v64, v60
	v_add_f32_e32 v64, v69, v63
	v_sub_f32_e32 v70, v66, v64
	v_sub_f32_e32 v66, v66, v70
	;; [unrolled: 1-line block ×4, first 2 shown]
	v_add_f32_e32 v60, v60, v64
	v_sub_f32_e32 v63, v69, v63
	v_add_f32_e32 v60, v63, v60
	v_add_f32_e32 v63, v65, v67
	;; [unrolled: 1-line block ×3, first 2 shown]
	v_sub_f32_e32 v64, v63, v65
	v_mul_f32_e32 v60, v68, v60
	v_sub_f32_e32 v64, v67, v64
	v_add_f32_e32 v60, v64, v60
	v_cvt_f32_i32_e32 v59, v59
	v_add_f32_e32 v64, v63, v60
	v_mul_f32_e32 v65, v64, v64
	v_mov_b32_e32 v66, 0x3ecc95a3
	v_fmac_f32_e32 v66, 0x3e9b6dac, v65
	v_mov_b32_e32 v67, 0x3f2aaada
	v_fmac_f32_e32 v67, v65, v66
	v_mul_f32_e32 v66, 0x3f317218, v59
	v_fma_f32 v68, v59, s68, -v66
	v_fmac_f32_e32 v68, 0xb102e308, v59
	v_sub_f32_e32 v59, v64, v63
	v_sub_f32_e32 v59, v60, v59
	v_add_f32_e32 v60, v66, v68
	v_sub_f32_e32 v63, v60, v66
	v_ldexp_f32 v66, v64, 1
	v_mul_f32_e32 v64, v64, v65
	v_mul_f32_e32 v64, v64, v67
	v_add_f32_e32 v65, v66, v64
	v_sub_f32_e32 v66, v65, v66
	v_ldexp_f32 v59, v59, 1
	v_sub_f32_e32 v64, v64, v66
	v_add_f32_e32 v59, v59, v64
	v_add_f32_e32 v64, v65, v59
	v_sub_f32_e32 v65, v64, v65
	v_sub_f32_e32 v59, v59, v65
	v_add_f32_e32 v65, v60, v64
	v_sub_f32_e32 v66, v65, v60
	v_sub_f32_e32 v67, v65, v66
	;; [unrolled: 1-line block ×5, first 2 shown]
	v_add_f32_e32 v60, v64, v60
	v_add_f32_e32 v64, v63, v59
	v_sub_f32_e32 v66, v64, v63
	v_sub_f32_e32 v67, v64, v66
	;; [unrolled: 1-line block ×4, first 2 shown]
	v_add_f32_e32 v60, v64, v60
	v_add_f32_e32 v59, v59, v63
	;; [unrolled: 1-line block ×3, first 2 shown]
	v_sub_f32_e32 v64, v63, v65
	v_sub_f32_e32 v60, v60, v64
	v_add_f32_e32 v59, v59, v60
	v_add_f32_e32 v59, v63, v59
	v_cmp_neq_f32_e32 vcc, s64, v62
	s_mov_b32 s64, 0x33800000
	v_cndmask_b32_e32 v59, v61, v59, vcc
	v_cmp_lt_f32_e64 vcc, |v62|, s64
	v_cndmask_b32_e32 v59, v59, v62, vcc
	v_add_f32_e32 v59, v58, v59
.LBB507_323:
	s_or_b64 exec, exec, s[4:5]
	ds_read_u16 v61, v54 offset:4
	v_bfe_u32 v58, v59, 16, 1
	s_movk_i32 s64, 0x7fff
	v_add3_u32 v58, v59, v58, s64
	v_and_b32_e32 v60, 0xffff0000, v58
	v_mov_b32_e32 v58, 0x7fc00000
	v_cmp_o_f32_e32 vcc, v59, v59
	v_cndmask_b32_e32 v60, v58, v60, vcc
	s_waitcnt lgkmcnt(0)
	v_lshlrev_b32_e32 v59, 16, v61
	v_max_f32_e32 v62, v60, v60
	v_max_f32_e32 v63, v59, v59
	v_min_f32_e32 v61, v62, v63
	v_cmp_u_f32_e32 vcc, v60, v60
	v_max_f32_e32 v62, v62, v63
	v_cndmask_b32_e32 v61, v61, v60, vcc
	v_cmp_u_f32_e64 s[4:5], v59, v59
	v_cndmask_b32_e32 v62, v62, v60, vcc
	v_cndmask_b32_e64 v61, v61, v59, s[4:5]
	v_cndmask_b32_e64 v59, v62, v59, s[4:5]
	v_cmp_neq_f32_e32 vcc, v61, v59
	v_cmp_class_f32_e64 s[4:5], v61, s65
	s_or_b64 s[68:69], vcc, s[4:5]
	s_and_saveexec_b64 s[4:5], s[68:69]
	s_cbranch_execz .LBB507_325
; %bb.324:
	v_sub_f32_e32 v60, v61, v59
	s_mov_b32 s65, 0x3fb8aa3b
	v_mul_f32_e32 v61, 0x3fb8aa3b, v60
	v_fma_f32 v62, v60, s65, -v61
	v_rndne_f32_e32 v63, v61
	v_fmac_f32_e32 v62, 0x32a5705f, v60
	v_sub_f32_e32 v61, v61, v63
	v_add_f32_e32 v61, v61, v62
	v_exp_f32_e32 v61, v61
	v_cvt_i32_f32_e32 v62, v63
	s_mov_b32 s65, 0xc2ce8ed0
	v_cmp_ngt_f32_e32 vcc, s65, v60
	s_mov_b32 s65, 0x42b17218
	v_ldexp_f32 v61, v61, v62
	v_cndmask_b32_e32 v61, 0, v61, vcc
	v_mov_b32_e32 v62, 0x7f800000
	v_cmp_nlt_f32_e32 vcc, s65, v60
	v_cndmask_b32_e32 v63, v62, v61, vcc
	v_add_f32_e32 v64, 1.0, v63
	v_cvt_f64_f32_e32 v[60:61], v64
	v_add_f32_e32 v65, -1.0, v64
	v_sub_f32_e32 v66, v65, v64
	v_sub_f32_e32 v65, v63, v65
	v_frexp_exp_i32_f64_e32 v60, v[60:61]
	v_add_f32_e32 v61, 1.0, v66
	v_add_f32_e32 v61, v65, v61
	v_frexp_mant_f32_e32 v65, v64
	s_mov_b32 s68, 0x3f2aaaab
	v_cmp_gt_f32_e32 vcc, s68, v65
	s_mov_b32 s68, 0x3f317218
	s_mov_b32 s65, 0x7f800000
	v_subbrev_co_u32_e32 v60, vcc, 0, v60, vcc
	v_sub_u32_e32 v65, 0, v60
	v_ldexp_f32 v64, v64, v65
	v_ldexp_f32 v61, v61, v65
	v_add_f32_e32 v65, -1.0, v64
	v_add_f32_e32 v68, 1.0, v64
	v_add_f32_e32 v66, 1.0, v65
	v_add_f32_e32 v69, -1.0, v68
	v_sub_f32_e32 v66, v64, v66
	v_sub_f32_e32 v64, v64, v69
	v_add_f32_e32 v66, v61, v66
	v_add_f32_e32 v61, v61, v64
	;; [unrolled: 1-line block ×3, first 2 shown]
	v_rcp_f32_e32 v69, v64
	v_add_f32_e32 v67, v65, v66
	v_sub_f32_e32 v65, v65, v67
	v_add_f32_e32 v65, v66, v65
	v_sub_f32_e32 v66, v68, v64
	v_add_f32_e32 v61, v61, v66
	v_mul_f32_e32 v66, v67, v69
	v_mul_f32_e32 v68, v64, v66
	v_fma_f32 v70, v66, v64, -v68
	v_fmac_f32_e32 v70, v66, v61
	v_add_f32_e32 v71, v68, v70
	v_sub_f32_e32 v72, v67, v71
	v_sub_f32_e32 v67, v67, v72
	;; [unrolled: 1-line block ×4, first 2 shown]
	v_add_f32_e32 v65, v65, v67
	v_sub_f32_e32 v67, v68, v70
	v_add_f32_e32 v65, v67, v65
	v_add_f32_e32 v67, v72, v65
	v_mul_f32_e32 v68, v69, v67
	v_mul_f32_e32 v70, v64, v68
	v_fma_f32 v64, v68, v64, -v70
	v_fmac_f32_e32 v64, v68, v61
	v_sub_f32_e32 v61, v72, v67
	v_add_f32_e32 v61, v65, v61
	v_add_f32_e32 v65, v70, v64
	v_sub_f32_e32 v71, v67, v65
	v_sub_f32_e32 v67, v67, v71
	;; [unrolled: 1-line block ×4, first 2 shown]
	v_add_f32_e32 v61, v61, v65
	v_sub_f32_e32 v64, v70, v64
	v_add_f32_e32 v61, v64, v61
	v_add_f32_e32 v64, v66, v68
	;; [unrolled: 1-line block ×3, first 2 shown]
	v_sub_f32_e32 v65, v64, v66
	v_mul_f32_e32 v61, v69, v61
	v_sub_f32_e32 v65, v68, v65
	v_add_f32_e32 v61, v65, v61
	v_cvt_f32_i32_e32 v60, v60
	v_add_f32_e32 v65, v64, v61
	v_mul_f32_e32 v66, v65, v65
	v_mov_b32_e32 v67, 0x3ecc95a3
	v_fmac_f32_e32 v67, 0x3e9b6dac, v66
	v_mov_b32_e32 v68, 0x3f2aaada
	v_fmac_f32_e32 v68, v66, v67
	v_mul_f32_e32 v67, 0x3f317218, v60
	v_fma_f32 v69, v60, s68, -v67
	v_fmac_f32_e32 v69, 0xb102e308, v60
	v_sub_f32_e32 v60, v65, v64
	v_sub_f32_e32 v60, v61, v60
	v_add_f32_e32 v61, v67, v69
	v_sub_f32_e32 v64, v61, v67
	v_ldexp_f32 v67, v65, 1
	v_mul_f32_e32 v65, v65, v66
	v_mul_f32_e32 v65, v65, v68
	v_add_f32_e32 v66, v67, v65
	v_sub_f32_e32 v67, v66, v67
	v_ldexp_f32 v60, v60, 1
	v_sub_f32_e32 v65, v65, v67
	v_add_f32_e32 v60, v60, v65
	v_add_f32_e32 v65, v66, v60
	v_sub_f32_e32 v66, v65, v66
	v_sub_f32_e32 v60, v60, v66
	v_add_f32_e32 v66, v61, v65
	v_sub_f32_e32 v67, v66, v61
	v_sub_f32_e32 v68, v66, v67
	;; [unrolled: 1-line block ×5, first 2 shown]
	v_add_f32_e32 v61, v65, v61
	v_add_f32_e32 v65, v64, v60
	v_sub_f32_e32 v67, v65, v64
	v_sub_f32_e32 v68, v65, v67
	;; [unrolled: 1-line block ×4, first 2 shown]
	v_add_f32_e32 v61, v65, v61
	v_add_f32_e32 v60, v60, v64
	;; [unrolled: 1-line block ×3, first 2 shown]
	v_sub_f32_e32 v65, v64, v66
	v_sub_f32_e32 v61, v61, v65
	v_add_f32_e32 v60, v60, v61
	v_add_f32_e32 v60, v64, v60
	v_cmp_neq_f32_e32 vcc, s65, v63
	s_mov_b32 s65, 0x33800000
	v_cndmask_b32_e32 v60, v62, v60, vcc
	v_cmp_lt_f32_e64 vcc, |v63|, s65
	v_cndmask_b32_e32 v60, v60, v63, vcc
	v_add_f32_e32 v60, v59, v60
.LBB507_325:
	s_or_b64 exec, exec, s[4:5]
	ds_read_u16 v61, v54 offset:6
	v_bfe_u32 v59, v60, 16, 1
	v_add3_u32 v59, v60, v59, s64
	v_and_b32_e32 v59, 0xffff0000, v59
	v_cmp_o_f32_e32 vcc, v60, v60
	v_cndmask_b32_e32 v59, v58, v59, vcc
	s_waitcnt lgkmcnt(0)
	v_lshlrev_b32_e32 v58, 16, v61
	v_max_f32_e32 v61, v59, v59
	v_max_f32_e32 v62, v58, v58
	v_min_f32_e32 v60, v61, v62
	v_cmp_u_f32_e32 vcc, v59, v59
	v_max_f32_e32 v61, v61, v62
	v_cndmask_b32_e32 v60, v60, v59, vcc
	v_cmp_u_f32_e64 s[4:5], v58, v58
	v_cndmask_b32_e32 v61, v61, v59, vcc
	v_cndmask_b32_e64 v60, v60, v58, s[4:5]
	v_cndmask_b32_e64 v58, v61, v58, s[4:5]
	s_movk_i32 s4, 0x1f8
	v_cmp_neq_f32_e32 vcc, v60, v58
	v_cmp_class_f32_e64 s[4:5], v60, s4
	s_or_b64 s[64:65], vcc, s[4:5]
	s_and_saveexec_b64 s[4:5], s[64:65]
	s_cbranch_execz .LBB507_327
; %bb.326:
	v_sub_f32_e32 v59, v60, v58
	s_mov_b32 s64, 0x3fb8aa3b
	v_mul_f32_e32 v60, 0x3fb8aa3b, v59
	v_fma_f32 v61, v59, s64, -v60
	v_rndne_f32_e32 v62, v60
	v_fmac_f32_e32 v61, 0x32a5705f, v59
	v_sub_f32_e32 v60, v60, v62
	v_add_f32_e32 v60, v60, v61
	v_exp_f32_e32 v60, v60
	v_cvt_i32_f32_e32 v61, v62
	s_mov_b32 s64, 0xc2ce8ed0
	v_cmp_ngt_f32_e32 vcc, s64, v59
	s_mov_b32 s64, 0x42b17218
	v_ldexp_f32 v60, v60, v61
	v_cndmask_b32_e32 v60, 0, v60, vcc
	v_mov_b32_e32 v61, 0x7f800000
	v_cmp_nlt_f32_e32 vcc, s64, v59
	v_cndmask_b32_e32 v62, v61, v60, vcc
	v_add_f32_e32 v63, 1.0, v62
	v_cvt_f64_f32_e32 v[59:60], v63
	v_add_f32_e32 v64, -1.0, v63
	v_sub_f32_e32 v65, v64, v63
	v_sub_f32_e32 v64, v62, v64
	v_frexp_exp_i32_f64_e32 v59, v[59:60]
	v_add_f32_e32 v60, 1.0, v65
	v_add_f32_e32 v60, v64, v60
	v_frexp_mant_f32_e32 v64, v63
	s_mov_b32 s65, 0x3f2aaaab
	v_cmp_gt_f32_e32 vcc, s65, v64
	s_mov_b32 s65, 0x3f317218
	s_mov_b32 s64, 0x7f800000
	v_subbrev_co_u32_e32 v59, vcc, 0, v59, vcc
	v_sub_u32_e32 v64, 0, v59
	v_ldexp_f32 v63, v63, v64
	v_ldexp_f32 v60, v60, v64
	v_add_f32_e32 v64, -1.0, v63
	v_add_f32_e32 v67, 1.0, v63
	v_add_f32_e32 v65, 1.0, v64
	v_add_f32_e32 v68, -1.0, v67
	v_sub_f32_e32 v65, v63, v65
	v_sub_f32_e32 v63, v63, v68
	v_add_f32_e32 v65, v60, v65
	v_add_f32_e32 v60, v60, v63
	v_add_f32_e32 v63, v67, v60
	v_rcp_f32_e32 v68, v63
	v_add_f32_e32 v66, v64, v65
	v_sub_f32_e32 v64, v64, v66
	v_add_f32_e32 v64, v65, v64
	v_sub_f32_e32 v65, v67, v63
	v_add_f32_e32 v60, v60, v65
	v_mul_f32_e32 v65, v66, v68
	v_mul_f32_e32 v67, v63, v65
	v_fma_f32 v69, v65, v63, -v67
	v_fmac_f32_e32 v69, v65, v60
	v_add_f32_e32 v70, v67, v69
	v_sub_f32_e32 v71, v66, v70
	v_sub_f32_e32 v66, v66, v71
	;; [unrolled: 1-line block ×4, first 2 shown]
	v_add_f32_e32 v64, v64, v66
	v_sub_f32_e32 v66, v67, v69
	v_add_f32_e32 v64, v66, v64
	v_add_f32_e32 v66, v71, v64
	v_mul_f32_e32 v67, v68, v66
	v_mul_f32_e32 v69, v63, v67
	v_fma_f32 v63, v67, v63, -v69
	v_fmac_f32_e32 v63, v67, v60
	v_sub_f32_e32 v60, v71, v66
	v_add_f32_e32 v60, v64, v60
	v_add_f32_e32 v64, v69, v63
	v_sub_f32_e32 v70, v66, v64
	v_sub_f32_e32 v66, v66, v70
	;; [unrolled: 1-line block ×4, first 2 shown]
	v_add_f32_e32 v60, v60, v64
	v_sub_f32_e32 v63, v69, v63
	v_add_f32_e32 v60, v63, v60
	v_add_f32_e32 v63, v65, v67
	;; [unrolled: 1-line block ×3, first 2 shown]
	v_sub_f32_e32 v64, v63, v65
	v_mul_f32_e32 v60, v68, v60
	v_sub_f32_e32 v64, v67, v64
	v_add_f32_e32 v60, v64, v60
	v_cvt_f32_i32_e32 v59, v59
	v_add_f32_e32 v64, v63, v60
	v_mul_f32_e32 v65, v64, v64
	v_mov_b32_e32 v66, 0x3ecc95a3
	v_fmac_f32_e32 v66, 0x3e9b6dac, v65
	v_mov_b32_e32 v67, 0x3f2aaada
	v_fmac_f32_e32 v67, v65, v66
	v_mul_f32_e32 v66, 0x3f317218, v59
	v_fma_f32 v68, v59, s65, -v66
	v_fmac_f32_e32 v68, 0xb102e308, v59
	v_sub_f32_e32 v59, v64, v63
	v_sub_f32_e32 v59, v60, v59
	v_add_f32_e32 v60, v66, v68
	v_sub_f32_e32 v63, v60, v66
	v_ldexp_f32 v66, v64, 1
	v_mul_f32_e32 v64, v64, v65
	v_mul_f32_e32 v64, v64, v67
	v_add_f32_e32 v65, v66, v64
	v_sub_f32_e32 v66, v65, v66
	v_ldexp_f32 v59, v59, 1
	v_sub_f32_e32 v64, v64, v66
	v_add_f32_e32 v59, v59, v64
	v_add_f32_e32 v64, v65, v59
	v_sub_f32_e32 v65, v64, v65
	v_sub_f32_e32 v59, v59, v65
	v_add_f32_e32 v65, v60, v64
	v_sub_f32_e32 v66, v65, v60
	v_sub_f32_e32 v67, v65, v66
	;; [unrolled: 1-line block ×5, first 2 shown]
	v_add_f32_e32 v60, v64, v60
	v_add_f32_e32 v64, v63, v59
	v_sub_f32_e32 v66, v64, v63
	v_sub_f32_e32 v67, v64, v66
	;; [unrolled: 1-line block ×4, first 2 shown]
	v_add_f32_e32 v60, v64, v60
	v_add_f32_e32 v59, v59, v63
	;; [unrolled: 1-line block ×3, first 2 shown]
	v_sub_f32_e32 v64, v63, v65
	v_sub_f32_e32 v60, v60, v64
	v_add_f32_e32 v59, v59, v60
	v_add_f32_e32 v59, v63, v59
	v_cmp_neq_f32_e32 vcc, s64, v62
	s_mov_b32 s64, 0x33800000
	v_cndmask_b32_e32 v59, v61, v59, vcc
	v_cmp_lt_f32_e64 vcc, |v62|, s64
	v_cndmask_b32_e32 v59, v59, v62, vcc
	v_add_f32_e32 v59, v58, v59
.LBB507_327:
	s_or_b64 exec, exec, s[4:5]
	v_bfe_u32 v58, v59, 16, 1
	s_movk_i32 s4, 0x7fff
	v_add3_u32 v58, v59, v58, s4
	v_cmp_o_f32_e32 vcc, v59, v59
	v_mov_b32_e32 v59, 0x7fc0
	v_cndmask_b32_sdwa v60, v59, v58, vcc dst_sel:DWORD dst_unused:UNUSED_PAD src0_sel:DWORD src1_sel:WORD_1
	v_mbcnt_lo_u32_b32 v58, -1, 0
	v_mbcnt_hi_u32_b32 v58, -1, v58
	v_and_b32_e32 v59, 15, v58
	v_and_b32_e32 v61, 0xffff, v60
	v_cmp_ne_u32_e32 vcc, 0, v59
	s_nop 0
	v_mov_b32_dpp v62, v61 row_shr:1 row_mask:0xf bank_mask:0xf
	s_and_saveexec_b64 s[4:5], vcc
	s_xor_b64 s[64:65], exec, s[4:5]
	s_cbranch_execz .LBB507_331
; %bb.328:
	v_lshlrev_b32_e32 v62, 16, v62
	v_lshlrev_b32_e32 v60, 16, v61
	v_max_f32_e32 v63, v60, v60
	v_max_f32_e32 v64, v62, v62
	v_min_f32_e32 v61, v64, v63
	v_cmp_u_f32_e32 vcc, v62, v62
	v_max_f32_e32 v63, v64, v63
	v_cndmask_b32_e32 v61, v61, v62, vcc
	v_cmp_u_f32_e64 s[4:5], v60, v60
	v_cndmask_b32_e32 v63, v63, v62, vcc
	v_cndmask_b32_e64 v61, v61, v60, s[4:5]
	v_cndmask_b32_e64 v60, v63, v60, s[4:5]
	s_movk_i32 s4, 0x1f8
	v_cmp_neq_f32_e32 vcc, v61, v60
	v_cmp_class_f32_e64 s[4:5], v61, s4
	s_or_b64 s[68:69], vcc, s[4:5]
	s_and_saveexec_b64 s[4:5], s[68:69]
	s_cbranch_execz .LBB507_330
; %bb.329:
	v_sub_f32_e32 v61, v61, v60
	s_mov_b32 s68, 0x3fb8aa3b
	v_mul_f32_e32 v62, 0x3fb8aa3b, v61
	v_fma_f32 v63, v61, s68, -v62
	v_rndne_f32_e32 v64, v62
	v_fmac_f32_e32 v63, 0x32a5705f, v61
	v_sub_f32_e32 v62, v62, v64
	v_add_f32_e32 v62, v62, v63
	v_exp_f32_e32 v62, v62
	v_cvt_i32_f32_e32 v63, v64
	s_mov_b32 s68, 0xc2ce8ed0
	v_cmp_ngt_f32_e32 vcc, s68, v61
	s_mov_b32 s68, 0x42b17218
	v_ldexp_f32 v62, v62, v63
	v_cndmask_b32_e32 v62, 0, v62, vcc
	v_mov_b32_e32 v63, 0x7f800000
	v_cmp_nlt_f32_e32 vcc, s68, v61
	v_cndmask_b32_e32 v64, v63, v62, vcc
	v_add_f32_e32 v65, 1.0, v64
	v_cvt_f64_f32_e32 v[61:62], v65
	v_add_f32_e32 v66, -1.0, v65
	v_sub_f32_e32 v67, v66, v65
	v_sub_f32_e32 v66, v64, v66
	v_frexp_exp_i32_f64_e32 v61, v[61:62]
	v_add_f32_e32 v62, 1.0, v67
	v_add_f32_e32 v62, v66, v62
	v_frexp_mant_f32_e32 v66, v65
	s_mov_b32 s69, 0x3f2aaaab
	v_cmp_gt_f32_e32 vcc, s69, v66
	s_mov_b32 s69, 0x3f317218
	s_mov_b32 s68, 0x7f800000
	v_subbrev_co_u32_e32 v61, vcc, 0, v61, vcc
	v_sub_u32_e32 v66, 0, v61
	v_ldexp_f32 v65, v65, v66
	v_ldexp_f32 v62, v62, v66
	v_add_f32_e32 v66, -1.0, v65
	v_add_f32_e32 v69, 1.0, v65
	v_add_f32_e32 v67, 1.0, v66
	v_add_f32_e32 v70, -1.0, v69
	v_sub_f32_e32 v67, v65, v67
	v_sub_f32_e32 v65, v65, v70
	v_add_f32_e32 v67, v62, v67
	v_add_f32_e32 v62, v62, v65
	;; [unrolled: 1-line block ×3, first 2 shown]
	v_rcp_f32_e32 v70, v65
	v_add_f32_e32 v68, v66, v67
	v_sub_f32_e32 v66, v66, v68
	v_add_f32_e32 v66, v67, v66
	v_sub_f32_e32 v67, v69, v65
	v_add_f32_e32 v62, v62, v67
	v_mul_f32_e32 v67, v68, v70
	v_mul_f32_e32 v69, v65, v67
	v_fma_f32 v71, v67, v65, -v69
	v_fmac_f32_e32 v71, v67, v62
	v_add_f32_e32 v72, v69, v71
	v_sub_f32_e32 v73, v68, v72
	v_sub_f32_e32 v68, v68, v73
	;; [unrolled: 1-line block ×4, first 2 shown]
	v_add_f32_e32 v66, v66, v68
	v_sub_f32_e32 v68, v69, v71
	v_add_f32_e32 v66, v68, v66
	v_add_f32_e32 v68, v73, v66
	v_mul_f32_e32 v69, v70, v68
	v_mul_f32_e32 v71, v65, v69
	v_fma_f32 v65, v69, v65, -v71
	v_fmac_f32_e32 v65, v69, v62
	v_sub_f32_e32 v62, v73, v68
	v_add_f32_e32 v62, v66, v62
	v_add_f32_e32 v66, v71, v65
	v_sub_f32_e32 v72, v68, v66
	v_sub_f32_e32 v68, v68, v72
	;; [unrolled: 1-line block ×4, first 2 shown]
	v_add_f32_e32 v62, v62, v66
	v_sub_f32_e32 v65, v71, v65
	v_add_f32_e32 v62, v65, v62
	v_add_f32_e32 v65, v67, v69
	v_add_f32_e32 v62, v72, v62
	v_sub_f32_e32 v66, v65, v67
	v_mul_f32_e32 v62, v70, v62
	v_sub_f32_e32 v66, v69, v66
	v_add_f32_e32 v62, v66, v62
	v_cvt_f32_i32_e32 v61, v61
	v_add_f32_e32 v66, v65, v62
	v_mul_f32_e32 v67, v66, v66
	v_mov_b32_e32 v68, 0x3ecc95a3
	v_fmac_f32_e32 v68, 0x3e9b6dac, v67
	v_mov_b32_e32 v69, 0x3f2aaada
	v_fmac_f32_e32 v69, v67, v68
	v_mul_f32_e32 v68, 0x3f317218, v61
	v_fma_f32 v70, v61, s69, -v68
	v_fmac_f32_e32 v70, 0xb102e308, v61
	v_sub_f32_e32 v61, v66, v65
	v_sub_f32_e32 v61, v62, v61
	v_add_f32_e32 v62, v68, v70
	v_sub_f32_e32 v65, v62, v68
	v_ldexp_f32 v68, v66, 1
	v_mul_f32_e32 v66, v66, v67
	v_mul_f32_e32 v66, v66, v69
	v_add_f32_e32 v67, v68, v66
	v_sub_f32_e32 v68, v67, v68
	v_ldexp_f32 v61, v61, 1
	v_sub_f32_e32 v66, v66, v68
	v_add_f32_e32 v61, v61, v66
	v_add_f32_e32 v66, v67, v61
	v_sub_f32_e32 v67, v66, v67
	v_sub_f32_e32 v61, v61, v67
	v_add_f32_e32 v67, v62, v66
	v_sub_f32_e32 v68, v67, v62
	v_sub_f32_e32 v69, v67, v68
	;; [unrolled: 1-line block ×5, first 2 shown]
	v_add_f32_e32 v62, v66, v62
	v_add_f32_e32 v66, v65, v61
	v_sub_f32_e32 v68, v66, v65
	v_sub_f32_e32 v69, v66, v68
	;; [unrolled: 1-line block ×4, first 2 shown]
	v_add_f32_e32 v62, v66, v62
	v_add_f32_e32 v61, v61, v65
	;; [unrolled: 1-line block ×3, first 2 shown]
	v_sub_f32_e32 v66, v65, v67
	v_sub_f32_e32 v62, v62, v66
	v_add_f32_e32 v61, v61, v62
	v_add_f32_e32 v61, v65, v61
	v_cmp_neq_f32_e32 vcc, s68, v64
	s_mov_b32 s68, 0x33800000
	v_cndmask_b32_e32 v61, v63, v61, vcc
	v_cmp_lt_f32_e64 vcc, |v64|, s68
	v_cndmask_b32_e32 v61, v61, v64, vcc
	v_add_f32_e32 v62, v60, v61
.LBB507_330:
	s_or_b64 exec, exec, s[4:5]
	v_bfe_u32 v60, v62, 16, 1
	s_movk_i32 s4, 0x7fff
	v_add3_u32 v60, v62, v60, s4
	v_cmp_o_f32_e32 vcc, v62, v62
	v_mov_b32_e32 v61, 0x7fc0
	v_cndmask_b32_sdwa v60, v61, v60, vcc dst_sel:DWORD dst_unused:UNUSED_PAD src0_sel:DWORD src1_sel:WORD_1
	v_and_b32_e32 v61, 0xffff, v60
.LBB507_331:
	s_or_b64 exec, exec, s[64:65]
	s_nop 0
	v_mov_b32_dpp v62, v61 row_shr:2 row_mask:0xf bank_mask:0xf
	v_cmp_lt_u32_e32 vcc, 1, v59
	s_and_saveexec_b64 s[64:65], vcc
	s_cbranch_execz .LBB507_335
; %bb.332:
	v_lshlrev_b32_e32 v62, 16, v62
	v_lshlrev_b32_e32 v60, 16, v61
	v_max_f32_e32 v63, v60, v60
	v_max_f32_e32 v64, v62, v62
	v_min_f32_e32 v61, v64, v63
	v_cmp_u_f32_e32 vcc, v62, v62
	v_max_f32_e32 v63, v64, v63
	v_cndmask_b32_e32 v61, v61, v62, vcc
	v_cmp_u_f32_e64 s[4:5], v60, v60
	v_cndmask_b32_e32 v63, v63, v62, vcc
	v_cndmask_b32_e64 v61, v61, v60, s[4:5]
	v_cndmask_b32_e64 v60, v63, v60, s[4:5]
	s_movk_i32 s4, 0x1f8
	v_cmp_neq_f32_e32 vcc, v61, v60
	v_cmp_class_f32_e64 s[4:5], v61, s4
	s_or_b64 s[68:69], vcc, s[4:5]
	s_and_saveexec_b64 s[4:5], s[68:69]
	s_cbranch_execz .LBB507_334
; %bb.333:
	v_sub_f32_e32 v61, v61, v60
	s_mov_b32 s68, 0x3fb8aa3b
	v_mul_f32_e32 v62, 0x3fb8aa3b, v61
	v_fma_f32 v63, v61, s68, -v62
	v_rndne_f32_e32 v64, v62
	v_fmac_f32_e32 v63, 0x32a5705f, v61
	v_sub_f32_e32 v62, v62, v64
	v_add_f32_e32 v62, v62, v63
	v_exp_f32_e32 v62, v62
	v_cvt_i32_f32_e32 v63, v64
	s_mov_b32 s68, 0xc2ce8ed0
	v_cmp_ngt_f32_e32 vcc, s68, v61
	s_mov_b32 s68, 0x42b17218
	v_ldexp_f32 v62, v62, v63
	v_cndmask_b32_e32 v62, 0, v62, vcc
	v_mov_b32_e32 v63, 0x7f800000
	v_cmp_nlt_f32_e32 vcc, s68, v61
	v_cndmask_b32_e32 v64, v63, v62, vcc
	v_add_f32_e32 v65, 1.0, v64
	v_cvt_f64_f32_e32 v[61:62], v65
	v_add_f32_e32 v66, -1.0, v65
	v_sub_f32_e32 v67, v66, v65
	v_sub_f32_e32 v66, v64, v66
	v_frexp_exp_i32_f64_e32 v61, v[61:62]
	v_add_f32_e32 v62, 1.0, v67
	v_add_f32_e32 v62, v66, v62
	v_frexp_mant_f32_e32 v66, v65
	s_mov_b32 s69, 0x3f2aaaab
	v_cmp_gt_f32_e32 vcc, s69, v66
	s_mov_b32 s69, 0x3f317218
	s_mov_b32 s68, 0x7f800000
	v_subbrev_co_u32_e32 v61, vcc, 0, v61, vcc
	v_sub_u32_e32 v66, 0, v61
	v_ldexp_f32 v65, v65, v66
	v_ldexp_f32 v62, v62, v66
	v_add_f32_e32 v66, -1.0, v65
	v_add_f32_e32 v69, 1.0, v65
	v_add_f32_e32 v67, 1.0, v66
	v_add_f32_e32 v70, -1.0, v69
	v_sub_f32_e32 v67, v65, v67
	v_sub_f32_e32 v65, v65, v70
	v_add_f32_e32 v67, v62, v67
	v_add_f32_e32 v62, v62, v65
	v_add_f32_e32 v65, v69, v62
	v_rcp_f32_e32 v70, v65
	v_add_f32_e32 v68, v66, v67
	v_sub_f32_e32 v66, v66, v68
	v_add_f32_e32 v66, v67, v66
	v_sub_f32_e32 v67, v69, v65
	v_add_f32_e32 v62, v62, v67
	v_mul_f32_e32 v67, v68, v70
	v_mul_f32_e32 v69, v65, v67
	v_fma_f32 v71, v67, v65, -v69
	v_fmac_f32_e32 v71, v67, v62
	v_add_f32_e32 v72, v69, v71
	v_sub_f32_e32 v73, v68, v72
	v_sub_f32_e32 v68, v68, v73
	;; [unrolled: 1-line block ×4, first 2 shown]
	v_add_f32_e32 v66, v66, v68
	v_sub_f32_e32 v68, v69, v71
	v_add_f32_e32 v66, v68, v66
	v_add_f32_e32 v68, v73, v66
	v_mul_f32_e32 v69, v70, v68
	v_mul_f32_e32 v71, v65, v69
	v_fma_f32 v65, v69, v65, -v71
	v_fmac_f32_e32 v65, v69, v62
	v_sub_f32_e32 v62, v73, v68
	v_add_f32_e32 v62, v66, v62
	v_add_f32_e32 v66, v71, v65
	v_sub_f32_e32 v72, v68, v66
	v_sub_f32_e32 v68, v68, v72
	v_sub_f32_e32 v71, v66, v71
	v_sub_f32_e32 v66, v68, v66
	v_add_f32_e32 v62, v62, v66
	v_sub_f32_e32 v65, v71, v65
	v_add_f32_e32 v62, v65, v62
	v_add_f32_e32 v65, v67, v69
	;; [unrolled: 1-line block ×3, first 2 shown]
	v_sub_f32_e32 v66, v65, v67
	v_mul_f32_e32 v62, v70, v62
	v_sub_f32_e32 v66, v69, v66
	v_add_f32_e32 v62, v66, v62
	v_cvt_f32_i32_e32 v61, v61
	v_add_f32_e32 v66, v65, v62
	v_mul_f32_e32 v67, v66, v66
	v_mov_b32_e32 v68, 0x3ecc95a3
	v_fmac_f32_e32 v68, 0x3e9b6dac, v67
	v_mov_b32_e32 v69, 0x3f2aaada
	v_fmac_f32_e32 v69, v67, v68
	v_mul_f32_e32 v68, 0x3f317218, v61
	v_fma_f32 v70, v61, s69, -v68
	v_fmac_f32_e32 v70, 0xb102e308, v61
	v_sub_f32_e32 v61, v66, v65
	v_sub_f32_e32 v61, v62, v61
	v_add_f32_e32 v62, v68, v70
	v_sub_f32_e32 v65, v62, v68
	v_ldexp_f32 v68, v66, 1
	v_mul_f32_e32 v66, v66, v67
	v_mul_f32_e32 v66, v66, v69
	v_add_f32_e32 v67, v68, v66
	v_sub_f32_e32 v68, v67, v68
	v_ldexp_f32 v61, v61, 1
	v_sub_f32_e32 v66, v66, v68
	v_add_f32_e32 v61, v61, v66
	v_add_f32_e32 v66, v67, v61
	v_sub_f32_e32 v67, v66, v67
	v_sub_f32_e32 v61, v61, v67
	v_add_f32_e32 v67, v62, v66
	v_sub_f32_e32 v68, v67, v62
	v_sub_f32_e32 v69, v67, v68
	;; [unrolled: 1-line block ×5, first 2 shown]
	v_add_f32_e32 v62, v66, v62
	v_add_f32_e32 v66, v65, v61
	v_sub_f32_e32 v68, v66, v65
	v_sub_f32_e32 v69, v66, v68
	v_sub_f32_e32 v65, v65, v69
	v_sub_f32_e32 v61, v61, v68
	v_add_f32_e32 v62, v66, v62
	v_add_f32_e32 v61, v61, v65
	;; [unrolled: 1-line block ×3, first 2 shown]
	v_sub_f32_e32 v66, v65, v67
	v_sub_f32_e32 v62, v62, v66
	v_add_f32_e32 v61, v61, v62
	v_add_f32_e32 v61, v65, v61
	v_cmp_neq_f32_e32 vcc, s68, v64
	s_mov_b32 s68, 0x33800000
	v_cndmask_b32_e32 v61, v63, v61, vcc
	v_cmp_lt_f32_e64 vcc, |v64|, s68
	v_cndmask_b32_e32 v61, v61, v64, vcc
	v_add_f32_e32 v62, v60, v61
.LBB507_334:
	s_or_b64 exec, exec, s[4:5]
	v_bfe_u32 v60, v62, 16, 1
	s_movk_i32 s4, 0x7fff
	v_add3_u32 v60, v62, v60, s4
	v_cmp_o_f32_e32 vcc, v62, v62
	v_mov_b32_e32 v61, 0x7fc0
	v_cndmask_b32_sdwa v60, v61, v60, vcc dst_sel:DWORD dst_unused:UNUSED_PAD src0_sel:DWORD src1_sel:WORD_1
	v_and_b32_e32 v61, 0xffff, v60
.LBB507_335:
	s_or_b64 exec, exec, s[64:65]
	s_nop 0
	v_mov_b32_dpp v62, v61 row_shr:4 row_mask:0xf bank_mask:0xf
	v_cmp_lt_u32_e32 vcc, 3, v59
	s_and_saveexec_b64 s[64:65], vcc
	s_cbranch_execz .LBB507_339
; %bb.336:
	v_lshlrev_b32_e32 v62, 16, v62
	v_lshlrev_b32_e32 v60, 16, v61
	v_max_f32_e32 v63, v60, v60
	v_max_f32_e32 v64, v62, v62
	v_min_f32_e32 v61, v64, v63
	v_cmp_u_f32_e32 vcc, v62, v62
	v_max_f32_e32 v63, v64, v63
	v_cndmask_b32_e32 v61, v61, v62, vcc
	v_cmp_u_f32_e64 s[4:5], v60, v60
	v_cndmask_b32_e32 v63, v63, v62, vcc
	v_cndmask_b32_e64 v61, v61, v60, s[4:5]
	v_cndmask_b32_e64 v60, v63, v60, s[4:5]
	s_movk_i32 s4, 0x1f8
	v_cmp_neq_f32_e32 vcc, v61, v60
	v_cmp_class_f32_e64 s[4:5], v61, s4
	s_or_b64 s[68:69], vcc, s[4:5]
	s_and_saveexec_b64 s[4:5], s[68:69]
	s_cbranch_execz .LBB507_338
; %bb.337:
	v_sub_f32_e32 v61, v61, v60
	s_mov_b32 s68, 0x3fb8aa3b
	v_mul_f32_e32 v62, 0x3fb8aa3b, v61
	v_fma_f32 v63, v61, s68, -v62
	v_rndne_f32_e32 v64, v62
	v_fmac_f32_e32 v63, 0x32a5705f, v61
	v_sub_f32_e32 v62, v62, v64
	v_add_f32_e32 v62, v62, v63
	v_exp_f32_e32 v62, v62
	v_cvt_i32_f32_e32 v63, v64
	s_mov_b32 s68, 0xc2ce8ed0
	v_cmp_ngt_f32_e32 vcc, s68, v61
	s_mov_b32 s68, 0x42b17218
	v_ldexp_f32 v62, v62, v63
	v_cndmask_b32_e32 v62, 0, v62, vcc
	v_mov_b32_e32 v63, 0x7f800000
	v_cmp_nlt_f32_e32 vcc, s68, v61
	v_cndmask_b32_e32 v64, v63, v62, vcc
	v_add_f32_e32 v65, 1.0, v64
	v_cvt_f64_f32_e32 v[61:62], v65
	v_add_f32_e32 v66, -1.0, v65
	v_sub_f32_e32 v67, v66, v65
	v_sub_f32_e32 v66, v64, v66
	v_frexp_exp_i32_f64_e32 v61, v[61:62]
	v_add_f32_e32 v62, 1.0, v67
	v_add_f32_e32 v62, v66, v62
	v_frexp_mant_f32_e32 v66, v65
	s_mov_b32 s69, 0x3f2aaaab
	v_cmp_gt_f32_e32 vcc, s69, v66
	s_mov_b32 s69, 0x3f317218
	s_mov_b32 s68, 0x7f800000
	v_subbrev_co_u32_e32 v61, vcc, 0, v61, vcc
	v_sub_u32_e32 v66, 0, v61
	v_ldexp_f32 v65, v65, v66
	v_ldexp_f32 v62, v62, v66
	v_add_f32_e32 v66, -1.0, v65
	v_add_f32_e32 v69, 1.0, v65
	v_add_f32_e32 v67, 1.0, v66
	v_add_f32_e32 v70, -1.0, v69
	v_sub_f32_e32 v67, v65, v67
	v_sub_f32_e32 v65, v65, v70
	v_add_f32_e32 v67, v62, v67
	v_add_f32_e32 v62, v62, v65
	;; [unrolled: 1-line block ×3, first 2 shown]
	v_rcp_f32_e32 v70, v65
	v_add_f32_e32 v68, v66, v67
	v_sub_f32_e32 v66, v66, v68
	v_add_f32_e32 v66, v67, v66
	v_sub_f32_e32 v67, v69, v65
	v_add_f32_e32 v62, v62, v67
	v_mul_f32_e32 v67, v68, v70
	v_mul_f32_e32 v69, v65, v67
	v_fma_f32 v71, v67, v65, -v69
	v_fmac_f32_e32 v71, v67, v62
	v_add_f32_e32 v72, v69, v71
	v_sub_f32_e32 v73, v68, v72
	v_sub_f32_e32 v68, v68, v73
	;; [unrolled: 1-line block ×4, first 2 shown]
	v_add_f32_e32 v66, v66, v68
	v_sub_f32_e32 v68, v69, v71
	v_add_f32_e32 v66, v68, v66
	v_add_f32_e32 v68, v73, v66
	v_mul_f32_e32 v69, v70, v68
	v_mul_f32_e32 v71, v65, v69
	v_fma_f32 v65, v69, v65, -v71
	v_fmac_f32_e32 v65, v69, v62
	v_sub_f32_e32 v62, v73, v68
	v_add_f32_e32 v62, v66, v62
	v_add_f32_e32 v66, v71, v65
	v_sub_f32_e32 v72, v68, v66
	v_sub_f32_e32 v68, v68, v72
	;; [unrolled: 1-line block ×4, first 2 shown]
	v_add_f32_e32 v62, v62, v66
	v_sub_f32_e32 v65, v71, v65
	v_add_f32_e32 v62, v65, v62
	v_add_f32_e32 v65, v67, v69
	;; [unrolled: 1-line block ×3, first 2 shown]
	v_sub_f32_e32 v66, v65, v67
	v_mul_f32_e32 v62, v70, v62
	v_sub_f32_e32 v66, v69, v66
	v_add_f32_e32 v62, v66, v62
	v_cvt_f32_i32_e32 v61, v61
	v_add_f32_e32 v66, v65, v62
	v_mul_f32_e32 v67, v66, v66
	v_mov_b32_e32 v68, 0x3ecc95a3
	v_fmac_f32_e32 v68, 0x3e9b6dac, v67
	v_mov_b32_e32 v69, 0x3f2aaada
	v_fmac_f32_e32 v69, v67, v68
	v_mul_f32_e32 v68, 0x3f317218, v61
	v_fma_f32 v70, v61, s69, -v68
	v_fmac_f32_e32 v70, 0xb102e308, v61
	v_sub_f32_e32 v61, v66, v65
	v_sub_f32_e32 v61, v62, v61
	v_add_f32_e32 v62, v68, v70
	v_sub_f32_e32 v65, v62, v68
	v_ldexp_f32 v68, v66, 1
	v_mul_f32_e32 v66, v66, v67
	v_mul_f32_e32 v66, v66, v69
	v_add_f32_e32 v67, v68, v66
	v_sub_f32_e32 v68, v67, v68
	v_ldexp_f32 v61, v61, 1
	v_sub_f32_e32 v66, v66, v68
	v_add_f32_e32 v61, v61, v66
	v_add_f32_e32 v66, v67, v61
	v_sub_f32_e32 v67, v66, v67
	v_sub_f32_e32 v61, v61, v67
	v_add_f32_e32 v67, v62, v66
	v_sub_f32_e32 v68, v67, v62
	v_sub_f32_e32 v69, v67, v68
	;; [unrolled: 1-line block ×5, first 2 shown]
	v_add_f32_e32 v62, v66, v62
	v_add_f32_e32 v66, v65, v61
	v_sub_f32_e32 v68, v66, v65
	v_sub_f32_e32 v69, v66, v68
	;; [unrolled: 1-line block ×4, first 2 shown]
	v_add_f32_e32 v62, v66, v62
	v_add_f32_e32 v61, v61, v65
	;; [unrolled: 1-line block ×3, first 2 shown]
	v_sub_f32_e32 v66, v65, v67
	v_sub_f32_e32 v62, v62, v66
	v_add_f32_e32 v61, v61, v62
	v_add_f32_e32 v61, v65, v61
	v_cmp_neq_f32_e32 vcc, s68, v64
	s_mov_b32 s68, 0x33800000
	v_cndmask_b32_e32 v61, v63, v61, vcc
	v_cmp_lt_f32_e64 vcc, |v64|, s68
	v_cndmask_b32_e32 v61, v61, v64, vcc
	v_add_f32_e32 v62, v60, v61
.LBB507_338:
	s_or_b64 exec, exec, s[4:5]
	v_bfe_u32 v60, v62, 16, 1
	s_movk_i32 s4, 0x7fff
	v_add3_u32 v60, v62, v60, s4
	v_cmp_o_f32_e32 vcc, v62, v62
	v_mov_b32_e32 v61, 0x7fc0
	v_cndmask_b32_sdwa v60, v61, v60, vcc dst_sel:DWORD dst_unused:UNUSED_PAD src0_sel:DWORD src1_sel:WORD_1
	v_and_b32_e32 v61, 0xffff, v60
.LBB507_339:
	s_or_b64 exec, exec, s[64:65]
	s_nop 0
	v_mov_b32_dpp v62, v61 row_shr:8 row_mask:0xf bank_mask:0xf
	v_cmp_lt_u32_e32 vcc, 7, v59
	s_and_saveexec_b64 s[64:65], vcc
	s_cbranch_execz .LBB507_343
; %bb.340:
	v_lshlrev_b32_e32 v60, 16, v62
	v_lshlrev_b32_e32 v59, 16, v61
	v_max_f32_e32 v62, v59, v59
	v_max_f32_e32 v63, v60, v60
	v_min_f32_e32 v61, v63, v62
	v_cmp_u_f32_e32 vcc, v60, v60
	v_max_f32_e32 v62, v63, v62
	v_cndmask_b32_e32 v61, v61, v60, vcc
	v_cmp_u_f32_e64 s[4:5], v59, v59
	v_cndmask_b32_e32 v62, v62, v60, vcc
	v_cndmask_b32_e64 v61, v61, v59, s[4:5]
	v_cndmask_b32_e64 v59, v62, v59, s[4:5]
	s_movk_i32 s4, 0x1f8
	v_cmp_neq_f32_e32 vcc, v61, v59
	v_cmp_class_f32_e64 s[4:5], v61, s4
	s_or_b64 s[68:69], vcc, s[4:5]
	s_and_saveexec_b64 s[4:5], s[68:69]
	s_cbranch_execz .LBB507_342
; %bb.341:
	v_sub_f32_e32 v60, v61, v59
	s_mov_b32 s68, 0x3fb8aa3b
	v_mul_f32_e32 v61, 0x3fb8aa3b, v60
	v_fma_f32 v62, v60, s68, -v61
	v_rndne_f32_e32 v63, v61
	v_fmac_f32_e32 v62, 0x32a5705f, v60
	v_sub_f32_e32 v61, v61, v63
	v_add_f32_e32 v61, v61, v62
	v_exp_f32_e32 v61, v61
	v_cvt_i32_f32_e32 v62, v63
	s_mov_b32 s68, 0xc2ce8ed0
	v_cmp_ngt_f32_e32 vcc, s68, v60
	s_mov_b32 s68, 0x42b17218
	v_ldexp_f32 v61, v61, v62
	v_cndmask_b32_e32 v61, 0, v61, vcc
	v_mov_b32_e32 v62, 0x7f800000
	v_cmp_nlt_f32_e32 vcc, s68, v60
	v_cndmask_b32_e32 v63, v62, v61, vcc
	v_add_f32_e32 v64, 1.0, v63
	v_cvt_f64_f32_e32 v[60:61], v64
	v_add_f32_e32 v65, -1.0, v64
	v_sub_f32_e32 v66, v65, v64
	v_sub_f32_e32 v65, v63, v65
	v_frexp_exp_i32_f64_e32 v60, v[60:61]
	v_add_f32_e32 v61, 1.0, v66
	v_add_f32_e32 v61, v65, v61
	v_frexp_mant_f32_e32 v65, v64
	s_mov_b32 s69, 0x3f2aaaab
	v_cmp_gt_f32_e32 vcc, s69, v65
	s_mov_b32 s69, 0x3f317218
	s_mov_b32 s68, 0x7f800000
	v_subbrev_co_u32_e32 v60, vcc, 0, v60, vcc
	v_sub_u32_e32 v65, 0, v60
	v_ldexp_f32 v64, v64, v65
	v_ldexp_f32 v61, v61, v65
	v_add_f32_e32 v65, -1.0, v64
	v_add_f32_e32 v68, 1.0, v64
	v_add_f32_e32 v66, 1.0, v65
	v_add_f32_e32 v69, -1.0, v68
	v_sub_f32_e32 v66, v64, v66
	v_sub_f32_e32 v64, v64, v69
	v_add_f32_e32 v66, v61, v66
	v_add_f32_e32 v61, v61, v64
	;; [unrolled: 1-line block ×3, first 2 shown]
	v_rcp_f32_e32 v69, v64
	v_add_f32_e32 v67, v65, v66
	v_sub_f32_e32 v65, v65, v67
	v_add_f32_e32 v65, v66, v65
	v_sub_f32_e32 v66, v68, v64
	v_add_f32_e32 v61, v61, v66
	v_mul_f32_e32 v66, v67, v69
	v_mul_f32_e32 v68, v64, v66
	v_fma_f32 v70, v66, v64, -v68
	v_fmac_f32_e32 v70, v66, v61
	v_add_f32_e32 v71, v68, v70
	v_sub_f32_e32 v72, v67, v71
	v_sub_f32_e32 v67, v67, v72
	v_sub_f32_e32 v68, v71, v68
	v_sub_f32_e32 v67, v67, v71
	v_add_f32_e32 v65, v65, v67
	v_sub_f32_e32 v67, v68, v70
	v_add_f32_e32 v65, v67, v65
	v_add_f32_e32 v67, v72, v65
	v_mul_f32_e32 v68, v69, v67
	v_mul_f32_e32 v70, v64, v68
	v_fma_f32 v64, v68, v64, -v70
	v_fmac_f32_e32 v64, v68, v61
	v_sub_f32_e32 v61, v72, v67
	v_add_f32_e32 v61, v65, v61
	v_add_f32_e32 v65, v70, v64
	v_sub_f32_e32 v71, v67, v65
	v_sub_f32_e32 v67, v67, v71
	;; [unrolled: 1-line block ×4, first 2 shown]
	v_add_f32_e32 v61, v61, v65
	v_sub_f32_e32 v64, v70, v64
	v_add_f32_e32 v61, v64, v61
	v_add_f32_e32 v64, v66, v68
	;; [unrolled: 1-line block ×3, first 2 shown]
	v_sub_f32_e32 v65, v64, v66
	v_mul_f32_e32 v61, v69, v61
	v_sub_f32_e32 v65, v68, v65
	v_add_f32_e32 v61, v65, v61
	v_cvt_f32_i32_e32 v60, v60
	v_add_f32_e32 v65, v64, v61
	v_mul_f32_e32 v66, v65, v65
	v_mov_b32_e32 v67, 0x3ecc95a3
	v_fmac_f32_e32 v67, 0x3e9b6dac, v66
	v_mov_b32_e32 v68, 0x3f2aaada
	v_fmac_f32_e32 v68, v66, v67
	v_mul_f32_e32 v67, 0x3f317218, v60
	v_fma_f32 v69, v60, s69, -v67
	v_fmac_f32_e32 v69, 0xb102e308, v60
	v_sub_f32_e32 v60, v65, v64
	v_sub_f32_e32 v60, v61, v60
	v_add_f32_e32 v61, v67, v69
	v_sub_f32_e32 v64, v61, v67
	v_ldexp_f32 v67, v65, 1
	v_mul_f32_e32 v65, v65, v66
	v_mul_f32_e32 v65, v65, v68
	v_add_f32_e32 v66, v67, v65
	v_sub_f32_e32 v67, v66, v67
	v_ldexp_f32 v60, v60, 1
	v_sub_f32_e32 v65, v65, v67
	v_add_f32_e32 v60, v60, v65
	v_add_f32_e32 v65, v66, v60
	v_sub_f32_e32 v66, v65, v66
	v_sub_f32_e32 v60, v60, v66
	v_add_f32_e32 v66, v61, v65
	v_sub_f32_e32 v67, v66, v61
	v_sub_f32_e32 v68, v66, v67
	;; [unrolled: 1-line block ×5, first 2 shown]
	v_add_f32_e32 v61, v65, v61
	v_add_f32_e32 v65, v64, v60
	v_sub_f32_e32 v67, v65, v64
	v_sub_f32_e32 v68, v65, v67
	;; [unrolled: 1-line block ×4, first 2 shown]
	v_add_f32_e32 v61, v65, v61
	v_add_f32_e32 v60, v60, v64
	;; [unrolled: 1-line block ×3, first 2 shown]
	v_sub_f32_e32 v65, v64, v66
	v_sub_f32_e32 v61, v61, v65
	v_add_f32_e32 v60, v60, v61
	v_add_f32_e32 v60, v64, v60
	v_cmp_neq_f32_e32 vcc, s68, v63
	s_mov_b32 s68, 0x33800000
	v_cndmask_b32_e32 v60, v62, v60, vcc
	v_cmp_lt_f32_e64 vcc, |v63|, s68
	v_cndmask_b32_e32 v60, v60, v63, vcc
	v_add_f32_e32 v60, v59, v60
.LBB507_342:
	s_or_b64 exec, exec, s[4:5]
	v_bfe_u32 v59, v60, 16, 1
	s_movk_i32 s4, 0x7fff
	v_add3_u32 v59, v60, v59, s4
	v_cmp_o_f32_e32 vcc, v60, v60
	v_mov_b32_e32 v60, 0x7fc0
	v_cndmask_b32_sdwa v60, v60, v59, vcc dst_sel:DWORD dst_unused:UNUSED_PAD src0_sel:DWORD src1_sel:WORD_1
	v_and_b32_e32 v61, 0xffff, v60
.LBB507_343:
	s_or_b64 exec, exec, s[64:65]
	v_and_b32_e32 v62, 16, v58
	v_mov_b32_dpp v59, v61 row_bcast:15 row_mask:0xf bank_mask:0xf
	v_cmp_ne_u32_e32 vcc, 0, v62
	s_and_saveexec_b64 s[64:65], vcc
	s_cbranch_execz .LBB507_347
; %bb.344:
	v_lshlrev_b32_e32 v60, 16, v59
	v_lshlrev_b32_e32 v59, 16, v61
	v_max_f32_e32 v62, v59, v59
	v_max_f32_e32 v63, v60, v60
	v_min_f32_e32 v61, v63, v62
	v_cmp_u_f32_e32 vcc, v60, v60
	v_max_f32_e32 v62, v63, v62
	v_cndmask_b32_e32 v61, v61, v60, vcc
	v_cmp_u_f32_e64 s[4:5], v59, v59
	v_cndmask_b32_e32 v62, v62, v60, vcc
	v_cndmask_b32_e64 v61, v61, v59, s[4:5]
	v_cndmask_b32_e64 v59, v62, v59, s[4:5]
	s_movk_i32 s4, 0x1f8
	v_cmp_neq_f32_e32 vcc, v61, v59
	v_cmp_class_f32_e64 s[4:5], v61, s4
	s_or_b64 s[68:69], vcc, s[4:5]
	s_and_saveexec_b64 s[4:5], s[68:69]
	s_cbranch_execz .LBB507_346
; %bb.345:
	v_sub_f32_e32 v60, v61, v59
	s_mov_b32 s68, 0x3fb8aa3b
	v_mul_f32_e32 v61, 0x3fb8aa3b, v60
	v_fma_f32 v62, v60, s68, -v61
	v_rndne_f32_e32 v63, v61
	v_fmac_f32_e32 v62, 0x32a5705f, v60
	v_sub_f32_e32 v61, v61, v63
	v_add_f32_e32 v61, v61, v62
	v_exp_f32_e32 v61, v61
	v_cvt_i32_f32_e32 v62, v63
	s_mov_b32 s68, 0xc2ce8ed0
	v_cmp_ngt_f32_e32 vcc, s68, v60
	s_mov_b32 s68, 0x42b17218
	v_ldexp_f32 v61, v61, v62
	v_cndmask_b32_e32 v61, 0, v61, vcc
	v_mov_b32_e32 v62, 0x7f800000
	v_cmp_nlt_f32_e32 vcc, s68, v60
	v_cndmask_b32_e32 v63, v62, v61, vcc
	v_add_f32_e32 v64, 1.0, v63
	v_cvt_f64_f32_e32 v[60:61], v64
	v_add_f32_e32 v65, -1.0, v64
	v_sub_f32_e32 v66, v65, v64
	v_sub_f32_e32 v65, v63, v65
	v_frexp_exp_i32_f64_e32 v60, v[60:61]
	v_add_f32_e32 v61, 1.0, v66
	v_add_f32_e32 v61, v65, v61
	v_frexp_mant_f32_e32 v65, v64
	s_mov_b32 s69, 0x3f2aaaab
	v_cmp_gt_f32_e32 vcc, s69, v65
	s_mov_b32 s69, 0x3f317218
	s_mov_b32 s68, 0x7f800000
	v_subbrev_co_u32_e32 v60, vcc, 0, v60, vcc
	v_sub_u32_e32 v65, 0, v60
	v_ldexp_f32 v64, v64, v65
	v_ldexp_f32 v61, v61, v65
	v_add_f32_e32 v65, -1.0, v64
	v_add_f32_e32 v68, 1.0, v64
	v_add_f32_e32 v66, 1.0, v65
	v_add_f32_e32 v69, -1.0, v68
	v_sub_f32_e32 v66, v64, v66
	v_sub_f32_e32 v64, v64, v69
	v_add_f32_e32 v66, v61, v66
	v_add_f32_e32 v61, v61, v64
	;; [unrolled: 1-line block ×3, first 2 shown]
	v_rcp_f32_e32 v69, v64
	v_add_f32_e32 v67, v65, v66
	v_sub_f32_e32 v65, v65, v67
	v_add_f32_e32 v65, v66, v65
	v_sub_f32_e32 v66, v68, v64
	v_add_f32_e32 v61, v61, v66
	v_mul_f32_e32 v66, v67, v69
	v_mul_f32_e32 v68, v64, v66
	v_fma_f32 v70, v66, v64, -v68
	v_fmac_f32_e32 v70, v66, v61
	v_add_f32_e32 v71, v68, v70
	v_sub_f32_e32 v72, v67, v71
	v_sub_f32_e32 v67, v67, v72
	;; [unrolled: 1-line block ×4, first 2 shown]
	v_add_f32_e32 v65, v65, v67
	v_sub_f32_e32 v67, v68, v70
	v_add_f32_e32 v65, v67, v65
	v_add_f32_e32 v67, v72, v65
	v_mul_f32_e32 v68, v69, v67
	v_mul_f32_e32 v70, v64, v68
	v_fma_f32 v64, v68, v64, -v70
	v_fmac_f32_e32 v64, v68, v61
	v_sub_f32_e32 v61, v72, v67
	v_add_f32_e32 v61, v65, v61
	v_add_f32_e32 v65, v70, v64
	v_sub_f32_e32 v71, v67, v65
	v_sub_f32_e32 v67, v67, v71
	;; [unrolled: 1-line block ×4, first 2 shown]
	v_add_f32_e32 v61, v61, v65
	v_sub_f32_e32 v64, v70, v64
	v_add_f32_e32 v61, v64, v61
	v_add_f32_e32 v64, v66, v68
	;; [unrolled: 1-line block ×3, first 2 shown]
	v_sub_f32_e32 v65, v64, v66
	v_mul_f32_e32 v61, v69, v61
	v_sub_f32_e32 v65, v68, v65
	v_add_f32_e32 v61, v65, v61
	v_cvt_f32_i32_e32 v60, v60
	v_add_f32_e32 v65, v64, v61
	v_mul_f32_e32 v66, v65, v65
	v_mov_b32_e32 v67, 0x3ecc95a3
	v_fmac_f32_e32 v67, 0x3e9b6dac, v66
	v_mov_b32_e32 v68, 0x3f2aaada
	v_fmac_f32_e32 v68, v66, v67
	v_mul_f32_e32 v67, 0x3f317218, v60
	v_fma_f32 v69, v60, s69, -v67
	v_fmac_f32_e32 v69, 0xb102e308, v60
	v_sub_f32_e32 v60, v65, v64
	v_sub_f32_e32 v60, v61, v60
	v_add_f32_e32 v61, v67, v69
	v_sub_f32_e32 v64, v61, v67
	v_ldexp_f32 v67, v65, 1
	v_mul_f32_e32 v65, v65, v66
	v_mul_f32_e32 v65, v65, v68
	v_add_f32_e32 v66, v67, v65
	v_sub_f32_e32 v67, v66, v67
	v_ldexp_f32 v60, v60, 1
	v_sub_f32_e32 v65, v65, v67
	v_add_f32_e32 v60, v60, v65
	v_add_f32_e32 v65, v66, v60
	v_sub_f32_e32 v66, v65, v66
	v_sub_f32_e32 v60, v60, v66
	v_add_f32_e32 v66, v61, v65
	v_sub_f32_e32 v67, v66, v61
	v_sub_f32_e32 v68, v66, v67
	;; [unrolled: 1-line block ×5, first 2 shown]
	v_add_f32_e32 v61, v65, v61
	v_add_f32_e32 v65, v64, v60
	v_sub_f32_e32 v67, v65, v64
	v_sub_f32_e32 v68, v65, v67
	;; [unrolled: 1-line block ×4, first 2 shown]
	v_add_f32_e32 v61, v65, v61
	v_add_f32_e32 v60, v60, v64
	;; [unrolled: 1-line block ×3, first 2 shown]
	v_sub_f32_e32 v65, v64, v66
	v_sub_f32_e32 v61, v61, v65
	v_add_f32_e32 v60, v60, v61
	v_add_f32_e32 v60, v64, v60
	v_cmp_neq_f32_e32 vcc, s68, v63
	s_mov_b32 s68, 0x33800000
	v_cndmask_b32_e32 v60, v62, v60, vcc
	v_cmp_lt_f32_e64 vcc, |v63|, s68
	v_cndmask_b32_e32 v60, v60, v63, vcc
	v_add_f32_e32 v60, v59, v60
.LBB507_346:
	s_or_b64 exec, exec, s[4:5]
	v_bfe_u32 v59, v60, 16, 1
	s_movk_i32 s4, 0x7fff
	v_add3_u32 v59, v60, v59, s4
	v_cmp_o_f32_e32 vcc, v60, v60
	v_mov_b32_e32 v60, 0x7fc0
	v_cndmask_b32_sdwa v60, v60, v59, vcc dst_sel:DWORD dst_unused:UNUSED_PAD src0_sel:DWORD src1_sel:WORD_1
	v_and_b32_e32 v61, 0xffff, v60
.LBB507_347:
	s_or_b64 exec, exec, s[64:65]
	s_nop 0
	v_mov_b32_dpp v59, v61 row_bcast:31 row_mask:0xf bank_mask:0xf
	v_cmp_lt_u32_e32 vcc, 31, v58
	s_and_saveexec_b64 s[64:65], vcc
	s_cbranch_execz .LBB507_351
; %bb.348:
	v_lshlrev_b32_e32 v60, 16, v59
	v_lshlrev_b32_e32 v59, 16, v61
	v_max_f32_e32 v62, v59, v59
	v_max_f32_e32 v63, v60, v60
	v_min_f32_e32 v61, v63, v62
	v_cmp_u_f32_e32 vcc, v60, v60
	v_max_f32_e32 v62, v63, v62
	v_cndmask_b32_e32 v61, v61, v60, vcc
	v_cmp_u_f32_e64 s[4:5], v59, v59
	v_cndmask_b32_e32 v62, v62, v60, vcc
	v_cndmask_b32_e64 v61, v61, v59, s[4:5]
	v_cndmask_b32_e64 v59, v62, v59, s[4:5]
	s_movk_i32 s4, 0x1f8
	v_cmp_neq_f32_e32 vcc, v61, v59
	v_cmp_class_f32_e64 s[4:5], v61, s4
	s_or_b64 s[68:69], vcc, s[4:5]
	s_and_saveexec_b64 s[4:5], s[68:69]
	s_cbranch_execz .LBB507_350
; %bb.349:
	v_sub_f32_e32 v60, v61, v59
	s_mov_b32 s68, 0x3fb8aa3b
	v_mul_f32_e32 v61, 0x3fb8aa3b, v60
	v_fma_f32 v62, v60, s68, -v61
	v_rndne_f32_e32 v63, v61
	v_fmac_f32_e32 v62, 0x32a5705f, v60
	v_sub_f32_e32 v61, v61, v63
	v_add_f32_e32 v61, v61, v62
	v_exp_f32_e32 v61, v61
	v_cvt_i32_f32_e32 v62, v63
	s_mov_b32 s68, 0xc2ce8ed0
	v_cmp_ngt_f32_e32 vcc, s68, v60
	s_mov_b32 s68, 0x42b17218
	v_ldexp_f32 v61, v61, v62
	v_cndmask_b32_e32 v61, 0, v61, vcc
	v_mov_b32_e32 v62, 0x7f800000
	v_cmp_nlt_f32_e32 vcc, s68, v60
	v_cndmask_b32_e32 v63, v62, v61, vcc
	v_add_f32_e32 v64, 1.0, v63
	v_cvt_f64_f32_e32 v[60:61], v64
	v_add_f32_e32 v65, -1.0, v64
	v_sub_f32_e32 v66, v65, v64
	v_sub_f32_e32 v65, v63, v65
	v_frexp_exp_i32_f64_e32 v60, v[60:61]
	v_add_f32_e32 v61, 1.0, v66
	v_add_f32_e32 v61, v65, v61
	v_frexp_mant_f32_e32 v65, v64
	s_mov_b32 s69, 0x3f2aaaab
	v_cmp_gt_f32_e32 vcc, s69, v65
	s_mov_b32 s69, 0x3f317218
	s_mov_b32 s68, 0x7f800000
	v_subbrev_co_u32_e32 v60, vcc, 0, v60, vcc
	v_sub_u32_e32 v65, 0, v60
	v_ldexp_f32 v64, v64, v65
	v_ldexp_f32 v61, v61, v65
	v_add_f32_e32 v65, -1.0, v64
	v_add_f32_e32 v68, 1.0, v64
	v_add_f32_e32 v66, 1.0, v65
	v_add_f32_e32 v69, -1.0, v68
	v_sub_f32_e32 v66, v64, v66
	v_sub_f32_e32 v64, v64, v69
	v_add_f32_e32 v66, v61, v66
	v_add_f32_e32 v61, v61, v64
	;; [unrolled: 1-line block ×3, first 2 shown]
	v_rcp_f32_e32 v69, v64
	v_add_f32_e32 v67, v65, v66
	v_sub_f32_e32 v65, v65, v67
	v_add_f32_e32 v65, v66, v65
	v_sub_f32_e32 v66, v68, v64
	v_add_f32_e32 v61, v61, v66
	v_mul_f32_e32 v66, v67, v69
	v_mul_f32_e32 v68, v64, v66
	v_fma_f32 v70, v66, v64, -v68
	v_fmac_f32_e32 v70, v66, v61
	v_add_f32_e32 v71, v68, v70
	v_sub_f32_e32 v72, v67, v71
	v_sub_f32_e32 v67, v67, v72
	;; [unrolled: 1-line block ×4, first 2 shown]
	v_add_f32_e32 v65, v65, v67
	v_sub_f32_e32 v67, v68, v70
	v_add_f32_e32 v65, v67, v65
	v_add_f32_e32 v67, v72, v65
	v_mul_f32_e32 v68, v69, v67
	v_mul_f32_e32 v70, v64, v68
	v_fma_f32 v64, v68, v64, -v70
	v_fmac_f32_e32 v64, v68, v61
	v_sub_f32_e32 v61, v72, v67
	v_add_f32_e32 v61, v65, v61
	v_add_f32_e32 v65, v70, v64
	v_sub_f32_e32 v71, v67, v65
	v_sub_f32_e32 v67, v67, v71
	;; [unrolled: 1-line block ×4, first 2 shown]
	v_add_f32_e32 v61, v61, v65
	v_sub_f32_e32 v64, v70, v64
	v_add_f32_e32 v61, v64, v61
	v_add_f32_e32 v64, v66, v68
	;; [unrolled: 1-line block ×3, first 2 shown]
	v_sub_f32_e32 v65, v64, v66
	v_mul_f32_e32 v61, v69, v61
	v_sub_f32_e32 v65, v68, v65
	v_add_f32_e32 v61, v65, v61
	v_cvt_f32_i32_e32 v60, v60
	v_add_f32_e32 v65, v64, v61
	v_mul_f32_e32 v66, v65, v65
	v_mov_b32_e32 v67, 0x3ecc95a3
	v_fmac_f32_e32 v67, 0x3e9b6dac, v66
	v_mov_b32_e32 v68, 0x3f2aaada
	v_fmac_f32_e32 v68, v66, v67
	v_mul_f32_e32 v67, 0x3f317218, v60
	v_fma_f32 v69, v60, s69, -v67
	v_fmac_f32_e32 v69, 0xb102e308, v60
	v_sub_f32_e32 v60, v65, v64
	v_sub_f32_e32 v60, v61, v60
	v_add_f32_e32 v61, v67, v69
	v_sub_f32_e32 v64, v61, v67
	v_ldexp_f32 v67, v65, 1
	v_mul_f32_e32 v65, v65, v66
	v_mul_f32_e32 v65, v65, v68
	v_add_f32_e32 v66, v67, v65
	v_sub_f32_e32 v67, v66, v67
	v_ldexp_f32 v60, v60, 1
	v_sub_f32_e32 v65, v65, v67
	v_add_f32_e32 v60, v60, v65
	v_add_f32_e32 v65, v66, v60
	v_sub_f32_e32 v66, v65, v66
	v_sub_f32_e32 v60, v60, v66
	v_add_f32_e32 v66, v61, v65
	v_sub_f32_e32 v67, v66, v61
	v_sub_f32_e32 v68, v66, v67
	;; [unrolled: 1-line block ×5, first 2 shown]
	v_add_f32_e32 v61, v65, v61
	v_add_f32_e32 v65, v64, v60
	v_sub_f32_e32 v67, v65, v64
	v_sub_f32_e32 v68, v65, v67
	;; [unrolled: 1-line block ×4, first 2 shown]
	v_add_f32_e32 v61, v65, v61
	v_add_f32_e32 v60, v60, v64
	;; [unrolled: 1-line block ×3, first 2 shown]
	v_sub_f32_e32 v65, v64, v66
	v_sub_f32_e32 v61, v61, v65
	v_add_f32_e32 v60, v60, v61
	v_add_f32_e32 v60, v64, v60
	v_cmp_neq_f32_e32 vcc, s68, v63
	s_mov_b32 s68, 0x33800000
	v_cndmask_b32_e32 v60, v62, v60, vcc
	v_cmp_lt_f32_e64 vcc, |v63|, s68
	v_cndmask_b32_e32 v60, v60, v63, vcc
	v_add_f32_e32 v60, v59, v60
.LBB507_350:
	s_or_b64 exec, exec, s[4:5]
	v_bfe_u32 v59, v60, 16, 1
	s_movk_i32 s4, 0x7fff
	v_add3_u32 v59, v60, v59, s4
	v_cmp_o_f32_e32 vcc, v60, v60
	v_mov_b32_e32 v60, 0x7fc0
	v_cndmask_b32_sdwa v60, v60, v59, vcc dst_sel:DWORD dst_unused:UNUSED_PAD src0_sel:DWORD src1_sel:WORD_1
.LBB507_351:
	s_or_b64 exec, exec, s[64:65]
	v_add_u32_e32 v59, -1, v58
	v_and_b32_e32 v61, 64, v58
	v_cmp_lt_i32_e32 vcc, v59, v61
	v_cndmask_b32_e32 v58, v59, v58, vcc
	v_lshlrev_b32_e32 v58, 2, v58
	v_and_b32_e32 v59, 0xffff, v60
	ds_bpermute_b32 v58, v58, v59
	s_waitcnt lgkmcnt(0)
	v_lshlrev_b32_e32 v58, 16, v58
	v_max_f32_e32 v60, v58, v58
	v_min_f32_e32 v59, v60, v57
	v_cmp_u_f32_e32 vcc, v58, v58
	v_max_f32_e32 v57, v60, v57
	v_cndmask_b32_e32 v59, v59, v58, vcc
	v_cndmask_b32_e32 v57, v57, v58, vcc
	v_cndmask_b32_e64 v59, v59, v56, s[56:57]
	v_cndmask_b32_e64 v56, v57, v56, s[56:57]
	s_movk_i32 s56, 0x1f8
	v_cmp_neq_f32_e32 vcc, v59, v56
	v_cmp_class_f32_e64 s[4:5], v59, s56
	s_or_b64 s[64:65], vcc, s[4:5]
	s_and_saveexec_b64 s[4:5], s[64:65]
	s_cbranch_execz .LBB507_353
; %bb.352:
	v_sub_f32_e32 v57, v59, v56
	s_mov_b32 s57, 0x3fb8aa3b
	v_mul_f32_e32 v58, 0x3fb8aa3b, v57
	v_fma_f32 v59, v57, s57, -v58
	v_rndne_f32_e32 v60, v58
	v_fmac_f32_e32 v59, 0x32a5705f, v57
	v_sub_f32_e32 v58, v58, v60
	v_add_f32_e32 v58, v58, v59
	v_exp_f32_e32 v58, v58
	v_cvt_i32_f32_e32 v59, v60
	s_mov_b32 s57, 0xc2ce8ed0
	v_cmp_ngt_f32_e32 vcc, s57, v57
	s_mov_b32 s57, 0x42b17218
	v_ldexp_f32 v58, v58, v59
	v_cndmask_b32_e32 v58, 0, v58, vcc
	v_mov_b32_e32 v59, 0x7f800000
	v_cmp_nlt_f32_e32 vcc, s57, v57
	v_cndmask_b32_e32 v60, v59, v58, vcc
	v_add_f32_e32 v61, 1.0, v60
	v_cvt_f64_f32_e32 v[57:58], v61
	v_add_f32_e32 v62, -1.0, v61
	v_sub_f32_e32 v63, v62, v61
	v_sub_f32_e32 v62, v60, v62
	v_frexp_exp_i32_f64_e32 v57, v[57:58]
	v_add_f32_e32 v58, 1.0, v63
	v_add_f32_e32 v58, v62, v58
	v_frexp_mant_f32_e32 v62, v61
	s_mov_b32 s64, 0x3f2aaaab
	v_cmp_gt_f32_e32 vcc, s64, v62
	s_mov_b32 s64, 0x3f317218
	s_mov_b32 s57, 0x7f800000
	v_subbrev_co_u32_e32 v57, vcc, 0, v57, vcc
	v_sub_u32_e32 v62, 0, v57
	v_ldexp_f32 v61, v61, v62
	v_ldexp_f32 v58, v58, v62
	v_add_f32_e32 v62, -1.0, v61
	v_add_f32_e32 v65, 1.0, v61
	v_add_f32_e32 v63, 1.0, v62
	v_add_f32_e32 v66, -1.0, v65
	v_sub_f32_e32 v63, v61, v63
	v_sub_f32_e32 v61, v61, v66
	v_add_f32_e32 v63, v58, v63
	v_add_f32_e32 v58, v58, v61
	;; [unrolled: 1-line block ×3, first 2 shown]
	v_rcp_f32_e32 v66, v61
	v_add_f32_e32 v64, v62, v63
	v_sub_f32_e32 v62, v62, v64
	v_add_f32_e32 v62, v63, v62
	v_sub_f32_e32 v63, v65, v61
	v_add_f32_e32 v58, v58, v63
	v_mul_f32_e32 v63, v64, v66
	v_mul_f32_e32 v65, v61, v63
	v_fma_f32 v67, v63, v61, -v65
	v_fmac_f32_e32 v67, v63, v58
	v_add_f32_e32 v68, v65, v67
	v_sub_f32_e32 v69, v64, v68
	v_sub_f32_e32 v64, v64, v69
	;; [unrolled: 1-line block ×4, first 2 shown]
	v_add_f32_e32 v62, v62, v64
	v_sub_f32_e32 v64, v65, v67
	v_add_f32_e32 v62, v64, v62
	v_add_f32_e32 v64, v69, v62
	v_mul_f32_e32 v65, v66, v64
	v_mul_f32_e32 v67, v61, v65
	v_fma_f32 v61, v65, v61, -v67
	v_fmac_f32_e32 v61, v65, v58
	v_sub_f32_e32 v58, v69, v64
	v_add_f32_e32 v58, v62, v58
	v_add_f32_e32 v62, v67, v61
	v_sub_f32_e32 v68, v64, v62
	v_sub_f32_e32 v64, v64, v68
	;; [unrolled: 1-line block ×4, first 2 shown]
	v_add_f32_e32 v58, v58, v62
	v_sub_f32_e32 v61, v67, v61
	v_add_f32_e32 v58, v61, v58
	v_add_f32_e32 v61, v63, v65
	;; [unrolled: 1-line block ×3, first 2 shown]
	v_sub_f32_e32 v62, v61, v63
	v_mul_f32_e32 v58, v66, v58
	v_sub_f32_e32 v62, v65, v62
	v_add_f32_e32 v58, v62, v58
	v_cvt_f32_i32_e32 v57, v57
	v_add_f32_e32 v62, v61, v58
	v_mul_f32_e32 v63, v62, v62
	v_mov_b32_e32 v64, 0x3ecc95a3
	v_fmac_f32_e32 v64, 0x3e9b6dac, v63
	v_mov_b32_e32 v65, 0x3f2aaada
	v_fmac_f32_e32 v65, v63, v64
	v_mul_f32_e32 v64, 0x3f317218, v57
	v_fma_f32 v66, v57, s64, -v64
	v_fmac_f32_e32 v66, 0xb102e308, v57
	v_sub_f32_e32 v57, v62, v61
	v_sub_f32_e32 v57, v58, v57
	v_add_f32_e32 v58, v64, v66
	v_sub_f32_e32 v61, v58, v64
	v_ldexp_f32 v64, v62, 1
	v_mul_f32_e32 v62, v62, v63
	v_mul_f32_e32 v62, v62, v65
	v_add_f32_e32 v63, v64, v62
	v_sub_f32_e32 v64, v63, v64
	v_ldexp_f32 v57, v57, 1
	v_sub_f32_e32 v62, v62, v64
	v_add_f32_e32 v57, v57, v62
	v_add_f32_e32 v62, v63, v57
	v_sub_f32_e32 v63, v62, v63
	v_sub_f32_e32 v57, v57, v63
	v_add_f32_e32 v63, v58, v62
	v_sub_f32_e32 v64, v63, v58
	v_sub_f32_e32 v65, v63, v64
	;; [unrolled: 1-line block ×5, first 2 shown]
	v_add_f32_e32 v58, v62, v58
	v_add_f32_e32 v62, v61, v57
	v_sub_f32_e32 v64, v62, v61
	v_sub_f32_e32 v65, v62, v64
	;; [unrolled: 1-line block ×4, first 2 shown]
	v_add_f32_e32 v58, v62, v58
	v_add_f32_e32 v57, v57, v61
	;; [unrolled: 1-line block ×3, first 2 shown]
	v_sub_f32_e32 v62, v61, v63
	v_sub_f32_e32 v58, v58, v62
	v_add_f32_e32 v57, v57, v58
	v_add_f32_e32 v57, v61, v57
	v_cmp_neq_f32_e32 vcc, s57, v60
	s_mov_b32 s57, 0x33800000
	v_cndmask_b32_e32 v57, v59, v57, vcc
	v_cmp_lt_f32_e64 vcc, |v60|, s57
	v_cndmask_b32_e32 v57, v57, v60, vcc
	v_add_f32_e32 v58, v56, v57
.LBB507_353:
	s_or_b64 exec, exec, s[4:5]
	v_bfe_u32 v56, v58, 16, 1
	s_movk_i32 s57, 0x7fff
	v_add3_u32 v57, v58, v56, s57
	v_cmp_o_f32_e32 vcc, v58, v58
	v_mov_b32_e32 v56, 0x7fc0
	v_cndmask_b32_sdwa v57, v56, v57, vcc dst_sel:DWORD dst_unused:UNUSED_PAD src0_sel:DWORD src1_sel:WORD_1
	v_cndmask_b32_e64 v55, v57, v55, s[60:61]
	; wave barrier
	ds_write_b16 v54, v55
	; wave barrier
	ds_read_u16 v58, v54 offset:2
	v_lshlrev_b32_e32 v57, 16, v55
	v_max_f32_e32 v59, v57, v57
	v_cmp_u_f32_e32 vcc, v57, v57
	s_waitcnt lgkmcnt(0)
	v_lshlrev_b32_e32 v55, 16, v58
	v_max_f32_e32 v60, v55, v55
	v_min_f32_e32 v58, v59, v60
	v_max_f32_e32 v59, v59, v60
	v_cndmask_b32_e32 v58, v58, v57, vcc
	v_cmp_u_f32_e64 s[4:5], v55, v55
	v_cndmask_b32_e32 v59, v59, v57, vcc
	v_cndmask_b32_e64 v58, v58, v55, s[4:5]
	v_cndmask_b32_e64 v55, v59, v55, s[4:5]
	v_cmp_neq_f32_e32 vcc, v58, v55
	v_cmp_class_f32_e64 s[4:5], v58, s56
	s_or_b64 s[60:61], vcc, s[4:5]
	s_and_saveexec_b64 s[4:5], s[60:61]
	s_cbranch_execz .LBB507_355
; %bb.354:
	v_sub_f32_e32 v57, v58, v55
	s_mov_b32 s56, 0x3fb8aa3b
	v_mul_f32_e32 v58, 0x3fb8aa3b, v57
	v_fma_f32 v59, v57, s56, -v58
	v_rndne_f32_e32 v60, v58
	v_fmac_f32_e32 v59, 0x32a5705f, v57
	v_sub_f32_e32 v58, v58, v60
	v_add_f32_e32 v58, v58, v59
	v_exp_f32_e32 v58, v58
	v_cvt_i32_f32_e32 v59, v60
	s_mov_b32 s56, 0xc2ce8ed0
	v_cmp_ngt_f32_e32 vcc, s56, v57
	s_mov_b32 s56, 0x42b17218
	v_ldexp_f32 v58, v58, v59
	v_cndmask_b32_e32 v58, 0, v58, vcc
	v_mov_b32_e32 v59, 0x7f800000
	v_cmp_nlt_f32_e32 vcc, s56, v57
	v_cndmask_b32_e32 v60, v59, v58, vcc
	v_add_f32_e32 v61, 1.0, v60
	v_cvt_f64_f32_e32 v[57:58], v61
	v_add_f32_e32 v62, -1.0, v61
	v_sub_f32_e32 v63, v62, v61
	v_sub_f32_e32 v62, v60, v62
	v_frexp_exp_i32_f64_e32 v57, v[57:58]
	v_add_f32_e32 v58, 1.0, v63
	v_add_f32_e32 v58, v62, v58
	v_frexp_mant_f32_e32 v62, v61
	s_mov_b32 s60, 0x3f2aaaab
	v_cmp_gt_f32_e32 vcc, s60, v62
	s_mov_b32 s60, 0x3f317218
	s_mov_b32 s56, 0x7f800000
	v_subbrev_co_u32_e32 v57, vcc, 0, v57, vcc
	v_sub_u32_e32 v62, 0, v57
	v_ldexp_f32 v61, v61, v62
	v_ldexp_f32 v58, v58, v62
	v_add_f32_e32 v62, -1.0, v61
	v_add_f32_e32 v65, 1.0, v61
	v_add_f32_e32 v63, 1.0, v62
	v_add_f32_e32 v66, -1.0, v65
	v_sub_f32_e32 v63, v61, v63
	v_sub_f32_e32 v61, v61, v66
	v_add_f32_e32 v63, v58, v63
	v_add_f32_e32 v58, v58, v61
	;; [unrolled: 1-line block ×3, first 2 shown]
	v_rcp_f32_e32 v66, v61
	v_add_f32_e32 v64, v62, v63
	v_sub_f32_e32 v62, v62, v64
	v_add_f32_e32 v62, v63, v62
	v_sub_f32_e32 v63, v65, v61
	v_add_f32_e32 v58, v58, v63
	v_mul_f32_e32 v63, v64, v66
	v_mul_f32_e32 v65, v61, v63
	v_fma_f32 v67, v63, v61, -v65
	v_fmac_f32_e32 v67, v63, v58
	v_add_f32_e32 v68, v65, v67
	v_sub_f32_e32 v69, v64, v68
	v_sub_f32_e32 v64, v64, v69
	;; [unrolled: 1-line block ×4, first 2 shown]
	v_add_f32_e32 v62, v62, v64
	v_sub_f32_e32 v64, v65, v67
	v_add_f32_e32 v62, v64, v62
	v_add_f32_e32 v64, v69, v62
	v_mul_f32_e32 v65, v66, v64
	v_mul_f32_e32 v67, v61, v65
	v_fma_f32 v61, v65, v61, -v67
	v_fmac_f32_e32 v61, v65, v58
	v_sub_f32_e32 v58, v69, v64
	v_add_f32_e32 v58, v62, v58
	v_add_f32_e32 v62, v67, v61
	v_sub_f32_e32 v68, v64, v62
	v_sub_f32_e32 v64, v64, v68
	;; [unrolled: 1-line block ×4, first 2 shown]
	v_add_f32_e32 v58, v58, v62
	v_sub_f32_e32 v61, v67, v61
	v_add_f32_e32 v58, v61, v58
	v_add_f32_e32 v61, v63, v65
	;; [unrolled: 1-line block ×3, first 2 shown]
	v_sub_f32_e32 v62, v61, v63
	v_mul_f32_e32 v58, v66, v58
	v_sub_f32_e32 v62, v65, v62
	v_add_f32_e32 v58, v62, v58
	v_cvt_f32_i32_e32 v57, v57
	v_add_f32_e32 v62, v61, v58
	v_mul_f32_e32 v63, v62, v62
	v_mov_b32_e32 v64, 0x3ecc95a3
	v_fmac_f32_e32 v64, 0x3e9b6dac, v63
	v_mov_b32_e32 v65, 0x3f2aaada
	v_fmac_f32_e32 v65, v63, v64
	v_mul_f32_e32 v64, 0x3f317218, v57
	v_fma_f32 v66, v57, s60, -v64
	v_fmac_f32_e32 v66, 0xb102e308, v57
	v_sub_f32_e32 v57, v62, v61
	v_sub_f32_e32 v57, v58, v57
	v_add_f32_e32 v58, v64, v66
	v_sub_f32_e32 v61, v58, v64
	v_ldexp_f32 v64, v62, 1
	v_mul_f32_e32 v62, v62, v63
	v_mul_f32_e32 v62, v62, v65
	v_add_f32_e32 v63, v64, v62
	v_sub_f32_e32 v64, v63, v64
	v_ldexp_f32 v57, v57, 1
	v_sub_f32_e32 v62, v62, v64
	v_add_f32_e32 v57, v57, v62
	v_add_f32_e32 v62, v63, v57
	v_sub_f32_e32 v63, v62, v63
	v_sub_f32_e32 v57, v57, v63
	v_add_f32_e32 v63, v58, v62
	v_sub_f32_e32 v64, v63, v58
	v_sub_f32_e32 v65, v63, v64
	;; [unrolled: 1-line block ×5, first 2 shown]
	v_add_f32_e32 v58, v62, v58
	v_add_f32_e32 v62, v61, v57
	v_sub_f32_e32 v64, v62, v61
	v_sub_f32_e32 v65, v62, v64
	;; [unrolled: 1-line block ×4, first 2 shown]
	v_add_f32_e32 v58, v62, v58
	v_add_f32_e32 v57, v57, v61
	;; [unrolled: 1-line block ×3, first 2 shown]
	v_sub_f32_e32 v62, v61, v63
	v_sub_f32_e32 v58, v58, v62
	v_add_f32_e32 v57, v57, v58
	v_add_f32_e32 v57, v61, v57
	v_cmp_neq_f32_e32 vcc, s56, v60
	s_mov_b32 s56, 0x33800000
	v_cndmask_b32_e32 v57, v59, v57, vcc
	v_cmp_lt_f32_e64 vcc, |v60|, s56
	v_cndmask_b32_e32 v57, v57, v60, vcc
	v_add_f32_e32 v57, v55, v57
.LBB507_355:
	s_or_b64 exec, exec, s[4:5]
	v_bfe_u32 v55, v57, 16, 1
	v_add3_u32 v55, v57, v55, s57
	v_cmp_o_f32_e32 vcc, v57, v57
	ds_read_u16 v57, v54 offset:4
	v_cndmask_b32_sdwa v55, v56, v55, vcc dst_sel:DWORD dst_unused:UNUSED_PAD src0_sel:DWORD src1_sel:WORD_1
	ds_write_b16 v54, v55 offset:2
	v_lshlrev_b32_e32 v56, 16, v55
	v_max_f32_e32 v58, v56, v56
	s_waitcnt lgkmcnt(1)
	v_lshlrev_b32_e32 v55, 16, v57
	v_max_f32_e32 v59, v55, v55
	v_min_f32_e32 v57, v58, v59
	v_cmp_u_f32_e32 vcc, v56, v56
	v_max_f32_e32 v58, v58, v59
	v_cndmask_b32_e32 v57, v57, v56, vcc
	v_cmp_u_f32_e64 s[4:5], v55, v55
	v_cndmask_b32_e32 v58, v58, v56, vcc
	v_cndmask_b32_e64 v57, v57, v55, s[4:5]
	v_cndmask_b32_e64 v55, v58, v55, s[4:5]
	s_movk_i32 s56, 0x1f8
	v_cmp_neq_f32_e32 vcc, v57, v55
	v_cmp_class_f32_e64 s[4:5], v57, s56
	s_or_b64 s[60:61], vcc, s[4:5]
	s_and_saveexec_b64 s[4:5], s[60:61]
	s_cbranch_execz .LBB507_357
; %bb.356:
	v_sub_f32_e32 v56, v57, v55
	s_mov_b32 s57, 0x3fb8aa3b
	v_mul_f32_e32 v57, 0x3fb8aa3b, v56
	v_fma_f32 v58, v56, s57, -v57
	v_rndne_f32_e32 v59, v57
	v_fmac_f32_e32 v58, 0x32a5705f, v56
	v_sub_f32_e32 v57, v57, v59
	v_add_f32_e32 v57, v57, v58
	v_exp_f32_e32 v57, v57
	v_cvt_i32_f32_e32 v58, v59
	s_mov_b32 s57, 0xc2ce8ed0
	v_cmp_ngt_f32_e32 vcc, s57, v56
	s_mov_b32 s57, 0x42b17218
	v_ldexp_f32 v57, v57, v58
	v_cndmask_b32_e32 v57, 0, v57, vcc
	v_mov_b32_e32 v58, 0x7f800000
	v_cmp_nlt_f32_e32 vcc, s57, v56
	v_cndmask_b32_e32 v59, v58, v57, vcc
	v_add_f32_e32 v60, 1.0, v59
	v_cvt_f64_f32_e32 v[56:57], v60
	v_add_f32_e32 v61, -1.0, v60
	v_sub_f32_e32 v62, v61, v60
	v_sub_f32_e32 v61, v59, v61
	v_frexp_exp_i32_f64_e32 v56, v[56:57]
	v_add_f32_e32 v57, 1.0, v62
	v_add_f32_e32 v57, v61, v57
	v_frexp_mant_f32_e32 v61, v60
	s_mov_b32 s60, 0x3f2aaaab
	v_cmp_gt_f32_e32 vcc, s60, v61
	s_mov_b32 s60, 0x3f317218
	s_mov_b32 s57, 0x7f800000
	v_subbrev_co_u32_e32 v56, vcc, 0, v56, vcc
	v_sub_u32_e32 v61, 0, v56
	v_ldexp_f32 v60, v60, v61
	v_ldexp_f32 v57, v57, v61
	v_add_f32_e32 v61, -1.0, v60
	v_add_f32_e32 v64, 1.0, v60
	v_add_f32_e32 v62, 1.0, v61
	v_add_f32_e32 v65, -1.0, v64
	v_sub_f32_e32 v62, v60, v62
	v_sub_f32_e32 v60, v60, v65
	v_add_f32_e32 v62, v57, v62
	v_add_f32_e32 v57, v57, v60
	;; [unrolled: 1-line block ×3, first 2 shown]
	v_rcp_f32_e32 v65, v60
	v_add_f32_e32 v63, v61, v62
	v_sub_f32_e32 v61, v61, v63
	v_add_f32_e32 v61, v62, v61
	v_sub_f32_e32 v62, v64, v60
	v_add_f32_e32 v57, v57, v62
	v_mul_f32_e32 v62, v63, v65
	v_mul_f32_e32 v64, v60, v62
	v_fma_f32 v66, v62, v60, -v64
	v_fmac_f32_e32 v66, v62, v57
	v_add_f32_e32 v67, v64, v66
	v_sub_f32_e32 v68, v63, v67
	v_sub_f32_e32 v63, v63, v68
	;; [unrolled: 1-line block ×4, first 2 shown]
	v_add_f32_e32 v61, v61, v63
	v_sub_f32_e32 v63, v64, v66
	v_add_f32_e32 v61, v63, v61
	v_add_f32_e32 v63, v68, v61
	v_mul_f32_e32 v64, v65, v63
	v_mul_f32_e32 v66, v60, v64
	v_fma_f32 v60, v64, v60, -v66
	v_fmac_f32_e32 v60, v64, v57
	v_sub_f32_e32 v57, v68, v63
	v_add_f32_e32 v57, v61, v57
	v_add_f32_e32 v61, v66, v60
	v_sub_f32_e32 v67, v63, v61
	v_sub_f32_e32 v63, v63, v67
	;; [unrolled: 1-line block ×4, first 2 shown]
	v_add_f32_e32 v57, v57, v61
	v_sub_f32_e32 v60, v66, v60
	v_add_f32_e32 v57, v60, v57
	v_add_f32_e32 v60, v62, v64
	;; [unrolled: 1-line block ×3, first 2 shown]
	v_sub_f32_e32 v61, v60, v62
	v_mul_f32_e32 v57, v65, v57
	v_sub_f32_e32 v61, v64, v61
	v_add_f32_e32 v57, v61, v57
	v_cvt_f32_i32_e32 v56, v56
	v_add_f32_e32 v61, v60, v57
	v_mul_f32_e32 v62, v61, v61
	v_mov_b32_e32 v63, 0x3ecc95a3
	v_fmac_f32_e32 v63, 0x3e9b6dac, v62
	v_mov_b32_e32 v64, 0x3f2aaada
	v_fmac_f32_e32 v64, v62, v63
	v_mul_f32_e32 v63, 0x3f317218, v56
	v_fma_f32 v65, v56, s60, -v63
	v_fmac_f32_e32 v65, 0xb102e308, v56
	v_sub_f32_e32 v56, v61, v60
	v_sub_f32_e32 v56, v57, v56
	v_add_f32_e32 v57, v63, v65
	v_sub_f32_e32 v60, v57, v63
	v_ldexp_f32 v63, v61, 1
	v_mul_f32_e32 v61, v61, v62
	v_mul_f32_e32 v61, v61, v64
	v_add_f32_e32 v62, v63, v61
	v_sub_f32_e32 v63, v62, v63
	v_ldexp_f32 v56, v56, 1
	v_sub_f32_e32 v61, v61, v63
	v_add_f32_e32 v56, v56, v61
	v_add_f32_e32 v61, v62, v56
	v_sub_f32_e32 v62, v61, v62
	v_sub_f32_e32 v56, v56, v62
	v_add_f32_e32 v62, v57, v61
	v_sub_f32_e32 v63, v62, v57
	v_sub_f32_e32 v64, v62, v63
	;; [unrolled: 1-line block ×5, first 2 shown]
	v_add_f32_e32 v57, v61, v57
	v_add_f32_e32 v61, v60, v56
	v_sub_f32_e32 v63, v61, v60
	v_sub_f32_e32 v64, v61, v63
	;; [unrolled: 1-line block ×4, first 2 shown]
	v_add_f32_e32 v57, v61, v57
	v_add_f32_e32 v56, v56, v60
	;; [unrolled: 1-line block ×3, first 2 shown]
	v_sub_f32_e32 v61, v60, v62
	v_sub_f32_e32 v57, v57, v61
	v_add_f32_e32 v56, v56, v57
	v_add_f32_e32 v56, v60, v56
	v_cmp_neq_f32_e32 vcc, s57, v59
	s_mov_b32 s57, 0x33800000
	v_cndmask_b32_e32 v56, v58, v56, vcc
	v_cmp_lt_f32_e64 vcc, |v59|, s57
	v_cndmask_b32_e32 v56, v56, v59, vcc
	v_add_f32_e32 v56, v55, v56
.LBB507_357:
	s_or_b64 exec, exec, s[4:5]
	v_bfe_u32 v55, v56, 16, 1
	s_movk_i32 s57, 0x7fff
	v_add3_u32 v57, v56, v55, s57
	v_cmp_o_f32_e32 vcc, v56, v56
	ds_read_u16 v56, v54 offset:6
	v_mov_b32_e32 v55, 0x7fc0
	v_cndmask_b32_sdwa v57, v55, v57, vcc dst_sel:DWORD dst_unused:UNUSED_PAD src0_sel:DWORD src1_sel:WORD_1
	ds_write_b16 v54, v57 offset:4
	v_lshlrev_b32_e32 v57, 16, v57
	s_waitcnt lgkmcnt(1)
	v_lshlrev_b32_e32 v56, 16, v56
	v_max_f32_e32 v59, v57, v57
	v_max_f32_e32 v60, v56, v56
	v_min_f32_e32 v58, v59, v60
	v_cmp_u_f32_e32 vcc, v57, v57
	v_max_f32_e32 v59, v59, v60
	v_cndmask_b32_e32 v58, v58, v57, vcc
	v_cmp_u_f32_e64 s[4:5], v56, v56
	v_cndmask_b32_e32 v59, v59, v57, vcc
	v_cndmask_b32_e64 v58, v58, v56, s[4:5]
	v_cndmask_b32_e64 v56, v59, v56, s[4:5]
	v_cmp_neq_f32_e32 vcc, v58, v56
	v_cmp_class_f32_e64 s[4:5], v58, s56
	s_or_b64 s[60:61], vcc, s[4:5]
	s_and_saveexec_b64 s[4:5], s[60:61]
	s_cbranch_execz .LBB507_359
; %bb.358:
	v_sub_f32_e32 v57, v58, v56
	s_mov_b32 s56, 0x3fb8aa3b
	v_mul_f32_e32 v58, 0x3fb8aa3b, v57
	v_fma_f32 v59, v57, s56, -v58
	v_rndne_f32_e32 v60, v58
	v_fmac_f32_e32 v59, 0x32a5705f, v57
	v_sub_f32_e32 v58, v58, v60
	v_add_f32_e32 v58, v58, v59
	v_exp_f32_e32 v58, v58
	v_cvt_i32_f32_e32 v59, v60
	s_mov_b32 s56, 0xc2ce8ed0
	v_cmp_ngt_f32_e32 vcc, s56, v57
	s_mov_b32 s56, 0x42b17218
	v_ldexp_f32 v58, v58, v59
	v_cndmask_b32_e32 v58, 0, v58, vcc
	v_mov_b32_e32 v59, 0x7f800000
	v_cmp_nlt_f32_e32 vcc, s56, v57
	v_cndmask_b32_e32 v60, v59, v58, vcc
	v_add_f32_e32 v61, 1.0, v60
	v_cvt_f64_f32_e32 v[57:58], v61
	v_add_f32_e32 v62, -1.0, v61
	v_sub_f32_e32 v63, v62, v61
	v_sub_f32_e32 v62, v60, v62
	v_frexp_exp_i32_f64_e32 v57, v[57:58]
	v_add_f32_e32 v58, 1.0, v63
	v_add_f32_e32 v58, v62, v58
	v_frexp_mant_f32_e32 v62, v61
	s_mov_b32 s60, 0x3f2aaaab
	v_cmp_gt_f32_e32 vcc, s60, v62
	s_mov_b32 s60, 0x3f317218
	s_mov_b32 s56, 0x7f800000
	v_subbrev_co_u32_e32 v57, vcc, 0, v57, vcc
	v_sub_u32_e32 v62, 0, v57
	v_ldexp_f32 v61, v61, v62
	v_ldexp_f32 v58, v58, v62
	v_add_f32_e32 v62, -1.0, v61
	v_add_f32_e32 v65, 1.0, v61
	v_add_f32_e32 v63, 1.0, v62
	v_add_f32_e32 v66, -1.0, v65
	v_sub_f32_e32 v63, v61, v63
	v_sub_f32_e32 v61, v61, v66
	v_add_f32_e32 v63, v58, v63
	v_add_f32_e32 v58, v58, v61
	;; [unrolled: 1-line block ×3, first 2 shown]
	v_rcp_f32_e32 v66, v61
	v_add_f32_e32 v64, v62, v63
	v_sub_f32_e32 v62, v62, v64
	v_add_f32_e32 v62, v63, v62
	v_sub_f32_e32 v63, v65, v61
	v_add_f32_e32 v58, v58, v63
	v_mul_f32_e32 v63, v64, v66
	v_mul_f32_e32 v65, v61, v63
	v_fma_f32 v67, v63, v61, -v65
	v_fmac_f32_e32 v67, v63, v58
	v_add_f32_e32 v68, v65, v67
	v_sub_f32_e32 v69, v64, v68
	v_sub_f32_e32 v64, v64, v69
	;; [unrolled: 1-line block ×4, first 2 shown]
	v_add_f32_e32 v62, v62, v64
	v_sub_f32_e32 v64, v65, v67
	v_add_f32_e32 v62, v64, v62
	v_add_f32_e32 v64, v69, v62
	v_mul_f32_e32 v65, v66, v64
	v_mul_f32_e32 v67, v61, v65
	v_fma_f32 v61, v65, v61, -v67
	v_fmac_f32_e32 v61, v65, v58
	v_sub_f32_e32 v58, v69, v64
	v_add_f32_e32 v58, v62, v58
	v_add_f32_e32 v62, v67, v61
	v_sub_f32_e32 v68, v64, v62
	v_sub_f32_e32 v64, v64, v68
	;; [unrolled: 1-line block ×4, first 2 shown]
	v_add_f32_e32 v58, v58, v62
	v_sub_f32_e32 v61, v67, v61
	v_add_f32_e32 v58, v61, v58
	v_add_f32_e32 v61, v63, v65
	;; [unrolled: 1-line block ×3, first 2 shown]
	v_sub_f32_e32 v62, v61, v63
	v_mul_f32_e32 v58, v66, v58
	v_sub_f32_e32 v62, v65, v62
	v_add_f32_e32 v58, v62, v58
	v_cvt_f32_i32_e32 v57, v57
	v_add_f32_e32 v62, v61, v58
	v_mul_f32_e32 v63, v62, v62
	v_mov_b32_e32 v64, 0x3ecc95a3
	v_fmac_f32_e32 v64, 0x3e9b6dac, v63
	v_mov_b32_e32 v65, 0x3f2aaada
	v_fmac_f32_e32 v65, v63, v64
	v_mul_f32_e32 v64, 0x3f317218, v57
	v_fma_f32 v66, v57, s60, -v64
	v_fmac_f32_e32 v66, 0xb102e308, v57
	v_sub_f32_e32 v57, v62, v61
	v_sub_f32_e32 v57, v58, v57
	v_add_f32_e32 v58, v64, v66
	v_sub_f32_e32 v61, v58, v64
	v_ldexp_f32 v64, v62, 1
	v_mul_f32_e32 v62, v62, v63
	v_mul_f32_e32 v62, v62, v65
	v_add_f32_e32 v63, v64, v62
	v_sub_f32_e32 v64, v63, v64
	v_ldexp_f32 v57, v57, 1
	v_sub_f32_e32 v62, v62, v64
	v_add_f32_e32 v57, v57, v62
	v_add_f32_e32 v62, v63, v57
	v_sub_f32_e32 v63, v62, v63
	v_sub_f32_e32 v57, v57, v63
	v_add_f32_e32 v63, v58, v62
	v_sub_f32_e32 v64, v63, v58
	v_sub_f32_e32 v65, v63, v64
	;; [unrolled: 1-line block ×5, first 2 shown]
	v_add_f32_e32 v58, v62, v58
	v_add_f32_e32 v62, v61, v57
	v_sub_f32_e32 v64, v62, v61
	v_sub_f32_e32 v65, v62, v64
	v_sub_f32_e32 v61, v61, v65
	v_sub_f32_e32 v57, v57, v64
	v_add_f32_e32 v58, v62, v58
	v_add_f32_e32 v57, v57, v61
	;; [unrolled: 1-line block ×3, first 2 shown]
	v_sub_f32_e32 v62, v61, v63
	v_sub_f32_e32 v58, v58, v62
	v_add_f32_e32 v57, v57, v58
	v_add_f32_e32 v57, v61, v57
	v_cmp_neq_f32_e32 vcc, s56, v60
	s_mov_b32 s56, 0x33800000
	v_cndmask_b32_e32 v57, v59, v57, vcc
	v_cmp_lt_f32_e64 vcc, |v60|, s56
	v_cndmask_b32_e32 v57, v57, v60, vcc
	v_add_f32_e32 v57, v56, v57
.LBB507_359:
	s_or_b64 exec, exec, s[4:5]
	v_bfe_u32 v56, v57, 16, 1
	v_add3_u32 v56, v57, v56, s57
	v_cmp_o_f32_e32 vcc, v57, v57
	v_cndmask_b32_sdwa v55, v55, v56, vcc dst_sel:DWORD dst_unused:UNUSED_PAD src0_sel:DWORD src1_sel:WORD_1
	ds_write_b16 v54, v55 offset:6
.LBB507_360:
	s_or_b64 exec, exec, s[58:59]
	s_waitcnt lgkmcnt(0)
	s_barrier
	s_and_saveexec_b64 s[4:5], s[2:3]
	s_cbranch_execz .LBB507_364
; %bb.361:
	v_add_u32_e32 v13, -1, v0
	v_lshrrev_b32_e32 v51, 4, v13
	v_and_b32_e32 v51, 0xffffffe, v51
	v_lshl_add_u32 v13, v13, 1, v51
	ds_read_u16 v13, v13
	s_movk_i32 s2, 0x1f8
	s_waitcnt lgkmcnt(0)
	v_lshlrev_b32_e32 v51, 16, v13
	v_max_f32_e32 v13, v51, v51
	v_min_f32_e32 v53, v13, v52
	v_max_f32_e32 v13, v13, v52
	v_cmp_u_f32_e32 vcc, v51, v51
	v_cndmask_b32_e32 v52, v53, v51, vcc
	v_cndmask_b32_e32 v13, v13, v51, vcc
	v_cndmask_b32_e64 v52, v52, v50, s[54:55]
	v_cndmask_b32_e64 v13, v13, v50, s[54:55]
	v_cmp_neq_f32_e32 vcc, v52, v13
	v_cmp_class_f32_e64 s[2:3], v52, s2
	s_or_b64 s[54:55], vcc, s[2:3]
	s_and_saveexec_b64 s[2:3], s[54:55]
	s_cbranch_execz .LBB507_363
; %bb.362:
	v_sub_f32_e32 v50, v52, v13
	s_mov_b32 s54, 0x3fb8aa3b
	v_mul_f32_e32 v51, 0x3fb8aa3b, v50
	v_fma_f32 v52, v50, s54, -v51
	v_rndne_f32_e32 v53, v51
	v_fmac_f32_e32 v52, 0x32a5705f, v50
	v_sub_f32_e32 v51, v51, v53
	v_add_f32_e32 v51, v51, v52
	v_exp_f32_e32 v51, v51
	v_cvt_i32_f32_e32 v52, v53
	s_mov_b32 s54, 0xc2ce8ed0
	v_cmp_ngt_f32_e32 vcc, s54, v50
	s_mov_b32 s54, 0x42b17218
	v_ldexp_f32 v51, v51, v52
	v_cndmask_b32_e32 v51, 0, v51, vcc
	v_mov_b32_e32 v52, 0x7f800000
	v_cmp_nlt_f32_e32 vcc, s54, v50
	v_cndmask_b32_e32 v53, v52, v51, vcc
	v_add_f32_e32 v54, 1.0, v53
	v_cvt_f64_f32_e32 v[50:51], v54
	v_add_f32_e32 v55, -1.0, v54
	v_sub_f32_e32 v56, v55, v54
	v_sub_f32_e32 v55, v53, v55
	v_frexp_exp_i32_f64_e32 v50, v[50:51]
	v_add_f32_e32 v51, 1.0, v56
	v_add_f32_e32 v51, v55, v51
	v_frexp_mant_f32_e32 v55, v54
	s_mov_b32 s55, 0x3f2aaaab
	v_cmp_gt_f32_e32 vcc, s55, v55
	s_mov_b32 s55, 0x3f317218
	s_mov_b32 s54, 0x7f800000
	v_subbrev_co_u32_e32 v50, vcc, 0, v50, vcc
	v_sub_u32_e32 v55, 0, v50
	v_ldexp_f32 v54, v54, v55
	v_ldexp_f32 v51, v51, v55
	v_add_f32_e32 v55, -1.0, v54
	v_add_f32_e32 v58, 1.0, v54
	v_add_f32_e32 v56, 1.0, v55
	v_add_f32_e32 v59, -1.0, v58
	v_sub_f32_e32 v56, v54, v56
	v_sub_f32_e32 v54, v54, v59
	v_add_f32_e32 v56, v51, v56
	v_add_f32_e32 v51, v51, v54
	;; [unrolled: 1-line block ×3, first 2 shown]
	v_rcp_f32_e32 v59, v54
	v_add_f32_e32 v57, v55, v56
	v_sub_f32_e32 v55, v55, v57
	v_add_f32_e32 v55, v56, v55
	v_sub_f32_e32 v56, v58, v54
	v_add_f32_e32 v51, v51, v56
	v_mul_f32_e32 v56, v57, v59
	v_mul_f32_e32 v58, v54, v56
	v_fma_f32 v60, v56, v54, -v58
	v_fmac_f32_e32 v60, v56, v51
	v_add_f32_e32 v61, v58, v60
	v_sub_f32_e32 v62, v57, v61
	v_sub_f32_e32 v57, v57, v62
	;; [unrolled: 1-line block ×4, first 2 shown]
	v_add_f32_e32 v55, v55, v57
	v_sub_f32_e32 v57, v58, v60
	v_add_f32_e32 v55, v57, v55
	v_add_f32_e32 v57, v62, v55
	v_mul_f32_e32 v58, v59, v57
	v_mul_f32_e32 v60, v54, v58
	v_fma_f32 v54, v58, v54, -v60
	v_fmac_f32_e32 v54, v58, v51
	v_sub_f32_e32 v51, v62, v57
	v_add_f32_e32 v51, v55, v51
	v_add_f32_e32 v55, v60, v54
	v_sub_f32_e32 v61, v57, v55
	v_sub_f32_e32 v57, v57, v61
	;; [unrolled: 1-line block ×4, first 2 shown]
	v_add_f32_e32 v51, v51, v55
	v_sub_f32_e32 v54, v60, v54
	v_add_f32_e32 v51, v54, v51
	v_add_f32_e32 v54, v56, v58
	;; [unrolled: 1-line block ×3, first 2 shown]
	v_sub_f32_e32 v55, v54, v56
	v_mul_f32_e32 v51, v59, v51
	v_sub_f32_e32 v55, v58, v55
	v_add_f32_e32 v51, v55, v51
	v_cvt_f32_i32_e32 v50, v50
	v_add_f32_e32 v55, v54, v51
	v_mul_f32_e32 v56, v55, v55
	v_mov_b32_e32 v57, 0x3ecc95a3
	v_fmac_f32_e32 v57, 0x3e9b6dac, v56
	v_mov_b32_e32 v58, 0x3f2aaada
	v_fmac_f32_e32 v58, v56, v57
	v_mul_f32_e32 v57, 0x3f317218, v50
	v_fma_f32 v59, v50, s55, -v57
	v_fmac_f32_e32 v59, 0xb102e308, v50
	v_sub_f32_e32 v50, v55, v54
	v_sub_f32_e32 v50, v51, v50
	v_add_f32_e32 v51, v57, v59
	v_sub_f32_e32 v54, v51, v57
	v_ldexp_f32 v57, v55, 1
	v_mul_f32_e32 v55, v55, v56
	v_mul_f32_e32 v55, v55, v58
	v_add_f32_e32 v56, v57, v55
	v_sub_f32_e32 v57, v56, v57
	v_ldexp_f32 v50, v50, 1
	v_sub_f32_e32 v55, v55, v57
	v_add_f32_e32 v50, v50, v55
	v_add_f32_e32 v55, v56, v50
	v_sub_f32_e32 v56, v55, v56
	v_sub_f32_e32 v50, v50, v56
	v_add_f32_e32 v56, v51, v55
	v_sub_f32_e32 v57, v56, v51
	v_sub_f32_e32 v58, v56, v57
	;; [unrolled: 1-line block ×5, first 2 shown]
	v_add_f32_e32 v51, v55, v51
	v_add_f32_e32 v55, v54, v50
	v_sub_f32_e32 v57, v55, v54
	v_sub_f32_e32 v58, v55, v57
	;; [unrolled: 1-line block ×4, first 2 shown]
	v_add_f32_e32 v51, v55, v51
	v_add_f32_e32 v50, v50, v54
	;; [unrolled: 1-line block ×3, first 2 shown]
	v_sub_f32_e32 v55, v54, v56
	v_sub_f32_e32 v51, v51, v55
	v_add_f32_e32 v50, v50, v51
	v_add_f32_e32 v50, v54, v50
	v_cmp_neq_f32_e32 vcc, s54, v53
	s_mov_b32 s54, 0x33800000
	v_cndmask_b32_e32 v50, v52, v50, vcc
	v_cmp_lt_f32_e64 vcc, |v53|, s54
	v_cndmask_b32_e32 v50, v50, v53, vcc
	v_add_f32_e32 v51, v13, v50
.LBB507_363:
	s_or_b64 exec, exec, s[2:3]
	v_bfe_u32 v13, v51, 16, 1
	s_movk_i32 s2, 0x7fff
	v_add3_u32 v13, v51, v13, s2
	v_cmp_o_f32_e32 vcc, v51, v51
	v_mov_b32_e32 v50, 0x7fc0
	v_cndmask_b32_sdwa v13, v50, v13, vcc dst_sel:DWORD dst_unused:UNUSED_PAD src0_sel:DWORD src1_sel:WORD_1
	v_lshlrev_b32_e32 v50, 16, v13
	v_max_f32_e32 v52, v50, v50
	v_min_f32_e32 v51, v52, v14
	v_max_f32_e32 v53, v52, v14
	;;#ASMSTART
	;;#ASMEND
.LBB507_364:
	s_or_b64 exec, exec, s[4:5]
	v_cmp_u_f32_e32 vcc, v50, v50
	v_cndmask_b32_e32 v14, v51, v50, vcc
	v_cndmask_b32_e32 v51, v53, v50, vcc
	v_cndmask_b32_e64 v14, v14, v9, s[6:7]
	v_cndmask_b32_e64 v9, v51, v9, s[6:7]
	s_movk_i32 s4, 0x1f8
	v_cmp_neq_f32_e32 vcc, v14, v9
	v_cmp_class_f32_e64 s[2:3], v14, s4
	s_or_b64 s[6:7], vcc, s[2:3]
	s_and_saveexec_b64 s[2:3], s[6:7]
	s_cbranch_execz .LBB507_366
; %bb.365:
	v_sub_f32_e32 v14, v14, v9
	s_mov_b32 s5, 0x3fb8aa3b
	v_mul_f32_e32 v50, 0x3fb8aa3b, v14
	v_fma_f32 v51, v14, s5, -v50
	v_rndne_f32_e32 v52, v50
	v_fmac_f32_e32 v51, 0x32a5705f, v14
	v_sub_f32_e32 v50, v50, v52
	v_add_f32_e32 v50, v50, v51
	v_exp_f32_e32 v50, v50
	v_cvt_i32_f32_e32 v51, v52
	s_mov_b32 s5, 0xc2ce8ed0
	v_cmp_ngt_f32_e32 vcc, s5, v14
	s_mov_b32 s5, 0x42b17218
	v_ldexp_f32 v50, v50, v51
	v_cndmask_b32_e32 v50, 0, v50, vcc
	v_mov_b32_e32 v52, 0x7f800000
	v_cmp_nlt_f32_e32 vcc, s5, v14
	v_cndmask_b32_e32 v14, v52, v50, vcc
	v_add_f32_e32 v53, 1.0, v14
	v_cvt_f64_f32_e32 v[50:51], v53
	v_add_f32_e32 v54, -1.0, v53
	v_sub_f32_e32 v55, v54, v53
	v_sub_f32_e32 v54, v14, v54
	v_frexp_exp_i32_f64_e32 v50, v[50:51]
	v_add_f32_e32 v51, 1.0, v55
	v_add_f32_e32 v51, v54, v51
	v_frexp_mant_f32_e32 v54, v53
	s_mov_b32 s6, 0x3f2aaaab
	v_cmp_gt_f32_e32 vcc, s6, v54
	s_mov_b32 s6, 0x3f317218
	s_mov_b32 s5, 0x7f800000
	v_subbrev_co_u32_e32 v50, vcc, 0, v50, vcc
	v_sub_u32_e32 v54, 0, v50
	v_ldexp_f32 v53, v53, v54
	v_ldexp_f32 v51, v51, v54
	v_add_f32_e32 v54, -1.0, v53
	v_add_f32_e32 v57, 1.0, v53
	v_add_f32_e32 v55, 1.0, v54
	v_add_f32_e32 v58, -1.0, v57
	v_sub_f32_e32 v55, v53, v55
	v_sub_f32_e32 v53, v53, v58
	v_add_f32_e32 v55, v51, v55
	v_add_f32_e32 v51, v51, v53
	;; [unrolled: 1-line block ×3, first 2 shown]
	v_rcp_f32_e32 v58, v53
	v_add_f32_e32 v56, v54, v55
	v_sub_f32_e32 v54, v54, v56
	v_add_f32_e32 v54, v55, v54
	v_sub_f32_e32 v55, v57, v53
	v_add_f32_e32 v51, v51, v55
	v_mul_f32_e32 v55, v56, v58
	v_mul_f32_e32 v57, v53, v55
	v_fma_f32 v59, v55, v53, -v57
	v_fmac_f32_e32 v59, v55, v51
	v_add_f32_e32 v60, v57, v59
	v_sub_f32_e32 v61, v56, v60
	v_sub_f32_e32 v56, v56, v61
	;; [unrolled: 1-line block ×4, first 2 shown]
	v_add_f32_e32 v54, v54, v56
	v_sub_f32_e32 v56, v57, v59
	v_add_f32_e32 v54, v56, v54
	v_add_f32_e32 v56, v61, v54
	v_mul_f32_e32 v57, v58, v56
	v_mul_f32_e32 v59, v53, v57
	v_fma_f32 v53, v57, v53, -v59
	v_fmac_f32_e32 v53, v57, v51
	v_sub_f32_e32 v51, v61, v56
	v_add_f32_e32 v51, v54, v51
	v_add_f32_e32 v54, v59, v53
	v_sub_f32_e32 v60, v56, v54
	v_sub_f32_e32 v56, v56, v60
	;; [unrolled: 1-line block ×4, first 2 shown]
	v_add_f32_e32 v51, v51, v54
	v_sub_f32_e32 v53, v59, v53
	v_add_f32_e32 v51, v53, v51
	v_add_f32_e32 v53, v55, v57
	;; [unrolled: 1-line block ×3, first 2 shown]
	v_sub_f32_e32 v54, v53, v55
	v_mul_f32_e32 v51, v58, v51
	v_sub_f32_e32 v54, v57, v54
	v_add_f32_e32 v51, v54, v51
	v_cvt_f32_i32_e32 v50, v50
	v_add_f32_e32 v54, v53, v51
	v_mul_f32_e32 v55, v54, v54
	v_mov_b32_e32 v56, 0x3ecc95a3
	v_fmac_f32_e32 v56, 0x3e9b6dac, v55
	v_mov_b32_e32 v57, 0x3f2aaada
	v_fmac_f32_e32 v57, v55, v56
	v_mul_f32_e32 v56, 0x3f317218, v50
	v_fma_f32 v58, v50, s6, -v56
	v_fmac_f32_e32 v58, 0xb102e308, v50
	v_sub_f32_e32 v50, v54, v53
	v_sub_f32_e32 v50, v51, v50
	v_add_f32_e32 v51, v56, v58
	v_sub_f32_e32 v53, v51, v56
	v_ldexp_f32 v56, v54, 1
	v_mul_f32_e32 v54, v54, v55
	v_mul_f32_e32 v54, v54, v57
	v_add_f32_e32 v55, v56, v54
	v_sub_f32_e32 v56, v55, v56
	v_ldexp_f32 v50, v50, 1
	v_sub_f32_e32 v54, v54, v56
	v_add_f32_e32 v50, v50, v54
	v_add_f32_e32 v54, v55, v50
	v_sub_f32_e32 v55, v54, v55
	v_sub_f32_e32 v50, v50, v55
	v_add_f32_e32 v55, v51, v54
	v_sub_f32_e32 v56, v55, v51
	v_sub_f32_e32 v57, v55, v56
	;; [unrolled: 1-line block ×5, first 2 shown]
	v_add_f32_e32 v51, v54, v51
	v_add_f32_e32 v54, v53, v50
	v_sub_f32_e32 v56, v54, v53
	v_sub_f32_e32 v57, v54, v56
	;; [unrolled: 1-line block ×4, first 2 shown]
	v_add_f32_e32 v51, v54, v51
	v_add_f32_e32 v50, v50, v53
	;; [unrolled: 1-line block ×3, first 2 shown]
	v_sub_f32_e32 v54, v53, v55
	v_sub_f32_e32 v51, v51, v54
	v_add_f32_e32 v50, v50, v51
	v_add_f32_e32 v50, v53, v50
	v_cmp_neq_f32_e32 vcc, s5, v14
	s_mov_b32 s5, 0x33800000
	v_cndmask_b32_e32 v50, v52, v50, vcc
	v_cmp_lt_f32_e64 vcc, |v14|, s5
	v_cndmask_b32_e32 v14, v50, v14, vcc
	v_add_f32_e32 v50, v9, v14
.LBB507_366:
	s_or_b64 exec, exec, s[2:3]
	v_bfe_u32 v9, v50, 16, 1
	s_movk_i32 s5, 0x7fff
	v_add3_u32 v14, v50, v9, s5
	v_cmp_o_f32_e32 vcc, v50, v50
	v_mov_b32_e32 v9, 0x7fc0
	v_cndmask_b32_sdwa v14, v9, v14, vcc dst_sel:DWORD dst_unused:UNUSED_PAD src0_sel:DWORD src1_sel:WORD_1
	v_lshlrev_b32_e32 v50, 16, v14
	v_max_f32_e32 v52, v50, v50
	v_min_f32_e32 v51, v52, v16
	v_cmp_u_f32_e32 vcc, v50, v50
	v_max_f32_e32 v16, v52, v16
	v_cndmask_b32_e32 v51, v51, v50, vcc
	v_cndmask_b32_e32 v16, v16, v50, vcc
	v_cndmask_b32_e64 v51, v51, v15, s[8:9]
	v_cndmask_b32_e64 v15, v16, v15, s[8:9]
	v_cmp_neq_f32_e32 vcc, v51, v15
	v_cmp_class_f32_e64 s[2:3], v51, s4
	s_or_b64 s[6:7], vcc, s[2:3]
	s_and_saveexec_b64 s[2:3], s[6:7]
	s_cbranch_execz .LBB507_368
; %bb.367:
	v_sub_f32_e32 v16, v51, v15
	s_mov_b32 s4, 0x3fb8aa3b
	v_mul_f32_e32 v50, 0x3fb8aa3b, v16
	v_fma_f32 v51, v16, s4, -v50
	v_rndne_f32_e32 v52, v50
	v_fmac_f32_e32 v51, 0x32a5705f, v16
	v_sub_f32_e32 v50, v50, v52
	v_add_f32_e32 v50, v50, v51
	v_exp_f32_e32 v50, v50
	v_cvt_i32_f32_e32 v51, v52
	s_mov_b32 s4, 0xc2ce8ed0
	v_cmp_ngt_f32_e32 vcc, s4, v16
	s_mov_b32 s4, 0x42b17218
	v_ldexp_f32 v50, v50, v51
	v_cndmask_b32_e32 v50, 0, v50, vcc
	v_mov_b32_e32 v52, 0x7f800000
	v_cmp_nlt_f32_e32 vcc, s4, v16
	v_cndmask_b32_e32 v16, v52, v50, vcc
	v_add_f32_e32 v53, 1.0, v16
	v_cvt_f64_f32_e32 v[50:51], v53
	v_add_f32_e32 v54, -1.0, v53
	v_sub_f32_e32 v55, v54, v53
	v_sub_f32_e32 v54, v16, v54
	v_frexp_exp_i32_f64_e32 v50, v[50:51]
	v_add_f32_e32 v51, 1.0, v55
	v_add_f32_e32 v51, v54, v51
	v_frexp_mant_f32_e32 v54, v53
	s_mov_b32 s6, 0x3f2aaaab
	v_cmp_gt_f32_e32 vcc, s6, v54
	s_mov_b32 s6, 0x3f317218
	s_mov_b32 s4, 0x7f800000
	v_subbrev_co_u32_e32 v50, vcc, 0, v50, vcc
	v_sub_u32_e32 v54, 0, v50
	v_ldexp_f32 v53, v53, v54
	v_ldexp_f32 v51, v51, v54
	v_add_f32_e32 v54, -1.0, v53
	v_add_f32_e32 v57, 1.0, v53
	v_add_f32_e32 v55, 1.0, v54
	v_add_f32_e32 v58, -1.0, v57
	v_sub_f32_e32 v55, v53, v55
	v_sub_f32_e32 v53, v53, v58
	v_add_f32_e32 v55, v51, v55
	v_add_f32_e32 v51, v51, v53
	;; [unrolled: 1-line block ×3, first 2 shown]
	v_rcp_f32_e32 v58, v53
	v_add_f32_e32 v56, v54, v55
	v_sub_f32_e32 v54, v54, v56
	v_add_f32_e32 v54, v55, v54
	v_sub_f32_e32 v55, v57, v53
	v_add_f32_e32 v51, v51, v55
	v_mul_f32_e32 v55, v56, v58
	v_mul_f32_e32 v57, v53, v55
	v_fma_f32 v59, v55, v53, -v57
	v_fmac_f32_e32 v59, v55, v51
	v_add_f32_e32 v60, v57, v59
	v_sub_f32_e32 v61, v56, v60
	v_sub_f32_e32 v56, v56, v61
	;; [unrolled: 1-line block ×4, first 2 shown]
	v_add_f32_e32 v54, v54, v56
	v_sub_f32_e32 v56, v57, v59
	v_add_f32_e32 v54, v56, v54
	v_add_f32_e32 v56, v61, v54
	v_mul_f32_e32 v57, v58, v56
	v_mul_f32_e32 v59, v53, v57
	v_fma_f32 v53, v57, v53, -v59
	v_fmac_f32_e32 v53, v57, v51
	v_sub_f32_e32 v51, v61, v56
	v_add_f32_e32 v51, v54, v51
	v_add_f32_e32 v54, v59, v53
	v_sub_f32_e32 v60, v56, v54
	v_sub_f32_e32 v56, v56, v60
	;; [unrolled: 1-line block ×4, first 2 shown]
	v_add_f32_e32 v51, v51, v54
	v_sub_f32_e32 v53, v59, v53
	v_add_f32_e32 v51, v53, v51
	v_add_f32_e32 v53, v55, v57
	;; [unrolled: 1-line block ×3, first 2 shown]
	v_sub_f32_e32 v54, v53, v55
	v_mul_f32_e32 v51, v58, v51
	v_sub_f32_e32 v54, v57, v54
	v_add_f32_e32 v51, v54, v51
	v_cvt_f32_i32_e32 v50, v50
	v_add_f32_e32 v54, v53, v51
	v_mul_f32_e32 v55, v54, v54
	v_mov_b32_e32 v56, 0x3ecc95a3
	v_fmac_f32_e32 v56, 0x3e9b6dac, v55
	v_mov_b32_e32 v57, 0x3f2aaada
	v_fmac_f32_e32 v57, v55, v56
	v_mul_f32_e32 v56, 0x3f317218, v50
	v_fma_f32 v58, v50, s6, -v56
	v_fmac_f32_e32 v58, 0xb102e308, v50
	v_sub_f32_e32 v50, v54, v53
	v_sub_f32_e32 v50, v51, v50
	v_add_f32_e32 v51, v56, v58
	v_sub_f32_e32 v53, v51, v56
	v_ldexp_f32 v56, v54, 1
	v_mul_f32_e32 v54, v54, v55
	v_mul_f32_e32 v54, v54, v57
	v_add_f32_e32 v55, v56, v54
	v_sub_f32_e32 v56, v55, v56
	v_ldexp_f32 v50, v50, 1
	v_sub_f32_e32 v54, v54, v56
	v_add_f32_e32 v50, v50, v54
	v_add_f32_e32 v54, v55, v50
	v_sub_f32_e32 v55, v54, v55
	v_sub_f32_e32 v50, v50, v55
	v_add_f32_e32 v55, v51, v54
	v_sub_f32_e32 v56, v55, v51
	v_sub_f32_e32 v57, v55, v56
	;; [unrolled: 1-line block ×5, first 2 shown]
	v_add_f32_e32 v51, v54, v51
	v_add_f32_e32 v54, v53, v50
	v_sub_f32_e32 v56, v54, v53
	v_sub_f32_e32 v57, v54, v56
	;; [unrolled: 1-line block ×4, first 2 shown]
	v_add_f32_e32 v51, v54, v51
	v_add_f32_e32 v50, v50, v53
	;; [unrolled: 1-line block ×3, first 2 shown]
	v_sub_f32_e32 v54, v53, v55
	v_sub_f32_e32 v51, v51, v54
	v_add_f32_e32 v50, v50, v51
	v_add_f32_e32 v50, v53, v50
	v_cmp_neq_f32_e32 vcc, s4, v16
	s_mov_b32 s4, 0x33800000
	v_cndmask_b32_e32 v50, v52, v50, vcc
	v_cmp_lt_f32_e64 vcc, |v16|, s4
	v_cndmask_b32_e32 v16, v50, v16, vcc
	v_add_f32_e32 v50, v15, v16
.LBB507_368:
	s_or_b64 exec, exec, s[2:3]
	v_bfe_u32 v15, v50, 16, 1
	v_add3_u32 v15, v50, v15, s5
	v_cmp_o_f32_e32 vcc, v50, v50
	v_cndmask_b32_sdwa v15, v9, v15, vcc dst_sel:DWORD dst_unused:UNUSED_PAD src0_sel:DWORD src1_sel:WORD_1
	v_lshlrev_b32_e32 v16, 16, v15
	v_max_f32_e32 v9, v16, v16
	v_min_f32_e32 v50, v9, v18
	v_cmp_u_f32_e32 vcc, v16, v16
	v_max_f32_e32 v9, v9, v18
	v_cndmask_b32_e32 v50, v50, v16, vcc
	v_cndmask_b32_e32 v9, v9, v16, vcc
	v_cndmask_b32_e64 v50, v50, v10, s[10:11]
	v_cndmask_b32_e64 v9, v9, v10, s[10:11]
	s_movk_i32 s4, 0x1f8
	v_cmp_neq_f32_e32 vcc, v50, v9
	v_cmp_class_f32_e64 s[2:3], v50, s4
	s_or_b64 s[6:7], vcc, s[2:3]
	s_and_saveexec_b64 s[2:3], s[6:7]
	s_cbranch_execz .LBB507_370
; %bb.369:
	v_sub_f32_e32 v10, v50, v9
	s_mov_b32 s5, 0x3fb8aa3b
	v_mul_f32_e32 v16, 0x3fb8aa3b, v10
	v_fma_f32 v18, v10, s5, -v16
	v_rndne_f32_e32 v50, v16
	v_fmac_f32_e32 v18, 0x32a5705f, v10
	v_sub_f32_e32 v16, v16, v50
	v_add_f32_e32 v16, v16, v18
	v_exp_f32_e32 v16, v16
	v_cvt_i32_f32_e32 v18, v50
	s_mov_b32 s5, 0xc2ce8ed0
	v_cmp_ngt_f32_e32 vcc, s5, v10
	s_mov_b32 s5, 0x42b17218
	v_ldexp_f32 v16, v16, v18
	v_cndmask_b32_e32 v16, 0, v16, vcc
	v_mov_b32_e32 v18, 0x7f800000
	v_cmp_nlt_f32_e32 vcc, s5, v10
	v_cndmask_b32_e32 v10, v18, v16, vcc
	v_add_f32_e32 v16, 1.0, v10
	v_cvt_f64_f32_e32 v[50:51], v16
	v_add_f32_e32 v52, -1.0, v16
	v_sub_f32_e32 v53, v52, v16
	v_sub_f32_e32 v52, v10, v52
	v_frexp_exp_i32_f64_e32 v50, v[50:51]
	v_add_f32_e32 v51, 1.0, v53
	v_add_f32_e32 v51, v52, v51
	v_frexp_mant_f32_e32 v52, v16
	s_mov_b32 s6, 0x3f2aaaab
	v_cmp_gt_f32_e32 vcc, s6, v52
	s_mov_b32 s6, 0x3f317218
	s_mov_b32 s5, 0x7f800000
	v_subbrev_co_u32_e32 v50, vcc, 0, v50, vcc
	v_sub_u32_e32 v52, 0, v50
	v_ldexp_f32 v16, v16, v52
	v_ldexp_f32 v51, v51, v52
	v_add_f32_e32 v52, -1.0, v16
	v_add_f32_e32 v55, 1.0, v16
	v_add_f32_e32 v53, 1.0, v52
	v_add_f32_e32 v56, -1.0, v55
	v_sub_f32_e32 v53, v16, v53
	v_sub_f32_e32 v16, v16, v56
	v_add_f32_e32 v16, v51, v16
	v_add_f32_e32 v53, v51, v53
	;; [unrolled: 1-line block ×3, first 2 shown]
	v_rcp_f32_e32 v56, v51
	v_add_f32_e32 v54, v52, v53
	v_sub_f32_e32 v52, v52, v54
	v_add_f32_e32 v52, v53, v52
	v_sub_f32_e32 v53, v55, v51
	v_add_f32_e32 v16, v16, v53
	v_mul_f32_e32 v53, v54, v56
	v_mul_f32_e32 v55, v51, v53
	v_fma_f32 v57, v53, v51, -v55
	v_fmac_f32_e32 v57, v53, v16
	v_add_f32_e32 v58, v55, v57
	v_sub_f32_e32 v59, v54, v58
	v_sub_f32_e32 v54, v54, v59
	;; [unrolled: 1-line block ×4, first 2 shown]
	v_add_f32_e32 v52, v52, v54
	v_sub_f32_e32 v54, v55, v57
	v_add_f32_e32 v52, v54, v52
	v_add_f32_e32 v54, v59, v52
	v_mul_f32_e32 v55, v56, v54
	v_mul_f32_e32 v57, v51, v55
	v_fma_f32 v51, v55, v51, -v57
	v_fmac_f32_e32 v51, v55, v16
	v_sub_f32_e32 v16, v59, v54
	v_add_f32_e32 v16, v52, v16
	v_add_f32_e32 v52, v57, v51
	v_sub_f32_e32 v58, v54, v52
	v_sub_f32_e32 v54, v54, v58
	;; [unrolled: 1-line block ×4, first 2 shown]
	v_add_f32_e32 v16, v16, v52
	v_sub_f32_e32 v51, v57, v51
	v_add_f32_e32 v16, v51, v16
	v_add_f32_e32 v51, v53, v55
	;; [unrolled: 1-line block ×3, first 2 shown]
	v_sub_f32_e32 v52, v51, v53
	v_mul_f32_e32 v16, v56, v16
	v_sub_f32_e32 v52, v55, v52
	v_add_f32_e32 v16, v52, v16
	v_cvt_f32_i32_e32 v50, v50
	v_add_f32_e32 v52, v51, v16
	v_mul_f32_e32 v53, v52, v52
	v_mov_b32_e32 v54, 0x3ecc95a3
	v_fmac_f32_e32 v54, 0x3e9b6dac, v53
	v_mov_b32_e32 v55, 0x3f2aaada
	v_fmac_f32_e32 v55, v53, v54
	v_mul_f32_e32 v54, 0x3f317218, v50
	v_fma_f32 v56, v50, s6, -v54
	v_fmac_f32_e32 v56, 0xb102e308, v50
	v_sub_f32_e32 v50, v52, v51
	v_sub_f32_e32 v16, v16, v50
	v_add_f32_e32 v50, v54, v56
	v_sub_f32_e32 v51, v50, v54
	v_ldexp_f32 v54, v52, 1
	v_mul_f32_e32 v52, v52, v53
	v_mul_f32_e32 v52, v52, v55
	v_add_f32_e32 v53, v54, v52
	v_sub_f32_e32 v54, v53, v54
	v_ldexp_f32 v16, v16, 1
	v_sub_f32_e32 v52, v52, v54
	v_add_f32_e32 v16, v16, v52
	v_add_f32_e32 v52, v53, v16
	v_sub_f32_e32 v53, v52, v53
	v_sub_f32_e32 v16, v16, v53
	v_add_f32_e32 v53, v50, v52
	v_sub_f32_e32 v54, v53, v50
	v_sub_f32_e32 v55, v53, v54
	;; [unrolled: 1-line block ×5, first 2 shown]
	v_add_f32_e32 v50, v52, v50
	v_add_f32_e32 v52, v51, v16
	v_sub_f32_e32 v54, v52, v51
	v_sub_f32_e32 v55, v52, v54
	;; [unrolled: 1-line block ×4, first 2 shown]
	v_add_f32_e32 v50, v52, v50
	v_add_f32_e32 v16, v16, v51
	;; [unrolled: 1-line block ×3, first 2 shown]
	v_sub_f32_e32 v52, v51, v53
	v_sub_f32_e32 v50, v50, v52
	v_add_f32_e32 v16, v16, v50
	v_add_f32_e32 v16, v51, v16
	v_cmp_neq_f32_e32 vcc, s5, v10
	s_mov_b32 s5, 0x33800000
	v_cndmask_b32_e32 v16, v18, v16, vcc
	v_cmp_lt_f32_e64 vcc, |v10|, s5
	v_cndmask_b32_e32 v10, v16, v10, vcc
	v_add_f32_e32 v16, v9, v10
.LBB507_370:
	s_or_b64 exec, exec, s[2:3]
	v_bfe_u32 v9, v16, 16, 1
	s_movk_i32 s5, 0x7fff
	v_add3_u32 v10, v16, v9, s5
	v_cmp_o_f32_e32 vcc, v16, v16
	v_mov_b32_e32 v9, 0x7fc0
	v_cndmask_b32_sdwa v16, v9, v10, vcc dst_sel:DWORD dst_unused:UNUSED_PAD src0_sel:DWORD src1_sel:WORD_1
	v_lshlrev_b32_e32 v18, 16, v16
	v_max_f32_e32 v10, v18, v18
	v_min_f32_e32 v50, v10, v21
	v_cmp_u_f32_e32 vcc, v18, v18
	v_max_f32_e32 v10, v10, v21
	v_cndmask_b32_e32 v50, v50, v18, vcc
	v_cndmask_b32_e32 v10, v10, v18, vcc
	v_cndmask_b32_e64 v50, v50, v17, s[12:13]
	v_cndmask_b32_e64 v10, v10, v17, s[12:13]
	v_cmp_neq_f32_e32 vcc, v50, v10
	v_cmp_class_f32_e64 s[2:3], v50, s4
	s_or_b64 s[6:7], vcc, s[2:3]
	s_and_saveexec_b64 s[2:3], s[6:7]
	s_cbranch_execz .LBB507_372
; %bb.371:
	v_sub_f32_e32 v17, v50, v10
	s_mov_b32 s4, 0x3fb8aa3b
	v_mul_f32_e32 v18, 0x3fb8aa3b, v17
	v_fma_f32 v21, v17, s4, -v18
	v_rndne_f32_e32 v50, v18
	v_fmac_f32_e32 v21, 0x32a5705f, v17
	v_sub_f32_e32 v18, v18, v50
	v_add_f32_e32 v18, v18, v21
	v_exp_f32_e32 v18, v18
	v_cvt_i32_f32_e32 v21, v50
	s_mov_b32 s4, 0xc2ce8ed0
	v_cmp_ngt_f32_e32 vcc, s4, v17
	s_mov_b32 s4, 0x42b17218
	v_ldexp_f32 v18, v18, v21
	v_cndmask_b32_e32 v18, 0, v18, vcc
	v_mov_b32_e32 v21, 0x7f800000
	v_cmp_nlt_f32_e32 vcc, s4, v17
	v_cndmask_b32_e32 v50, v21, v18, vcc
	v_add_f32_e32 v51, 1.0, v50
	v_cvt_f64_f32_e32 v[17:18], v51
	v_add_f32_e32 v52, -1.0, v51
	v_sub_f32_e32 v53, v52, v51
	v_sub_f32_e32 v52, v50, v52
	v_frexp_exp_i32_f64_e32 v17, v[17:18]
	v_add_f32_e32 v18, 1.0, v53
	v_add_f32_e32 v18, v52, v18
	v_frexp_mant_f32_e32 v52, v51
	s_mov_b32 s6, 0x3f2aaaab
	v_cmp_gt_f32_e32 vcc, s6, v52
	s_mov_b32 s6, 0x3f317218
	s_mov_b32 s4, 0x7f800000
	v_subbrev_co_u32_e32 v17, vcc, 0, v17, vcc
	v_sub_u32_e32 v52, 0, v17
	v_ldexp_f32 v51, v51, v52
	v_ldexp_f32 v18, v18, v52
	v_add_f32_e32 v52, -1.0, v51
	v_add_f32_e32 v55, 1.0, v51
	v_add_f32_e32 v53, 1.0, v52
	v_add_f32_e32 v56, -1.0, v55
	v_sub_f32_e32 v53, v51, v53
	v_sub_f32_e32 v51, v51, v56
	v_add_f32_e32 v53, v18, v53
	v_add_f32_e32 v18, v18, v51
	;; [unrolled: 1-line block ×3, first 2 shown]
	v_rcp_f32_e32 v56, v51
	v_add_f32_e32 v54, v52, v53
	v_sub_f32_e32 v52, v52, v54
	v_add_f32_e32 v52, v53, v52
	v_sub_f32_e32 v53, v55, v51
	v_add_f32_e32 v18, v18, v53
	v_mul_f32_e32 v53, v54, v56
	v_mul_f32_e32 v55, v51, v53
	v_fma_f32 v57, v53, v51, -v55
	v_fmac_f32_e32 v57, v53, v18
	v_add_f32_e32 v58, v55, v57
	v_sub_f32_e32 v59, v54, v58
	v_sub_f32_e32 v54, v54, v59
	;; [unrolled: 1-line block ×4, first 2 shown]
	v_add_f32_e32 v52, v52, v54
	v_sub_f32_e32 v54, v55, v57
	v_add_f32_e32 v52, v54, v52
	v_add_f32_e32 v54, v59, v52
	v_mul_f32_e32 v55, v56, v54
	v_mul_f32_e32 v57, v51, v55
	v_fma_f32 v51, v55, v51, -v57
	v_fmac_f32_e32 v51, v55, v18
	v_sub_f32_e32 v18, v59, v54
	v_add_f32_e32 v18, v52, v18
	v_add_f32_e32 v52, v57, v51
	v_sub_f32_e32 v58, v54, v52
	v_sub_f32_e32 v54, v54, v58
	;; [unrolled: 1-line block ×4, first 2 shown]
	v_add_f32_e32 v18, v18, v52
	v_sub_f32_e32 v51, v57, v51
	v_add_f32_e32 v18, v51, v18
	v_add_f32_e32 v51, v53, v55
	v_add_f32_e32 v18, v58, v18
	v_sub_f32_e32 v52, v51, v53
	v_mul_f32_e32 v18, v56, v18
	v_sub_f32_e32 v52, v55, v52
	v_add_f32_e32 v18, v52, v18
	v_cvt_f32_i32_e32 v17, v17
	v_add_f32_e32 v52, v51, v18
	v_mul_f32_e32 v53, v52, v52
	v_mov_b32_e32 v54, 0x3ecc95a3
	v_fmac_f32_e32 v54, 0x3e9b6dac, v53
	v_mov_b32_e32 v55, 0x3f2aaada
	v_fmac_f32_e32 v55, v53, v54
	v_mul_f32_e32 v54, 0x3f317218, v17
	v_fma_f32 v56, v17, s6, -v54
	v_fmac_f32_e32 v56, 0xb102e308, v17
	v_sub_f32_e32 v17, v52, v51
	v_sub_f32_e32 v17, v18, v17
	v_add_f32_e32 v18, v54, v56
	v_sub_f32_e32 v51, v18, v54
	v_ldexp_f32 v54, v52, 1
	v_mul_f32_e32 v52, v52, v53
	v_mul_f32_e32 v52, v52, v55
	v_add_f32_e32 v53, v54, v52
	v_sub_f32_e32 v54, v53, v54
	v_ldexp_f32 v17, v17, 1
	v_sub_f32_e32 v52, v52, v54
	v_add_f32_e32 v17, v17, v52
	v_add_f32_e32 v52, v53, v17
	v_sub_f32_e32 v53, v52, v53
	v_sub_f32_e32 v17, v17, v53
	v_add_f32_e32 v53, v18, v52
	v_sub_f32_e32 v54, v53, v18
	v_sub_f32_e32 v55, v53, v54
	;; [unrolled: 1-line block ×5, first 2 shown]
	v_add_f32_e32 v18, v52, v18
	v_add_f32_e32 v52, v51, v17
	v_sub_f32_e32 v54, v52, v51
	v_sub_f32_e32 v55, v52, v54
	;; [unrolled: 1-line block ×4, first 2 shown]
	v_add_f32_e32 v18, v52, v18
	v_add_f32_e32 v17, v17, v51
	;; [unrolled: 1-line block ×3, first 2 shown]
	v_sub_f32_e32 v52, v51, v53
	v_sub_f32_e32 v18, v18, v52
	v_add_f32_e32 v17, v17, v18
	v_add_f32_e32 v17, v51, v17
	v_cmp_neq_f32_e32 vcc, s4, v50
	s_mov_b32 s4, 0x33800000
	v_cndmask_b32_e32 v17, v21, v17, vcc
	v_cmp_lt_f32_e64 vcc, |v50|, s4
	v_cndmask_b32_e32 v17, v17, v50, vcc
	v_add_f32_e32 v18, v10, v17
.LBB507_372:
	s_or_b64 exec, exec, s[2:3]
	v_bfe_u32 v10, v18, 16, 1
	v_add3_u32 v10, v18, v10, s5
	v_cmp_o_f32_e32 vcc, v18, v18
	v_cndmask_b32_sdwa v17, v9, v10, vcc dst_sel:DWORD dst_unused:UNUSED_PAD src0_sel:DWORD src1_sel:WORD_1
	v_lshlrev_b32_e32 v10, 16, v17
	v_max_f32_e32 v9, v10, v10
	v_min_f32_e32 v18, v9, v23
	v_cmp_u_f32_e32 vcc, v10, v10
	v_max_f32_e32 v9, v9, v23
	v_cndmask_b32_e32 v18, v18, v10, vcc
	v_cndmask_b32_e32 v9, v9, v10, vcc
	v_cndmask_b32_e64 v18, v18, v11, s[14:15]
	v_cndmask_b32_e64 v9, v9, v11, s[14:15]
	s_movk_i32 s4, 0x1f8
	v_cmp_neq_f32_e32 vcc, v18, v9
	v_cmp_class_f32_e64 s[2:3], v18, s4
	s_or_b64 s[6:7], vcc, s[2:3]
	s_and_saveexec_b64 s[2:3], s[6:7]
	s_cbranch_execz .LBB507_374
; %bb.373:
	v_sub_f32_e32 v10, v18, v9
	s_mov_b32 s5, 0x3fb8aa3b
	v_mul_f32_e32 v11, 0x3fb8aa3b, v10
	v_fma_f32 v18, v10, s5, -v11
	v_rndne_f32_e32 v21, v11
	v_fmac_f32_e32 v18, 0x32a5705f, v10
	v_sub_f32_e32 v11, v11, v21
	v_add_f32_e32 v11, v11, v18
	v_exp_f32_e32 v11, v11
	v_cvt_i32_f32_e32 v18, v21
	s_mov_b32 s5, 0xc2ce8ed0
	v_cmp_ngt_f32_e32 vcc, s5, v10
	s_mov_b32 s5, 0x42b17218
	v_ldexp_f32 v11, v11, v18
	v_cndmask_b32_e32 v11, 0, v11, vcc
	v_mov_b32_e32 v18, 0x7f800000
	v_cmp_nlt_f32_e32 vcc, s5, v10
	v_cndmask_b32_e32 v21, v18, v11, vcc
	v_add_f32_e32 v23, 1.0, v21
	v_cvt_f64_f32_e32 v[10:11], v23
	v_add_f32_e32 v50, -1.0, v23
	v_sub_f32_e32 v51, v50, v23
	v_sub_f32_e32 v50, v21, v50
	v_frexp_exp_i32_f64_e32 v10, v[10:11]
	v_add_f32_e32 v11, 1.0, v51
	v_add_f32_e32 v11, v50, v11
	v_frexp_mant_f32_e32 v50, v23
	s_mov_b32 s6, 0x3f2aaaab
	v_cmp_gt_f32_e32 vcc, s6, v50
	s_mov_b32 s6, 0x3f317218
	s_mov_b32 s5, 0x7f800000
	v_subbrev_co_u32_e32 v10, vcc, 0, v10, vcc
	v_sub_u32_e32 v50, 0, v10
	v_ldexp_f32 v23, v23, v50
	v_ldexp_f32 v11, v11, v50
	v_add_f32_e32 v50, -1.0, v23
	v_add_f32_e32 v53, 1.0, v23
	v_add_f32_e32 v51, 1.0, v50
	v_add_f32_e32 v54, -1.0, v53
	v_sub_f32_e32 v51, v23, v51
	v_sub_f32_e32 v23, v23, v54
	v_add_f32_e32 v51, v11, v51
	v_add_f32_e32 v11, v11, v23
	;; [unrolled: 1-line block ×3, first 2 shown]
	v_rcp_f32_e32 v54, v23
	v_add_f32_e32 v52, v50, v51
	v_sub_f32_e32 v50, v50, v52
	v_add_f32_e32 v50, v51, v50
	v_sub_f32_e32 v51, v53, v23
	v_add_f32_e32 v11, v11, v51
	v_mul_f32_e32 v51, v52, v54
	v_mul_f32_e32 v53, v23, v51
	v_fma_f32 v55, v51, v23, -v53
	v_fmac_f32_e32 v55, v51, v11
	v_add_f32_e32 v56, v53, v55
	v_sub_f32_e32 v57, v52, v56
	v_sub_f32_e32 v52, v52, v57
	;; [unrolled: 1-line block ×4, first 2 shown]
	v_add_f32_e32 v50, v50, v52
	v_sub_f32_e32 v52, v53, v55
	v_add_f32_e32 v50, v52, v50
	v_add_f32_e32 v52, v57, v50
	v_mul_f32_e32 v53, v54, v52
	v_mul_f32_e32 v55, v23, v53
	v_fma_f32 v23, v53, v23, -v55
	v_fmac_f32_e32 v23, v53, v11
	v_sub_f32_e32 v11, v57, v52
	v_add_f32_e32 v11, v50, v11
	v_add_f32_e32 v50, v55, v23
	v_sub_f32_e32 v56, v52, v50
	v_sub_f32_e32 v52, v52, v56
	;; [unrolled: 1-line block ×4, first 2 shown]
	v_add_f32_e32 v11, v11, v50
	v_sub_f32_e32 v23, v55, v23
	v_add_f32_e32 v11, v23, v11
	v_add_f32_e32 v23, v51, v53
	;; [unrolled: 1-line block ×3, first 2 shown]
	v_sub_f32_e32 v50, v23, v51
	v_mul_f32_e32 v11, v54, v11
	v_sub_f32_e32 v50, v53, v50
	v_add_f32_e32 v11, v50, v11
	v_cvt_f32_i32_e32 v10, v10
	v_add_f32_e32 v50, v23, v11
	v_mul_f32_e32 v51, v50, v50
	v_mov_b32_e32 v52, 0x3ecc95a3
	v_fmac_f32_e32 v52, 0x3e9b6dac, v51
	v_mov_b32_e32 v53, 0x3f2aaada
	v_fmac_f32_e32 v53, v51, v52
	v_mul_f32_e32 v52, 0x3f317218, v10
	v_fma_f32 v54, v10, s6, -v52
	v_fmac_f32_e32 v54, 0xb102e308, v10
	v_sub_f32_e32 v10, v50, v23
	v_sub_f32_e32 v10, v11, v10
	v_add_f32_e32 v11, v52, v54
	v_sub_f32_e32 v23, v11, v52
	v_ldexp_f32 v52, v50, 1
	v_mul_f32_e32 v50, v50, v51
	v_mul_f32_e32 v50, v50, v53
	v_add_f32_e32 v51, v52, v50
	v_sub_f32_e32 v52, v51, v52
	v_ldexp_f32 v10, v10, 1
	v_sub_f32_e32 v50, v50, v52
	v_add_f32_e32 v10, v10, v50
	v_add_f32_e32 v50, v51, v10
	v_sub_f32_e32 v51, v50, v51
	v_sub_f32_e32 v10, v10, v51
	v_add_f32_e32 v51, v11, v50
	v_sub_f32_e32 v52, v51, v11
	v_sub_f32_e32 v53, v51, v52
	;; [unrolled: 1-line block ×5, first 2 shown]
	v_add_f32_e32 v11, v50, v11
	v_add_f32_e32 v50, v23, v10
	v_sub_f32_e32 v52, v50, v23
	v_sub_f32_e32 v53, v50, v52
	;; [unrolled: 1-line block ×4, first 2 shown]
	v_add_f32_e32 v11, v50, v11
	v_add_f32_e32 v10, v10, v23
	;; [unrolled: 1-line block ×3, first 2 shown]
	v_sub_f32_e32 v50, v23, v51
	v_sub_f32_e32 v11, v11, v50
	v_add_f32_e32 v10, v10, v11
	v_add_f32_e32 v10, v23, v10
	v_cmp_neq_f32_e32 vcc, s5, v21
	s_mov_b32 s5, 0x33800000
	v_cndmask_b32_e32 v10, v18, v10, vcc
	v_cmp_lt_f32_e64 vcc, |v21|, s5
	v_cndmask_b32_e32 v10, v10, v21, vcc
	v_add_f32_e32 v10, v9, v10
.LBB507_374:
	s_or_b64 exec, exec, s[2:3]
	v_bfe_u32 v9, v10, 16, 1
	s_movk_i32 s5, 0x7fff
	v_add3_u32 v11, v10, v9, s5
	v_cmp_o_f32_e32 vcc, v10, v10
	v_mov_b32_e32 v9, 0x7fc0
	v_cndmask_b32_sdwa v18, v9, v11, vcc dst_sel:DWORD dst_unused:UNUSED_PAD src0_sel:DWORD src1_sel:WORD_1
	v_lshlrev_b32_e32 v11, 16, v18
	v_max_f32_e32 v10, v11, v11
	v_min_f32_e32 v21, v10, v24
	v_cmp_u_f32_e32 vcc, v11, v11
	v_max_f32_e32 v10, v10, v24
	v_cndmask_b32_e32 v21, v21, v11, vcc
	v_cndmask_b32_e32 v10, v10, v11, vcc
	v_cndmask_b32_e64 v21, v21, v22, s[16:17]
	v_cndmask_b32_e64 v10, v10, v22, s[16:17]
	v_cmp_neq_f32_e32 vcc, v21, v10
	v_cmp_class_f32_e64 s[2:3], v21, s4
	s_or_b64 s[6:7], vcc, s[2:3]
	s_and_saveexec_b64 s[2:3], s[6:7]
	s_cbranch_execz .LBB507_376
; %bb.375:
	v_sub_f32_e32 v11, v21, v10
	s_mov_b32 s4, 0x3fb8aa3b
	v_mul_f32_e32 v21, 0x3fb8aa3b, v11
	v_fma_f32 v22, v11, s4, -v21
	v_rndne_f32_e32 v23, v21
	v_fmac_f32_e32 v22, 0x32a5705f, v11
	v_sub_f32_e32 v21, v21, v23
	v_add_f32_e32 v21, v21, v22
	v_exp_f32_e32 v21, v21
	v_cvt_i32_f32_e32 v22, v23
	s_mov_b32 s4, 0xc2ce8ed0
	v_cmp_ngt_f32_e32 vcc, s4, v11
	s_mov_b32 s4, 0x42b17218
	v_ldexp_f32 v21, v21, v22
	v_cndmask_b32_e32 v21, 0, v21, vcc
	v_mov_b32_e32 v23, 0x7f800000
	v_cmp_nlt_f32_e32 vcc, s4, v11
	v_cndmask_b32_e32 v11, v23, v21, vcc
	v_add_f32_e32 v24, 1.0, v11
	v_cvt_f64_f32_e32 v[21:22], v24
	v_add_f32_e32 v50, -1.0, v24
	v_sub_f32_e32 v51, v50, v24
	v_sub_f32_e32 v50, v11, v50
	v_frexp_exp_i32_f64_e32 v21, v[21:22]
	v_add_f32_e32 v22, 1.0, v51
	v_add_f32_e32 v22, v50, v22
	v_frexp_mant_f32_e32 v50, v24
	s_mov_b32 s6, 0x3f2aaaab
	v_cmp_gt_f32_e32 vcc, s6, v50
	s_mov_b32 s6, 0x3f317218
	s_mov_b32 s4, 0x7f800000
	v_subbrev_co_u32_e32 v21, vcc, 0, v21, vcc
	v_sub_u32_e32 v50, 0, v21
	v_ldexp_f32 v24, v24, v50
	v_ldexp_f32 v22, v22, v50
	v_add_f32_e32 v50, -1.0, v24
	v_add_f32_e32 v53, 1.0, v24
	v_add_f32_e32 v51, 1.0, v50
	v_add_f32_e32 v54, -1.0, v53
	v_sub_f32_e32 v51, v24, v51
	v_sub_f32_e32 v24, v24, v54
	v_add_f32_e32 v51, v22, v51
	v_add_f32_e32 v22, v22, v24
	;; [unrolled: 1-line block ×3, first 2 shown]
	v_rcp_f32_e32 v54, v24
	v_add_f32_e32 v52, v50, v51
	v_sub_f32_e32 v50, v50, v52
	v_add_f32_e32 v50, v51, v50
	v_sub_f32_e32 v51, v53, v24
	v_add_f32_e32 v22, v22, v51
	v_mul_f32_e32 v51, v52, v54
	v_mul_f32_e32 v53, v24, v51
	v_fma_f32 v55, v51, v24, -v53
	v_fmac_f32_e32 v55, v51, v22
	v_add_f32_e32 v56, v53, v55
	v_sub_f32_e32 v57, v52, v56
	v_sub_f32_e32 v52, v52, v57
	;; [unrolled: 1-line block ×4, first 2 shown]
	v_add_f32_e32 v50, v50, v52
	v_sub_f32_e32 v52, v53, v55
	v_add_f32_e32 v50, v52, v50
	v_add_f32_e32 v52, v57, v50
	v_mul_f32_e32 v53, v54, v52
	v_mul_f32_e32 v55, v24, v53
	v_fma_f32 v24, v53, v24, -v55
	v_fmac_f32_e32 v24, v53, v22
	v_sub_f32_e32 v22, v57, v52
	v_add_f32_e32 v22, v50, v22
	v_add_f32_e32 v50, v55, v24
	v_sub_f32_e32 v56, v52, v50
	v_sub_f32_e32 v52, v52, v56
	v_sub_f32_e32 v55, v50, v55
	v_sub_f32_e32 v50, v52, v50
	v_add_f32_e32 v22, v22, v50
	v_sub_f32_e32 v24, v55, v24
	v_add_f32_e32 v22, v24, v22
	v_add_f32_e32 v24, v51, v53
	v_add_f32_e32 v22, v56, v22
	v_sub_f32_e32 v50, v24, v51
	v_mul_f32_e32 v22, v54, v22
	v_sub_f32_e32 v50, v53, v50
	v_add_f32_e32 v22, v50, v22
	v_cvt_f32_i32_e32 v21, v21
	v_add_f32_e32 v50, v24, v22
	v_mul_f32_e32 v51, v50, v50
	v_mov_b32_e32 v52, 0x3ecc95a3
	v_fmac_f32_e32 v52, 0x3e9b6dac, v51
	v_mov_b32_e32 v53, 0x3f2aaada
	v_fmac_f32_e32 v53, v51, v52
	v_mul_f32_e32 v52, 0x3f317218, v21
	v_fma_f32 v54, v21, s6, -v52
	v_fmac_f32_e32 v54, 0xb102e308, v21
	v_sub_f32_e32 v21, v50, v24
	v_sub_f32_e32 v21, v22, v21
	v_add_f32_e32 v22, v52, v54
	v_sub_f32_e32 v24, v22, v52
	v_ldexp_f32 v52, v50, 1
	v_mul_f32_e32 v50, v50, v51
	v_mul_f32_e32 v50, v50, v53
	v_add_f32_e32 v51, v52, v50
	v_sub_f32_e32 v52, v51, v52
	v_ldexp_f32 v21, v21, 1
	v_sub_f32_e32 v50, v50, v52
	v_add_f32_e32 v21, v21, v50
	v_add_f32_e32 v50, v51, v21
	v_sub_f32_e32 v51, v50, v51
	v_sub_f32_e32 v21, v21, v51
	v_add_f32_e32 v51, v22, v50
	v_sub_f32_e32 v52, v51, v22
	v_sub_f32_e32 v53, v51, v52
	;; [unrolled: 1-line block ×5, first 2 shown]
	v_add_f32_e32 v22, v50, v22
	v_add_f32_e32 v50, v24, v21
	v_sub_f32_e32 v52, v50, v24
	v_sub_f32_e32 v53, v50, v52
	;; [unrolled: 1-line block ×4, first 2 shown]
	v_add_f32_e32 v22, v50, v22
	v_add_f32_e32 v21, v21, v24
	;; [unrolled: 1-line block ×3, first 2 shown]
	v_sub_f32_e32 v50, v24, v51
	v_sub_f32_e32 v22, v22, v50
	v_add_f32_e32 v21, v21, v22
	v_add_f32_e32 v21, v24, v21
	v_cmp_neq_f32_e32 vcc, s4, v11
	s_mov_b32 s4, 0x33800000
	v_cndmask_b32_e32 v21, v23, v21, vcc
	v_cmp_lt_f32_e64 vcc, |v11|, s4
	v_cndmask_b32_e32 v11, v21, v11, vcc
	v_add_f32_e32 v11, v10, v11
.LBB507_376:
	s_or_b64 exec, exec, s[2:3]
	v_bfe_u32 v10, v11, 16, 1
	v_add3_u32 v10, v11, v10, s5
	v_cmp_o_f32_e32 vcc, v11, v11
	v_cndmask_b32_sdwa v21, v9, v10, vcc dst_sel:DWORD dst_unused:UNUSED_PAD src0_sel:DWORD src1_sel:WORD_1
	v_lshlrev_b32_e32 v10, 16, v21
	v_max_f32_e32 v9, v10, v10
	v_min_f32_e32 v11, v9, v26
	v_cmp_u_f32_e32 vcc, v10, v10
	v_max_f32_e32 v9, v9, v26
	v_cndmask_b32_e32 v11, v11, v10, vcc
	v_cndmask_b32_e32 v9, v9, v10, vcc
	v_cndmask_b32_e64 v11, v11, v12, s[18:19]
	v_cndmask_b32_e64 v9, v9, v12, s[18:19]
	s_movk_i32 s4, 0x1f8
	v_cmp_neq_f32_e32 vcc, v11, v9
	v_cmp_class_f32_e64 s[2:3], v11, s4
	s_or_b64 s[6:7], vcc, s[2:3]
	s_and_saveexec_b64 s[2:3], s[6:7]
	s_cbranch_execz .LBB507_378
; %bb.377:
	v_sub_f32_e32 v10, v11, v9
	s_mov_b32 s5, 0x3fb8aa3b
	v_mul_f32_e32 v11, 0x3fb8aa3b, v10
	v_fma_f32 v12, v10, s5, -v11
	v_rndne_f32_e32 v22, v11
	v_fmac_f32_e32 v12, 0x32a5705f, v10
	v_sub_f32_e32 v11, v11, v22
	v_add_f32_e32 v11, v11, v12
	v_exp_f32_e32 v11, v11
	v_cvt_i32_f32_e32 v12, v22
	s_mov_b32 s5, 0xc2ce8ed0
	v_cmp_ngt_f32_e32 vcc, s5, v10
	s_mov_b32 s5, 0x42b17218
	v_ldexp_f32 v11, v11, v12
	v_cndmask_b32_e32 v11, 0, v11, vcc
	v_mov_b32_e32 v12, 0x7f800000
	v_cmp_nlt_f32_e32 vcc, s5, v10
	v_cndmask_b32_e32 v22, v12, v11, vcc
	v_add_f32_e32 v23, 1.0, v22
	v_cvt_f64_f32_e32 v[10:11], v23
	v_add_f32_e32 v24, -1.0, v23
	v_sub_f32_e32 v26, v24, v23
	v_sub_f32_e32 v24, v22, v24
	v_frexp_exp_i32_f64_e32 v10, v[10:11]
	v_add_f32_e32 v11, 1.0, v26
	v_add_f32_e32 v11, v24, v11
	v_frexp_mant_f32_e32 v24, v23
	s_mov_b32 s6, 0x3f2aaaab
	v_cmp_gt_f32_e32 vcc, s6, v24
	s_mov_b32 s6, 0x3f317218
	s_mov_b32 s5, 0x7f800000
	v_subbrev_co_u32_e32 v10, vcc, 0, v10, vcc
	v_sub_u32_e32 v24, 0, v10
	v_ldexp_f32 v23, v23, v24
	v_ldexp_f32 v11, v11, v24
	v_add_f32_e32 v24, -1.0, v23
	v_add_f32_e32 v51, 1.0, v23
	v_add_f32_e32 v26, 1.0, v24
	v_add_f32_e32 v52, -1.0, v51
	v_sub_f32_e32 v26, v23, v26
	v_sub_f32_e32 v23, v23, v52
	v_add_f32_e32 v26, v11, v26
	v_add_f32_e32 v11, v11, v23
	;; [unrolled: 1-line block ×3, first 2 shown]
	v_rcp_f32_e32 v52, v23
	v_add_f32_e32 v50, v24, v26
	v_sub_f32_e32 v24, v24, v50
	v_add_f32_e32 v24, v26, v24
	v_sub_f32_e32 v26, v51, v23
	v_add_f32_e32 v11, v11, v26
	v_mul_f32_e32 v26, v50, v52
	v_mul_f32_e32 v51, v23, v26
	v_fma_f32 v53, v26, v23, -v51
	v_fmac_f32_e32 v53, v26, v11
	v_add_f32_e32 v54, v51, v53
	v_sub_f32_e32 v55, v50, v54
	v_sub_f32_e32 v50, v50, v55
	;; [unrolled: 1-line block ×4, first 2 shown]
	v_add_f32_e32 v24, v24, v50
	v_sub_f32_e32 v50, v51, v53
	v_add_f32_e32 v24, v50, v24
	v_add_f32_e32 v50, v55, v24
	v_mul_f32_e32 v51, v52, v50
	v_mul_f32_e32 v53, v23, v51
	v_fma_f32 v23, v51, v23, -v53
	v_fmac_f32_e32 v23, v51, v11
	v_sub_f32_e32 v11, v55, v50
	v_add_f32_e32 v11, v24, v11
	v_add_f32_e32 v24, v53, v23
	v_sub_f32_e32 v54, v50, v24
	v_sub_f32_e32 v50, v50, v54
	;; [unrolled: 1-line block ×4, first 2 shown]
	v_add_f32_e32 v11, v11, v24
	v_sub_f32_e32 v23, v53, v23
	v_add_f32_e32 v11, v23, v11
	v_add_f32_e32 v23, v26, v51
	;; [unrolled: 1-line block ×3, first 2 shown]
	v_sub_f32_e32 v24, v23, v26
	v_mul_f32_e32 v11, v52, v11
	v_sub_f32_e32 v24, v51, v24
	v_add_f32_e32 v11, v24, v11
	v_cvt_f32_i32_e32 v10, v10
	v_add_f32_e32 v24, v23, v11
	v_mul_f32_e32 v26, v24, v24
	v_mov_b32_e32 v50, 0x3ecc95a3
	v_fmac_f32_e32 v50, 0x3e9b6dac, v26
	v_mov_b32_e32 v51, 0x3f2aaada
	v_fmac_f32_e32 v51, v26, v50
	v_mul_f32_e32 v50, 0x3f317218, v10
	v_fma_f32 v52, v10, s6, -v50
	v_fmac_f32_e32 v52, 0xb102e308, v10
	v_sub_f32_e32 v10, v24, v23
	v_sub_f32_e32 v10, v11, v10
	v_add_f32_e32 v11, v50, v52
	v_sub_f32_e32 v23, v11, v50
	v_ldexp_f32 v50, v24, 1
	v_mul_f32_e32 v24, v24, v26
	v_mul_f32_e32 v24, v24, v51
	v_add_f32_e32 v26, v50, v24
	v_sub_f32_e32 v50, v26, v50
	v_ldexp_f32 v10, v10, 1
	v_sub_f32_e32 v24, v24, v50
	v_add_f32_e32 v10, v10, v24
	v_add_f32_e32 v24, v26, v10
	v_sub_f32_e32 v26, v24, v26
	v_sub_f32_e32 v10, v10, v26
	v_add_f32_e32 v26, v11, v24
	v_sub_f32_e32 v50, v26, v11
	v_sub_f32_e32 v51, v26, v50
	;; [unrolled: 1-line block ×5, first 2 shown]
	v_add_f32_e32 v11, v24, v11
	v_add_f32_e32 v24, v23, v10
	v_sub_f32_e32 v50, v24, v23
	v_sub_f32_e32 v51, v24, v50
	;; [unrolled: 1-line block ×4, first 2 shown]
	v_add_f32_e32 v11, v24, v11
	v_add_f32_e32 v10, v10, v23
	v_add_f32_e32 v23, v26, v11
	v_sub_f32_e32 v24, v23, v26
	v_sub_f32_e32 v11, v11, v24
	v_add_f32_e32 v10, v10, v11
	v_add_f32_e32 v10, v23, v10
	v_cmp_neq_f32_e32 vcc, s5, v22
	s_mov_b32 s5, 0x33800000
	v_cndmask_b32_e32 v10, v12, v10, vcc
	v_cmp_lt_f32_e64 vcc, |v22|, s5
	v_cndmask_b32_e32 v10, v10, v22, vcc
	v_add_f32_e32 v10, v9, v10
.LBB507_378:
	s_or_b64 exec, exec, s[2:3]
	v_bfe_u32 v9, v10, 16, 1
	s_movk_i32 s5, 0x7fff
	v_add3_u32 v11, v10, v9, s5
	v_cmp_o_f32_e32 vcc, v10, v10
	v_mov_b32_e32 v9, 0x7fc0
	v_cndmask_b32_sdwa v22, v9, v11, vcc dst_sel:DWORD dst_unused:UNUSED_PAD src0_sel:DWORD src1_sel:WORD_1
	v_lshlrev_b32_e32 v11, 16, v22
	v_max_f32_e32 v10, v11, v11
	v_min_f32_e32 v12, v10, v27
	v_cmp_u_f32_e32 vcc, v11, v11
	v_max_f32_e32 v10, v10, v27
	v_cndmask_b32_e32 v12, v12, v11, vcc
	v_cndmask_b32_e32 v10, v10, v11, vcc
	v_cndmask_b32_e64 v12, v12, v25, s[20:21]
	v_cndmask_b32_e64 v10, v10, v25, s[20:21]
	v_cmp_neq_f32_e32 vcc, v12, v10
	v_cmp_class_f32_e64 s[2:3], v12, s4
	s_or_b64 s[6:7], vcc, s[2:3]
	s_and_saveexec_b64 s[2:3], s[6:7]
	s_cbranch_execz .LBB507_380
; %bb.379:
	v_sub_f32_e32 v11, v12, v10
	s_mov_b32 s4, 0x3fb8aa3b
	v_mul_f32_e32 v12, 0x3fb8aa3b, v11
	v_fma_f32 v23, v11, s4, -v12
	v_rndne_f32_e32 v24, v12
	v_fmac_f32_e32 v23, 0x32a5705f, v11
	v_sub_f32_e32 v12, v12, v24
	v_add_f32_e32 v12, v12, v23
	v_exp_f32_e32 v12, v12
	v_cvt_i32_f32_e32 v23, v24
	s_mov_b32 s4, 0xc2ce8ed0
	v_cmp_ngt_f32_e32 vcc, s4, v11
	s_mov_b32 s4, 0x42b17218
	v_ldexp_f32 v12, v12, v23
	v_cndmask_b32_e32 v12, 0, v12, vcc
	v_mov_b32_e32 v23, 0x7f800000
	v_cmp_nlt_f32_e32 vcc, s4, v11
	v_cndmask_b32_e32 v24, v23, v12, vcc
	v_add_f32_e32 v25, 1.0, v24
	v_cvt_f64_f32_e32 v[11:12], v25
	v_add_f32_e32 v26, -1.0, v25
	v_sub_f32_e32 v27, v26, v25
	v_sub_f32_e32 v26, v24, v26
	v_frexp_exp_i32_f64_e32 v11, v[11:12]
	v_add_f32_e32 v12, 1.0, v27
	v_add_f32_e32 v12, v26, v12
	v_frexp_mant_f32_e32 v26, v25
	s_mov_b32 s6, 0x3f2aaaab
	v_cmp_gt_f32_e32 vcc, s6, v26
	s_mov_b32 s6, 0x3f317218
	s_mov_b32 s4, 0x7f800000
	v_subbrev_co_u32_e32 v11, vcc, 0, v11, vcc
	v_sub_u32_e32 v26, 0, v11
	v_ldexp_f32 v25, v25, v26
	v_ldexp_f32 v12, v12, v26
	v_add_f32_e32 v26, -1.0, v25
	v_add_f32_e32 v51, 1.0, v25
	v_add_f32_e32 v27, 1.0, v26
	v_add_f32_e32 v52, -1.0, v51
	v_sub_f32_e32 v27, v25, v27
	v_sub_f32_e32 v25, v25, v52
	v_add_f32_e32 v27, v12, v27
	v_add_f32_e32 v12, v12, v25
	;; [unrolled: 1-line block ×3, first 2 shown]
	v_rcp_f32_e32 v52, v25
	v_add_f32_e32 v50, v26, v27
	v_sub_f32_e32 v26, v26, v50
	v_add_f32_e32 v26, v27, v26
	v_sub_f32_e32 v27, v51, v25
	v_add_f32_e32 v12, v12, v27
	v_mul_f32_e32 v27, v50, v52
	v_mul_f32_e32 v51, v25, v27
	v_fma_f32 v53, v27, v25, -v51
	v_fmac_f32_e32 v53, v27, v12
	v_add_f32_e32 v54, v51, v53
	v_sub_f32_e32 v55, v50, v54
	v_sub_f32_e32 v50, v50, v55
	;; [unrolled: 1-line block ×4, first 2 shown]
	v_add_f32_e32 v26, v26, v50
	v_sub_f32_e32 v50, v51, v53
	v_add_f32_e32 v26, v50, v26
	v_add_f32_e32 v50, v55, v26
	v_mul_f32_e32 v51, v52, v50
	v_mul_f32_e32 v53, v25, v51
	v_fma_f32 v25, v51, v25, -v53
	v_fmac_f32_e32 v25, v51, v12
	v_sub_f32_e32 v12, v55, v50
	v_add_f32_e32 v12, v26, v12
	v_add_f32_e32 v26, v53, v25
	v_sub_f32_e32 v54, v50, v26
	v_sub_f32_e32 v50, v50, v54
	;; [unrolled: 1-line block ×4, first 2 shown]
	v_add_f32_e32 v12, v12, v26
	v_sub_f32_e32 v25, v53, v25
	v_add_f32_e32 v12, v25, v12
	v_add_f32_e32 v25, v27, v51
	;; [unrolled: 1-line block ×3, first 2 shown]
	v_sub_f32_e32 v26, v25, v27
	v_mul_f32_e32 v12, v52, v12
	v_sub_f32_e32 v26, v51, v26
	v_add_f32_e32 v12, v26, v12
	v_cvt_f32_i32_e32 v11, v11
	v_add_f32_e32 v26, v25, v12
	v_mul_f32_e32 v27, v26, v26
	v_mov_b32_e32 v50, 0x3ecc95a3
	v_fmac_f32_e32 v50, 0x3e9b6dac, v27
	v_mov_b32_e32 v51, 0x3f2aaada
	v_fmac_f32_e32 v51, v27, v50
	v_mul_f32_e32 v50, 0x3f317218, v11
	v_fma_f32 v52, v11, s6, -v50
	v_fmac_f32_e32 v52, 0xb102e308, v11
	v_sub_f32_e32 v11, v26, v25
	v_sub_f32_e32 v11, v12, v11
	v_add_f32_e32 v12, v50, v52
	v_sub_f32_e32 v25, v12, v50
	v_ldexp_f32 v50, v26, 1
	v_mul_f32_e32 v26, v26, v27
	v_mul_f32_e32 v26, v26, v51
	v_add_f32_e32 v27, v50, v26
	v_sub_f32_e32 v50, v27, v50
	v_ldexp_f32 v11, v11, 1
	v_sub_f32_e32 v26, v26, v50
	v_add_f32_e32 v11, v11, v26
	v_add_f32_e32 v26, v27, v11
	v_sub_f32_e32 v27, v26, v27
	v_sub_f32_e32 v11, v11, v27
	v_add_f32_e32 v27, v12, v26
	v_sub_f32_e32 v50, v27, v12
	v_sub_f32_e32 v51, v27, v50
	v_sub_f32_e32 v25, v52, v25
	v_sub_f32_e32 v12, v12, v51
	v_sub_f32_e32 v26, v26, v50
	v_add_f32_e32 v12, v26, v12
	v_add_f32_e32 v26, v25, v11
	v_sub_f32_e32 v50, v26, v25
	v_sub_f32_e32 v51, v26, v50
	;; [unrolled: 1-line block ×4, first 2 shown]
	v_add_f32_e32 v12, v26, v12
	v_add_f32_e32 v11, v11, v25
	;; [unrolled: 1-line block ×3, first 2 shown]
	v_sub_f32_e32 v26, v25, v27
	v_sub_f32_e32 v12, v12, v26
	v_add_f32_e32 v11, v11, v12
	v_add_f32_e32 v11, v25, v11
	v_cmp_neq_f32_e32 vcc, s4, v24
	s_mov_b32 s4, 0x33800000
	v_cndmask_b32_e32 v11, v23, v11, vcc
	v_cmp_lt_f32_e64 vcc, |v24|, s4
	v_cndmask_b32_e32 v11, v11, v24, vcc
	v_add_f32_e32 v11, v10, v11
.LBB507_380:
	s_or_b64 exec, exec, s[2:3]
	v_bfe_u32 v10, v11, 16, 1
	v_add3_u32 v10, v11, v10, s5
	v_cmp_o_f32_e32 vcc, v11, v11
	v_cndmask_b32_sdwa v23, v9, v10, vcc dst_sel:DWORD dst_unused:UNUSED_PAD src0_sel:DWORD src1_sel:WORD_1
	v_lshlrev_b32_e32 v9, 16, v23
	v_max_f32_e32 v11, v9, v9
	v_min_f32_e32 v10, v11, v29
	v_cmp_u_f32_e32 vcc, v9, v9
	v_max_f32_e32 v11, v11, v29
	v_cndmask_b32_e32 v10, v10, v9, vcc
	v_cndmask_b32_e32 v11, v11, v9, vcc
	v_cndmask_b32_e64 v10, v10, v5, s[22:23]
	v_cndmask_b32_e64 v5, v11, v5, s[22:23]
	s_movk_i32 s4, 0x1f8
	v_cmp_neq_f32_e32 vcc, v10, v5
	v_cmp_class_f32_e64 s[2:3], v10, s4
	s_or_b64 s[6:7], vcc, s[2:3]
	s_and_saveexec_b64 s[2:3], s[6:7]
	s_cbranch_execz .LBB507_382
; %bb.381:
	v_sub_f32_e32 v9, v10, v5
	s_mov_b32 s5, 0x3fb8aa3b
	v_mul_f32_e32 v10, 0x3fb8aa3b, v9
	v_fma_f32 v11, v9, s5, -v10
	v_rndne_f32_e32 v12, v10
	v_fmac_f32_e32 v11, 0x32a5705f, v9
	v_sub_f32_e32 v10, v10, v12
	v_add_f32_e32 v10, v10, v11
	v_exp_f32_e32 v10, v10
	v_cvt_i32_f32_e32 v11, v12
	s_mov_b32 s5, 0xc2ce8ed0
	v_cmp_ngt_f32_e32 vcc, s5, v9
	s_mov_b32 s5, 0x42b17218
	v_ldexp_f32 v10, v10, v11
	v_cndmask_b32_e32 v10, 0, v10, vcc
	v_mov_b32_e32 v11, 0x7f800000
	v_cmp_nlt_f32_e32 vcc, s5, v9
	v_cndmask_b32_e32 v12, v11, v10, vcc
	v_add_f32_e32 v24, 1.0, v12
	v_cvt_f64_f32_e32 v[9:10], v24
	v_add_f32_e32 v25, -1.0, v24
	v_sub_f32_e32 v26, v25, v24
	v_sub_f32_e32 v25, v12, v25
	v_frexp_exp_i32_f64_e32 v9, v[9:10]
	v_add_f32_e32 v10, 1.0, v26
	v_add_f32_e32 v10, v25, v10
	v_frexp_mant_f32_e32 v25, v24
	s_mov_b32 s6, 0x3f2aaaab
	v_cmp_gt_f32_e32 vcc, s6, v25
	s_mov_b32 s6, 0x3f317218
	s_mov_b32 s5, 0x7f800000
	v_subbrev_co_u32_e32 v9, vcc, 0, v9, vcc
	v_sub_u32_e32 v25, 0, v9
	v_ldexp_f32 v24, v24, v25
	v_ldexp_f32 v10, v10, v25
	v_add_f32_e32 v25, -1.0, v24
	v_add_f32_e32 v29, 1.0, v24
	v_add_f32_e32 v26, 1.0, v25
	v_add_f32_e32 v50, -1.0, v29
	v_sub_f32_e32 v26, v24, v26
	v_sub_f32_e32 v24, v24, v50
	v_add_f32_e32 v26, v10, v26
	v_add_f32_e32 v10, v10, v24
	;; [unrolled: 1-line block ×3, first 2 shown]
	v_rcp_f32_e32 v50, v24
	v_add_f32_e32 v27, v25, v26
	v_sub_f32_e32 v25, v25, v27
	v_add_f32_e32 v25, v26, v25
	v_sub_f32_e32 v26, v29, v24
	v_add_f32_e32 v10, v10, v26
	v_mul_f32_e32 v26, v27, v50
	v_mul_f32_e32 v29, v24, v26
	v_fma_f32 v51, v26, v24, -v29
	v_fmac_f32_e32 v51, v26, v10
	v_add_f32_e32 v52, v29, v51
	v_sub_f32_e32 v53, v27, v52
	v_sub_f32_e32 v27, v27, v53
	;; [unrolled: 1-line block ×4, first 2 shown]
	v_add_f32_e32 v25, v25, v27
	v_sub_f32_e32 v27, v29, v51
	v_add_f32_e32 v25, v27, v25
	v_add_f32_e32 v27, v53, v25
	v_mul_f32_e32 v29, v50, v27
	v_mul_f32_e32 v51, v24, v29
	v_fma_f32 v24, v29, v24, -v51
	v_fmac_f32_e32 v24, v29, v10
	v_sub_f32_e32 v10, v53, v27
	v_add_f32_e32 v10, v25, v10
	v_add_f32_e32 v25, v51, v24
	v_sub_f32_e32 v52, v27, v25
	v_sub_f32_e32 v27, v27, v52
	;; [unrolled: 1-line block ×4, first 2 shown]
	v_add_f32_e32 v10, v10, v25
	v_sub_f32_e32 v24, v51, v24
	v_add_f32_e32 v10, v24, v10
	v_add_f32_e32 v24, v26, v29
	;; [unrolled: 1-line block ×3, first 2 shown]
	v_sub_f32_e32 v25, v24, v26
	v_mul_f32_e32 v10, v50, v10
	v_sub_f32_e32 v25, v29, v25
	v_add_f32_e32 v10, v25, v10
	v_cvt_f32_i32_e32 v9, v9
	v_add_f32_e32 v25, v24, v10
	v_mul_f32_e32 v26, v25, v25
	v_mov_b32_e32 v27, 0x3ecc95a3
	v_fmac_f32_e32 v27, 0x3e9b6dac, v26
	v_mov_b32_e32 v29, 0x3f2aaada
	v_fmac_f32_e32 v29, v26, v27
	v_mul_f32_e32 v27, 0x3f317218, v9
	v_fma_f32 v50, v9, s6, -v27
	v_fmac_f32_e32 v50, 0xb102e308, v9
	v_sub_f32_e32 v9, v25, v24
	v_sub_f32_e32 v9, v10, v9
	v_add_f32_e32 v10, v27, v50
	v_sub_f32_e32 v24, v10, v27
	v_ldexp_f32 v27, v25, 1
	v_mul_f32_e32 v25, v25, v26
	v_mul_f32_e32 v25, v25, v29
	v_add_f32_e32 v26, v27, v25
	v_sub_f32_e32 v27, v26, v27
	v_ldexp_f32 v9, v9, 1
	v_sub_f32_e32 v25, v25, v27
	v_add_f32_e32 v9, v9, v25
	v_add_f32_e32 v25, v26, v9
	v_sub_f32_e32 v26, v25, v26
	v_sub_f32_e32 v9, v9, v26
	v_add_f32_e32 v26, v10, v25
	v_sub_f32_e32 v27, v26, v10
	v_sub_f32_e32 v29, v26, v27
	v_sub_f32_e32 v24, v50, v24
	v_sub_f32_e32 v10, v10, v29
	v_sub_f32_e32 v25, v25, v27
	v_add_f32_e32 v10, v25, v10
	v_add_f32_e32 v25, v24, v9
	v_sub_f32_e32 v27, v25, v24
	v_sub_f32_e32 v29, v25, v27
	;; [unrolled: 1-line block ×4, first 2 shown]
	v_add_f32_e32 v10, v25, v10
	v_add_f32_e32 v9, v9, v24
	;; [unrolled: 1-line block ×3, first 2 shown]
	v_sub_f32_e32 v25, v24, v26
	v_sub_f32_e32 v10, v10, v25
	v_add_f32_e32 v9, v9, v10
	v_add_f32_e32 v9, v24, v9
	v_cmp_neq_f32_e32 vcc, s5, v12
	s_mov_b32 s5, 0x33800000
	v_cndmask_b32_e32 v9, v11, v9, vcc
	v_cmp_lt_f32_e64 vcc, |v12|, s5
	v_cndmask_b32_e32 v9, v9, v12, vcc
	v_add_f32_e32 v9, v5, v9
.LBB507_382:
	s_or_b64 exec, exec, s[2:3]
	v_bfe_u32 v5, v9, 16, 1
	s_movk_i32 s5, 0x7fff
	v_add3_u32 v10, v9, v5, s5
	v_cmp_o_f32_e32 vcc, v9, v9
	v_mov_b32_e32 v5, 0x7fc0
	v_cndmask_b32_sdwa v24, v5, v10, vcc dst_sel:DWORD dst_unused:UNUSED_PAD src0_sel:DWORD src1_sel:WORD_1
	v_lshlrev_b32_e32 v10, 16, v24
	v_max_f32_e32 v9, v10, v10
	v_min_f32_e32 v11, v9, v30
	v_cmp_u_f32_e32 vcc, v10, v10
	v_max_f32_e32 v9, v9, v30
	v_cndmask_b32_e32 v11, v11, v10, vcc
	v_cndmask_b32_e32 v9, v9, v10, vcc
	v_cndmask_b32_e64 v11, v11, v28, s[24:25]
	v_cndmask_b32_e64 v9, v9, v28, s[24:25]
	v_cmp_neq_f32_e32 vcc, v11, v9
	v_cmp_class_f32_e64 s[2:3], v11, s4
	s_or_b64 s[6:7], vcc, s[2:3]
	s_and_saveexec_b64 s[2:3], s[6:7]
	s_cbranch_execz .LBB507_384
; %bb.383:
	v_sub_f32_e32 v10, v11, v9
	s_mov_b32 s4, 0x3fb8aa3b
	v_mul_f32_e32 v11, 0x3fb8aa3b, v10
	v_fma_f32 v12, v10, s4, -v11
	v_rndne_f32_e32 v25, v11
	v_fmac_f32_e32 v12, 0x32a5705f, v10
	v_sub_f32_e32 v11, v11, v25
	v_add_f32_e32 v11, v11, v12
	v_exp_f32_e32 v11, v11
	v_cvt_i32_f32_e32 v12, v25
	s_mov_b32 s4, 0xc2ce8ed0
	v_cmp_ngt_f32_e32 vcc, s4, v10
	s_mov_b32 s4, 0x42b17218
	v_ldexp_f32 v11, v11, v12
	v_cndmask_b32_e32 v11, 0, v11, vcc
	v_mov_b32_e32 v12, 0x7f800000
	v_cmp_nlt_f32_e32 vcc, s4, v10
	v_cndmask_b32_e32 v25, v12, v11, vcc
	v_add_f32_e32 v26, 1.0, v25
	v_cvt_f64_f32_e32 v[10:11], v26
	v_add_f32_e32 v27, -1.0, v26
	v_sub_f32_e32 v28, v27, v26
	v_sub_f32_e32 v27, v25, v27
	v_frexp_exp_i32_f64_e32 v10, v[10:11]
	v_add_f32_e32 v11, 1.0, v28
	v_add_f32_e32 v11, v27, v11
	v_frexp_mant_f32_e32 v27, v26
	s_mov_b32 s6, 0x3f2aaaab
	v_cmp_gt_f32_e32 vcc, s6, v27
	s_mov_b32 s6, 0x3f317218
	s_mov_b32 s4, 0x7f800000
	v_subbrev_co_u32_e32 v10, vcc, 0, v10, vcc
	v_sub_u32_e32 v27, 0, v10
	v_ldexp_f32 v26, v26, v27
	v_ldexp_f32 v11, v11, v27
	v_add_f32_e32 v27, -1.0, v26
	v_add_f32_e32 v30, 1.0, v26
	v_add_f32_e32 v28, 1.0, v27
	v_add_f32_e32 v50, -1.0, v30
	v_sub_f32_e32 v28, v26, v28
	v_sub_f32_e32 v26, v26, v50
	v_add_f32_e32 v28, v11, v28
	v_add_f32_e32 v11, v11, v26
	;; [unrolled: 1-line block ×3, first 2 shown]
	v_rcp_f32_e32 v50, v26
	v_add_f32_e32 v29, v27, v28
	v_sub_f32_e32 v27, v27, v29
	v_add_f32_e32 v27, v28, v27
	v_sub_f32_e32 v28, v30, v26
	v_add_f32_e32 v11, v11, v28
	v_mul_f32_e32 v28, v29, v50
	v_mul_f32_e32 v30, v26, v28
	v_fma_f32 v51, v28, v26, -v30
	v_fmac_f32_e32 v51, v28, v11
	v_add_f32_e32 v52, v30, v51
	v_sub_f32_e32 v53, v29, v52
	v_sub_f32_e32 v29, v29, v53
	;; [unrolled: 1-line block ×4, first 2 shown]
	v_add_f32_e32 v27, v27, v29
	v_sub_f32_e32 v29, v30, v51
	v_add_f32_e32 v27, v29, v27
	v_add_f32_e32 v29, v53, v27
	v_mul_f32_e32 v30, v50, v29
	v_mul_f32_e32 v51, v26, v30
	v_fma_f32 v26, v30, v26, -v51
	v_fmac_f32_e32 v26, v30, v11
	v_sub_f32_e32 v11, v53, v29
	v_add_f32_e32 v11, v27, v11
	v_add_f32_e32 v27, v51, v26
	v_sub_f32_e32 v52, v29, v27
	v_sub_f32_e32 v29, v29, v52
	;; [unrolled: 1-line block ×4, first 2 shown]
	v_add_f32_e32 v11, v11, v27
	v_sub_f32_e32 v26, v51, v26
	v_add_f32_e32 v11, v26, v11
	v_add_f32_e32 v26, v28, v30
	;; [unrolled: 1-line block ×3, first 2 shown]
	v_sub_f32_e32 v27, v26, v28
	v_mul_f32_e32 v11, v50, v11
	v_sub_f32_e32 v27, v30, v27
	v_add_f32_e32 v11, v27, v11
	v_cvt_f32_i32_e32 v10, v10
	v_add_f32_e32 v27, v26, v11
	v_mul_f32_e32 v28, v27, v27
	v_mov_b32_e32 v29, 0x3ecc95a3
	v_fmac_f32_e32 v29, 0x3e9b6dac, v28
	v_mov_b32_e32 v30, 0x3f2aaada
	v_fmac_f32_e32 v30, v28, v29
	v_mul_f32_e32 v29, 0x3f317218, v10
	v_fma_f32 v50, v10, s6, -v29
	v_fmac_f32_e32 v50, 0xb102e308, v10
	v_sub_f32_e32 v10, v27, v26
	v_sub_f32_e32 v10, v11, v10
	v_add_f32_e32 v11, v29, v50
	v_sub_f32_e32 v26, v11, v29
	v_ldexp_f32 v29, v27, 1
	v_mul_f32_e32 v27, v27, v28
	v_mul_f32_e32 v27, v27, v30
	v_add_f32_e32 v28, v29, v27
	v_sub_f32_e32 v29, v28, v29
	v_ldexp_f32 v10, v10, 1
	v_sub_f32_e32 v27, v27, v29
	v_add_f32_e32 v10, v10, v27
	v_add_f32_e32 v27, v28, v10
	v_sub_f32_e32 v28, v27, v28
	v_sub_f32_e32 v10, v10, v28
	v_add_f32_e32 v28, v11, v27
	v_sub_f32_e32 v29, v28, v11
	v_sub_f32_e32 v30, v28, v29
	;; [unrolled: 1-line block ×5, first 2 shown]
	v_add_f32_e32 v11, v27, v11
	v_add_f32_e32 v27, v26, v10
	v_sub_f32_e32 v29, v27, v26
	v_sub_f32_e32 v30, v27, v29
	v_sub_f32_e32 v26, v26, v30
	v_sub_f32_e32 v10, v10, v29
	v_add_f32_e32 v11, v27, v11
	v_add_f32_e32 v10, v10, v26
	;; [unrolled: 1-line block ×3, first 2 shown]
	v_sub_f32_e32 v27, v26, v28
	v_sub_f32_e32 v11, v11, v27
	v_add_f32_e32 v10, v10, v11
	v_add_f32_e32 v10, v26, v10
	v_cmp_neq_f32_e32 vcc, s4, v25
	s_mov_b32 s4, 0x33800000
	v_cndmask_b32_e32 v10, v12, v10, vcc
	v_cmp_lt_f32_e64 vcc, |v25|, s4
	v_cndmask_b32_e32 v10, v10, v25, vcc
	v_add_f32_e32 v10, v9, v10
.LBB507_384:
	s_or_b64 exec, exec, s[2:3]
	v_bfe_u32 v9, v10, 16, 1
	v_add3_u32 v9, v10, v9, s5
	v_cmp_o_f32_e32 vcc, v10, v10
	v_cndmask_b32_sdwa v25, v5, v9, vcc dst_sel:DWORD dst_unused:UNUSED_PAD src0_sel:DWORD src1_sel:WORD_1
	v_lshlrev_b32_e32 v9, 16, v25
	v_max_f32_e32 v5, v9, v9
	v_min_f32_e32 v10, v5, v32
	v_cmp_u_f32_e32 vcc, v9, v9
	v_max_f32_e32 v5, v5, v32
	v_cndmask_b32_e32 v10, v10, v9, vcc
	v_cndmask_b32_e32 v5, v5, v9, vcc
	v_cndmask_b32_e64 v10, v10, v6, s[26:27]
	v_cndmask_b32_e64 v5, v5, v6, s[26:27]
	s_movk_i32 s4, 0x1f8
	v_cmp_neq_f32_e32 vcc, v10, v5
	v_cmp_class_f32_e64 s[2:3], v10, s4
	s_or_b64 s[6:7], vcc, s[2:3]
	s_and_saveexec_b64 s[2:3], s[6:7]
	s_cbranch_execz .LBB507_386
; %bb.385:
	v_sub_f32_e32 v6, v10, v5
	s_mov_b32 s5, 0x3fb8aa3b
	v_mul_f32_e32 v9, 0x3fb8aa3b, v6
	v_fma_f32 v10, v6, s5, -v9
	v_rndne_f32_e32 v11, v9
	v_fmac_f32_e32 v10, 0x32a5705f, v6
	v_sub_f32_e32 v9, v9, v11
	v_add_f32_e32 v9, v9, v10
	v_exp_f32_e32 v9, v9
	v_cvt_i32_f32_e32 v10, v11
	s_mov_b32 s5, 0xc2ce8ed0
	v_cmp_ngt_f32_e32 vcc, s5, v6
	s_mov_b32 s5, 0x42b17218
	v_ldexp_f32 v9, v9, v10
	v_cndmask_b32_e32 v9, 0, v9, vcc
	v_mov_b32_e32 v11, 0x7f800000
	v_cmp_nlt_f32_e32 vcc, s5, v6
	v_cndmask_b32_e32 v6, v11, v9, vcc
	v_add_f32_e32 v12, 1.0, v6
	v_cvt_f64_f32_e32 v[9:10], v12
	v_add_f32_e32 v26, -1.0, v12
	v_sub_f32_e32 v27, v26, v12
	v_sub_f32_e32 v26, v6, v26
	v_frexp_exp_i32_f64_e32 v9, v[9:10]
	v_add_f32_e32 v10, 1.0, v27
	v_add_f32_e32 v10, v26, v10
	v_frexp_mant_f32_e32 v26, v12
	s_mov_b32 s6, 0x3f2aaaab
	v_cmp_gt_f32_e32 vcc, s6, v26
	s_mov_b32 s6, 0x3f317218
	s_mov_b32 s5, 0x7f800000
	v_subbrev_co_u32_e32 v9, vcc, 0, v9, vcc
	v_sub_u32_e32 v26, 0, v9
	v_ldexp_f32 v12, v12, v26
	v_ldexp_f32 v10, v10, v26
	v_add_f32_e32 v26, -1.0, v12
	v_add_f32_e32 v29, 1.0, v12
	v_add_f32_e32 v27, 1.0, v26
	v_add_f32_e32 v30, -1.0, v29
	v_sub_f32_e32 v27, v12, v27
	v_sub_f32_e32 v12, v12, v30
	v_add_f32_e32 v27, v10, v27
	v_add_f32_e32 v10, v10, v12
	;; [unrolled: 1-line block ×3, first 2 shown]
	v_rcp_f32_e32 v30, v12
	v_add_f32_e32 v28, v26, v27
	v_sub_f32_e32 v26, v26, v28
	v_add_f32_e32 v26, v27, v26
	v_sub_f32_e32 v27, v29, v12
	v_add_f32_e32 v10, v10, v27
	v_mul_f32_e32 v27, v28, v30
	v_mul_f32_e32 v29, v12, v27
	v_fma_f32 v32, v27, v12, -v29
	v_fmac_f32_e32 v32, v27, v10
	v_add_f32_e32 v50, v29, v32
	v_sub_f32_e32 v51, v28, v50
	v_sub_f32_e32 v28, v28, v51
	;; [unrolled: 1-line block ×4, first 2 shown]
	v_add_f32_e32 v26, v26, v28
	v_sub_f32_e32 v28, v29, v32
	v_add_f32_e32 v26, v28, v26
	v_add_f32_e32 v28, v51, v26
	v_mul_f32_e32 v29, v30, v28
	v_mul_f32_e32 v32, v12, v29
	v_fma_f32 v12, v29, v12, -v32
	v_fmac_f32_e32 v12, v29, v10
	v_sub_f32_e32 v10, v51, v28
	v_add_f32_e32 v10, v26, v10
	v_add_f32_e32 v26, v32, v12
	v_sub_f32_e32 v50, v28, v26
	v_sub_f32_e32 v28, v28, v50
	;; [unrolled: 1-line block ×4, first 2 shown]
	v_add_f32_e32 v10, v10, v26
	v_sub_f32_e32 v12, v32, v12
	v_add_f32_e32 v10, v12, v10
	v_add_f32_e32 v12, v27, v29
	;; [unrolled: 1-line block ×3, first 2 shown]
	v_sub_f32_e32 v26, v12, v27
	v_mul_f32_e32 v10, v30, v10
	v_sub_f32_e32 v26, v29, v26
	v_add_f32_e32 v10, v26, v10
	v_cvt_f32_i32_e32 v9, v9
	v_add_f32_e32 v26, v12, v10
	v_mul_f32_e32 v27, v26, v26
	v_mov_b32_e32 v28, 0x3ecc95a3
	v_fmac_f32_e32 v28, 0x3e9b6dac, v27
	v_mov_b32_e32 v29, 0x3f2aaada
	v_fmac_f32_e32 v29, v27, v28
	v_mul_f32_e32 v28, 0x3f317218, v9
	v_fma_f32 v30, v9, s6, -v28
	v_fmac_f32_e32 v30, 0xb102e308, v9
	v_sub_f32_e32 v9, v26, v12
	v_sub_f32_e32 v9, v10, v9
	v_add_f32_e32 v10, v28, v30
	v_sub_f32_e32 v12, v10, v28
	v_ldexp_f32 v28, v26, 1
	v_mul_f32_e32 v26, v26, v27
	v_mul_f32_e32 v26, v26, v29
	v_add_f32_e32 v27, v28, v26
	v_sub_f32_e32 v28, v27, v28
	v_ldexp_f32 v9, v9, 1
	v_sub_f32_e32 v26, v26, v28
	v_add_f32_e32 v9, v9, v26
	v_add_f32_e32 v26, v27, v9
	v_sub_f32_e32 v27, v26, v27
	v_sub_f32_e32 v9, v9, v27
	v_add_f32_e32 v27, v10, v26
	v_sub_f32_e32 v28, v27, v10
	v_sub_f32_e32 v29, v27, v28
	;; [unrolled: 1-line block ×5, first 2 shown]
	v_add_f32_e32 v10, v26, v10
	v_add_f32_e32 v26, v12, v9
	v_sub_f32_e32 v28, v26, v12
	v_sub_f32_e32 v29, v26, v28
	;; [unrolled: 1-line block ×4, first 2 shown]
	v_add_f32_e32 v10, v26, v10
	v_add_f32_e32 v9, v9, v12
	;; [unrolled: 1-line block ×3, first 2 shown]
	v_sub_f32_e32 v26, v12, v27
	v_sub_f32_e32 v10, v10, v26
	v_add_f32_e32 v9, v9, v10
	v_add_f32_e32 v9, v12, v9
	v_cmp_neq_f32_e32 vcc, s5, v6
	s_mov_b32 s5, 0x33800000
	v_cndmask_b32_e32 v9, v11, v9, vcc
	v_cmp_lt_f32_e64 vcc, |v6|, s5
	v_cndmask_b32_e32 v6, v9, v6, vcc
	v_add_f32_e32 v9, v5, v6
.LBB507_386:
	s_or_b64 exec, exec, s[2:3]
	v_bfe_u32 v5, v9, 16, 1
	s_movk_i32 s5, 0x7fff
	v_add3_u32 v6, v9, v5, s5
	v_cmp_o_f32_e32 vcc, v9, v9
	v_mov_b32_e32 v5, 0x7fc0
	v_cndmask_b32_sdwa v26, v5, v6, vcc dst_sel:DWORD dst_unused:UNUSED_PAD src0_sel:DWORD src1_sel:WORD_1
	v_lshlrev_b32_e32 v9, 16, v26
	v_max_f32_e32 v6, v9, v9
	v_min_f32_e32 v10, v6, v33
	v_cmp_u_f32_e32 vcc, v9, v9
	v_max_f32_e32 v6, v6, v33
	v_cndmask_b32_e32 v10, v10, v9, vcc
	v_cndmask_b32_e32 v6, v6, v9, vcc
	v_cndmask_b32_e64 v10, v10, v31, s[28:29]
	v_cndmask_b32_e64 v6, v6, v31, s[28:29]
	v_cmp_neq_f32_e32 vcc, v10, v6
	v_cmp_class_f32_e64 s[2:3], v10, s4
	s_or_b64 s[6:7], vcc, s[2:3]
	s_and_saveexec_b64 s[2:3], s[6:7]
	s_cbranch_execz .LBB507_388
; %bb.387:
	v_sub_f32_e32 v9, v10, v6
	s_mov_b32 s4, 0x3fb8aa3b
	v_mul_f32_e32 v10, 0x3fb8aa3b, v9
	v_fma_f32 v11, v9, s4, -v10
	v_rndne_f32_e32 v12, v10
	v_fmac_f32_e32 v11, 0x32a5705f, v9
	v_sub_f32_e32 v10, v10, v12
	v_add_f32_e32 v10, v10, v11
	v_exp_f32_e32 v10, v10
	v_cvt_i32_f32_e32 v11, v12
	s_mov_b32 s4, 0xc2ce8ed0
	v_cmp_ngt_f32_e32 vcc, s4, v9
	s_mov_b32 s4, 0x42b17218
	v_ldexp_f32 v10, v10, v11
	v_cndmask_b32_e32 v10, 0, v10, vcc
	v_mov_b32_e32 v11, 0x7f800000
	v_cmp_nlt_f32_e32 vcc, s4, v9
	v_cndmask_b32_e32 v12, v11, v10, vcc
	v_add_f32_e32 v27, 1.0, v12
	v_cvt_f64_f32_e32 v[9:10], v27
	v_add_f32_e32 v28, -1.0, v27
	v_sub_f32_e32 v29, v28, v27
	v_sub_f32_e32 v28, v12, v28
	v_frexp_exp_i32_f64_e32 v9, v[9:10]
	v_add_f32_e32 v10, 1.0, v29
	v_add_f32_e32 v10, v28, v10
	v_frexp_mant_f32_e32 v28, v27
	s_mov_b32 s6, 0x3f2aaaab
	v_cmp_gt_f32_e32 vcc, s6, v28
	s_mov_b32 s6, 0x3f317218
	s_mov_b32 s4, 0x7f800000
	v_subbrev_co_u32_e32 v9, vcc, 0, v9, vcc
	v_sub_u32_e32 v28, 0, v9
	v_ldexp_f32 v27, v27, v28
	v_ldexp_f32 v10, v10, v28
	v_add_f32_e32 v28, -1.0, v27
	v_add_f32_e32 v31, 1.0, v27
	v_add_f32_e32 v29, 1.0, v28
	v_add_f32_e32 v32, -1.0, v31
	v_sub_f32_e32 v29, v27, v29
	v_sub_f32_e32 v27, v27, v32
	v_add_f32_e32 v29, v10, v29
	v_add_f32_e32 v10, v10, v27
	v_add_f32_e32 v27, v31, v10
	v_rcp_f32_e32 v32, v27
	v_add_f32_e32 v30, v28, v29
	v_sub_f32_e32 v28, v28, v30
	v_add_f32_e32 v28, v29, v28
	v_sub_f32_e32 v29, v31, v27
	v_add_f32_e32 v10, v10, v29
	v_mul_f32_e32 v29, v30, v32
	v_mul_f32_e32 v31, v27, v29
	v_fma_f32 v33, v29, v27, -v31
	v_fmac_f32_e32 v33, v29, v10
	v_add_f32_e32 v50, v31, v33
	v_sub_f32_e32 v51, v30, v50
	v_sub_f32_e32 v30, v30, v51
	;; [unrolled: 1-line block ×4, first 2 shown]
	v_add_f32_e32 v28, v28, v30
	v_sub_f32_e32 v30, v31, v33
	v_add_f32_e32 v28, v30, v28
	v_add_f32_e32 v30, v51, v28
	v_mul_f32_e32 v31, v32, v30
	v_mul_f32_e32 v33, v27, v31
	v_fma_f32 v27, v31, v27, -v33
	v_fmac_f32_e32 v27, v31, v10
	v_sub_f32_e32 v10, v51, v30
	v_add_f32_e32 v10, v28, v10
	v_add_f32_e32 v28, v33, v27
	v_sub_f32_e32 v50, v30, v28
	v_sub_f32_e32 v30, v30, v50
	;; [unrolled: 1-line block ×4, first 2 shown]
	v_add_f32_e32 v10, v10, v28
	v_sub_f32_e32 v27, v33, v27
	v_add_f32_e32 v10, v27, v10
	v_add_f32_e32 v27, v29, v31
	;; [unrolled: 1-line block ×3, first 2 shown]
	v_sub_f32_e32 v28, v27, v29
	v_mul_f32_e32 v10, v32, v10
	v_sub_f32_e32 v28, v31, v28
	v_add_f32_e32 v10, v28, v10
	v_cvt_f32_i32_e32 v9, v9
	v_add_f32_e32 v28, v27, v10
	v_mul_f32_e32 v29, v28, v28
	v_mov_b32_e32 v30, 0x3ecc95a3
	v_fmac_f32_e32 v30, 0x3e9b6dac, v29
	v_mov_b32_e32 v31, 0x3f2aaada
	v_fmac_f32_e32 v31, v29, v30
	v_mul_f32_e32 v30, 0x3f317218, v9
	v_fma_f32 v32, v9, s6, -v30
	v_fmac_f32_e32 v32, 0xb102e308, v9
	v_sub_f32_e32 v9, v28, v27
	v_sub_f32_e32 v9, v10, v9
	v_add_f32_e32 v10, v30, v32
	v_sub_f32_e32 v27, v10, v30
	v_ldexp_f32 v30, v28, 1
	v_mul_f32_e32 v28, v28, v29
	v_mul_f32_e32 v28, v28, v31
	v_add_f32_e32 v29, v30, v28
	v_sub_f32_e32 v30, v29, v30
	v_ldexp_f32 v9, v9, 1
	v_sub_f32_e32 v28, v28, v30
	v_add_f32_e32 v9, v9, v28
	v_add_f32_e32 v28, v29, v9
	v_sub_f32_e32 v29, v28, v29
	v_sub_f32_e32 v9, v9, v29
	v_add_f32_e32 v29, v10, v28
	v_sub_f32_e32 v30, v29, v10
	v_sub_f32_e32 v31, v29, v30
	;; [unrolled: 1-line block ×5, first 2 shown]
	v_add_f32_e32 v10, v28, v10
	v_add_f32_e32 v28, v27, v9
	v_sub_f32_e32 v30, v28, v27
	v_sub_f32_e32 v31, v28, v30
	;; [unrolled: 1-line block ×4, first 2 shown]
	v_add_f32_e32 v10, v28, v10
	v_add_f32_e32 v9, v9, v27
	;; [unrolled: 1-line block ×3, first 2 shown]
	v_sub_f32_e32 v28, v27, v29
	v_sub_f32_e32 v10, v10, v28
	v_add_f32_e32 v9, v9, v10
	v_add_f32_e32 v9, v27, v9
	v_cmp_neq_f32_e32 vcc, s4, v12
	s_mov_b32 s4, 0x33800000
	v_cndmask_b32_e32 v9, v11, v9, vcc
	v_cmp_lt_f32_e64 vcc, |v12|, s4
	v_cndmask_b32_e32 v9, v9, v12, vcc
	v_add_f32_e32 v9, v6, v9
.LBB507_388:
	s_or_b64 exec, exec, s[2:3]
	v_bfe_u32 v6, v9, 16, 1
	v_add3_u32 v6, v9, v6, s5
	v_cmp_o_f32_e32 vcc, v9, v9
	v_cndmask_b32_sdwa v27, v5, v6, vcc dst_sel:DWORD dst_unused:UNUSED_PAD src0_sel:DWORD src1_sel:WORD_1
	v_lshlrev_b32_e32 v6, 16, v27
	v_max_f32_e32 v5, v6, v6
	v_min_f32_e32 v9, v5, v35
	v_cmp_u_f32_e32 vcc, v6, v6
	v_max_f32_e32 v5, v5, v35
	v_cndmask_b32_e32 v9, v9, v6, vcc
	v_cndmask_b32_e32 v5, v5, v6, vcc
	v_cndmask_b32_e64 v9, v9, v7, s[30:31]
	v_cndmask_b32_e64 v5, v5, v7, s[30:31]
	s_movk_i32 s4, 0x1f8
	v_cmp_neq_f32_e32 vcc, v9, v5
	v_cmp_class_f32_e64 s[2:3], v9, s4
	s_or_b64 s[6:7], vcc, s[2:3]
	s_and_saveexec_b64 s[2:3], s[6:7]
	s_cbranch_execz .LBB507_390
; %bb.389:
	v_sub_f32_e32 v6, v9, v5
	s_mov_b32 s5, 0x3fb8aa3b
	v_mul_f32_e32 v7, 0x3fb8aa3b, v6
	v_fma_f32 v9, v6, s5, -v7
	v_rndne_f32_e32 v10, v7
	v_fmac_f32_e32 v9, 0x32a5705f, v6
	v_sub_f32_e32 v7, v7, v10
	v_add_f32_e32 v7, v7, v9
	v_exp_f32_e32 v7, v7
	v_cvt_i32_f32_e32 v9, v10
	s_mov_b32 s5, 0xc2ce8ed0
	v_cmp_ngt_f32_e32 vcc, s5, v6
	s_mov_b32 s5, 0x42b17218
	v_ldexp_f32 v7, v7, v9
	v_cndmask_b32_e32 v7, 0, v7, vcc
	v_mov_b32_e32 v9, 0x7f800000
	v_cmp_nlt_f32_e32 vcc, s5, v6
	v_cndmask_b32_e32 v10, v9, v7, vcc
	v_add_f32_e32 v11, 1.0, v10
	v_cvt_f64_f32_e32 v[6:7], v11
	v_add_f32_e32 v12, -1.0, v11
	v_sub_f32_e32 v28, v12, v11
	v_sub_f32_e32 v12, v10, v12
	v_frexp_exp_i32_f64_e32 v6, v[6:7]
	v_add_f32_e32 v7, 1.0, v28
	v_add_f32_e32 v7, v12, v7
	v_frexp_mant_f32_e32 v12, v11
	s_mov_b32 s6, 0x3f2aaaab
	v_cmp_gt_f32_e32 vcc, s6, v12
	s_mov_b32 s6, 0x3f317218
	s_mov_b32 s5, 0x7f800000
	v_subbrev_co_u32_e32 v6, vcc, 0, v6, vcc
	v_sub_u32_e32 v12, 0, v6
	v_ldexp_f32 v11, v11, v12
	v_ldexp_f32 v7, v7, v12
	v_add_f32_e32 v12, -1.0, v11
	v_add_f32_e32 v30, 1.0, v11
	v_add_f32_e32 v28, 1.0, v12
	v_add_f32_e32 v31, -1.0, v30
	v_sub_f32_e32 v28, v11, v28
	v_sub_f32_e32 v11, v11, v31
	v_add_f32_e32 v28, v7, v28
	v_add_f32_e32 v7, v7, v11
	;; [unrolled: 1-line block ×3, first 2 shown]
	v_rcp_f32_e32 v31, v11
	v_add_f32_e32 v29, v12, v28
	v_sub_f32_e32 v12, v12, v29
	v_add_f32_e32 v12, v28, v12
	v_sub_f32_e32 v28, v30, v11
	v_add_f32_e32 v7, v7, v28
	v_mul_f32_e32 v28, v29, v31
	v_mul_f32_e32 v30, v11, v28
	v_fma_f32 v32, v28, v11, -v30
	v_fmac_f32_e32 v32, v28, v7
	v_add_f32_e32 v33, v30, v32
	v_sub_f32_e32 v35, v29, v33
	v_sub_f32_e32 v29, v29, v35
	;; [unrolled: 1-line block ×4, first 2 shown]
	v_add_f32_e32 v12, v12, v29
	v_sub_f32_e32 v29, v30, v32
	v_add_f32_e32 v12, v29, v12
	v_add_f32_e32 v29, v35, v12
	v_mul_f32_e32 v30, v31, v29
	v_mul_f32_e32 v32, v11, v30
	v_fma_f32 v11, v30, v11, -v32
	v_fmac_f32_e32 v11, v30, v7
	v_sub_f32_e32 v7, v35, v29
	v_add_f32_e32 v7, v12, v7
	v_add_f32_e32 v12, v32, v11
	v_sub_f32_e32 v33, v29, v12
	v_sub_f32_e32 v29, v29, v33
	;; [unrolled: 1-line block ×4, first 2 shown]
	v_add_f32_e32 v7, v7, v12
	v_sub_f32_e32 v11, v32, v11
	v_add_f32_e32 v7, v11, v7
	v_add_f32_e32 v11, v28, v30
	;; [unrolled: 1-line block ×3, first 2 shown]
	v_sub_f32_e32 v12, v11, v28
	v_mul_f32_e32 v7, v31, v7
	v_sub_f32_e32 v12, v30, v12
	v_add_f32_e32 v7, v12, v7
	v_cvt_f32_i32_e32 v6, v6
	v_add_f32_e32 v12, v11, v7
	v_mul_f32_e32 v28, v12, v12
	v_mov_b32_e32 v29, 0x3ecc95a3
	v_fmac_f32_e32 v29, 0x3e9b6dac, v28
	v_mov_b32_e32 v30, 0x3f2aaada
	v_fmac_f32_e32 v30, v28, v29
	v_mul_f32_e32 v29, 0x3f317218, v6
	v_fma_f32 v31, v6, s6, -v29
	v_fmac_f32_e32 v31, 0xb102e308, v6
	v_sub_f32_e32 v6, v12, v11
	v_sub_f32_e32 v6, v7, v6
	v_add_f32_e32 v7, v29, v31
	v_sub_f32_e32 v11, v7, v29
	v_ldexp_f32 v29, v12, 1
	v_mul_f32_e32 v12, v12, v28
	v_mul_f32_e32 v12, v12, v30
	v_add_f32_e32 v28, v29, v12
	v_sub_f32_e32 v29, v28, v29
	v_ldexp_f32 v6, v6, 1
	v_sub_f32_e32 v12, v12, v29
	v_add_f32_e32 v6, v6, v12
	v_add_f32_e32 v12, v28, v6
	v_sub_f32_e32 v28, v12, v28
	v_sub_f32_e32 v6, v6, v28
	v_add_f32_e32 v28, v7, v12
	v_sub_f32_e32 v29, v28, v7
	v_sub_f32_e32 v30, v28, v29
	;; [unrolled: 1-line block ×5, first 2 shown]
	v_add_f32_e32 v7, v12, v7
	v_add_f32_e32 v12, v11, v6
	v_sub_f32_e32 v29, v12, v11
	v_sub_f32_e32 v30, v12, v29
	;; [unrolled: 1-line block ×4, first 2 shown]
	v_add_f32_e32 v7, v12, v7
	v_add_f32_e32 v6, v6, v11
	;; [unrolled: 1-line block ×3, first 2 shown]
	v_sub_f32_e32 v12, v11, v28
	v_sub_f32_e32 v7, v7, v12
	v_add_f32_e32 v6, v6, v7
	v_add_f32_e32 v6, v11, v6
	v_cmp_neq_f32_e32 vcc, s5, v10
	s_mov_b32 s5, 0x33800000
	v_cndmask_b32_e32 v6, v9, v6, vcc
	v_cmp_lt_f32_e64 vcc, |v10|, s5
	v_cndmask_b32_e32 v6, v6, v10, vcc
	v_add_f32_e32 v6, v5, v6
.LBB507_390:
	s_or_b64 exec, exec, s[2:3]
	v_bfe_u32 v5, v6, 16, 1
	s_movk_i32 s5, 0x7fff
	v_add3_u32 v7, v6, v5, s5
	v_cmp_o_f32_e32 vcc, v6, v6
	v_mov_b32_e32 v5, 0x7fc0
	v_cndmask_b32_sdwa v28, v5, v7, vcc dst_sel:DWORD dst_unused:UNUSED_PAD src0_sel:DWORD src1_sel:WORD_1
	v_lshlrev_b32_e32 v7, 16, v28
	v_max_f32_e32 v6, v7, v7
	v_min_f32_e32 v9, v6, v36
	v_cmp_u_f32_e32 vcc, v7, v7
	v_max_f32_e32 v6, v6, v36
	v_cndmask_b32_e32 v9, v9, v7, vcc
	v_cndmask_b32_e32 v6, v6, v7, vcc
	v_cndmask_b32_e64 v9, v9, v34, s[34:35]
	v_cndmask_b32_e64 v6, v6, v34, s[34:35]
	v_cmp_neq_f32_e32 vcc, v9, v6
	v_cmp_class_f32_e64 s[2:3], v9, s4
	s_or_b64 s[6:7], vcc, s[2:3]
	s_and_saveexec_b64 s[2:3], s[6:7]
	s_cbranch_execz .LBB507_392
; %bb.391:
	v_sub_f32_e32 v7, v9, v6
	s_mov_b32 s4, 0x3fb8aa3b
	v_mul_f32_e32 v9, 0x3fb8aa3b, v7
	v_fma_f32 v10, v7, s4, -v9
	v_rndne_f32_e32 v11, v9
	v_fmac_f32_e32 v10, 0x32a5705f, v7
	v_sub_f32_e32 v9, v9, v11
	v_add_f32_e32 v9, v9, v10
	v_exp_f32_e32 v9, v9
	v_cvt_i32_f32_e32 v10, v11
	s_mov_b32 s4, 0xc2ce8ed0
	v_cmp_ngt_f32_e32 vcc, s4, v7
	s_mov_b32 s4, 0x42b17218
	v_ldexp_f32 v9, v9, v10
	v_cndmask_b32_e32 v9, 0, v9, vcc
	v_mov_b32_e32 v11, 0x7f800000
	v_cmp_nlt_f32_e32 vcc, s4, v7
	v_cndmask_b32_e32 v7, v11, v9, vcc
	v_add_f32_e32 v12, 1.0, v7
	v_cvt_f64_f32_e32 v[9:10], v12
	v_add_f32_e32 v29, -1.0, v12
	v_sub_f32_e32 v30, v29, v12
	v_sub_f32_e32 v29, v7, v29
	v_frexp_exp_i32_f64_e32 v9, v[9:10]
	v_add_f32_e32 v10, 1.0, v30
	v_add_f32_e32 v10, v29, v10
	v_frexp_mant_f32_e32 v29, v12
	s_mov_b32 s6, 0x3f2aaaab
	v_cmp_gt_f32_e32 vcc, s6, v29
	s_mov_b32 s6, 0x3f317218
	s_mov_b32 s4, 0x7f800000
	v_subbrev_co_u32_e32 v9, vcc, 0, v9, vcc
	v_sub_u32_e32 v29, 0, v9
	v_ldexp_f32 v12, v12, v29
	v_ldexp_f32 v10, v10, v29
	v_add_f32_e32 v29, -1.0, v12
	v_add_f32_e32 v32, 1.0, v12
	v_add_f32_e32 v30, 1.0, v29
	v_add_f32_e32 v33, -1.0, v32
	v_sub_f32_e32 v30, v12, v30
	v_sub_f32_e32 v12, v12, v33
	v_add_f32_e32 v30, v10, v30
	v_add_f32_e32 v10, v10, v12
	;; [unrolled: 1-line block ×3, first 2 shown]
	v_rcp_f32_e32 v33, v12
	v_add_f32_e32 v31, v29, v30
	v_sub_f32_e32 v29, v29, v31
	v_add_f32_e32 v29, v30, v29
	v_sub_f32_e32 v30, v32, v12
	v_add_f32_e32 v10, v10, v30
	v_mul_f32_e32 v30, v31, v33
	v_mul_f32_e32 v32, v12, v30
	v_fma_f32 v34, v30, v12, -v32
	v_fmac_f32_e32 v34, v30, v10
	v_add_f32_e32 v35, v32, v34
	v_sub_f32_e32 v36, v31, v35
	v_sub_f32_e32 v31, v31, v36
	;; [unrolled: 1-line block ×4, first 2 shown]
	v_add_f32_e32 v29, v29, v31
	v_sub_f32_e32 v31, v32, v34
	v_add_f32_e32 v29, v31, v29
	v_add_f32_e32 v31, v36, v29
	v_mul_f32_e32 v32, v33, v31
	v_mul_f32_e32 v34, v12, v32
	v_fma_f32 v12, v32, v12, -v34
	v_fmac_f32_e32 v12, v32, v10
	v_sub_f32_e32 v10, v36, v31
	v_add_f32_e32 v10, v29, v10
	v_add_f32_e32 v29, v34, v12
	v_sub_f32_e32 v35, v31, v29
	v_sub_f32_e32 v31, v31, v35
	;; [unrolled: 1-line block ×4, first 2 shown]
	v_add_f32_e32 v10, v10, v29
	v_sub_f32_e32 v12, v34, v12
	v_add_f32_e32 v10, v12, v10
	v_add_f32_e32 v12, v30, v32
	;; [unrolled: 1-line block ×3, first 2 shown]
	v_sub_f32_e32 v29, v12, v30
	v_mul_f32_e32 v10, v33, v10
	v_sub_f32_e32 v29, v32, v29
	v_add_f32_e32 v10, v29, v10
	v_cvt_f32_i32_e32 v9, v9
	v_add_f32_e32 v29, v12, v10
	v_mul_f32_e32 v30, v29, v29
	v_mov_b32_e32 v31, 0x3ecc95a3
	v_fmac_f32_e32 v31, 0x3e9b6dac, v30
	v_mov_b32_e32 v32, 0x3f2aaada
	v_fmac_f32_e32 v32, v30, v31
	v_mul_f32_e32 v31, 0x3f317218, v9
	v_fma_f32 v33, v9, s6, -v31
	v_fmac_f32_e32 v33, 0xb102e308, v9
	v_sub_f32_e32 v9, v29, v12
	v_sub_f32_e32 v9, v10, v9
	v_add_f32_e32 v10, v31, v33
	v_sub_f32_e32 v12, v10, v31
	v_ldexp_f32 v31, v29, 1
	v_mul_f32_e32 v29, v29, v30
	v_mul_f32_e32 v29, v29, v32
	v_add_f32_e32 v30, v31, v29
	v_sub_f32_e32 v31, v30, v31
	v_ldexp_f32 v9, v9, 1
	v_sub_f32_e32 v29, v29, v31
	v_add_f32_e32 v9, v9, v29
	v_add_f32_e32 v29, v30, v9
	v_sub_f32_e32 v30, v29, v30
	v_sub_f32_e32 v9, v9, v30
	v_add_f32_e32 v30, v10, v29
	v_sub_f32_e32 v31, v30, v10
	v_sub_f32_e32 v32, v30, v31
	;; [unrolled: 1-line block ×5, first 2 shown]
	v_add_f32_e32 v10, v29, v10
	v_add_f32_e32 v29, v12, v9
	v_sub_f32_e32 v31, v29, v12
	v_sub_f32_e32 v32, v29, v31
	;; [unrolled: 1-line block ×4, first 2 shown]
	v_add_f32_e32 v10, v29, v10
	v_add_f32_e32 v9, v9, v12
	;; [unrolled: 1-line block ×3, first 2 shown]
	v_sub_f32_e32 v29, v12, v30
	v_sub_f32_e32 v10, v10, v29
	v_add_f32_e32 v9, v9, v10
	v_add_f32_e32 v9, v12, v9
	v_cmp_neq_f32_e32 vcc, s4, v7
	s_mov_b32 s4, 0x33800000
	v_cndmask_b32_e32 v9, v11, v9, vcc
	v_cmp_lt_f32_e64 vcc, |v7|, s4
	v_cndmask_b32_e32 v7, v9, v7, vcc
	v_add_f32_e32 v7, v6, v7
.LBB507_392:
	s_or_b64 exec, exec, s[2:3]
	v_bfe_u32 v6, v7, 16, 1
	v_add3_u32 v6, v7, v6, s5
	v_cmp_o_f32_e32 vcc, v7, v7
	v_cndmask_b32_sdwa v29, v5, v6, vcc dst_sel:DWORD dst_unused:UNUSED_PAD src0_sel:DWORD src1_sel:WORD_1
	v_lshlrev_b32_e32 v6, 16, v29
	v_max_f32_e32 v5, v6, v6
	v_min_f32_e32 v7, v5, v38
	v_cmp_u_f32_e32 vcc, v6, v6
	v_max_f32_e32 v5, v5, v38
	v_cndmask_b32_e32 v7, v7, v6, vcc
	v_cndmask_b32_e32 v5, v5, v6, vcc
	v_cndmask_b32_e64 v7, v7, v8, s[36:37]
	v_cndmask_b32_e64 v5, v5, v8, s[36:37]
	s_movk_i32 s4, 0x1f8
	v_cmp_neq_f32_e32 vcc, v7, v5
	v_cmp_class_f32_e64 s[2:3], v7, s4
	s_or_b64 s[6:7], vcc, s[2:3]
	s_and_saveexec_b64 s[2:3], s[6:7]
	s_cbranch_execz .LBB507_394
; %bb.393:
	v_sub_f32_e32 v6, v7, v5
	s_mov_b32 s5, 0x3fb8aa3b
	v_mul_f32_e32 v7, 0x3fb8aa3b, v6
	v_fma_f32 v8, v6, s5, -v7
	v_rndne_f32_e32 v9, v7
	v_fmac_f32_e32 v8, 0x32a5705f, v6
	v_sub_f32_e32 v7, v7, v9
	v_add_f32_e32 v7, v7, v8
	v_exp_f32_e32 v7, v7
	v_cvt_i32_f32_e32 v8, v9
	s_mov_b32 s5, 0xc2ce8ed0
	v_cmp_ngt_f32_e32 vcc, s5, v6
	s_mov_b32 s5, 0x42b17218
	v_ldexp_f32 v7, v7, v8
	v_cndmask_b32_e32 v7, 0, v7, vcc
	v_mov_b32_e32 v8, 0x7f800000
	v_cmp_nlt_f32_e32 vcc, s5, v6
	v_cndmask_b32_e32 v9, v8, v7, vcc
	v_add_f32_e32 v10, 1.0, v9
	v_cvt_f64_f32_e32 v[6:7], v10
	v_add_f32_e32 v11, -1.0, v10
	v_sub_f32_e32 v12, v11, v10
	v_sub_f32_e32 v11, v9, v11
	v_frexp_exp_i32_f64_e32 v6, v[6:7]
	v_add_f32_e32 v7, 1.0, v12
	v_add_f32_e32 v7, v11, v7
	v_frexp_mant_f32_e32 v11, v10
	s_mov_b32 s6, 0x3f2aaaab
	v_cmp_gt_f32_e32 vcc, s6, v11
	s_mov_b32 s6, 0x3f317218
	s_mov_b32 s5, 0x7f800000
	v_subbrev_co_u32_e32 v6, vcc, 0, v6, vcc
	v_sub_u32_e32 v11, 0, v6
	v_ldexp_f32 v10, v10, v11
	v_ldexp_f32 v7, v7, v11
	v_add_f32_e32 v11, -1.0, v10
	v_add_f32_e32 v31, 1.0, v10
	v_add_f32_e32 v12, 1.0, v11
	v_add_f32_e32 v32, -1.0, v31
	v_sub_f32_e32 v12, v10, v12
	v_sub_f32_e32 v10, v10, v32
	v_add_f32_e32 v12, v7, v12
	v_add_f32_e32 v7, v7, v10
	;; [unrolled: 1-line block ×3, first 2 shown]
	v_rcp_f32_e32 v32, v10
	v_add_f32_e32 v30, v11, v12
	v_sub_f32_e32 v11, v11, v30
	v_add_f32_e32 v11, v12, v11
	v_sub_f32_e32 v12, v31, v10
	v_add_f32_e32 v7, v7, v12
	v_mul_f32_e32 v12, v30, v32
	v_mul_f32_e32 v31, v10, v12
	v_fma_f32 v33, v12, v10, -v31
	v_fmac_f32_e32 v33, v12, v7
	v_add_f32_e32 v34, v31, v33
	v_sub_f32_e32 v35, v30, v34
	v_sub_f32_e32 v30, v30, v35
	;; [unrolled: 1-line block ×4, first 2 shown]
	v_add_f32_e32 v11, v11, v30
	v_sub_f32_e32 v30, v31, v33
	v_add_f32_e32 v11, v30, v11
	v_add_f32_e32 v30, v35, v11
	v_mul_f32_e32 v31, v32, v30
	v_mul_f32_e32 v33, v10, v31
	v_fma_f32 v10, v31, v10, -v33
	v_fmac_f32_e32 v10, v31, v7
	v_sub_f32_e32 v7, v35, v30
	v_add_f32_e32 v7, v11, v7
	v_add_f32_e32 v11, v33, v10
	v_sub_f32_e32 v34, v30, v11
	v_sub_f32_e32 v30, v30, v34
	;; [unrolled: 1-line block ×4, first 2 shown]
	v_add_f32_e32 v7, v7, v11
	v_sub_f32_e32 v10, v33, v10
	v_add_f32_e32 v7, v10, v7
	v_add_f32_e32 v10, v12, v31
	;; [unrolled: 1-line block ×3, first 2 shown]
	v_sub_f32_e32 v11, v10, v12
	v_mul_f32_e32 v7, v32, v7
	v_sub_f32_e32 v11, v31, v11
	v_add_f32_e32 v7, v11, v7
	v_cvt_f32_i32_e32 v6, v6
	v_add_f32_e32 v11, v10, v7
	v_mul_f32_e32 v12, v11, v11
	v_mov_b32_e32 v30, 0x3ecc95a3
	v_fmac_f32_e32 v30, 0x3e9b6dac, v12
	v_mov_b32_e32 v31, 0x3f2aaada
	v_fmac_f32_e32 v31, v12, v30
	v_mul_f32_e32 v30, 0x3f317218, v6
	v_fma_f32 v32, v6, s6, -v30
	v_fmac_f32_e32 v32, 0xb102e308, v6
	v_sub_f32_e32 v6, v11, v10
	v_sub_f32_e32 v6, v7, v6
	v_add_f32_e32 v7, v30, v32
	v_sub_f32_e32 v10, v7, v30
	v_ldexp_f32 v30, v11, 1
	v_mul_f32_e32 v11, v11, v12
	v_mul_f32_e32 v11, v11, v31
	v_add_f32_e32 v12, v30, v11
	v_sub_f32_e32 v30, v12, v30
	v_ldexp_f32 v6, v6, 1
	v_sub_f32_e32 v11, v11, v30
	v_add_f32_e32 v6, v6, v11
	v_add_f32_e32 v11, v12, v6
	v_sub_f32_e32 v12, v11, v12
	v_sub_f32_e32 v6, v6, v12
	v_add_f32_e32 v12, v7, v11
	v_sub_f32_e32 v30, v12, v7
	v_sub_f32_e32 v31, v12, v30
	;; [unrolled: 1-line block ×5, first 2 shown]
	v_add_f32_e32 v7, v11, v7
	v_add_f32_e32 v11, v10, v6
	v_sub_f32_e32 v30, v11, v10
	v_sub_f32_e32 v31, v11, v30
	;; [unrolled: 1-line block ×4, first 2 shown]
	v_add_f32_e32 v7, v11, v7
	v_add_f32_e32 v6, v6, v10
	;; [unrolled: 1-line block ×3, first 2 shown]
	v_sub_f32_e32 v11, v10, v12
	v_sub_f32_e32 v7, v7, v11
	v_add_f32_e32 v6, v6, v7
	v_add_f32_e32 v6, v10, v6
	v_cmp_neq_f32_e32 vcc, s5, v9
	s_mov_b32 s5, 0x33800000
	v_cndmask_b32_e32 v6, v8, v6, vcc
	v_cmp_lt_f32_e64 vcc, |v9|, s5
	v_cndmask_b32_e32 v6, v6, v9, vcc
	v_add_f32_e32 v6, v5, v6
.LBB507_394:
	s_or_b64 exec, exec, s[2:3]
	v_bfe_u32 v5, v6, 16, 1
	s_movk_i32 s5, 0x7fff
	v_add3_u32 v7, v6, v5, s5
	v_cmp_o_f32_e32 vcc, v6, v6
	v_mov_b32_e32 v5, 0x7fc0
	v_cndmask_b32_sdwa v30, v5, v7, vcc dst_sel:DWORD dst_unused:UNUSED_PAD src0_sel:DWORD src1_sel:WORD_1
	v_lshlrev_b32_e32 v7, 16, v30
	v_max_f32_e32 v6, v7, v7
	v_min_f32_e32 v8, v6, v39
	v_cmp_u_f32_e32 vcc, v7, v7
	v_max_f32_e32 v6, v6, v39
	v_cndmask_b32_e32 v8, v8, v7, vcc
	v_cndmask_b32_e32 v6, v6, v7, vcc
	v_cndmask_b32_e64 v8, v8, v37, s[38:39]
	v_cndmask_b32_e64 v6, v6, v37, s[38:39]
	v_cmp_neq_f32_e32 vcc, v8, v6
	v_cmp_class_f32_e64 s[2:3], v8, s4
	s_or_b64 s[6:7], vcc, s[2:3]
	s_and_saveexec_b64 s[2:3], s[6:7]
	s_cbranch_execz .LBB507_396
; %bb.395:
	v_sub_f32_e32 v7, v8, v6
	s_mov_b32 s4, 0x3fb8aa3b
	v_mul_f32_e32 v8, 0x3fb8aa3b, v7
	v_fma_f32 v9, v7, s4, -v8
	v_rndne_f32_e32 v10, v8
	v_fmac_f32_e32 v9, 0x32a5705f, v7
	v_sub_f32_e32 v8, v8, v10
	v_add_f32_e32 v8, v8, v9
	v_exp_f32_e32 v8, v8
	v_cvt_i32_f32_e32 v9, v10
	s_mov_b32 s4, 0xc2ce8ed0
	v_cmp_ngt_f32_e32 vcc, s4, v7
	s_mov_b32 s4, 0x42b17218
	v_ldexp_f32 v8, v8, v9
	v_cndmask_b32_e32 v8, 0, v8, vcc
	v_mov_b32_e32 v9, 0x7f800000
	v_cmp_nlt_f32_e32 vcc, s4, v7
	v_cndmask_b32_e32 v10, v9, v8, vcc
	v_add_f32_e32 v11, 1.0, v10
	v_cvt_f64_f32_e32 v[7:8], v11
	v_add_f32_e32 v12, -1.0, v11
	v_sub_f32_e32 v31, v12, v11
	v_sub_f32_e32 v12, v10, v12
	v_frexp_exp_i32_f64_e32 v7, v[7:8]
	v_add_f32_e32 v8, 1.0, v31
	v_add_f32_e32 v8, v12, v8
	v_frexp_mant_f32_e32 v12, v11
	s_mov_b32 s6, 0x3f2aaaab
	v_cmp_gt_f32_e32 vcc, s6, v12
	s_mov_b32 s6, 0x3f317218
	s_mov_b32 s4, 0x7f800000
	v_subbrev_co_u32_e32 v7, vcc, 0, v7, vcc
	v_sub_u32_e32 v12, 0, v7
	v_ldexp_f32 v11, v11, v12
	v_ldexp_f32 v8, v8, v12
	v_add_f32_e32 v12, -1.0, v11
	v_add_f32_e32 v33, 1.0, v11
	v_add_f32_e32 v31, 1.0, v12
	v_add_f32_e32 v34, -1.0, v33
	v_sub_f32_e32 v31, v11, v31
	v_sub_f32_e32 v11, v11, v34
	v_add_f32_e32 v31, v8, v31
	v_add_f32_e32 v8, v8, v11
	;; [unrolled: 1-line block ×3, first 2 shown]
	v_rcp_f32_e32 v34, v11
	v_add_f32_e32 v32, v12, v31
	v_sub_f32_e32 v12, v12, v32
	v_add_f32_e32 v12, v31, v12
	v_sub_f32_e32 v31, v33, v11
	v_add_f32_e32 v8, v8, v31
	v_mul_f32_e32 v31, v32, v34
	v_mul_f32_e32 v33, v11, v31
	v_fma_f32 v35, v31, v11, -v33
	v_fmac_f32_e32 v35, v31, v8
	v_add_f32_e32 v36, v33, v35
	v_sub_f32_e32 v37, v32, v36
	v_sub_f32_e32 v32, v32, v37
	;; [unrolled: 1-line block ×4, first 2 shown]
	v_add_f32_e32 v12, v12, v32
	v_sub_f32_e32 v32, v33, v35
	v_add_f32_e32 v12, v32, v12
	v_add_f32_e32 v32, v37, v12
	v_mul_f32_e32 v33, v34, v32
	v_mul_f32_e32 v35, v11, v33
	v_fma_f32 v11, v33, v11, -v35
	v_fmac_f32_e32 v11, v33, v8
	v_sub_f32_e32 v8, v37, v32
	v_add_f32_e32 v8, v12, v8
	v_add_f32_e32 v12, v35, v11
	v_sub_f32_e32 v36, v32, v12
	v_sub_f32_e32 v32, v32, v36
	;; [unrolled: 1-line block ×4, first 2 shown]
	v_add_f32_e32 v8, v8, v12
	v_sub_f32_e32 v11, v35, v11
	v_add_f32_e32 v8, v11, v8
	v_add_f32_e32 v11, v31, v33
	v_add_f32_e32 v8, v36, v8
	v_sub_f32_e32 v12, v11, v31
	v_mul_f32_e32 v8, v34, v8
	v_sub_f32_e32 v12, v33, v12
	v_add_f32_e32 v8, v12, v8
	v_cvt_f32_i32_e32 v7, v7
	v_add_f32_e32 v12, v11, v8
	v_mul_f32_e32 v31, v12, v12
	v_mov_b32_e32 v32, 0x3ecc95a3
	v_fmac_f32_e32 v32, 0x3e9b6dac, v31
	v_mov_b32_e32 v33, 0x3f2aaada
	v_fmac_f32_e32 v33, v31, v32
	v_mul_f32_e32 v32, 0x3f317218, v7
	v_fma_f32 v34, v7, s6, -v32
	v_fmac_f32_e32 v34, 0xb102e308, v7
	v_sub_f32_e32 v7, v12, v11
	v_sub_f32_e32 v7, v8, v7
	v_add_f32_e32 v8, v32, v34
	v_sub_f32_e32 v11, v8, v32
	v_ldexp_f32 v32, v12, 1
	v_mul_f32_e32 v12, v12, v31
	v_mul_f32_e32 v12, v12, v33
	v_add_f32_e32 v31, v32, v12
	v_sub_f32_e32 v32, v31, v32
	v_ldexp_f32 v7, v7, 1
	v_sub_f32_e32 v12, v12, v32
	v_add_f32_e32 v7, v7, v12
	v_add_f32_e32 v12, v31, v7
	v_sub_f32_e32 v31, v12, v31
	v_sub_f32_e32 v7, v7, v31
	v_add_f32_e32 v31, v8, v12
	v_sub_f32_e32 v32, v31, v8
	v_sub_f32_e32 v33, v31, v32
	;; [unrolled: 1-line block ×5, first 2 shown]
	v_add_f32_e32 v8, v12, v8
	v_add_f32_e32 v12, v11, v7
	v_sub_f32_e32 v32, v12, v11
	v_sub_f32_e32 v33, v12, v32
	v_sub_f32_e32 v11, v11, v33
	v_sub_f32_e32 v7, v7, v32
	v_add_f32_e32 v8, v12, v8
	v_add_f32_e32 v7, v7, v11
	;; [unrolled: 1-line block ×3, first 2 shown]
	v_sub_f32_e32 v12, v11, v31
	v_sub_f32_e32 v8, v8, v12
	v_add_f32_e32 v7, v7, v8
	v_add_f32_e32 v7, v11, v7
	v_cmp_neq_f32_e32 vcc, s4, v10
	s_mov_b32 s4, 0x33800000
	v_cndmask_b32_e32 v7, v9, v7, vcc
	v_cmp_lt_f32_e64 vcc, |v10|, s4
	v_cndmask_b32_e32 v7, v7, v10, vcc
	v_add_f32_e32 v7, v6, v7
.LBB507_396:
	s_or_b64 exec, exec, s[2:3]
	v_bfe_u32 v6, v7, 16, 1
	v_add3_u32 v6, v7, v6, s5
	v_cmp_o_f32_e32 vcc, v7, v7
	v_cndmask_b32_sdwa v31, v5, v6, vcc dst_sel:DWORD dst_unused:UNUSED_PAD src0_sel:DWORD src1_sel:WORD_1
	v_lshlrev_b32_e32 v5, 16, v31
	v_max_f32_e32 v7, v5, v5
	v_min_f32_e32 v6, v7, v41
	v_cmp_u_f32_e32 vcc, v5, v5
	v_max_f32_e32 v7, v7, v41
	v_cndmask_b32_e32 v6, v6, v5, vcc
	v_cndmask_b32_e32 v7, v7, v5, vcc
	v_cndmask_b32_e64 v6, v6, v1, s[40:41]
	v_cndmask_b32_e64 v1, v7, v1, s[40:41]
	s_movk_i32 s4, 0x1f8
	v_cmp_neq_f32_e32 vcc, v6, v1
	v_cmp_class_f32_e64 s[2:3], v6, s4
	s_or_b64 s[6:7], vcc, s[2:3]
	s_and_saveexec_b64 s[2:3], s[6:7]
	s_cbranch_execz .LBB507_398
; %bb.397:
	v_sub_f32_e32 v5, v6, v1
	s_mov_b32 s5, 0x3fb8aa3b
	v_mul_f32_e32 v6, 0x3fb8aa3b, v5
	v_fma_f32 v7, v5, s5, -v6
	v_rndne_f32_e32 v8, v6
	v_fmac_f32_e32 v7, 0x32a5705f, v5
	v_sub_f32_e32 v6, v6, v8
	v_add_f32_e32 v6, v6, v7
	v_exp_f32_e32 v6, v6
	v_cvt_i32_f32_e32 v7, v8
	s_mov_b32 s5, 0xc2ce8ed0
	v_cmp_ngt_f32_e32 vcc, s5, v5
	s_mov_b32 s5, 0x42b17218
	v_ldexp_f32 v6, v6, v7
	v_cndmask_b32_e32 v6, 0, v6, vcc
	v_mov_b32_e32 v7, 0x7f800000
	v_cmp_nlt_f32_e32 vcc, s5, v5
	v_cndmask_b32_e32 v8, v7, v6, vcc
	v_add_f32_e32 v9, 1.0, v8
	v_cvt_f64_f32_e32 v[5:6], v9
	v_add_f32_e32 v10, -1.0, v9
	v_sub_f32_e32 v11, v10, v9
	v_sub_f32_e32 v10, v8, v10
	v_frexp_exp_i32_f64_e32 v5, v[5:6]
	v_add_f32_e32 v6, 1.0, v11
	v_add_f32_e32 v6, v10, v6
	v_frexp_mant_f32_e32 v10, v9
	s_mov_b32 s6, 0x3f2aaaab
	v_cmp_gt_f32_e32 vcc, s6, v10
	s_mov_b32 s6, 0x3f317218
	s_mov_b32 s5, 0x7f800000
	v_subbrev_co_u32_e32 v5, vcc, 0, v5, vcc
	v_sub_u32_e32 v10, 0, v5
	v_ldexp_f32 v9, v9, v10
	v_ldexp_f32 v6, v6, v10
	v_add_f32_e32 v10, -1.0, v9
	v_add_f32_e32 v32, 1.0, v9
	v_add_f32_e32 v11, 1.0, v10
	v_add_f32_e32 v33, -1.0, v32
	v_sub_f32_e32 v11, v9, v11
	v_sub_f32_e32 v9, v9, v33
	v_add_f32_e32 v11, v6, v11
	v_add_f32_e32 v6, v6, v9
	;; [unrolled: 1-line block ×3, first 2 shown]
	v_rcp_f32_e32 v33, v9
	v_add_f32_e32 v12, v10, v11
	v_sub_f32_e32 v10, v10, v12
	v_add_f32_e32 v10, v11, v10
	v_sub_f32_e32 v11, v32, v9
	v_add_f32_e32 v6, v6, v11
	v_mul_f32_e32 v11, v12, v33
	v_mul_f32_e32 v32, v9, v11
	v_fma_f32 v34, v11, v9, -v32
	v_fmac_f32_e32 v34, v11, v6
	v_add_f32_e32 v35, v32, v34
	v_sub_f32_e32 v36, v12, v35
	v_sub_f32_e32 v12, v12, v36
	;; [unrolled: 1-line block ×4, first 2 shown]
	v_add_f32_e32 v10, v10, v12
	v_sub_f32_e32 v12, v32, v34
	v_add_f32_e32 v10, v12, v10
	v_add_f32_e32 v12, v36, v10
	v_mul_f32_e32 v32, v33, v12
	v_mul_f32_e32 v34, v9, v32
	v_fma_f32 v9, v32, v9, -v34
	v_fmac_f32_e32 v9, v32, v6
	v_sub_f32_e32 v6, v36, v12
	v_add_f32_e32 v6, v10, v6
	v_add_f32_e32 v10, v34, v9
	v_sub_f32_e32 v35, v12, v10
	v_sub_f32_e32 v12, v12, v35
	;; [unrolled: 1-line block ×4, first 2 shown]
	v_add_f32_e32 v6, v6, v10
	v_sub_f32_e32 v9, v34, v9
	v_add_f32_e32 v6, v9, v6
	v_add_f32_e32 v9, v11, v32
	;; [unrolled: 1-line block ×3, first 2 shown]
	v_sub_f32_e32 v10, v9, v11
	v_mul_f32_e32 v6, v33, v6
	v_sub_f32_e32 v10, v32, v10
	v_add_f32_e32 v6, v10, v6
	v_cvt_f32_i32_e32 v5, v5
	v_add_f32_e32 v10, v9, v6
	v_mul_f32_e32 v11, v10, v10
	v_mov_b32_e32 v12, 0x3ecc95a3
	v_fmac_f32_e32 v12, 0x3e9b6dac, v11
	v_mov_b32_e32 v32, 0x3f2aaada
	v_fmac_f32_e32 v32, v11, v12
	v_mul_f32_e32 v12, 0x3f317218, v5
	v_fma_f32 v33, v5, s6, -v12
	v_fmac_f32_e32 v33, 0xb102e308, v5
	v_sub_f32_e32 v5, v10, v9
	v_sub_f32_e32 v5, v6, v5
	v_add_f32_e32 v6, v12, v33
	v_sub_f32_e32 v9, v6, v12
	v_ldexp_f32 v12, v10, 1
	v_mul_f32_e32 v10, v10, v11
	v_mul_f32_e32 v10, v10, v32
	v_add_f32_e32 v11, v12, v10
	v_sub_f32_e32 v12, v11, v12
	v_ldexp_f32 v5, v5, 1
	v_sub_f32_e32 v10, v10, v12
	v_add_f32_e32 v5, v5, v10
	v_add_f32_e32 v10, v11, v5
	v_sub_f32_e32 v11, v10, v11
	v_sub_f32_e32 v5, v5, v11
	v_add_f32_e32 v11, v6, v10
	v_sub_f32_e32 v12, v11, v6
	v_sub_f32_e32 v32, v11, v12
	v_sub_f32_e32 v9, v33, v9
	v_sub_f32_e32 v6, v6, v32
	v_sub_f32_e32 v10, v10, v12
	v_add_f32_e32 v6, v10, v6
	v_add_f32_e32 v10, v9, v5
	v_sub_f32_e32 v12, v10, v9
	v_sub_f32_e32 v32, v10, v12
	;; [unrolled: 1-line block ×4, first 2 shown]
	v_add_f32_e32 v6, v10, v6
	v_add_f32_e32 v5, v5, v9
	;; [unrolled: 1-line block ×3, first 2 shown]
	v_sub_f32_e32 v10, v9, v11
	v_sub_f32_e32 v6, v6, v10
	v_add_f32_e32 v5, v5, v6
	v_add_f32_e32 v5, v9, v5
	v_cmp_neq_f32_e32 vcc, s5, v8
	s_mov_b32 s5, 0x33800000
	v_cndmask_b32_e32 v5, v7, v5, vcc
	v_cmp_lt_f32_e64 vcc, |v8|, s5
	v_cndmask_b32_e32 v5, v5, v8, vcc
	v_add_f32_e32 v5, v1, v5
.LBB507_398:
	s_or_b64 exec, exec, s[2:3]
	v_bfe_u32 v1, v5, 16, 1
	s_movk_i32 s5, 0x7fff
	v_add3_u32 v6, v5, v1, s5
	v_cmp_o_f32_e32 vcc, v5, v5
	v_mov_b32_e32 v1, 0x7fc0
	v_cndmask_b32_sdwa v32, v1, v6, vcc dst_sel:DWORD dst_unused:UNUSED_PAD src0_sel:DWORD src1_sel:WORD_1
	v_lshlrev_b32_e32 v6, 16, v32
	v_max_f32_e32 v5, v6, v6
	v_min_f32_e32 v7, v5, v42
	v_cmp_u_f32_e32 vcc, v6, v6
	v_max_f32_e32 v5, v5, v42
	v_cndmask_b32_e32 v7, v7, v6, vcc
	v_cndmask_b32_e32 v5, v5, v6, vcc
	v_cndmask_b32_e64 v7, v7, v40, s[42:43]
	v_cndmask_b32_e64 v5, v5, v40, s[42:43]
	v_cmp_neq_f32_e32 vcc, v7, v5
	v_cmp_class_f32_e64 s[2:3], v7, s4
	s_or_b64 s[6:7], vcc, s[2:3]
	s_and_saveexec_b64 s[2:3], s[6:7]
	s_cbranch_execz .LBB507_400
; %bb.399:
	v_sub_f32_e32 v6, v7, v5
	s_mov_b32 s4, 0x3fb8aa3b
	v_mul_f32_e32 v7, 0x3fb8aa3b, v6
	v_fma_f32 v8, v6, s4, -v7
	v_rndne_f32_e32 v9, v7
	v_fmac_f32_e32 v8, 0x32a5705f, v6
	v_sub_f32_e32 v7, v7, v9
	v_add_f32_e32 v7, v7, v8
	v_exp_f32_e32 v7, v7
	v_cvt_i32_f32_e32 v8, v9
	s_mov_b32 s4, 0xc2ce8ed0
	v_cmp_ngt_f32_e32 vcc, s4, v6
	s_mov_b32 s4, 0x42b17218
	v_ldexp_f32 v7, v7, v8
	v_cndmask_b32_e32 v7, 0, v7, vcc
	v_mov_b32_e32 v8, 0x7f800000
	v_cmp_nlt_f32_e32 vcc, s4, v6
	v_cndmask_b32_e32 v9, v8, v7, vcc
	v_add_f32_e32 v10, 1.0, v9
	v_cvt_f64_f32_e32 v[6:7], v10
	v_add_f32_e32 v11, -1.0, v10
	v_sub_f32_e32 v12, v11, v10
	v_sub_f32_e32 v11, v9, v11
	v_frexp_exp_i32_f64_e32 v6, v[6:7]
	v_add_f32_e32 v7, 1.0, v12
	v_add_f32_e32 v7, v11, v7
	v_frexp_mant_f32_e32 v11, v10
	s_mov_b32 s6, 0x3f2aaaab
	v_cmp_gt_f32_e32 vcc, s6, v11
	s_mov_b32 s6, 0x3f317218
	s_mov_b32 s4, 0x7f800000
	v_subbrev_co_u32_e32 v6, vcc, 0, v6, vcc
	v_sub_u32_e32 v11, 0, v6
	v_ldexp_f32 v10, v10, v11
	v_ldexp_f32 v7, v7, v11
	v_add_f32_e32 v11, -1.0, v10
	v_add_f32_e32 v34, 1.0, v10
	v_add_f32_e32 v12, 1.0, v11
	v_add_f32_e32 v35, -1.0, v34
	v_sub_f32_e32 v12, v10, v12
	v_sub_f32_e32 v10, v10, v35
	v_add_f32_e32 v12, v7, v12
	v_add_f32_e32 v7, v7, v10
	;; [unrolled: 1-line block ×3, first 2 shown]
	v_rcp_f32_e32 v35, v10
	v_add_f32_e32 v33, v11, v12
	v_sub_f32_e32 v11, v11, v33
	v_add_f32_e32 v11, v12, v11
	v_sub_f32_e32 v12, v34, v10
	v_add_f32_e32 v7, v7, v12
	v_mul_f32_e32 v12, v33, v35
	v_mul_f32_e32 v34, v10, v12
	v_fma_f32 v36, v12, v10, -v34
	v_fmac_f32_e32 v36, v12, v7
	v_add_f32_e32 v37, v34, v36
	v_sub_f32_e32 v38, v33, v37
	v_sub_f32_e32 v33, v33, v38
	;; [unrolled: 1-line block ×4, first 2 shown]
	v_add_f32_e32 v11, v11, v33
	v_sub_f32_e32 v33, v34, v36
	v_add_f32_e32 v11, v33, v11
	v_add_f32_e32 v33, v38, v11
	v_mul_f32_e32 v34, v35, v33
	v_mul_f32_e32 v36, v10, v34
	v_fma_f32 v10, v34, v10, -v36
	v_fmac_f32_e32 v10, v34, v7
	v_sub_f32_e32 v7, v38, v33
	v_add_f32_e32 v7, v11, v7
	v_add_f32_e32 v11, v36, v10
	v_sub_f32_e32 v37, v33, v11
	v_sub_f32_e32 v33, v33, v37
	;; [unrolled: 1-line block ×4, first 2 shown]
	v_add_f32_e32 v7, v7, v11
	v_sub_f32_e32 v10, v36, v10
	v_add_f32_e32 v7, v10, v7
	v_add_f32_e32 v10, v12, v34
	;; [unrolled: 1-line block ×3, first 2 shown]
	v_sub_f32_e32 v11, v10, v12
	v_mul_f32_e32 v7, v35, v7
	v_sub_f32_e32 v11, v34, v11
	v_add_f32_e32 v7, v11, v7
	v_cvt_f32_i32_e32 v6, v6
	v_add_f32_e32 v11, v10, v7
	v_mul_f32_e32 v12, v11, v11
	v_mov_b32_e32 v33, 0x3ecc95a3
	v_fmac_f32_e32 v33, 0x3e9b6dac, v12
	v_mov_b32_e32 v34, 0x3f2aaada
	v_fmac_f32_e32 v34, v12, v33
	v_mul_f32_e32 v33, 0x3f317218, v6
	v_fma_f32 v35, v6, s6, -v33
	v_fmac_f32_e32 v35, 0xb102e308, v6
	v_sub_f32_e32 v6, v11, v10
	v_sub_f32_e32 v6, v7, v6
	v_add_f32_e32 v7, v33, v35
	v_sub_f32_e32 v10, v7, v33
	v_ldexp_f32 v33, v11, 1
	v_mul_f32_e32 v11, v11, v12
	v_mul_f32_e32 v11, v11, v34
	v_add_f32_e32 v12, v33, v11
	v_sub_f32_e32 v33, v12, v33
	v_ldexp_f32 v6, v6, 1
	v_sub_f32_e32 v11, v11, v33
	v_add_f32_e32 v6, v6, v11
	v_add_f32_e32 v11, v12, v6
	v_sub_f32_e32 v12, v11, v12
	v_sub_f32_e32 v6, v6, v12
	v_add_f32_e32 v12, v7, v11
	v_sub_f32_e32 v33, v12, v7
	v_sub_f32_e32 v34, v12, v33
	;; [unrolled: 1-line block ×5, first 2 shown]
	v_add_f32_e32 v7, v11, v7
	v_add_f32_e32 v11, v10, v6
	v_sub_f32_e32 v33, v11, v10
	v_sub_f32_e32 v34, v11, v33
	;; [unrolled: 1-line block ×4, first 2 shown]
	v_add_f32_e32 v7, v11, v7
	v_add_f32_e32 v6, v6, v10
	;; [unrolled: 1-line block ×3, first 2 shown]
	v_sub_f32_e32 v11, v10, v12
	v_sub_f32_e32 v7, v7, v11
	v_add_f32_e32 v6, v6, v7
	v_add_f32_e32 v6, v10, v6
	v_cmp_neq_f32_e32 vcc, s4, v9
	s_mov_b32 s4, 0x33800000
	v_cndmask_b32_e32 v6, v8, v6, vcc
	v_cmp_lt_f32_e64 vcc, |v9|, s4
	v_cndmask_b32_e32 v6, v6, v9, vcc
	v_add_f32_e32 v6, v5, v6
.LBB507_400:
	s_or_b64 exec, exec, s[2:3]
	v_bfe_u32 v5, v6, 16, 1
	v_add3_u32 v5, v6, v5, s5
	v_cmp_o_f32_e32 vcc, v6, v6
	v_cndmask_b32_sdwa v33, v1, v5, vcc dst_sel:DWORD dst_unused:UNUSED_PAD src0_sel:DWORD src1_sel:WORD_1
	v_lshlrev_b32_e32 v5, 16, v33
	v_max_f32_e32 v1, v5, v5
	v_min_f32_e32 v6, v1, v44
	v_cmp_u_f32_e32 vcc, v5, v5
	v_max_f32_e32 v1, v1, v44
	v_cndmask_b32_e32 v6, v6, v5, vcc
	v_cndmask_b32_e32 v1, v1, v5, vcc
	v_cndmask_b32_e64 v6, v6, v2, s[44:45]
	v_cndmask_b32_e64 v1, v1, v2, s[44:45]
	s_movk_i32 s4, 0x1f8
	v_cmp_neq_f32_e32 vcc, v6, v1
	v_cmp_class_f32_e64 s[2:3], v6, s4
	s_or_b64 s[6:7], vcc, s[2:3]
	s_and_saveexec_b64 s[2:3], s[6:7]
	s_cbranch_execz .LBB507_402
; %bb.401:
	v_sub_f32_e32 v2, v6, v1
	s_mov_b32 s5, 0x3fb8aa3b
	v_mul_f32_e32 v5, 0x3fb8aa3b, v2
	v_fma_f32 v6, v2, s5, -v5
	v_rndne_f32_e32 v7, v5
	v_fmac_f32_e32 v6, 0x32a5705f, v2
	v_sub_f32_e32 v5, v5, v7
	v_add_f32_e32 v5, v5, v6
	v_exp_f32_e32 v5, v5
	v_cvt_i32_f32_e32 v6, v7
	s_mov_b32 s5, 0xc2ce8ed0
	v_cmp_ngt_f32_e32 vcc, s5, v2
	s_mov_b32 s5, 0x42b17218
	v_ldexp_f32 v5, v5, v6
	v_cndmask_b32_e32 v5, 0, v5, vcc
	v_mov_b32_e32 v7, 0x7f800000
	v_cmp_nlt_f32_e32 vcc, s5, v2
	v_cndmask_b32_e32 v2, v7, v5, vcc
	v_add_f32_e32 v8, 1.0, v2
	v_cvt_f64_f32_e32 v[5:6], v8
	v_add_f32_e32 v9, -1.0, v8
	v_sub_f32_e32 v10, v9, v8
	v_sub_f32_e32 v9, v2, v9
	v_frexp_exp_i32_f64_e32 v5, v[5:6]
	v_add_f32_e32 v6, 1.0, v10
	v_add_f32_e32 v6, v9, v6
	v_frexp_mant_f32_e32 v9, v8
	s_mov_b32 s6, 0x3f2aaaab
	v_cmp_gt_f32_e32 vcc, s6, v9
	s_mov_b32 s6, 0x3f317218
	s_mov_b32 s5, 0x7f800000
	v_subbrev_co_u32_e32 v5, vcc, 0, v5, vcc
	v_sub_u32_e32 v9, 0, v5
	v_ldexp_f32 v8, v8, v9
	v_ldexp_f32 v6, v6, v9
	v_add_f32_e32 v9, -1.0, v8
	v_add_f32_e32 v12, 1.0, v8
	v_add_f32_e32 v10, 1.0, v9
	v_add_f32_e32 v34, -1.0, v12
	v_sub_f32_e32 v10, v8, v10
	v_sub_f32_e32 v8, v8, v34
	v_add_f32_e32 v10, v6, v10
	v_add_f32_e32 v6, v6, v8
	;; [unrolled: 1-line block ×3, first 2 shown]
	v_rcp_f32_e32 v34, v8
	v_add_f32_e32 v11, v9, v10
	v_sub_f32_e32 v9, v9, v11
	v_add_f32_e32 v9, v10, v9
	v_sub_f32_e32 v10, v12, v8
	v_add_f32_e32 v6, v6, v10
	v_mul_f32_e32 v10, v11, v34
	v_mul_f32_e32 v12, v8, v10
	v_fma_f32 v35, v10, v8, -v12
	v_fmac_f32_e32 v35, v10, v6
	v_add_f32_e32 v36, v12, v35
	v_sub_f32_e32 v37, v11, v36
	v_sub_f32_e32 v11, v11, v37
	;; [unrolled: 1-line block ×4, first 2 shown]
	v_add_f32_e32 v9, v9, v11
	v_sub_f32_e32 v11, v12, v35
	v_add_f32_e32 v9, v11, v9
	v_add_f32_e32 v11, v37, v9
	v_mul_f32_e32 v12, v34, v11
	v_mul_f32_e32 v35, v8, v12
	v_fma_f32 v8, v12, v8, -v35
	v_fmac_f32_e32 v8, v12, v6
	v_sub_f32_e32 v6, v37, v11
	v_add_f32_e32 v6, v9, v6
	v_add_f32_e32 v9, v35, v8
	v_sub_f32_e32 v36, v11, v9
	v_sub_f32_e32 v11, v11, v36
	;; [unrolled: 1-line block ×4, first 2 shown]
	v_add_f32_e32 v6, v6, v9
	v_sub_f32_e32 v8, v35, v8
	v_add_f32_e32 v6, v8, v6
	v_add_f32_e32 v8, v10, v12
	;; [unrolled: 1-line block ×3, first 2 shown]
	v_sub_f32_e32 v9, v8, v10
	v_mul_f32_e32 v6, v34, v6
	v_sub_f32_e32 v9, v12, v9
	v_add_f32_e32 v6, v9, v6
	v_cvt_f32_i32_e32 v5, v5
	v_add_f32_e32 v9, v8, v6
	v_mul_f32_e32 v10, v9, v9
	v_mov_b32_e32 v11, 0x3ecc95a3
	v_fmac_f32_e32 v11, 0x3e9b6dac, v10
	v_mov_b32_e32 v12, 0x3f2aaada
	v_fmac_f32_e32 v12, v10, v11
	v_mul_f32_e32 v11, 0x3f317218, v5
	v_fma_f32 v34, v5, s6, -v11
	v_fmac_f32_e32 v34, 0xb102e308, v5
	v_sub_f32_e32 v5, v9, v8
	v_sub_f32_e32 v5, v6, v5
	v_add_f32_e32 v6, v11, v34
	v_sub_f32_e32 v8, v6, v11
	v_ldexp_f32 v11, v9, 1
	v_mul_f32_e32 v9, v9, v10
	v_mul_f32_e32 v9, v9, v12
	v_add_f32_e32 v10, v11, v9
	v_sub_f32_e32 v11, v10, v11
	v_ldexp_f32 v5, v5, 1
	v_sub_f32_e32 v9, v9, v11
	v_add_f32_e32 v5, v5, v9
	v_add_f32_e32 v9, v10, v5
	v_sub_f32_e32 v10, v9, v10
	v_sub_f32_e32 v5, v5, v10
	v_add_f32_e32 v10, v6, v9
	v_sub_f32_e32 v11, v10, v6
	v_sub_f32_e32 v12, v10, v11
	;; [unrolled: 1-line block ×5, first 2 shown]
	v_add_f32_e32 v6, v9, v6
	v_add_f32_e32 v9, v8, v5
	v_sub_f32_e32 v11, v9, v8
	v_sub_f32_e32 v12, v9, v11
	;; [unrolled: 1-line block ×4, first 2 shown]
	v_add_f32_e32 v6, v9, v6
	v_add_f32_e32 v5, v5, v8
	v_add_f32_e32 v8, v10, v6
	v_sub_f32_e32 v9, v8, v10
	v_sub_f32_e32 v6, v6, v9
	v_add_f32_e32 v5, v5, v6
	v_add_f32_e32 v5, v8, v5
	v_cmp_neq_f32_e32 vcc, s5, v2
	s_mov_b32 s5, 0x33800000
	v_cndmask_b32_e32 v5, v7, v5, vcc
	v_cmp_lt_f32_e64 vcc, |v2|, s5
	v_cndmask_b32_e32 v2, v5, v2, vcc
	v_add_f32_e32 v5, v1, v2
.LBB507_402:
	s_or_b64 exec, exec, s[2:3]
	v_bfe_u32 v1, v5, 16, 1
	s_movk_i32 s5, 0x7fff
	v_add3_u32 v2, v5, v1, s5
	v_cmp_o_f32_e32 vcc, v5, v5
	v_mov_b32_e32 v1, 0x7fc0
	v_cndmask_b32_sdwa v34, v1, v2, vcc dst_sel:DWORD dst_unused:UNUSED_PAD src0_sel:DWORD src1_sel:WORD_1
	v_lshlrev_b32_e32 v5, 16, v34
	v_max_f32_e32 v2, v5, v5
	v_min_f32_e32 v6, v2, v45
	v_cmp_u_f32_e32 vcc, v5, v5
	v_max_f32_e32 v2, v2, v45
	v_cndmask_b32_e32 v6, v6, v5, vcc
	v_cndmask_b32_e32 v2, v2, v5, vcc
	v_cndmask_b32_e64 v6, v6, v43, s[46:47]
	v_cndmask_b32_e64 v2, v2, v43, s[46:47]
	v_cmp_neq_f32_e32 vcc, v6, v2
	v_cmp_class_f32_e64 s[2:3], v6, s4
	s_or_b64 s[6:7], vcc, s[2:3]
	s_and_saveexec_b64 s[2:3], s[6:7]
	s_cbranch_execz .LBB507_404
; %bb.403:
	v_sub_f32_e32 v5, v6, v2
	s_mov_b32 s4, 0x3fb8aa3b
	v_mul_f32_e32 v6, 0x3fb8aa3b, v5
	v_fma_f32 v7, v5, s4, -v6
	v_rndne_f32_e32 v8, v6
	v_fmac_f32_e32 v7, 0x32a5705f, v5
	v_sub_f32_e32 v6, v6, v8
	v_add_f32_e32 v6, v6, v7
	v_exp_f32_e32 v6, v6
	v_cvt_i32_f32_e32 v7, v8
	s_mov_b32 s4, 0xc2ce8ed0
	v_cmp_ngt_f32_e32 vcc, s4, v5
	s_mov_b32 s4, 0x42b17218
	v_ldexp_f32 v6, v6, v7
	v_cndmask_b32_e32 v6, 0, v6, vcc
	v_mov_b32_e32 v7, 0x7f800000
	v_cmp_nlt_f32_e32 vcc, s4, v5
	v_cndmask_b32_e32 v8, v7, v6, vcc
	v_add_f32_e32 v9, 1.0, v8
	v_cvt_f64_f32_e32 v[5:6], v9
	v_add_f32_e32 v10, -1.0, v9
	v_sub_f32_e32 v11, v10, v9
	v_sub_f32_e32 v10, v8, v10
	v_frexp_exp_i32_f64_e32 v5, v[5:6]
	v_add_f32_e32 v6, 1.0, v11
	v_add_f32_e32 v6, v10, v6
	v_frexp_mant_f32_e32 v10, v9
	s_mov_b32 s6, 0x3f2aaaab
	v_cmp_gt_f32_e32 vcc, s6, v10
	s_mov_b32 s6, 0x3f317218
	s_mov_b32 s4, 0x7f800000
	v_subbrev_co_u32_e32 v5, vcc, 0, v5, vcc
	v_sub_u32_e32 v10, 0, v5
	v_ldexp_f32 v9, v9, v10
	v_ldexp_f32 v6, v6, v10
	v_add_f32_e32 v10, -1.0, v9
	v_add_f32_e32 v35, 1.0, v9
	v_add_f32_e32 v11, 1.0, v10
	v_add_f32_e32 v36, -1.0, v35
	v_sub_f32_e32 v11, v9, v11
	v_sub_f32_e32 v9, v9, v36
	v_add_f32_e32 v11, v6, v11
	v_add_f32_e32 v6, v6, v9
	;; [unrolled: 1-line block ×3, first 2 shown]
	v_rcp_f32_e32 v36, v9
	v_add_f32_e32 v12, v10, v11
	v_sub_f32_e32 v10, v10, v12
	v_add_f32_e32 v10, v11, v10
	v_sub_f32_e32 v11, v35, v9
	v_add_f32_e32 v6, v6, v11
	v_mul_f32_e32 v11, v12, v36
	v_mul_f32_e32 v35, v9, v11
	v_fma_f32 v37, v11, v9, -v35
	v_fmac_f32_e32 v37, v11, v6
	v_add_f32_e32 v38, v35, v37
	v_sub_f32_e32 v39, v12, v38
	v_sub_f32_e32 v12, v12, v39
	;; [unrolled: 1-line block ×4, first 2 shown]
	v_add_f32_e32 v10, v10, v12
	v_sub_f32_e32 v12, v35, v37
	v_add_f32_e32 v10, v12, v10
	v_add_f32_e32 v12, v39, v10
	v_mul_f32_e32 v35, v36, v12
	v_mul_f32_e32 v37, v9, v35
	v_fma_f32 v9, v35, v9, -v37
	v_fmac_f32_e32 v9, v35, v6
	v_sub_f32_e32 v6, v39, v12
	v_add_f32_e32 v6, v10, v6
	v_add_f32_e32 v10, v37, v9
	v_sub_f32_e32 v38, v12, v10
	v_sub_f32_e32 v12, v12, v38
	;; [unrolled: 1-line block ×4, first 2 shown]
	v_add_f32_e32 v6, v6, v10
	v_sub_f32_e32 v9, v37, v9
	v_add_f32_e32 v6, v9, v6
	v_add_f32_e32 v9, v11, v35
	;; [unrolled: 1-line block ×3, first 2 shown]
	v_sub_f32_e32 v10, v9, v11
	v_mul_f32_e32 v6, v36, v6
	v_sub_f32_e32 v10, v35, v10
	v_add_f32_e32 v6, v10, v6
	v_cvt_f32_i32_e32 v5, v5
	v_add_f32_e32 v10, v9, v6
	v_mul_f32_e32 v11, v10, v10
	v_mov_b32_e32 v12, 0x3ecc95a3
	v_fmac_f32_e32 v12, 0x3e9b6dac, v11
	v_mov_b32_e32 v35, 0x3f2aaada
	v_fmac_f32_e32 v35, v11, v12
	v_mul_f32_e32 v12, 0x3f317218, v5
	v_fma_f32 v36, v5, s6, -v12
	v_fmac_f32_e32 v36, 0xb102e308, v5
	v_sub_f32_e32 v5, v10, v9
	v_sub_f32_e32 v5, v6, v5
	v_add_f32_e32 v6, v12, v36
	v_sub_f32_e32 v9, v6, v12
	v_ldexp_f32 v12, v10, 1
	v_mul_f32_e32 v10, v10, v11
	v_mul_f32_e32 v10, v10, v35
	v_add_f32_e32 v11, v12, v10
	v_sub_f32_e32 v12, v11, v12
	v_ldexp_f32 v5, v5, 1
	v_sub_f32_e32 v10, v10, v12
	v_add_f32_e32 v5, v5, v10
	v_add_f32_e32 v10, v11, v5
	v_sub_f32_e32 v11, v10, v11
	v_sub_f32_e32 v5, v5, v11
	v_add_f32_e32 v11, v6, v10
	v_sub_f32_e32 v12, v11, v6
	v_sub_f32_e32 v35, v11, v12
	;; [unrolled: 1-line block ×5, first 2 shown]
	v_add_f32_e32 v6, v10, v6
	v_add_f32_e32 v10, v9, v5
	v_sub_f32_e32 v12, v10, v9
	v_sub_f32_e32 v35, v10, v12
	;; [unrolled: 1-line block ×4, first 2 shown]
	v_add_f32_e32 v6, v10, v6
	v_add_f32_e32 v5, v5, v9
	;; [unrolled: 1-line block ×3, first 2 shown]
	v_sub_f32_e32 v10, v9, v11
	v_sub_f32_e32 v6, v6, v10
	v_add_f32_e32 v5, v5, v6
	v_add_f32_e32 v5, v9, v5
	v_cmp_neq_f32_e32 vcc, s4, v8
	s_mov_b32 s4, 0x33800000
	v_cndmask_b32_e32 v5, v7, v5, vcc
	v_cmp_lt_f32_e64 vcc, |v8|, s4
	v_cndmask_b32_e32 v5, v5, v8, vcc
	v_add_f32_e32 v5, v2, v5
.LBB507_404:
	s_or_b64 exec, exec, s[2:3]
	v_bfe_u32 v2, v5, 16, 1
	v_add3_u32 v2, v5, v2, s5
	v_cmp_o_f32_e32 vcc, v5, v5
	v_cndmask_b32_sdwa v35, v1, v2, vcc dst_sel:DWORD dst_unused:UNUSED_PAD src0_sel:DWORD src1_sel:WORD_1
	v_lshlrev_b32_e32 v2, 16, v35
	v_max_f32_e32 v1, v2, v2
	v_min_f32_e32 v5, v1, v47
	v_cmp_u_f32_e32 vcc, v2, v2
	v_max_f32_e32 v1, v1, v47
	v_cndmask_b32_e32 v5, v5, v2, vcc
	v_cndmask_b32_e32 v1, v1, v2, vcc
	v_cndmask_b32_e64 v5, v5, v3, s[48:49]
	v_cndmask_b32_e64 v1, v1, v3, s[48:49]
	s_movk_i32 s4, 0x1f8
	v_cmp_neq_f32_e32 vcc, v5, v1
	v_cmp_class_f32_e64 s[2:3], v5, s4
	s_or_b64 s[6:7], vcc, s[2:3]
	s_and_saveexec_b64 s[2:3], s[6:7]
	s_cbranch_execz .LBB507_406
; %bb.405:
	v_sub_f32_e32 v2, v5, v1
	s_mov_b32 s5, 0x3fb8aa3b
	v_mul_f32_e32 v3, 0x3fb8aa3b, v2
	v_fma_f32 v5, v2, s5, -v3
	v_rndne_f32_e32 v6, v3
	v_fmac_f32_e32 v5, 0x32a5705f, v2
	v_sub_f32_e32 v3, v3, v6
	v_add_f32_e32 v3, v3, v5
	v_exp_f32_e32 v3, v3
	v_cvt_i32_f32_e32 v5, v6
	s_mov_b32 s5, 0xc2ce8ed0
	v_cmp_ngt_f32_e32 vcc, s5, v2
	s_mov_b32 s5, 0x42b17218
	v_ldexp_f32 v3, v3, v5
	v_cndmask_b32_e32 v3, 0, v3, vcc
	v_mov_b32_e32 v5, 0x7f800000
	v_cmp_nlt_f32_e32 vcc, s5, v2
	v_cndmask_b32_e32 v6, v5, v3, vcc
	v_add_f32_e32 v7, 1.0, v6
	v_cvt_f64_f32_e32 v[2:3], v7
	v_add_f32_e32 v8, -1.0, v7
	v_sub_f32_e32 v9, v8, v7
	v_sub_f32_e32 v8, v6, v8
	v_frexp_exp_i32_f64_e32 v2, v[2:3]
	v_add_f32_e32 v3, 1.0, v9
	v_add_f32_e32 v3, v8, v3
	v_frexp_mant_f32_e32 v8, v7
	s_mov_b32 s6, 0x3f2aaaab
	v_cmp_gt_f32_e32 vcc, s6, v8
	s_mov_b32 s6, 0x3f317218
	s_mov_b32 s5, 0x7f800000
	v_subbrev_co_u32_e32 v2, vcc, 0, v2, vcc
	v_sub_u32_e32 v8, 0, v2
	v_ldexp_f32 v7, v7, v8
	v_ldexp_f32 v3, v3, v8
	v_add_f32_e32 v8, -1.0, v7
	v_add_f32_e32 v11, 1.0, v7
	v_add_f32_e32 v9, 1.0, v8
	v_add_f32_e32 v12, -1.0, v11
	v_sub_f32_e32 v9, v7, v9
	v_sub_f32_e32 v7, v7, v12
	v_add_f32_e32 v9, v3, v9
	v_add_f32_e32 v3, v3, v7
	;; [unrolled: 1-line block ×3, first 2 shown]
	v_rcp_f32_e32 v12, v7
	v_add_f32_e32 v10, v8, v9
	v_sub_f32_e32 v8, v8, v10
	v_add_f32_e32 v8, v9, v8
	v_sub_f32_e32 v9, v11, v7
	v_add_f32_e32 v3, v3, v9
	v_mul_f32_e32 v9, v10, v12
	v_mul_f32_e32 v11, v7, v9
	v_fma_f32 v36, v9, v7, -v11
	v_fmac_f32_e32 v36, v9, v3
	v_add_f32_e32 v37, v11, v36
	v_sub_f32_e32 v38, v10, v37
	v_sub_f32_e32 v10, v10, v38
	;; [unrolled: 1-line block ×4, first 2 shown]
	v_add_f32_e32 v8, v8, v10
	v_sub_f32_e32 v10, v11, v36
	v_add_f32_e32 v8, v10, v8
	v_add_f32_e32 v10, v38, v8
	v_mul_f32_e32 v11, v12, v10
	v_mul_f32_e32 v36, v7, v11
	v_fma_f32 v7, v11, v7, -v36
	v_fmac_f32_e32 v7, v11, v3
	v_sub_f32_e32 v3, v38, v10
	v_add_f32_e32 v3, v8, v3
	v_add_f32_e32 v8, v36, v7
	v_sub_f32_e32 v37, v10, v8
	v_sub_f32_e32 v10, v10, v37
	;; [unrolled: 1-line block ×4, first 2 shown]
	v_add_f32_e32 v3, v3, v8
	v_sub_f32_e32 v7, v36, v7
	v_add_f32_e32 v3, v7, v3
	v_add_f32_e32 v7, v9, v11
	;; [unrolled: 1-line block ×3, first 2 shown]
	v_sub_f32_e32 v8, v7, v9
	v_mul_f32_e32 v3, v12, v3
	v_sub_f32_e32 v8, v11, v8
	v_add_f32_e32 v3, v8, v3
	v_cvt_f32_i32_e32 v2, v2
	v_add_f32_e32 v8, v7, v3
	v_mul_f32_e32 v9, v8, v8
	v_mov_b32_e32 v10, 0x3ecc95a3
	v_fmac_f32_e32 v10, 0x3e9b6dac, v9
	v_mov_b32_e32 v11, 0x3f2aaada
	v_fmac_f32_e32 v11, v9, v10
	v_mul_f32_e32 v10, 0x3f317218, v2
	v_fma_f32 v12, v2, s6, -v10
	v_fmac_f32_e32 v12, 0xb102e308, v2
	v_sub_f32_e32 v2, v8, v7
	v_sub_f32_e32 v2, v3, v2
	v_add_f32_e32 v3, v10, v12
	v_sub_f32_e32 v7, v3, v10
	v_ldexp_f32 v10, v8, 1
	v_mul_f32_e32 v8, v8, v9
	v_mul_f32_e32 v8, v8, v11
	v_add_f32_e32 v9, v10, v8
	v_sub_f32_e32 v10, v9, v10
	v_ldexp_f32 v2, v2, 1
	v_sub_f32_e32 v8, v8, v10
	v_add_f32_e32 v2, v2, v8
	v_add_f32_e32 v8, v9, v2
	v_sub_f32_e32 v9, v8, v9
	v_sub_f32_e32 v2, v2, v9
	v_add_f32_e32 v9, v3, v8
	v_sub_f32_e32 v10, v9, v3
	v_sub_f32_e32 v11, v9, v10
	;; [unrolled: 1-line block ×5, first 2 shown]
	v_add_f32_e32 v3, v8, v3
	v_add_f32_e32 v8, v7, v2
	v_sub_f32_e32 v10, v8, v7
	v_sub_f32_e32 v11, v8, v10
	;; [unrolled: 1-line block ×4, first 2 shown]
	v_add_f32_e32 v3, v8, v3
	v_add_f32_e32 v2, v2, v7
	;; [unrolled: 1-line block ×3, first 2 shown]
	v_sub_f32_e32 v8, v7, v9
	v_sub_f32_e32 v3, v3, v8
	v_add_f32_e32 v2, v2, v3
	v_add_f32_e32 v2, v7, v2
	v_cmp_neq_f32_e32 vcc, s5, v6
	s_mov_b32 s5, 0x33800000
	v_cndmask_b32_e32 v2, v5, v2, vcc
	v_cmp_lt_f32_e64 vcc, |v6|, s5
	v_cndmask_b32_e32 v2, v2, v6, vcc
	v_add_f32_e32 v2, v1, v2
.LBB507_406:
	s_or_b64 exec, exec, s[2:3]
	v_bfe_u32 v1, v2, 16, 1
	s_movk_i32 s5, 0x7fff
	v_add3_u32 v3, v2, v1, s5
	v_cmp_o_f32_e32 vcc, v2, v2
	v_mov_b32_e32 v1, 0x7fc0
	v_cndmask_b32_sdwa v36, v1, v3, vcc dst_sel:DWORD dst_unused:UNUSED_PAD src0_sel:DWORD src1_sel:WORD_1
	v_lshlrev_b32_e32 v3, 16, v36
	v_max_f32_e32 v2, v3, v3
	v_min_f32_e32 v5, v2, v48
	v_cmp_u_f32_e32 vcc, v3, v3
	v_max_f32_e32 v2, v2, v48
	v_cndmask_b32_e32 v5, v5, v3, vcc
	v_cndmask_b32_e32 v2, v2, v3, vcc
	v_cndmask_b32_e64 v5, v5, v46, s[50:51]
	v_cndmask_b32_e64 v2, v2, v46, s[50:51]
	v_cmp_neq_f32_e32 vcc, v5, v2
	v_cmp_class_f32_e64 s[2:3], v5, s4
	s_or_b64 s[6:7], vcc, s[2:3]
	s_and_saveexec_b64 s[2:3], s[6:7]
	s_cbranch_execz .LBB507_408
; %bb.407:
	v_sub_f32_e32 v3, v5, v2
	s_mov_b32 s4, 0x3fb8aa3b
	v_mul_f32_e32 v5, 0x3fb8aa3b, v3
	v_fma_f32 v6, v3, s4, -v5
	v_rndne_f32_e32 v7, v5
	v_fmac_f32_e32 v6, 0x32a5705f, v3
	v_sub_f32_e32 v5, v5, v7
	v_add_f32_e32 v5, v5, v6
	v_exp_f32_e32 v5, v5
	v_cvt_i32_f32_e32 v6, v7
	s_mov_b32 s4, 0xc2ce8ed0
	v_cmp_ngt_f32_e32 vcc, s4, v3
	s_mov_b32 s4, 0x42b17218
	v_ldexp_f32 v5, v5, v6
	v_cndmask_b32_e32 v5, 0, v5, vcc
	v_mov_b32_e32 v7, 0x7f800000
	v_cmp_nlt_f32_e32 vcc, s4, v3
	v_cndmask_b32_e32 v3, v7, v5, vcc
	v_add_f32_e32 v8, 1.0, v3
	v_cvt_f64_f32_e32 v[5:6], v8
	v_add_f32_e32 v9, -1.0, v8
	v_sub_f32_e32 v10, v9, v8
	v_sub_f32_e32 v9, v3, v9
	v_frexp_exp_i32_f64_e32 v5, v[5:6]
	v_add_f32_e32 v6, 1.0, v10
	v_add_f32_e32 v6, v9, v6
	v_frexp_mant_f32_e32 v9, v8
	s_mov_b32 s6, 0x3f2aaaab
	v_cmp_gt_f32_e32 vcc, s6, v9
	s_mov_b32 s6, 0x3f317218
	s_mov_b32 s4, 0x7f800000
	v_subbrev_co_u32_e32 v5, vcc, 0, v5, vcc
	v_sub_u32_e32 v9, 0, v5
	v_ldexp_f32 v8, v8, v9
	v_ldexp_f32 v6, v6, v9
	v_add_f32_e32 v9, -1.0, v8
	v_add_f32_e32 v12, 1.0, v8
	v_add_f32_e32 v10, 1.0, v9
	v_add_f32_e32 v37, -1.0, v12
	v_sub_f32_e32 v10, v8, v10
	v_sub_f32_e32 v8, v8, v37
	v_add_f32_e32 v10, v6, v10
	v_add_f32_e32 v6, v6, v8
	;; [unrolled: 1-line block ×3, first 2 shown]
	v_rcp_f32_e32 v37, v8
	v_add_f32_e32 v11, v9, v10
	v_sub_f32_e32 v9, v9, v11
	v_add_f32_e32 v9, v10, v9
	v_sub_f32_e32 v10, v12, v8
	v_add_f32_e32 v6, v6, v10
	v_mul_f32_e32 v10, v11, v37
	v_mul_f32_e32 v12, v8, v10
	v_fma_f32 v38, v10, v8, -v12
	v_fmac_f32_e32 v38, v10, v6
	v_add_f32_e32 v39, v12, v38
	v_sub_f32_e32 v40, v11, v39
	v_sub_f32_e32 v11, v11, v40
	;; [unrolled: 1-line block ×4, first 2 shown]
	v_add_f32_e32 v9, v9, v11
	v_sub_f32_e32 v11, v12, v38
	v_add_f32_e32 v9, v11, v9
	v_add_f32_e32 v11, v40, v9
	v_mul_f32_e32 v12, v37, v11
	v_mul_f32_e32 v38, v8, v12
	v_fma_f32 v8, v12, v8, -v38
	v_fmac_f32_e32 v8, v12, v6
	v_sub_f32_e32 v6, v40, v11
	v_add_f32_e32 v6, v9, v6
	v_add_f32_e32 v9, v38, v8
	v_sub_f32_e32 v39, v11, v9
	v_sub_f32_e32 v11, v11, v39
	;; [unrolled: 1-line block ×4, first 2 shown]
	v_add_f32_e32 v6, v6, v9
	v_sub_f32_e32 v8, v38, v8
	v_add_f32_e32 v6, v8, v6
	v_add_f32_e32 v8, v10, v12
	;; [unrolled: 1-line block ×3, first 2 shown]
	v_sub_f32_e32 v9, v8, v10
	v_mul_f32_e32 v6, v37, v6
	v_sub_f32_e32 v9, v12, v9
	v_add_f32_e32 v6, v9, v6
	v_cvt_f32_i32_e32 v5, v5
	v_add_f32_e32 v9, v8, v6
	v_mul_f32_e32 v10, v9, v9
	v_mov_b32_e32 v11, 0x3ecc95a3
	v_fmac_f32_e32 v11, 0x3e9b6dac, v10
	v_mov_b32_e32 v12, 0x3f2aaada
	v_fmac_f32_e32 v12, v10, v11
	v_mul_f32_e32 v11, 0x3f317218, v5
	v_fma_f32 v37, v5, s6, -v11
	v_fmac_f32_e32 v37, 0xb102e308, v5
	v_sub_f32_e32 v5, v9, v8
	v_sub_f32_e32 v5, v6, v5
	v_add_f32_e32 v6, v11, v37
	v_sub_f32_e32 v8, v6, v11
	v_ldexp_f32 v11, v9, 1
	v_mul_f32_e32 v9, v9, v10
	v_mul_f32_e32 v9, v9, v12
	v_add_f32_e32 v10, v11, v9
	v_sub_f32_e32 v11, v10, v11
	v_ldexp_f32 v5, v5, 1
	v_sub_f32_e32 v9, v9, v11
	v_add_f32_e32 v5, v5, v9
	v_add_f32_e32 v9, v10, v5
	v_sub_f32_e32 v10, v9, v10
	v_sub_f32_e32 v5, v5, v10
	v_add_f32_e32 v10, v6, v9
	v_sub_f32_e32 v11, v10, v6
	v_sub_f32_e32 v12, v10, v11
	;; [unrolled: 1-line block ×5, first 2 shown]
	v_add_f32_e32 v6, v9, v6
	v_add_f32_e32 v9, v8, v5
	v_sub_f32_e32 v11, v9, v8
	v_sub_f32_e32 v12, v9, v11
	;; [unrolled: 1-line block ×4, first 2 shown]
	v_add_f32_e32 v6, v9, v6
	v_add_f32_e32 v5, v5, v8
	;; [unrolled: 1-line block ×3, first 2 shown]
	v_sub_f32_e32 v9, v8, v10
	v_sub_f32_e32 v6, v6, v9
	v_add_f32_e32 v5, v5, v6
	v_add_f32_e32 v5, v8, v5
	v_cmp_neq_f32_e32 vcc, s4, v3
	s_mov_b32 s4, 0x33800000
	v_cndmask_b32_e32 v5, v7, v5, vcc
	v_cmp_lt_f32_e64 vcc, |v3|, s4
	v_cndmask_b32_e32 v3, v5, v3, vcc
	v_add_f32_e32 v3, v2, v3
.LBB507_408:
	s_or_b64 exec, exec, s[2:3]
	v_bfe_u32 v2, v3, 16, 1
	v_add3_u32 v2, v3, v2, s5
	v_cmp_o_f32_e32 vcc, v3, v3
	v_cndmask_b32_sdwa v37, v1, v2, vcc dst_sel:DWORD dst_unused:UNUSED_PAD src0_sel:DWORD src1_sel:WORD_1
	v_lshlrev_b32_e32 v2, 16, v37
	v_max_f32_e32 v1, v2, v2
	v_min_f32_e32 v3, v1, v49
	v_cmp_u_f32_e32 vcc, v2, v2
	v_max_f32_e32 v1, v1, v49
	v_cndmask_b32_e32 v3, v3, v2, vcc
	v_cndmask_b32_e32 v1, v1, v2, vcc
	v_cndmask_b32_e64 v3, v3, v4, s[52:53]
	v_cndmask_b32_e64 v1, v1, v4, s[52:53]
	s_movk_i32 s2, 0x1f8
	v_cmp_neq_f32_e32 vcc, v3, v1
	v_cmp_class_f32_e64 s[2:3], v3, s2
	s_or_b64 s[4:5], vcc, s[2:3]
	s_and_saveexec_b64 s[2:3], s[4:5]
	s_cbranch_execz .LBB507_410
; %bb.409:
	v_sub_f32_e32 v2, v3, v1
	s_mov_b32 s4, 0x3fb8aa3b
	v_mul_f32_e32 v3, 0x3fb8aa3b, v2
	v_fma_f32 v4, v2, s4, -v3
	v_rndne_f32_e32 v5, v3
	v_fmac_f32_e32 v4, 0x32a5705f, v2
	v_sub_f32_e32 v3, v3, v5
	v_add_f32_e32 v3, v3, v4
	v_exp_f32_e32 v3, v3
	v_cvt_i32_f32_e32 v4, v5
	s_mov_b32 s4, 0xc2ce8ed0
	v_cmp_ngt_f32_e32 vcc, s4, v2
	s_mov_b32 s4, 0x42b17218
	v_ldexp_f32 v3, v3, v4
	v_cndmask_b32_e32 v3, 0, v3, vcc
	v_mov_b32_e32 v4, 0x7f800000
	v_cmp_nlt_f32_e32 vcc, s4, v2
	v_cndmask_b32_e32 v5, v4, v3, vcc
	v_add_f32_e32 v6, 1.0, v5
	v_cvt_f64_f32_e32 v[2:3], v6
	v_add_f32_e32 v7, -1.0, v6
	v_sub_f32_e32 v8, v7, v6
	v_sub_f32_e32 v7, v5, v7
	v_frexp_exp_i32_f64_e32 v2, v[2:3]
	v_add_f32_e32 v3, 1.0, v8
	v_add_f32_e32 v3, v7, v3
	v_frexp_mant_f32_e32 v7, v6
	s_mov_b32 s5, 0x3f2aaaab
	v_cmp_gt_f32_e32 vcc, s5, v7
	s_mov_b32 s5, 0x3f317218
	s_mov_b32 s4, 0x7f800000
	v_subbrev_co_u32_e32 v2, vcc, 0, v2, vcc
	v_sub_u32_e32 v7, 0, v2
	v_ldexp_f32 v6, v6, v7
	v_ldexp_f32 v3, v3, v7
	v_add_f32_e32 v7, -1.0, v6
	v_add_f32_e32 v10, 1.0, v6
	v_add_f32_e32 v8, 1.0, v7
	v_add_f32_e32 v11, -1.0, v10
	v_sub_f32_e32 v8, v6, v8
	v_sub_f32_e32 v6, v6, v11
	v_add_f32_e32 v8, v3, v8
	v_add_f32_e32 v3, v3, v6
	;; [unrolled: 1-line block ×3, first 2 shown]
	v_rcp_f32_e32 v11, v6
	v_add_f32_e32 v9, v7, v8
	v_sub_f32_e32 v7, v7, v9
	v_add_f32_e32 v7, v8, v7
	v_sub_f32_e32 v8, v10, v6
	v_add_f32_e32 v3, v3, v8
	v_mul_f32_e32 v8, v9, v11
	v_mul_f32_e32 v10, v6, v8
	v_fma_f32 v12, v8, v6, -v10
	v_fmac_f32_e32 v12, v8, v3
	v_add_f32_e32 v38, v10, v12
	v_sub_f32_e32 v39, v9, v38
	v_sub_f32_e32 v9, v9, v39
	;; [unrolled: 1-line block ×4, first 2 shown]
	v_add_f32_e32 v7, v7, v9
	v_sub_f32_e32 v9, v10, v12
	v_add_f32_e32 v7, v9, v7
	v_add_f32_e32 v9, v39, v7
	v_mul_f32_e32 v10, v11, v9
	v_mul_f32_e32 v12, v6, v10
	v_fma_f32 v6, v10, v6, -v12
	v_fmac_f32_e32 v6, v10, v3
	v_sub_f32_e32 v3, v39, v9
	v_add_f32_e32 v3, v7, v3
	v_add_f32_e32 v7, v12, v6
	v_sub_f32_e32 v38, v9, v7
	v_sub_f32_e32 v9, v9, v38
	;; [unrolled: 1-line block ×4, first 2 shown]
	v_add_f32_e32 v3, v3, v7
	v_sub_f32_e32 v6, v12, v6
	v_add_f32_e32 v3, v6, v3
	v_add_f32_e32 v6, v8, v10
	;; [unrolled: 1-line block ×3, first 2 shown]
	v_sub_f32_e32 v7, v6, v8
	v_mul_f32_e32 v3, v11, v3
	v_sub_f32_e32 v7, v10, v7
	v_add_f32_e32 v3, v7, v3
	v_cvt_f32_i32_e32 v2, v2
	v_add_f32_e32 v7, v6, v3
	v_mul_f32_e32 v8, v7, v7
	v_mov_b32_e32 v9, 0x3ecc95a3
	v_fmac_f32_e32 v9, 0x3e9b6dac, v8
	v_mov_b32_e32 v10, 0x3f2aaada
	v_fmac_f32_e32 v10, v8, v9
	v_mul_f32_e32 v9, 0x3f317218, v2
	v_fma_f32 v11, v2, s5, -v9
	v_fmac_f32_e32 v11, 0xb102e308, v2
	v_sub_f32_e32 v2, v7, v6
	v_sub_f32_e32 v2, v3, v2
	v_add_f32_e32 v3, v9, v11
	v_sub_f32_e32 v6, v3, v9
	v_ldexp_f32 v9, v7, 1
	v_mul_f32_e32 v7, v7, v8
	v_mul_f32_e32 v7, v7, v10
	v_add_f32_e32 v8, v9, v7
	v_sub_f32_e32 v9, v8, v9
	v_ldexp_f32 v2, v2, 1
	v_sub_f32_e32 v7, v7, v9
	v_add_f32_e32 v2, v2, v7
	v_add_f32_e32 v7, v8, v2
	v_sub_f32_e32 v8, v7, v8
	v_sub_f32_e32 v2, v2, v8
	v_add_f32_e32 v8, v3, v7
	v_sub_f32_e32 v9, v8, v3
	v_sub_f32_e32 v10, v8, v9
	;; [unrolled: 1-line block ×5, first 2 shown]
	v_add_f32_e32 v3, v7, v3
	v_add_f32_e32 v7, v6, v2
	v_sub_f32_e32 v9, v7, v6
	v_sub_f32_e32 v10, v7, v9
	;; [unrolled: 1-line block ×4, first 2 shown]
	v_add_f32_e32 v3, v7, v3
	v_add_f32_e32 v2, v2, v6
	;; [unrolled: 1-line block ×3, first 2 shown]
	v_sub_f32_e32 v7, v6, v8
	v_sub_f32_e32 v3, v3, v7
	v_add_f32_e32 v2, v2, v3
	v_add_f32_e32 v2, v6, v2
	v_cmp_neq_f32_e32 vcc, s4, v5
	s_mov_b32 s4, 0x33800000
	v_cndmask_b32_e32 v2, v4, v2, vcc
	v_cmp_lt_f32_e64 vcc, |v5|, s4
	v_cndmask_b32_e32 v2, v2, v5, vcc
	v_add_f32_e32 v2, v1, v2
.LBB507_410:
	s_or_b64 exec, exec, s[2:3]
	v_bfe_u32 v1, v2, 16, 1
	s_movk_i32 s2, 0x7fff
	v_add3_u32 v1, v2, v1, s2
	v_cmp_o_f32_e32 vcc, v2, v2
	v_mov_b32_e32 v2, 0x7fc0
	s_movk_i32 s2, 0xff
	v_cndmask_b32_sdwa v38, v2, v1, vcc dst_sel:DWORD dst_unused:UNUSED_PAD src0_sel:DWORD src1_sel:WORD_1
	v_cmp_eq_u32_e32 vcc, s2, v0
	s_and_saveexec_b64 s[2:3], vcc
	s_cbranch_execz .LBB507_412
; %bb.411:
	s_mov_b32 s4, 0x20000
	v_mov_b32_e32 v1, 0
	v_or_b32_sdwa v2, v38, s4 dst_sel:DWORD dst_unused:UNUSED_PAD src0_sel:WORD_0 src1_sel:DWORD
	global_store_dword v1, v2, s[80:81] offset:256
.LBB507_412:
	s_or_b64 exec, exec, s[2:3]
.LBB507_413:
	s_add_u32 s2, s76, s62
	s_addc_u32 s3, s77, s63
	s_add_u32 s2, s2, s72
	s_addc_u32 s3, s3, s73
	s_mov_b64 s[4:5], -1
	s_and_b64 vcc, exec, s[0:1]
	s_waitcnt vmcnt(0)
	s_barrier
	s_cbranch_vccz .LBB507_415
; %bb.414:
	s_mov_b32 s0, 0x5040100
	v_perm_b32 v4, v22, v21, s0
	v_perm_b32 v3, v18, v17, s0
	;; [unrolled: 1-line block ×4, first 2 shown]
	ds_write_b128 v20, v[1:4]
	v_perm_b32 v4, v30, v29, s0
	v_perm_b32 v3, v28, v27, s0
	;; [unrolled: 1-line block ×4, first 2 shown]
	ds_write_b128 v20, v[1:4] offset:16
	v_perm_b32 v4, v38, v37, s0
	v_perm_b32 v3, v36, v35, s0
	v_perm_b32 v2, v34, v33, s0
	v_perm_b32 v1, v32, v31, s0
	v_mov_b32_e32 v51, s3
	v_add_co_u32_e32 v52, vcc, s2, v19
	ds_write_b128 v20, v[1:4] offset:32
	s_waitcnt lgkmcnt(0)
	s_barrier
	ds_read_u16 v1, v19
	ds_read_u16 v2, v19 offset:512
	ds_read_u16 v3, v19 offset:1024
	;; [unrolled: 1-line block ×23, first 2 shown]
	v_addc_co_u32_e32 v51, vcc, 0, v51, vcc
	s_movk_i32 s0, 0x1000
	s_waitcnt lgkmcnt(14)
	global_store_short v19, v1, s[2:3]
	global_store_short v19, v2, s[2:3] offset:512
	global_store_short v19, v3, s[2:3] offset:1024
	;; [unrolled: 1-line block ×7, first 2 shown]
	v_add_co_u32_e32 v1, vcc, s0, v52
	v_addc_co_u32_e32 v2, vcc, 0, v51, vcc
	global_store_short v[1:2], v9, off
	global_store_short v[1:2], v10, off offset:512
	s_waitcnt lgkmcnt(13)
	global_store_short v[1:2], v11, off offset:1024
	s_waitcnt lgkmcnt(12)
	;; [unrolled: 2-line block ×6, first 2 shown]
	global_store_short v[1:2], v42, off offset:3584
	v_add_co_u32_e32 v1, vcc, 0x2000, v52
	v_addc_co_u32_e32 v2, vcc, 0, v51, vcc
	s_waitcnt lgkmcnt(7)
	global_store_short v[1:2], v43, off
	s_waitcnt lgkmcnt(6)
	global_store_short v[1:2], v44, off offset:512
	s_waitcnt lgkmcnt(5)
	global_store_short v[1:2], v45, off offset:1024
	;; [unrolled: 2-line block ×7, first 2 shown]
	s_mov_b64 s[4:5], 0
.LBB507_415:
	s_andn2_b64 vcc, exec, s[4:5]
	s_cbranch_vccnz .LBB507_472
; %bb.416:
	s_mov_b32 s0, 0x5040100
	v_perm_b32 v4, v22, v21, s0
	v_perm_b32 v3, v18, v17, s0
	;; [unrolled: 1-line block ×4, first 2 shown]
	ds_write_b128 v20, v[1:4]
	v_perm_b32 v4, v30, v29, s0
	v_perm_b32 v3, v28, v27, s0
	;; [unrolled: 1-line block ×4, first 2 shown]
	ds_write_b128 v20, v[1:4] offset:16
	v_perm_b32 v4, v38, v37, s0
	v_perm_b32 v3, v36, v35, s0
	v_perm_b32 v2, v34, v33, s0
	v_perm_b32 v1, v32, v31, s0
	ds_write_b128 v20, v[1:4] offset:32
	s_waitcnt vmcnt(0) lgkmcnt(0)
	s_barrier
	ds_read_u16 v5, v19
	ds_read_u16 v4, v19 offset:512
	ds_read_u16 v7, v19 offset:1024
	;; [unrolled: 1-line block ×23, first 2 shown]
	v_mov_b32_e32 v3, s3
	v_add_co_u32_e32 v2, vcc, s2, v19
	v_addc_co_u32_e32 v3, vcc, 0, v3, vcc
	v_mov_b32_e32 v1, 0
	v_cmp_gt_u32_e32 vcc, s33, v0
	s_and_saveexec_b64 s[0:1], vcc
	s_cbranch_execz .LBB507_418
; %bb.417:
	s_waitcnt lgkmcnt(14)
	global_store_short v[2:3], v5, off
.LBB507_418:
	s_or_b64 exec, exec, s[0:1]
	v_or_b32_e32 v19, 0x100, v0
	v_cmp_gt_u32_e32 vcc, s33, v19
	s_and_saveexec_b64 s[0:1], vcc
	s_cbranch_execz .LBB507_420
; %bb.419:
	s_waitcnt lgkmcnt(14)
	global_store_short v[2:3], v4, off offset:512
.LBB507_420:
	s_or_b64 exec, exec, s[0:1]
	v_or_b32_e32 v19, 0x200, v0
	v_cmp_gt_u32_e32 vcc, s33, v19
	s_and_saveexec_b64 s[0:1], vcc
	s_cbranch_execz .LBB507_422
; %bb.421:
	s_waitcnt lgkmcnt(14)
	global_store_short v[2:3], v7, off offset:1024
.LBB507_422:
	;; [unrolled: 9-line block ×7, first 2 shown]
	s_or_b64 exec, exec, s[0:1]
	v_or_b32_e32 v19, 0x800, v0
	v_cmp_gt_u32_e32 vcc, s33, v19
	s_and_saveexec_b64 s[0:1], vcc
	s_cbranch_execz .LBB507_434
; %bb.433:
	v_add_co_u32_e32 v29, vcc, 0x1000, v2
	v_addc_co_u32_e32 v30, vcc, 0, v3, vcc
	s_waitcnt lgkmcnt(14)
	global_store_short v[29:30], v18, off
.LBB507_434:
	s_or_b64 exec, exec, s[0:1]
	v_or_b32_e32 v19, 0x900, v0
	v_cmp_gt_u32_e32 vcc, s33, v19
	s_and_saveexec_b64 s[0:1], vcc
	s_cbranch_execz .LBB507_436
; %bb.435:
	v_add_co_u32_e32 v29, vcc, 0x1000, v2
	v_addc_co_u32_e32 v30, vcc, 0, v3, vcc
	s_waitcnt lgkmcnt(14)
	global_store_short v[29:30], v23, off offset:512
.LBB507_436:
	s_or_b64 exec, exec, s[0:1]
	v_or_b32_e32 v19, 0xa00, v0
	v_cmp_gt_u32_e32 vcc, s33, v19
	s_and_saveexec_b64 s[0:1], vcc
	s_cbranch_execz .LBB507_438
; %bb.437:
	v_add_co_u32_e32 v29, vcc, 0x1000, v2
	v_addc_co_u32_e32 v30, vcc, 0, v3, vcc
	s_waitcnt lgkmcnt(13)
	global_store_short v[29:30], v22, off offset:1024
.LBB507_438:
	;; [unrolled: 11-line block ×7, first 2 shown]
	s_or_b64 exec, exec, s[0:1]
	v_or_b32_e32 v19, 0x1000, v0
	v_cmp_gt_u32_e32 vcc, s33, v19
	s_and_saveexec_b64 s[0:1], vcc
	s_cbranch_execz .LBB507_450
; %bb.449:
	v_add_co_u32_e32 v29, vcc, 0x2000, v2
	v_addc_co_u32_e32 v30, vcc, 0, v3, vcc
	s_waitcnt lgkmcnt(7)
	global_store_short v[29:30], v24, off
.LBB507_450:
	s_or_b64 exec, exec, s[0:1]
	v_or_b32_e32 v19, 0x1100, v0
	v_cmp_gt_u32_e32 vcc, s33, v19
	s_and_saveexec_b64 s[0:1], vcc
	s_cbranch_execz .LBB507_452
; %bb.451:
	v_add_co_u32_e32 v29, vcc, 0x2000, v2
	v_addc_co_u32_e32 v30, vcc, 0, v3, vcc
	s_waitcnt lgkmcnt(6)
	global_store_short v[29:30], v26, off offset:512
.LBB507_452:
	s_or_b64 exec, exec, s[0:1]
	v_or_b32_e32 v19, 0x1200, v0
	v_cmp_gt_u32_e32 vcc, s33, v19
	s_and_saveexec_b64 s[0:1], vcc
	s_cbranch_execz .LBB507_454
; %bb.453:
	v_add_co_u32_e32 v29, vcc, 0x2000, v2
	v_addc_co_u32_e32 v30, vcc, 0, v3, vcc
	s_waitcnt lgkmcnt(5)
	global_store_short v[29:30], v27, off offset:1024
.LBB507_454:
	;; [unrolled: 11-line block ×7, first 2 shown]
	s_or_b64 exec, exec, s[0:1]
	v_cmp_lt_u64_e64 s[0:1], s[70:71], 2
	s_and_b64 vcc, exec, s[0:1]
	s_cbranch_vccnz .LBB507_472
; %bb.465:
	s_add_u32 s0, s33, -1
	s_addc_u32 s1, s82, -1
	s_mul_i32 s5, s1, 0xaaaaaaab
	s_mul_hi_u32 s6, s0, 0xaaaaaaab
	s_mul_hi_u32 s4, s1, 0xaaaaaaab
	s_add_u32 s5, s5, s6
	s_mul_i32 s3, s0, 0xaaaaaaaa
	s_addc_u32 s4, s4, 0
	s_mul_hi_u32 s2, s0, 0xaaaaaaaa
	s_add_u32 s3, s3, s5
	s_addc_u32 s2, s2, 0
	s_add_u32 s2, s4, s2
	s_addc_u32 s3, 0, 0
	s_mul_i32 s5, s1, 0xaaaaaaaa
	s_mul_hi_u32 s4, s1, 0xaaaaaaaa
	s_add_u32 s2, s5, s2
	s_addc_u32 s3, s4, s3
	s_lshr_b64 s[2:3], s[2:3], 4
	v_cmp_eq_u64_e32 vcc, s[2:3], v[0:1]
	s_and_saveexec_b64 s[2:3], vcc
	s_cbranch_execz .LBB507_472
; %bb.466:
	v_mul_hi_u32_u24_e32 v1, 24, v0
	v_mul_u32_u24_e32 v0, 24, v0
	v_mov_b32_e32 v2, s1
	v_sub_co_u32_e32 v0, vcc, s0, v0
	v_subb_co_u32_e32 v1, vcc, v2, v1, vcc
	v_cmp_lt_i64_e32 vcc, 11, v[0:1]
	s_mov_b64 s[0:1], 0
	s_mov_b64 s[8:9], 0
	;; [unrolled: 1-line block ×4, first 2 shown]
	s_and_saveexec_b64 s[2:3], vcc
	s_xor_b64 s[2:3], exec, s[2:3]
	s_cbranch_execnz .LBB507_473
; %bb.467:
	s_andn2_saveexec_b64 s[2:3], s[2:3]
	s_cbranch_execnz .LBB507_518
.LBB507_468:
	s_or_b64 exec, exec, s[2:3]
	s_and_saveexec_b64 s[2:3], s[8:9]
	s_cbranch_execnz .LBB507_535
.LBB507_469:
	s_or_b64 exec, exec, s[2:3]
	s_and_saveexec_b64 s[2:3], s[6:7]
	s_cbranch_execnz .LBB507_536
.LBB507_470:
	s_or_b64 exec, exec, s[2:3]
	s_and_saveexec_b64 s[2:3], s[4:5]
	s_xor_b64 s[2:3], exec, s[2:3]
	s_cbranch_execnz .LBB507_537
.LBB507_471:
	s_or_b64 exec, exec, s[2:3]
	s_and_b64 exec, exec, s[0:1]
	s_cbranch_execnz .LBB507_538
.LBB507_472:
	s_endpgm
.LBB507_473:
	v_cmp_lt_i64_e32 vcc, 17, v[0:1]
	s_and_saveexec_b64 s[10:11], vcc
	s_xor_b64 s[10:11], exec, s[10:11]
	s_cbranch_execz .LBB507_495
; %bb.474:
	v_cmp_lt_i64_e32 vcc, 20, v[0:1]
	s_and_saveexec_b64 s[12:13], vcc
	s_xor_b64 s[12:13], exec, s[12:13]
	s_cbranch_execz .LBB507_484
; %bb.475:
	v_cmp_lt_i64_e32 vcc, 21, v[0:1]
	s_mov_b64 s[14:15], 0
	s_and_saveexec_b64 s[4:5], vcc
	s_xor_b64 s[4:5], exec, s[4:5]
	s_cbranch_execz .LBB507_481
; %bb.476:
	v_cmp_lt_i64_e32 vcc, 22, v[0:1]
	s_and_saveexec_b64 s[14:15], vcc
	s_xor_b64 s[14:15], exec, s[14:15]
	s_cbranch_execz .LBB507_478
; %bb.477:
	v_mov_b32_e32 v2, 0
	s_waitcnt lgkmcnt(0)
	global_store_short v2, v28, s[66:67]
.LBB507_478:
	s_or_saveexec_b64 s[14:15], s[14:15]
	s_mov_b64 s[16:17], 0
	s_xor_b64 exec, exec, s[14:15]
; %bb.479:
	s_mov_b64 s[16:17], exec
; %bb.480:
	s_or_b64 exec, exec, s[14:15]
	s_and_b64 s[14:15], s[16:17], exec
.LBB507_481:
	s_andn2_saveexec_b64 s[4:5], s[4:5]
; %bb.482:
	s_mov_b64 s[6:7], exec
; %bb.483:
	s_or_b64 exec, exec, s[4:5]
	s_and_b64 s[4:5], s[14:15], exec
	s_and_b64 s[6:7], s[6:7], exec
                                        ; implicit-def: $vgpr27
                                        ; implicit-def: $vgpr25
.LBB507_484:
	s_andn2_saveexec_b64 s[12:13], s[12:13]
	s_cbranch_execz .LBB507_494
; %bb.485:
	v_cmp_lt_i64_e32 vcc, 18, v[0:1]
	s_mov_b64 s[14:15], 0
	s_and_saveexec_b64 s[8:9], vcc
	s_xor_b64 s[8:9], exec, s[8:9]
	s_cbranch_execz .LBB507_491
; %bb.486:
	v_cmp_lt_i64_e32 vcc, 19, v[0:1]
	s_and_saveexec_b64 s[16:17], vcc
	s_xor_b64 s[16:17], exec, s[16:17]
; %bb.487:
	s_mov_b64 s[14:15], exec
                                        ; implicit-def: $vgpr25
; %bb.488:
	s_andn2_saveexec_b64 s[16:17], s[16:17]
	s_cbranch_execz .LBB507_490
; %bb.489:
	v_mov_b32_e32 v2, 0
	s_waitcnt lgkmcnt(4)
	global_store_short v2, v25, s[66:67]
.LBB507_490:
	s_or_b64 exec, exec, s[16:17]
	s_and_b64 s[14:15], s[14:15], exec
                                        ; implicit-def: $vgpr27
.LBB507_491:
	s_andn2_saveexec_b64 s[8:9], s[8:9]
	s_cbranch_execz .LBB507_493
; %bb.492:
	v_mov_b32_e32 v2, 0
	s_waitcnt lgkmcnt(5)
	global_store_short v2, v27, s[66:67]
.LBB507_493:
	s_or_b64 exec, exec, s[8:9]
	s_and_b64 s[8:9], s[14:15], exec
.LBB507_494:
	s_or_b64 exec, exec, s[12:13]
	s_and_b64 s[4:5], s[4:5], exec
	s_and_b64 s[6:7], s[6:7], exec
	;; [unrolled: 1-line block ×3, first 2 shown]
                                        ; implicit-def: $vgpr17
                                        ; implicit-def: $vgpr15
                                        ; implicit-def: $vgpr16
                                        ; implicit-def: $vgpr21
                                        ; implicit-def: $vgpr24
                                        ; implicit-def: $vgpr26
.LBB507_495:
	s_andn2_saveexec_b64 s[10:11], s[10:11]
	s_cbranch_execz .LBB507_517
; %bb.496:
	v_cmp_lt_i64_e32 vcc, 14, v[0:1]
	s_mov_b64 s[12:13], s[4:5]
	s_and_saveexec_b64 s[14:15], vcc
	s_xor_b64 s[14:15], exec, s[14:15]
	s_cbranch_execz .LBB507_506
; %bb.497:
	v_cmp_lt_i64_e32 vcc, 15, v[0:1]
	s_and_saveexec_b64 s[12:13], vcc
	s_xor_b64 s[12:13], exec, s[12:13]
	s_cbranch_execz .LBB507_503
; %bb.498:
	v_cmp_lt_i64_e32 vcc, 16, v[0:1]
	s_and_saveexec_b64 s[16:17], vcc
	s_xor_b64 s[16:17], exec, s[16:17]
	s_cbranch_execz .LBB507_500
; %bb.499:
	v_mov_b32_e32 v2, 0
	s_waitcnt lgkmcnt(6)
	global_store_short v2, v26, s[66:67]
                                        ; implicit-def: $vgpr24
.LBB507_500:
	s_andn2_saveexec_b64 s[16:17], s[16:17]
	s_cbranch_execz .LBB507_502
; %bb.501:
	v_mov_b32_e32 v2, 0
	s_waitcnt lgkmcnt(7)
	global_store_short v2, v24, s[66:67]
.LBB507_502:
	s_or_b64 exec, exec, s[16:17]
.LBB507_503:
	s_or_saveexec_b64 s[12:13], s[12:13]
	s_mov_b64 s[16:17], s[4:5]
	s_xor_b64 exec, exec, s[12:13]
; %bb.504:
	s_or_b64 s[16:17], s[4:5], exec
; %bb.505:
	s_or_b64 exec, exec, s[12:13]
	s_andn2_b64 s[12:13], s[4:5], exec
	s_and_b64 s[16:17], s[16:17], exec
	s_or_b64 s[12:13], s[12:13], s[16:17]
                                        ; implicit-def: $vgpr16
                                        ; implicit-def: $vgpr21
                                        ; implicit-def: $vgpr15
.LBB507_506:
	s_or_saveexec_b64 s[14:15], s[14:15]
	s_mov_b64 s[16:17], s[6:7]
                                        ; implicit-def: $vgpr11
	s_xor_b64 exec, exec, s[14:15]
	s_cbranch_execz .LBB507_516
; %bb.507:
	v_cmp_lt_i64_e32 vcc, 12, v[0:1]
	s_mov_b64 s[18:19], s[6:7]
	s_mov_b64 s[20:21], s[12:13]
	s_and_saveexec_b64 s[16:17], vcc
	s_xor_b64 s[16:17], exec, s[16:17]
	s_cbranch_execz .LBB507_513
; %bb.508:
	v_cmp_lt_i64_e32 vcc, 13, v[0:1]
	s_mov_b64 s[18:19], s[12:13]
	s_and_saveexec_b64 s[20:21], vcc
	s_xor_b64 s[20:21], exec, s[20:21]
; %bb.509:
	s_or_b64 s[18:19], s[12:13], exec
; %bb.510:
	s_or_saveexec_b64 s[20:21], s[20:21]
	s_mov_b64 s[22:23], s[6:7]
	s_xor_b64 exec, exec, s[20:21]
; %bb.511:
	s_or_b64 s[22:23], s[6:7], exec
; %bb.512:
	s_or_b64 exec, exec, s[20:21]
	s_andn2_b64 s[20:21], s[12:13], exec
	s_and_b64 s[18:19], s[18:19], exec
	s_or_b64 s[20:21], s[20:21], s[18:19]
	s_andn2_b64 s[18:19], s[6:7], exec
	s_and_b64 s[22:23], s[22:23], exec
	s_or_b64 s[18:19], s[18:19], s[22:23]
                                        ; implicit-def: $vgpr21
.LBB507_513:
	s_andn2_saveexec_b64 s[16:17], s[16:17]
	s_cbranch_execz .LBB507_515
; %bb.514:
	s_or_b64 s[18:19], s[18:19], exec
	s_waitcnt lgkmcnt(10)
	v_mov_b32_e32 v16, v21
.LBB507_515:
	s_or_b64 exec, exec, s[16:17]
	s_andn2_b64 s[12:13], s[12:13], exec
	s_and_b64 s[16:17], s[20:21], exec
	s_or_b64 s[12:13], s[12:13], s[16:17]
	s_andn2_b64 s[16:17], s[6:7], exec
	s_and_b64 s[18:19], s[18:19], exec
	s_or_b64 s[16:17], s[16:17], s[18:19]
	s_waitcnt lgkmcnt(8)
	v_mov_b32_e32 v17, v15
	s_waitcnt lgkmcnt(2)
	v_mov_b32_e32 v11, v16
.LBB507_516:
	s_or_b64 exec, exec, s[14:15]
	s_andn2_b64 s[4:5], s[4:5], exec
	s_and_b64 s[12:13], s[12:13], exec
	s_or_b64 s[4:5], s[4:5], s[12:13]
	s_andn2_b64 s[6:7], s[6:7], exec
	s_and_b64 s[12:13], s[16:17], exec
	s_or_b64 s[6:7], s[6:7], s[12:13]
	s_waitcnt lgkmcnt(1)
	v_mov_b32_e32 v12, v17
.LBB507_517:
	s_or_b64 exec, exec, s[10:11]
	s_and_b64 s[4:5], s[4:5], exec
	s_and_b64 s[6:7], s[6:7], exec
	;; [unrolled: 1-line block ×3, first 2 shown]
                                        ; implicit-def: $vgpr18
                                        ; implicit-def: $vgpr23
                                        ; implicit-def: $vgpr20
                                        ; implicit-def: $vgpr22
                                        ; implicit-def: $vgpr13
                                        ; implicit-def: $vgpr14
	s_andn2_saveexec_b64 s[2:3], s[2:3]
	s_cbranch_execz .LBB507_468
.LBB507_518:
	v_cmp_lt_i64_e32 vcc, 5, v[0:1]
	s_mov_b64 s[12:13], -1
	s_mov_b64 s[10:11], s[8:9]
	s_mov_b64 s[14:15], s[6:7]
	;; [unrolled: 1-line block ×3, first 2 shown]
                                        ; implicit-def: $vgpr10
	s_and_saveexec_b64 s[0:1], vcc
	s_cbranch_execz .LBB507_534
; %bb.519:
	v_cmp_lt_i64_e32 vcc, 8, v[0:1]
	s_mov_b64 s[10:11], s[8:9]
                                        ; implicit-def: $vgpr10
	s_and_saveexec_b64 s[12:13], vcc
	s_xor_b64 s[12:13], exec, s[12:13]
	s_cbranch_execz .LBB507_529
; %bb.520:
	v_cmp_lt_i64_e32 vcc, 9, v[0:1]
	s_and_saveexec_b64 s[10:11], vcc
	s_xor_b64 s[10:11], exec, s[10:11]
	s_cbranch_execz .LBB507_526
; %bb.521:
	v_cmp_lt_i64_e32 vcc, 10, v[0:1]
	s_and_saveexec_b64 s[14:15], vcc
	s_xor_b64 s[14:15], exec, s[14:15]
; %bb.522:
                                        ; implicit-def: $vgpr22
; %bb.523:
	s_andn2_saveexec_b64 s[14:15], s[14:15]
	s_cbranch_execz .LBB507_525
; %bb.524:
	s_waitcnt lgkmcnt(12)
	v_mov_b32_e32 v20, v22
.LBB507_525:
	s_or_b64 exec, exec, s[14:15]
                                        ; implicit-def: $vgpr23
.LBB507_526:
	s_andn2_saveexec_b64 s[10:11], s[10:11]
	s_cbranch_execz .LBB507_528
; %bb.527:
	s_waitcnt lgkmcnt(12)
	v_mov_b32_e32 v20, v23
.LBB507_528:
	s_or_b64 exec, exec, s[10:11]
	s_or_b64 s[10:11], s[8:9], exec
	s_waitcnt lgkmcnt(3)
	v_mov_b32_e32 v10, v20
                                        ; implicit-def: $vgpr18
.LBB507_529:
	s_or_saveexec_b64 s[12:13], s[12:13]
	s_mov_b64 s[14:15], s[6:7]
	s_mov_b64 s[18:19], s[4:5]
	s_xor_b64 exec, exec, s[12:13]
	s_cbranch_execz .LBB507_533
; %bb.530:
	v_cmp_lt_i64_e32 vcc, 6, v[0:1]
	s_mov_b64 s[18:19], -1
	s_mov_b64 s[16:17], s[10:11]
	s_mov_b64 s[14:15], s[6:7]
	s_and_saveexec_b64 s[20:21], vcc
; %bb.531:
	v_cmp_lt_i64_e32 vcc, 7, v[0:1]
	s_andn2_b64 s[16:17], s[10:11], exec
	s_and_b64 s[22:23], vcc, exec
	s_xor_b64 s[18:19], exec, -1
	s_or_b64 s[14:15], s[6:7], exec
	s_or_b64 s[16:17], s[16:17], s[22:23]
; %bb.532:
	s_or_b64 exec, exec, s[20:21]
	s_andn2_b64 s[20:21], s[4:5], exec
	s_and_b64 s[18:19], s[18:19], exec
	s_or_b64 s[18:19], s[20:21], s[18:19]
	s_andn2_b64 s[20:21], s[6:7], exec
	s_and_b64 s[14:15], s[14:15], exec
	s_andn2_b64 s[10:11], s[10:11], exec
	s_and_b64 s[16:17], s[16:17], exec
	s_or_b64 s[14:15], s[20:21], s[14:15]
	s_or_b64 s[10:11], s[10:11], s[16:17]
	s_waitcnt lgkmcnt(3)
	v_mov_b32_e32 v10, v18
.LBB507_533:
	s_or_b64 exec, exec, s[12:13]
	s_andn2_b64 s[16:17], s[4:5], exec
	s_and_b64 s[18:19], s[18:19], exec
	s_or_b64 s[16:17], s[16:17], s[18:19]
	s_andn2_b64 s[18:19], s[6:7], exec
	s_and_b64 s[14:15], s[14:15], exec
	s_or_b64 s[14:15], s[18:19], s[14:15]
	s_andn2_b64 s[18:19], s[8:9], exec
	s_and_b64 s[10:11], s[10:11], exec
	s_xor_b64 s[12:13], exec, -1
	s_or_b64 s[10:11], s[18:19], s[10:11]
.LBB507_534:
	s_or_b64 exec, exec, s[0:1]
	s_and_b64 s[0:1], s[12:13], exec
	s_andn2_b64 s[4:5], s[4:5], exec
	s_and_b64 s[12:13], s[16:17], exec
	s_or_b64 s[4:5], s[4:5], s[12:13]
	s_andn2_b64 s[6:7], s[6:7], exec
	s_and_b64 s[12:13], s[14:15], exec
	s_andn2_b64 s[8:9], s[8:9], exec
	s_and_b64 s[10:11], s[10:11], exec
	s_or_b64 s[6:7], s[6:7], s[12:13]
	s_or_b64 s[8:9], s[8:9], s[10:11]
	s_waitcnt lgkmcnt(1)
	v_mov_b32_e32 v12, v13
	v_mov_b32_e32 v11, v14
	s_or_b64 exec, exec, s[2:3]
	s_and_saveexec_b64 s[2:3], s[8:9]
	s_cbranch_execz .LBB507_469
.LBB507_535:
	v_mov_b32_e32 v2, 0
	s_andn2_b64 s[6:7], s[6:7], exec
	s_waitcnt lgkmcnt(3)
	global_store_short v2, v10, s[66:67]
	s_or_b64 exec, exec, s[2:3]
	s_and_saveexec_b64 s[2:3], s[6:7]
	s_cbranch_execz .LBB507_470
.LBB507_536:
	v_mov_b32_e32 v2, 0
	s_waitcnt lgkmcnt(2)
	global_store_short v2, v11, s[66:67]
	s_or_b64 exec, exec, s[2:3]
	s_and_saveexec_b64 s[2:3], s[4:5]
	s_xor_b64 s[2:3], exec, s[2:3]
	s_cbranch_execz .LBB507_471
.LBB507_537:
	v_mov_b32_e32 v2, 0
	s_waitcnt lgkmcnt(1)
	global_store_short v2, v12, s[66:67]
	s_or_b64 exec, exec, s[2:3]
	s_and_b64 exec, exec, s[0:1]
	s_cbranch_execz .LBB507_472
.LBB507_538:
	v_cmp_lt_i64_e32 vcc, 2, v[0:1]
	s_and_saveexec_b64 s[0:1], vcc
	s_xor_b64 s[0:1], exec, s[0:1]
	s_cbranch_execz .LBB507_548
; %bb.539:
	v_cmp_lt_i64_e32 vcc, 3, v[0:1]
	s_and_saveexec_b64 s[2:3], vcc
	s_xor_b64 s[2:3], exec, s[2:3]
	s_cbranch_execz .LBB507_545
; %bb.540:
	;; [unrolled: 5-line block ×3, first 2 shown]
	v_mov_b32_e32 v0, 0
	s_waitcnt lgkmcnt(14)
	global_store_short v0, v9, s[66:67]
                                        ; implicit-def: $vgpr6
.LBB507_542:
	s_andn2_saveexec_b64 s[4:5], s[4:5]
	s_cbranch_execz .LBB507_544
; %bb.543:
	v_mov_b32_e32 v0, 0
	s_waitcnt lgkmcnt(14)
	global_store_short v0, v6, s[66:67]
.LBB507_544:
	s_or_b64 exec, exec, s[4:5]
                                        ; implicit-def: $vgpr8
.LBB507_545:
	s_andn2_saveexec_b64 s[2:3], s[2:3]
	s_cbranch_execz .LBB507_547
; %bb.546:
	v_mov_b32_e32 v0, 0
	s_waitcnt lgkmcnt(14)
	global_store_short v0, v8, s[66:67]
.LBB507_547:
	s_or_b64 exec, exec, s[2:3]
                                        ; implicit-def: $vgpr0_vgpr1
                                        ; implicit-def: $vgpr7
                                        ; implicit-def: $vgpr4
                                        ; implicit-def: $vgpr5
.LBB507_548:
	s_andn2_saveexec_b64 s[0:1], s[0:1]
	s_cbranch_execz .LBB507_472
; %bb.549:
	v_cmp_lt_i64_e32 vcc, 1, v[0:1]
	s_and_saveexec_b64 s[0:1], vcc
	s_xor_b64 s[0:1], exec, s[0:1]
	s_cbranch_execz .LBB507_551
; %bb.550:
	v_mov_b32_e32 v0, 0
	s_waitcnt lgkmcnt(14)
	global_store_short v0, v7, s[66:67]
                                        ; implicit-def: $vgpr4
                                        ; implicit-def: $vgpr0_vgpr1
                                        ; implicit-def: $vgpr5
.LBB507_551:
	s_andn2_saveexec_b64 s[0:1], s[0:1]
	s_cbranch_execz .LBB507_472
; %bb.552:
	v_cmp_ne_u64_e32 vcc, 1, v[0:1]
	s_and_saveexec_b64 s[0:1], vcc
	s_xor_b64 s[0:1], exec, s[0:1]
	s_cbranch_execz .LBB507_554
; %bb.553:
	v_mov_b32_e32 v0, 0
	s_waitcnt lgkmcnt(14)
	global_store_short v0, v5, s[66:67]
                                        ; implicit-def: $vgpr4
.LBB507_554:
	s_andn2_saveexec_b64 s[0:1], s[0:1]
	s_cbranch_execz .LBB507_472
; %bb.555:
	v_mov_b32_e32 v0, 0
	s_waitcnt lgkmcnt(14)
	global_store_short v0, v4, s[66:67]
	s_endpgm
	.section	.rodata,"a",@progbits
	.p2align	6, 0x0
	.amdhsa_kernel _ZN7rocprim17ROCPRIM_400000_NS6detail17trampoline_kernelINS0_14default_configENS1_20scan_config_selectorIN3c108BFloat16EEEZZNS1_9scan_implILNS1_25lookback_scan_determinismE0ELb0ELb0ES3_PKS6_PS6_S6_ZZZN2at6native31launch_logcumsumexp_cuda_kernelERKNSD_10TensorBaseESH_lENKUlvE_clEvENKUlvE4_clEvEUlS6_S6_E_S6_EEDaPvRmT3_T4_T5_mT6_P12ihipStream_tbENKUlT_T0_E_clISt17integral_constantIbLb0EESX_IbLb1EEEEDaST_SU_EUlST_E_NS1_11comp_targetILNS1_3genE2ELNS1_11target_archE906ELNS1_3gpuE6ELNS1_3repE0EEENS1_30default_config_static_selectorELNS0_4arch9wavefront6targetE1EEEvT1_
		.amdhsa_group_segment_fixed_size 12288
		.amdhsa_private_segment_fixed_size 0
		.amdhsa_kernarg_size 96
		.amdhsa_user_sgpr_count 6
		.amdhsa_user_sgpr_private_segment_buffer 1
		.amdhsa_user_sgpr_dispatch_ptr 0
		.amdhsa_user_sgpr_queue_ptr 0
		.amdhsa_user_sgpr_kernarg_segment_ptr 1
		.amdhsa_user_sgpr_dispatch_id 0
		.amdhsa_user_sgpr_flat_scratch_init 0
		.amdhsa_user_sgpr_private_segment_size 0
		.amdhsa_uses_dynamic_stack 0
		.amdhsa_system_sgpr_private_segment_wavefront_offset 0
		.amdhsa_system_sgpr_workgroup_id_x 1
		.amdhsa_system_sgpr_workgroup_id_y 0
		.amdhsa_system_sgpr_workgroup_id_z 0
		.amdhsa_system_sgpr_workgroup_info 0
		.amdhsa_system_vgpr_workitem_id 0
		.amdhsa_next_free_vgpr 101
		.amdhsa_next_free_sgpr 98
		.amdhsa_reserve_vcc 1
		.amdhsa_reserve_flat_scratch 0
		.amdhsa_float_round_mode_32 0
		.amdhsa_float_round_mode_16_64 0
		.amdhsa_float_denorm_mode_32 3
		.amdhsa_float_denorm_mode_16_64 3
		.amdhsa_dx10_clamp 1
		.amdhsa_ieee_mode 1
		.amdhsa_fp16_overflow 0
		.amdhsa_exception_fp_ieee_invalid_op 0
		.amdhsa_exception_fp_denorm_src 0
		.amdhsa_exception_fp_ieee_div_zero 0
		.amdhsa_exception_fp_ieee_overflow 0
		.amdhsa_exception_fp_ieee_underflow 0
		.amdhsa_exception_fp_ieee_inexact 0
		.amdhsa_exception_int_div_zero 0
	.end_amdhsa_kernel
	.section	.text._ZN7rocprim17ROCPRIM_400000_NS6detail17trampoline_kernelINS0_14default_configENS1_20scan_config_selectorIN3c108BFloat16EEEZZNS1_9scan_implILNS1_25lookback_scan_determinismE0ELb0ELb0ES3_PKS6_PS6_S6_ZZZN2at6native31launch_logcumsumexp_cuda_kernelERKNSD_10TensorBaseESH_lENKUlvE_clEvENKUlvE4_clEvEUlS6_S6_E_S6_EEDaPvRmT3_T4_T5_mT6_P12ihipStream_tbENKUlT_T0_E_clISt17integral_constantIbLb0EESX_IbLb1EEEEDaST_SU_EUlST_E_NS1_11comp_targetILNS1_3genE2ELNS1_11target_archE906ELNS1_3gpuE6ELNS1_3repE0EEENS1_30default_config_static_selectorELNS0_4arch9wavefront6targetE1EEEvT1_,"axG",@progbits,_ZN7rocprim17ROCPRIM_400000_NS6detail17trampoline_kernelINS0_14default_configENS1_20scan_config_selectorIN3c108BFloat16EEEZZNS1_9scan_implILNS1_25lookback_scan_determinismE0ELb0ELb0ES3_PKS6_PS6_S6_ZZZN2at6native31launch_logcumsumexp_cuda_kernelERKNSD_10TensorBaseESH_lENKUlvE_clEvENKUlvE4_clEvEUlS6_S6_E_S6_EEDaPvRmT3_T4_T5_mT6_P12ihipStream_tbENKUlT_T0_E_clISt17integral_constantIbLb0EESX_IbLb1EEEEDaST_SU_EUlST_E_NS1_11comp_targetILNS1_3genE2ELNS1_11target_archE906ELNS1_3gpuE6ELNS1_3repE0EEENS1_30default_config_static_selectorELNS0_4arch9wavefront6targetE1EEEvT1_,comdat
.Lfunc_end507:
	.size	_ZN7rocprim17ROCPRIM_400000_NS6detail17trampoline_kernelINS0_14default_configENS1_20scan_config_selectorIN3c108BFloat16EEEZZNS1_9scan_implILNS1_25lookback_scan_determinismE0ELb0ELb0ES3_PKS6_PS6_S6_ZZZN2at6native31launch_logcumsumexp_cuda_kernelERKNSD_10TensorBaseESH_lENKUlvE_clEvENKUlvE4_clEvEUlS6_S6_E_S6_EEDaPvRmT3_T4_T5_mT6_P12ihipStream_tbENKUlT_T0_E_clISt17integral_constantIbLb0EESX_IbLb1EEEEDaST_SU_EUlST_E_NS1_11comp_targetILNS1_3genE2ELNS1_11target_archE906ELNS1_3gpuE6ELNS1_3repE0EEENS1_30default_config_static_selectorELNS0_4arch9wavefront6targetE1EEEvT1_, .Lfunc_end507-_ZN7rocprim17ROCPRIM_400000_NS6detail17trampoline_kernelINS0_14default_configENS1_20scan_config_selectorIN3c108BFloat16EEEZZNS1_9scan_implILNS1_25lookback_scan_determinismE0ELb0ELb0ES3_PKS6_PS6_S6_ZZZN2at6native31launch_logcumsumexp_cuda_kernelERKNSD_10TensorBaseESH_lENKUlvE_clEvENKUlvE4_clEvEUlS6_S6_E_S6_EEDaPvRmT3_T4_T5_mT6_P12ihipStream_tbENKUlT_T0_E_clISt17integral_constantIbLb0EESX_IbLb1EEEEDaST_SU_EUlST_E_NS1_11comp_targetILNS1_3genE2ELNS1_11target_archE906ELNS1_3gpuE6ELNS1_3repE0EEENS1_30default_config_static_selectorELNS0_4arch9wavefront6targetE1EEEvT1_
                                        ; -- End function
	.set _ZN7rocprim17ROCPRIM_400000_NS6detail17trampoline_kernelINS0_14default_configENS1_20scan_config_selectorIN3c108BFloat16EEEZZNS1_9scan_implILNS1_25lookback_scan_determinismE0ELb0ELb0ES3_PKS6_PS6_S6_ZZZN2at6native31launch_logcumsumexp_cuda_kernelERKNSD_10TensorBaseESH_lENKUlvE_clEvENKUlvE4_clEvEUlS6_S6_E_S6_EEDaPvRmT3_T4_T5_mT6_P12ihipStream_tbENKUlT_T0_E_clISt17integral_constantIbLb0EESX_IbLb1EEEEDaST_SU_EUlST_E_NS1_11comp_targetILNS1_3genE2ELNS1_11target_archE906ELNS1_3gpuE6ELNS1_3repE0EEENS1_30default_config_static_selectorELNS0_4arch9wavefront6targetE1EEEvT1_.num_vgpr, 101
	.set _ZN7rocprim17ROCPRIM_400000_NS6detail17trampoline_kernelINS0_14default_configENS1_20scan_config_selectorIN3c108BFloat16EEEZZNS1_9scan_implILNS1_25lookback_scan_determinismE0ELb0ELb0ES3_PKS6_PS6_S6_ZZZN2at6native31launch_logcumsumexp_cuda_kernelERKNSD_10TensorBaseESH_lENKUlvE_clEvENKUlvE4_clEvEUlS6_S6_E_S6_EEDaPvRmT3_T4_T5_mT6_P12ihipStream_tbENKUlT_T0_E_clISt17integral_constantIbLb0EESX_IbLb1EEEEDaST_SU_EUlST_E_NS1_11comp_targetILNS1_3genE2ELNS1_11target_archE906ELNS1_3gpuE6ELNS1_3repE0EEENS1_30default_config_static_selectorELNS0_4arch9wavefront6targetE1EEEvT1_.num_agpr, 0
	.set _ZN7rocprim17ROCPRIM_400000_NS6detail17trampoline_kernelINS0_14default_configENS1_20scan_config_selectorIN3c108BFloat16EEEZZNS1_9scan_implILNS1_25lookback_scan_determinismE0ELb0ELb0ES3_PKS6_PS6_S6_ZZZN2at6native31launch_logcumsumexp_cuda_kernelERKNSD_10TensorBaseESH_lENKUlvE_clEvENKUlvE4_clEvEUlS6_S6_E_S6_EEDaPvRmT3_T4_T5_mT6_P12ihipStream_tbENKUlT_T0_E_clISt17integral_constantIbLb0EESX_IbLb1EEEEDaST_SU_EUlST_E_NS1_11comp_targetILNS1_3genE2ELNS1_11target_archE906ELNS1_3gpuE6ELNS1_3repE0EEENS1_30default_config_static_selectorELNS0_4arch9wavefront6targetE1EEEvT1_.numbered_sgpr, 94
	.set _ZN7rocprim17ROCPRIM_400000_NS6detail17trampoline_kernelINS0_14default_configENS1_20scan_config_selectorIN3c108BFloat16EEEZZNS1_9scan_implILNS1_25lookback_scan_determinismE0ELb0ELb0ES3_PKS6_PS6_S6_ZZZN2at6native31launch_logcumsumexp_cuda_kernelERKNSD_10TensorBaseESH_lENKUlvE_clEvENKUlvE4_clEvEUlS6_S6_E_S6_EEDaPvRmT3_T4_T5_mT6_P12ihipStream_tbENKUlT_T0_E_clISt17integral_constantIbLb0EESX_IbLb1EEEEDaST_SU_EUlST_E_NS1_11comp_targetILNS1_3genE2ELNS1_11target_archE906ELNS1_3gpuE6ELNS1_3repE0EEENS1_30default_config_static_selectorELNS0_4arch9wavefront6targetE1EEEvT1_.num_named_barrier, 0
	.set _ZN7rocprim17ROCPRIM_400000_NS6detail17trampoline_kernelINS0_14default_configENS1_20scan_config_selectorIN3c108BFloat16EEEZZNS1_9scan_implILNS1_25lookback_scan_determinismE0ELb0ELb0ES3_PKS6_PS6_S6_ZZZN2at6native31launch_logcumsumexp_cuda_kernelERKNSD_10TensorBaseESH_lENKUlvE_clEvENKUlvE4_clEvEUlS6_S6_E_S6_EEDaPvRmT3_T4_T5_mT6_P12ihipStream_tbENKUlT_T0_E_clISt17integral_constantIbLb0EESX_IbLb1EEEEDaST_SU_EUlST_E_NS1_11comp_targetILNS1_3genE2ELNS1_11target_archE906ELNS1_3gpuE6ELNS1_3repE0EEENS1_30default_config_static_selectorELNS0_4arch9wavefront6targetE1EEEvT1_.private_seg_size, 0
	.set _ZN7rocprim17ROCPRIM_400000_NS6detail17trampoline_kernelINS0_14default_configENS1_20scan_config_selectorIN3c108BFloat16EEEZZNS1_9scan_implILNS1_25lookback_scan_determinismE0ELb0ELb0ES3_PKS6_PS6_S6_ZZZN2at6native31launch_logcumsumexp_cuda_kernelERKNSD_10TensorBaseESH_lENKUlvE_clEvENKUlvE4_clEvEUlS6_S6_E_S6_EEDaPvRmT3_T4_T5_mT6_P12ihipStream_tbENKUlT_T0_E_clISt17integral_constantIbLb0EESX_IbLb1EEEEDaST_SU_EUlST_E_NS1_11comp_targetILNS1_3genE2ELNS1_11target_archE906ELNS1_3gpuE6ELNS1_3repE0EEENS1_30default_config_static_selectorELNS0_4arch9wavefront6targetE1EEEvT1_.uses_vcc, 1
	.set _ZN7rocprim17ROCPRIM_400000_NS6detail17trampoline_kernelINS0_14default_configENS1_20scan_config_selectorIN3c108BFloat16EEEZZNS1_9scan_implILNS1_25lookback_scan_determinismE0ELb0ELb0ES3_PKS6_PS6_S6_ZZZN2at6native31launch_logcumsumexp_cuda_kernelERKNSD_10TensorBaseESH_lENKUlvE_clEvENKUlvE4_clEvEUlS6_S6_E_S6_EEDaPvRmT3_T4_T5_mT6_P12ihipStream_tbENKUlT_T0_E_clISt17integral_constantIbLb0EESX_IbLb1EEEEDaST_SU_EUlST_E_NS1_11comp_targetILNS1_3genE2ELNS1_11target_archE906ELNS1_3gpuE6ELNS1_3repE0EEENS1_30default_config_static_selectorELNS0_4arch9wavefront6targetE1EEEvT1_.uses_flat_scratch, 0
	.set _ZN7rocprim17ROCPRIM_400000_NS6detail17trampoline_kernelINS0_14default_configENS1_20scan_config_selectorIN3c108BFloat16EEEZZNS1_9scan_implILNS1_25lookback_scan_determinismE0ELb0ELb0ES3_PKS6_PS6_S6_ZZZN2at6native31launch_logcumsumexp_cuda_kernelERKNSD_10TensorBaseESH_lENKUlvE_clEvENKUlvE4_clEvEUlS6_S6_E_S6_EEDaPvRmT3_T4_T5_mT6_P12ihipStream_tbENKUlT_T0_E_clISt17integral_constantIbLb0EESX_IbLb1EEEEDaST_SU_EUlST_E_NS1_11comp_targetILNS1_3genE2ELNS1_11target_archE906ELNS1_3gpuE6ELNS1_3repE0EEENS1_30default_config_static_selectorELNS0_4arch9wavefront6targetE1EEEvT1_.has_dyn_sized_stack, 0
	.set _ZN7rocprim17ROCPRIM_400000_NS6detail17trampoline_kernelINS0_14default_configENS1_20scan_config_selectorIN3c108BFloat16EEEZZNS1_9scan_implILNS1_25lookback_scan_determinismE0ELb0ELb0ES3_PKS6_PS6_S6_ZZZN2at6native31launch_logcumsumexp_cuda_kernelERKNSD_10TensorBaseESH_lENKUlvE_clEvENKUlvE4_clEvEUlS6_S6_E_S6_EEDaPvRmT3_T4_T5_mT6_P12ihipStream_tbENKUlT_T0_E_clISt17integral_constantIbLb0EESX_IbLb1EEEEDaST_SU_EUlST_E_NS1_11comp_targetILNS1_3genE2ELNS1_11target_archE906ELNS1_3gpuE6ELNS1_3repE0EEENS1_30default_config_static_selectorELNS0_4arch9wavefront6targetE1EEEvT1_.has_recursion, 0
	.set _ZN7rocprim17ROCPRIM_400000_NS6detail17trampoline_kernelINS0_14default_configENS1_20scan_config_selectorIN3c108BFloat16EEEZZNS1_9scan_implILNS1_25lookback_scan_determinismE0ELb0ELb0ES3_PKS6_PS6_S6_ZZZN2at6native31launch_logcumsumexp_cuda_kernelERKNSD_10TensorBaseESH_lENKUlvE_clEvENKUlvE4_clEvEUlS6_S6_E_S6_EEDaPvRmT3_T4_T5_mT6_P12ihipStream_tbENKUlT_T0_E_clISt17integral_constantIbLb0EESX_IbLb1EEEEDaST_SU_EUlST_E_NS1_11comp_targetILNS1_3genE2ELNS1_11target_archE906ELNS1_3gpuE6ELNS1_3repE0EEENS1_30default_config_static_selectorELNS0_4arch9wavefront6targetE1EEEvT1_.has_indirect_call, 0
	.section	.AMDGPU.csdata,"",@progbits
; Kernel info:
; codeLenInByte = 110004
; TotalNumSgprs: 98
; NumVgprs: 101
; ScratchSize: 0
; MemoryBound: 0
; FloatMode: 240
; IeeeMode: 1
; LDSByteSize: 12288 bytes/workgroup (compile time only)
; SGPRBlocks: 12
; VGPRBlocks: 25
; NumSGPRsForWavesPerEU: 102
; NumVGPRsForWavesPerEU: 101
; Occupancy: 2
; WaveLimiterHint : 1
; COMPUTE_PGM_RSRC2:SCRATCH_EN: 0
; COMPUTE_PGM_RSRC2:USER_SGPR: 6
; COMPUTE_PGM_RSRC2:TRAP_HANDLER: 0
; COMPUTE_PGM_RSRC2:TGID_X_EN: 1
; COMPUTE_PGM_RSRC2:TGID_Y_EN: 0
; COMPUTE_PGM_RSRC2:TGID_Z_EN: 0
; COMPUTE_PGM_RSRC2:TIDIG_COMP_CNT: 0
	.section	.text._ZN7rocprim17ROCPRIM_400000_NS6detail17trampoline_kernelINS0_14default_configENS1_20scan_config_selectorIN3c108BFloat16EEEZZNS1_9scan_implILNS1_25lookback_scan_determinismE0ELb0ELb0ES3_PKS6_PS6_S6_ZZZN2at6native31launch_logcumsumexp_cuda_kernelERKNSD_10TensorBaseESH_lENKUlvE_clEvENKUlvE4_clEvEUlS6_S6_E_S6_EEDaPvRmT3_T4_T5_mT6_P12ihipStream_tbENKUlT_T0_E_clISt17integral_constantIbLb0EESX_IbLb1EEEEDaST_SU_EUlST_E_NS1_11comp_targetILNS1_3genE10ELNS1_11target_archE1201ELNS1_3gpuE5ELNS1_3repE0EEENS1_30default_config_static_selectorELNS0_4arch9wavefront6targetE1EEEvT1_,"axG",@progbits,_ZN7rocprim17ROCPRIM_400000_NS6detail17trampoline_kernelINS0_14default_configENS1_20scan_config_selectorIN3c108BFloat16EEEZZNS1_9scan_implILNS1_25lookback_scan_determinismE0ELb0ELb0ES3_PKS6_PS6_S6_ZZZN2at6native31launch_logcumsumexp_cuda_kernelERKNSD_10TensorBaseESH_lENKUlvE_clEvENKUlvE4_clEvEUlS6_S6_E_S6_EEDaPvRmT3_T4_T5_mT6_P12ihipStream_tbENKUlT_T0_E_clISt17integral_constantIbLb0EESX_IbLb1EEEEDaST_SU_EUlST_E_NS1_11comp_targetILNS1_3genE10ELNS1_11target_archE1201ELNS1_3gpuE5ELNS1_3repE0EEENS1_30default_config_static_selectorELNS0_4arch9wavefront6targetE1EEEvT1_,comdat
	.globl	_ZN7rocprim17ROCPRIM_400000_NS6detail17trampoline_kernelINS0_14default_configENS1_20scan_config_selectorIN3c108BFloat16EEEZZNS1_9scan_implILNS1_25lookback_scan_determinismE0ELb0ELb0ES3_PKS6_PS6_S6_ZZZN2at6native31launch_logcumsumexp_cuda_kernelERKNSD_10TensorBaseESH_lENKUlvE_clEvENKUlvE4_clEvEUlS6_S6_E_S6_EEDaPvRmT3_T4_T5_mT6_P12ihipStream_tbENKUlT_T0_E_clISt17integral_constantIbLb0EESX_IbLb1EEEEDaST_SU_EUlST_E_NS1_11comp_targetILNS1_3genE10ELNS1_11target_archE1201ELNS1_3gpuE5ELNS1_3repE0EEENS1_30default_config_static_selectorELNS0_4arch9wavefront6targetE1EEEvT1_ ; -- Begin function _ZN7rocprim17ROCPRIM_400000_NS6detail17trampoline_kernelINS0_14default_configENS1_20scan_config_selectorIN3c108BFloat16EEEZZNS1_9scan_implILNS1_25lookback_scan_determinismE0ELb0ELb0ES3_PKS6_PS6_S6_ZZZN2at6native31launch_logcumsumexp_cuda_kernelERKNSD_10TensorBaseESH_lENKUlvE_clEvENKUlvE4_clEvEUlS6_S6_E_S6_EEDaPvRmT3_T4_T5_mT6_P12ihipStream_tbENKUlT_T0_E_clISt17integral_constantIbLb0EESX_IbLb1EEEEDaST_SU_EUlST_E_NS1_11comp_targetILNS1_3genE10ELNS1_11target_archE1201ELNS1_3gpuE5ELNS1_3repE0EEENS1_30default_config_static_selectorELNS0_4arch9wavefront6targetE1EEEvT1_
	.p2align	8
	.type	_ZN7rocprim17ROCPRIM_400000_NS6detail17trampoline_kernelINS0_14default_configENS1_20scan_config_selectorIN3c108BFloat16EEEZZNS1_9scan_implILNS1_25lookback_scan_determinismE0ELb0ELb0ES3_PKS6_PS6_S6_ZZZN2at6native31launch_logcumsumexp_cuda_kernelERKNSD_10TensorBaseESH_lENKUlvE_clEvENKUlvE4_clEvEUlS6_S6_E_S6_EEDaPvRmT3_T4_T5_mT6_P12ihipStream_tbENKUlT_T0_E_clISt17integral_constantIbLb0EESX_IbLb1EEEEDaST_SU_EUlST_E_NS1_11comp_targetILNS1_3genE10ELNS1_11target_archE1201ELNS1_3gpuE5ELNS1_3repE0EEENS1_30default_config_static_selectorELNS0_4arch9wavefront6targetE1EEEvT1_,@function
_ZN7rocprim17ROCPRIM_400000_NS6detail17trampoline_kernelINS0_14default_configENS1_20scan_config_selectorIN3c108BFloat16EEEZZNS1_9scan_implILNS1_25lookback_scan_determinismE0ELb0ELb0ES3_PKS6_PS6_S6_ZZZN2at6native31launch_logcumsumexp_cuda_kernelERKNSD_10TensorBaseESH_lENKUlvE_clEvENKUlvE4_clEvEUlS6_S6_E_S6_EEDaPvRmT3_T4_T5_mT6_P12ihipStream_tbENKUlT_T0_E_clISt17integral_constantIbLb0EESX_IbLb1EEEEDaST_SU_EUlST_E_NS1_11comp_targetILNS1_3genE10ELNS1_11target_archE1201ELNS1_3gpuE5ELNS1_3repE0EEENS1_30default_config_static_selectorELNS0_4arch9wavefront6targetE1EEEvT1_: ; @_ZN7rocprim17ROCPRIM_400000_NS6detail17trampoline_kernelINS0_14default_configENS1_20scan_config_selectorIN3c108BFloat16EEEZZNS1_9scan_implILNS1_25lookback_scan_determinismE0ELb0ELb0ES3_PKS6_PS6_S6_ZZZN2at6native31launch_logcumsumexp_cuda_kernelERKNSD_10TensorBaseESH_lENKUlvE_clEvENKUlvE4_clEvEUlS6_S6_E_S6_EEDaPvRmT3_T4_T5_mT6_P12ihipStream_tbENKUlT_T0_E_clISt17integral_constantIbLb0EESX_IbLb1EEEEDaST_SU_EUlST_E_NS1_11comp_targetILNS1_3genE10ELNS1_11target_archE1201ELNS1_3gpuE5ELNS1_3repE0EEENS1_30default_config_static_selectorELNS0_4arch9wavefront6targetE1EEEvT1_
; %bb.0:
	.section	.rodata,"a",@progbits
	.p2align	6, 0x0
	.amdhsa_kernel _ZN7rocprim17ROCPRIM_400000_NS6detail17trampoline_kernelINS0_14default_configENS1_20scan_config_selectorIN3c108BFloat16EEEZZNS1_9scan_implILNS1_25lookback_scan_determinismE0ELb0ELb0ES3_PKS6_PS6_S6_ZZZN2at6native31launch_logcumsumexp_cuda_kernelERKNSD_10TensorBaseESH_lENKUlvE_clEvENKUlvE4_clEvEUlS6_S6_E_S6_EEDaPvRmT3_T4_T5_mT6_P12ihipStream_tbENKUlT_T0_E_clISt17integral_constantIbLb0EESX_IbLb1EEEEDaST_SU_EUlST_E_NS1_11comp_targetILNS1_3genE10ELNS1_11target_archE1201ELNS1_3gpuE5ELNS1_3repE0EEENS1_30default_config_static_selectorELNS0_4arch9wavefront6targetE1EEEvT1_
		.amdhsa_group_segment_fixed_size 0
		.amdhsa_private_segment_fixed_size 0
		.amdhsa_kernarg_size 96
		.amdhsa_user_sgpr_count 6
		.amdhsa_user_sgpr_private_segment_buffer 1
		.amdhsa_user_sgpr_dispatch_ptr 0
		.amdhsa_user_sgpr_queue_ptr 0
		.amdhsa_user_sgpr_kernarg_segment_ptr 1
		.amdhsa_user_sgpr_dispatch_id 0
		.amdhsa_user_sgpr_flat_scratch_init 0
		.amdhsa_user_sgpr_private_segment_size 0
		.amdhsa_uses_dynamic_stack 0
		.amdhsa_system_sgpr_private_segment_wavefront_offset 0
		.amdhsa_system_sgpr_workgroup_id_x 1
		.amdhsa_system_sgpr_workgroup_id_y 0
		.amdhsa_system_sgpr_workgroup_id_z 0
		.amdhsa_system_sgpr_workgroup_info 0
		.amdhsa_system_vgpr_workitem_id 0
		.amdhsa_next_free_vgpr 1
		.amdhsa_next_free_sgpr 0
		.amdhsa_reserve_vcc 0
		.amdhsa_reserve_flat_scratch 0
		.amdhsa_float_round_mode_32 0
		.amdhsa_float_round_mode_16_64 0
		.amdhsa_float_denorm_mode_32 3
		.amdhsa_float_denorm_mode_16_64 3
		.amdhsa_dx10_clamp 1
		.amdhsa_ieee_mode 1
		.amdhsa_fp16_overflow 0
		.amdhsa_exception_fp_ieee_invalid_op 0
		.amdhsa_exception_fp_denorm_src 0
		.amdhsa_exception_fp_ieee_div_zero 0
		.amdhsa_exception_fp_ieee_overflow 0
		.amdhsa_exception_fp_ieee_underflow 0
		.amdhsa_exception_fp_ieee_inexact 0
		.amdhsa_exception_int_div_zero 0
	.end_amdhsa_kernel
	.section	.text._ZN7rocprim17ROCPRIM_400000_NS6detail17trampoline_kernelINS0_14default_configENS1_20scan_config_selectorIN3c108BFloat16EEEZZNS1_9scan_implILNS1_25lookback_scan_determinismE0ELb0ELb0ES3_PKS6_PS6_S6_ZZZN2at6native31launch_logcumsumexp_cuda_kernelERKNSD_10TensorBaseESH_lENKUlvE_clEvENKUlvE4_clEvEUlS6_S6_E_S6_EEDaPvRmT3_T4_T5_mT6_P12ihipStream_tbENKUlT_T0_E_clISt17integral_constantIbLb0EESX_IbLb1EEEEDaST_SU_EUlST_E_NS1_11comp_targetILNS1_3genE10ELNS1_11target_archE1201ELNS1_3gpuE5ELNS1_3repE0EEENS1_30default_config_static_selectorELNS0_4arch9wavefront6targetE1EEEvT1_,"axG",@progbits,_ZN7rocprim17ROCPRIM_400000_NS6detail17trampoline_kernelINS0_14default_configENS1_20scan_config_selectorIN3c108BFloat16EEEZZNS1_9scan_implILNS1_25lookback_scan_determinismE0ELb0ELb0ES3_PKS6_PS6_S6_ZZZN2at6native31launch_logcumsumexp_cuda_kernelERKNSD_10TensorBaseESH_lENKUlvE_clEvENKUlvE4_clEvEUlS6_S6_E_S6_EEDaPvRmT3_T4_T5_mT6_P12ihipStream_tbENKUlT_T0_E_clISt17integral_constantIbLb0EESX_IbLb1EEEEDaST_SU_EUlST_E_NS1_11comp_targetILNS1_3genE10ELNS1_11target_archE1201ELNS1_3gpuE5ELNS1_3repE0EEENS1_30default_config_static_selectorELNS0_4arch9wavefront6targetE1EEEvT1_,comdat
.Lfunc_end508:
	.size	_ZN7rocprim17ROCPRIM_400000_NS6detail17trampoline_kernelINS0_14default_configENS1_20scan_config_selectorIN3c108BFloat16EEEZZNS1_9scan_implILNS1_25lookback_scan_determinismE0ELb0ELb0ES3_PKS6_PS6_S6_ZZZN2at6native31launch_logcumsumexp_cuda_kernelERKNSD_10TensorBaseESH_lENKUlvE_clEvENKUlvE4_clEvEUlS6_S6_E_S6_EEDaPvRmT3_T4_T5_mT6_P12ihipStream_tbENKUlT_T0_E_clISt17integral_constantIbLb0EESX_IbLb1EEEEDaST_SU_EUlST_E_NS1_11comp_targetILNS1_3genE10ELNS1_11target_archE1201ELNS1_3gpuE5ELNS1_3repE0EEENS1_30default_config_static_selectorELNS0_4arch9wavefront6targetE1EEEvT1_, .Lfunc_end508-_ZN7rocprim17ROCPRIM_400000_NS6detail17trampoline_kernelINS0_14default_configENS1_20scan_config_selectorIN3c108BFloat16EEEZZNS1_9scan_implILNS1_25lookback_scan_determinismE0ELb0ELb0ES3_PKS6_PS6_S6_ZZZN2at6native31launch_logcumsumexp_cuda_kernelERKNSD_10TensorBaseESH_lENKUlvE_clEvENKUlvE4_clEvEUlS6_S6_E_S6_EEDaPvRmT3_T4_T5_mT6_P12ihipStream_tbENKUlT_T0_E_clISt17integral_constantIbLb0EESX_IbLb1EEEEDaST_SU_EUlST_E_NS1_11comp_targetILNS1_3genE10ELNS1_11target_archE1201ELNS1_3gpuE5ELNS1_3repE0EEENS1_30default_config_static_selectorELNS0_4arch9wavefront6targetE1EEEvT1_
                                        ; -- End function
	.set _ZN7rocprim17ROCPRIM_400000_NS6detail17trampoline_kernelINS0_14default_configENS1_20scan_config_selectorIN3c108BFloat16EEEZZNS1_9scan_implILNS1_25lookback_scan_determinismE0ELb0ELb0ES3_PKS6_PS6_S6_ZZZN2at6native31launch_logcumsumexp_cuda_kernelERKNSD_10TensorBaseESH_lENKUlvE_clEvENKUlvE4_clEvEUlS6_S6_E_S6_EEDaPvRmT3_T4_T5_mT6_P12ihipStream_tbENKUlT_T0_E_clISt17integral_constantIbLb0EESX_IbLb1EEEEDaST_SU_EUlST_E_NS1_11comp_targetILNS1_3genE10ELNS1_11target_archE1201ELNS1_3gpuE5ELNS1_3repE0EEENS1_30default_config_static_selectorELNS0_4arch9wavefront6targetE1EEEvT1_.num_vgpr, 0
	.set _ZN7rocprim17ROCPRIM_400000_NS6detail17trampoline_kernelINS0_14default_configENS1_20scan_config_selectorIN3c108BFloat16EEEZZNS1_9scan_implILNS1_25lookback_scan_determinismE0ELb0ELb0ES3_PKS6_PS6_S6_ZZZN2at6native31launch_logcumsumexp_cuda_kernelERKNSD_10TensorBaseESH_lENKUlvE_clEvENKUlvE4_clEvEUlS6_S6_E_S6_EEDaPvRmT3_T4_T5_mT6_P12ihipStream_tbENKUlT_T0_E_clISt17integral_constantIbLb0EESX_IbLb1EEEEDaST_SU_EUlST_E_NS1_11comp_targetILNS1_3genE10ELNS1_11target_archE1201ELNS1_3gpuE5ELNS1_3repE0EEENS1_30default_config_static_selectorELNS0_4arch9wavefront6targetE1EEEvT1_.num_agpr, 0
	.set _ZN7rocprim17ROCPRIM_400000_NS6detail17trampoline_kernelINS0_14default_configENS1_20scan_config_selectorIN3c108BFloat16EEEZZNS1_9scan_implILNS1_25lookback_scan_determinismE0ELb0ELb0ES3_PKS6_PS6_S6_ZZZN2at6native31launch_logcumsumexp_cuda_kernelERKNSD_10TensorBaseESH_lENKUlvE_clEvENKUlvE4_clEvEUlS6_S6_E_S6_EEDaPvRmT3_T4_T5_mT6_P12ihipStream_tbENKUlT_T0_E_clISt17integral_constantIbLb0EESX_IbLb1EEEEDaST_SU_EUlST_E_NS1_11comp_targetILNS1_3genE10ELNS1_11target_archE1201ELNS1_3gpuE5ELNS1_3repE0EEENS1_30default_config_static_selectorELNS0_4arch9wavefront6targetE1EEEvT1_.numbered_sgpr, 0
	.set _ZN7rocprim17ROCPRIM_400000_NS6detail17trampoline_kernelINS0_14default_configENS1_20scan_config_selectorIN3c108BFloat16EEEZZNS1_9scan_implILNS1_25lookback_scan_determinismE0ELb0ELb0ES3_PKS6_PS6_S6_ZZZN2at6native31launch_logcumsumexp_cuda_kernelERKNSD_10TensorBaseESH_lENKUlvE_clEvENKUlvE4_clEvEUlS6_S6_E_S6_EEDaPvRmT3_T4_T5_mT6_P12ihipStream_tbENKUlT_T0_E_clISt17integral_constantIbLb0EESX_IbLb1EEEEDaST_SU_EUlST_E_NS1_11comp_targetILNS1_3genE10ELNS1_11target_archE1201ELNS1_3gpuE5ELNS1_3repE0EEENS1_30default_config_static_selectorELNS0_4arch9wavefront6targetE1EEEvT1_.num_named_barrier, 0
	.set _ZN7rocprim17ROCPRIM_400000_NS6detail17trampoline_kernelINS0_14default_configENS1_20scan_config_selectorIN3c108BFloat16EEEZZNS1_9scan_implILNS1_25lookback_scan_determinismE0ELb0ELb0ES3_PKS6_PS6_S6_ZZZN2at6native31launch_logcumsumexp_cuda_kernelERKNSD_10TensorBaseESH_lENKUlvE_clEvENKUlvE4_clEvEUlS6_S6_E_S6_EEDaPvRmT3_T4_T5_mT6_P12ihipStream_tbENKUlT_T0_E_clISt17integral_constantIbLb0EESX_IbLb1EEEEDaST_SU_EUlST_E_NS1_11comp_targetILNS1_3genE10ELNS1_11target_archE1201ELNS1_3gpuE5ELNS1_3repE0EEENS1_30default_config_static_selectorELNS0_4arch9wavefront6targetE1EEEvT1_.private_seg_size, 0
	.set _ZN7rocprim17ROCPRIM_400000_NS6detail17trampoline_kernelINS0_14default_configENS1_20scan_config_selectorIN3c108BFloat16EEEZZNS1_9scan_implILNS1_25lookback_scan_determinismE0ELb0ELb0ES3_PKS6_PS6_S6_ZZZN2at6native31launch_logcumsumexp_cuda_kernelERKNSD_10TensorBaseESH_lENKUlvE_clEvENKUlvE4_clEvEUlS6_S6_E_S6_EEDaPvRmT3_T4_T5_mT6_P12ihipStream_tbENKUlT_T0_E_clISt17integral_constantIbLb0EESX_IbLb1EEEEDaST_SU_EUlST_E_NS1_11comp_targetILNS1_3genE10ELNS1_11target_archE1201ELNS1_3gpuE5ELNS1_3repE0EEENS1_30default_config_static_selectorELNS0_4arch9wavefront6targetE1EEEvT1_.uses_vcc, 0
	.set _ZN7rocprim17ROCPRIM_400000_NS6detail17trampoline_kernelINS0_14default_configENS1_20scan_config_selectorIN3c108BFloat16EEEZZNS1_9scan_implILNS1_25lookback_scan_determinismE0ELb0ELb0ES3_PKS6_PS6_S6_ZZZN2at6native31launch_logcumsumexp_cuda_kernelERKNSD_10TensorBaseESH_lENKUlvE_clEvENKUlvE4_clEvEUlS6_S6_E_S6_EEDaPvRmT3_T4_T5_mT6_P12ihipStream_tbENKUlT_T0_E_clISt17integral_constantIbLb0EESX_IbLb1EEEEDaST_SU_EUlST_E_NS1_11comp_targetILNS1_3genE10ELNS1_11target_archE1201ELNS1_3gpuE5ELNS1_3repE0EEENS1_30default_config_static_selectorELNS0_4arch9wavefront6targetE1EEEvT1_.uses_flat_scratch, 0
	.set _ZN7rocprim17ROCPRIM_400000_NS6detail17trampoline_kernelINS0_14default_configENS1_20scan_config_selectorIN3c108BFloat16EEEZZNS1_9scan_implILNS1_25lookback_scan_determinismE0ELb0ELb0ES3_PKS6_PS6_S6_ZZZN2at6native31launch_logcumsumexp_cuda_kernelERKNSD_10TensorBaseESH_lENKUlvE_clEvENKUlvE4_clEvEUlS6_S6_E_S6_EEDaPvRmT3_T4_T5_mT6_P12ihipStream_tbENKUlT_T0_E_clISt17integral_constantIbLb0EESX_IbLb1EEEEDaST_SU_EUlST_E_NS1_11comp_targetILNS1_3genE10ELNS1_11target_archE1201ELNS1_3gpuE5ELNS1_3repE0EEENS1_30default_config_static_selectorELNS0_4arch9wavefront6targetE1EEEvT1_.has_dyn_sized_stack, 0
	.set _ZN7rocprim17ROCPRIM_400000_NS6detail17trampoline_kernelINS0_14default_configENS1_20scan_config_selectorIN3c108BFloat16EEEZZNS1_9scan_implILNS1_25lookback_scan_determinismE0ELb0ELb0ES3_PKS6_PS6_S6_ZZZN2at6native31launch_logcumsumexp_cuda_kernelERKNSD_10TensorBaseESH_lENKUlvE_clEvENKUlvE4_clEvEUlS6_S6_E_S6_EEDaPvRmT3_T4_T5_mT6_P12ihipStream_tbENKUlT_T0_E_clISt17integral_constantIbLb0EESX_IbLb1EEEEDaST_SU_EUlST_E_NS1_11comp_targetILNS1_3genE10ELNS1_11target_archE1201ELNS1_3gpuE5ELNS1_3repE0EEENS1_30default_config_static_selectorELNS0_4arch9wavefront6targetE1EEEvT1_.has_recursion, 0
	.set _ZN7rocprim17ROCPRIM_400000_NS6detail17trampoline_kernelINS0_14default_configENS1_20scan_config_selectorIN3c108BFloat16EEEZZNS1_9scan_implILNS1_25lookback_scan_determinismE0ELb0ELb0ES3_PKS6_PS6_S6_ZZZN2at6native31launch_logcumsumexp_cuda_kernelERKNSD_10TensorBaseESH_lENKUlvE_clEvENKUlvE4_clEvEUlS6_S6_E_S6_EEDaPvRmT3_T4_T5_mT6_P12ihipStream_tbENKUlT_T0_E_clISt17integral_constantIbLb0EESX_IbLb1EEEEDaST_SU_EUlST_E_NS1_11comp_targetILNS1_3genE10ELNS1_11target_archE1201ELNS1_3gpuE5ELNS1_3repE0EEENS1_30default_config_static_selectorELNS0_4arch9wavefront6targetE1EEEvT1_.has_indirect_call, 0
	.section	.AMDGPU.csdata,"",@progbits
; Kernel info:
; codeLenInByte = 0
; TotalNumSgprs: 4
; NumVgprs: 0
; ScratchSize: 0
; MemoryBound: 0
; FloatMode: 240
; IeeeMode: 1
; LDSByteSize: 0 bytes/workgroup (compile time only)
; SGPRBlocks: 0
; VGPRBlocks: 0
; NumSGPRsForWavesPerEU: 4
; NumVGPRsForWavesPerEU: 1
; Occupancy: 10
; WaveLimiterHint : 0
; COMPUTE_PGM_RSRC2:SCRATCH_EN: 0
; COMPUTE_PGM_RSRC2:USER_SGPR: 6
; COMPUTE_PGM_RSRC2:TRAP_HANDLER: 0
; COMPUTE_PGM_RSRC2:TGID_X_EN: 1
; COMPUTE_PGM_RSRC2:TGID_Y_EN: 0
; COMPUTE_PGM_RSRC2:TGID_Z_EN: 0
; COMPUTE_PGM_RSRC2:TIDIG_COMP_CNT: 0
	.section	.text._ZN7rocprim17ROCPRIM_400000_NS6detail17trampoline_kernelINS0_14default_configENS1_20scan_config_selectorIN3c108BFloat16EEEZZNS1_9scan_implILNS1_25lookback_scan_determinismE0ELb0ELb0ES3_PKS6_PS6_S6_ZZZN2at6native31launch_logcumsumexp_cuda_kernelERKNSD_10TensorBaseESH_lENKUlvE_clEvENKUlvE4_clEvEUlS6_S6_E_S6_EEDaPvRmT3_T4_T5_mT6_P12ihipStream_tbENKUlT_T0_E_clISt17integral_constantIbLb0EESX_IbLb1EEEEDaST_SU_EUlST_E_NS1_11comp_targetILNS1_3genE10ELNS1_11target_archE1200ELNS1_3gpuE4ELNS1_3repE0EEENS1_30default_config_static_selectorELNS0_4arch9wavefront6targetE1EEEvT1_,"axG",@progbits,_ZN7rocprim17ROCPRIM_400000_NS6detail17trampoline_kernelINS0_14default_configENS1_20scan_config_selectorIN3c108BFloat16EEEZZNS1_9scan_implILNS1_25lookback_scan_determinismE0ELb0ELb0ES3_PKS6_PS6_S6_ZZZN2at6native31launch_logcumsumexp_cuda_kernelERKNSD_10TensorBaseESH_lENKUlvE_clEvENKUlvE4_clEvEUlS6_S6_E_S6_EEDaPvRmT3_T4_T5_mT6_P12ihipStream_tbENKUlT_T0_E_clISt17integral_constantIbLb0EESX_IbLb1EEEEDaST_SU_EUlST_E_NS1_11comp_targetILNS1_3genE10ELNS1_11target_archE1200ELNS1_3gpuE4ELNS1_3repE0EEENS1_30default_config_static_selectorELNS0_4arch9wavefront6targetE1EEEvT1_,comdat
	.globl	_ZN7rocprim17ROCPRIM_400000_NS6detail17trampoline_kernelINS0_14default_configENS1_20scan_config_selectorIN3c108BFloat16EEEZZNS1_9scan_implILNS1_25lookback_scan_determinismE0ELb0ELb0ES3_PKS6_PS6_S6_ZZZN2at6native31launch_logcumsumexp_cuda_kernelERKNSD_10TensorBaseESH_lENKUlvE_clEvENKUlvE4_clEvEUlS6_S6_E_S6_EEDaPvRmT3_T4_T5_mT6_P12ihipStream_tbENKUlT_T0_E_clISt17integral_constantIbLb0EESX_IbLb1EEEEDaST_SU_EUlST_E_NS1_11comp_targetILNS1_3genE10ELNS1_11target_archE1200ELNS1_3gpuE4ELNS1_3repE0EEENS1_30default_config_static_selectorELNS0_4arch9wavefront6targetE1EEEvT1_ ; -- Begin function _ZN7rocprim17ROCPRIM_400000_NS6detail17trampoline_kernelINS0_14default_configENS1_20scan_config_selectorIN3c108BFloat16EEEZZNS1_9scan_implILNS1_25lookback_scan_determinismE0ELb0ELb0ES3_PKS6_PS6_S6_ZZZN2at6native31launch_logcumsumexp_cuda_kernelERKNSD_10TensorBaseESH_lENKUlvE_clEvENKUlvE4_clEvEUlS6_S6_E_S6_EEDaPvRmT3_T4_T5_mT6_P12ihipStream_tbENKUlT_T0_E_clISt17integral_constantIbLb0EESX_IbLb1EEEEDaST_SU_EUlST_E_NS1_11comp_targetILNS1_3genE10ELNS1_11target_archE1200ELNS1_3gpuE4ELNS1_3repE0EEENS1_30default_config_static_selectorELNS0_4arch9wavefront6targetE1EEEvT1_
	.p2align	8
	.type	_ZN7rocprim17ROCPRIM_400000_NS6detail17trampoline_kernelINS0_14default_configENS1_20scan_config_selectorIN3c108BFloat16EEEZZNS1_9scan_implILNS1_25lookback_scan_determinismE0ELb0ELb0ES3_PKS6_PS6_S6_ZZZN2at6native31launch_logcumsumexp_cuda_kernelERKNSD_10TensorBaseESH_lENKUlvE_clEvENKUlvE4_clEvEUlS6_S6_E_S6_EEDaPvRmT3_T4_T5_mT6_P12ihipStream_tbENKUlT_T0_E_clISt17integral_constantIbLb0EESX_IbLb1EEEEDaST_SU_EUlST_E_NS1_11comp_targetILNS1_3genE10ELNS1_11target_archE1200ELNS1_3gpuE4ELNS1_3repE0EEENS1_30default_config_static_selectorELNS0_4arch9wavefront6targetE1EEEvT1_,@function
_ZN7rocprim17ROCPRIM_400000_NS6detail17trampoline_kernelINS0_14default_configENS1_20scan_config_selectorIN3c108BFloat16EEEZZNS1_9scan_implILNS1_25lookback_scan_determinismE0ELb0ELb0ES3_PKS6_PS6_S6_ZZZN2at6native31launch_logcumsumexp_cuda_kernelERKNSD_10TensorBaseESH_lENKUlvE_clEvENKUlvE4_clEvEUlS6_S6_E_S6_EEDaPvRmT3_T4_T5_mT6_P12ihipStream_tbENKUlT_T0_E_clISt17integral_constantIbLb0EESX_IbLb1EEEEDaST_SU_EUlST_E_NS1_11comp_targetILNS1_3genE10ELNS1_11target_archE1200ELNS1_3gpuE4ELNS1_3repE0EEENS1_30default_config_static_selectorELNS0_4arch9wavefront6targetE1EEEvT1_: ; @_ZN7rocprim17ROCPRIM_400000_NS6detail17trampoline_kernelINS0_14default_configENS1_20scan_config_selectorIN3c108BFloat16EEEZZNS1_9scan_implILNS1_25lookback_scan_determinismE0ELb0ELb0ES3_PKS6_PS6_S6_ZZZN2at6native31launch_logcumsumexp_cuda_kernelERKNSD_10TensorBaseESH_lENKUlvE_clEvENKUlvE4_clEvEUlS6_S6_E_S6_EEDaPvRmT3_T4_T5_mT6_P12ihipStream_tbENKUlT_T0_E_clISt17integral_constantIbLb0EESX_IbLb1EEEEDaST_SU_EUlST_E_NS1_11comp_targetILNS1_3genE10ELNS1_11target_archE1200ELNS1_3gpuE4ELNS1_3repE0EEENS1_30default_config_static_selectorELNS0_4arch9wavefront6targetE1EEEvT1_
; %bb.0:
	.section	.rodata,"a",@progbits
	.p2align	6, 0x0
	.amdhsa_kernel _ZN7rocprim17ROCPRIM_400000_NS6detail17trampoline_kernelINS0_14default_configENS1_20scan_config_selectorIN3c108BFloat16EEEZZNS1_9scan_implILNS1_25lookback_scan_determinismE0ELb0ELb0ES3_PKS6_PS6_S6_ZZZN2at6native31launch_logcumsumexp_cuda_kernelERKNSD_10TensorBaseESH_lENKUlvE_clEvENKUlvE4_clEvEUlS6_S6_E_S6_EEDaPvRmT3_T4_T5_mT6_P12ihipStream_tbENKUlT_T0_E_clISt17integral_constantIbLb0EESX_IbLb1EEEEDaST_SU_EUlST_E_NS1_11comp_targetILNS1_3genE10ELNS1_11target_archE1200ELNS1_3gpuE4ELNS1_3repE0EEENS1_30default_config_static_selectorELNS0_4arch9wavefront6targetE1EEEvT1_
		.amdhsa_group_segment_fixed_size 0
		.amdhsa_private_segment_fixed_size 0
		.amdhsa_kernarg_size 96
		.amdhsa_user_sgpr_count 6
		.amdhsa_user_sgpr_private_segment_buffer 1
		.amdhsa_user_sgpr_dispatch_ptr 0
		.amdhsa_user_sgpr_queue_ptr 0
		.amdhsa_user_sgpr_kernarg_segment_ptr 1
		.amdhsa_user_sgpr_dispatch_id 0
		.amdhsa_user_sgpr_flat_scratch_init 0
		.amdhsa_user_sgpr_private_segment_size 0
		.amdhsa_uses_dynamic_stack 0
		.amdhsa_system_sgpr_private_segment_wavefront_offset 0
		.amdhsa_system_sgpr_workgroup_id_x 1
		.amdhsa_system_sgpr_workgroup_id_y 0
		.amdhsa_system_sgpr_workgroup_id_z 0
		.amdhsa_system_sgpr_workgroup_info 0
		.amdhsa_system_vgpr_workitem_id 0
		.amdhsa_next_free_vgpr 1
		.amdhsa_next_free_sgpr 0
		.amdhsa_reserve_vcc 0
		.amdhsa_reserve_flat_scratch 0
		.amdhsa_float_round_mode_32 0
		.amdhsa_float_round_mode_16_64 0
		.amdhsa_float_denorm_mode_32 3
		.amdhsa_float_denorm_mode_16_64 3
		.amdhsa_dx10_clamp 1
		.amdhsa_ieee_mode 1
		.amdhsa_fp16_overflow 0
		.amdhsa_exception_fp_ieee_invalid_op 0
		.amdhsa_exception_fp_denorm_src 0
		.amdhsa_exception_fp_ieee_div_zero 0
		.amdhsa_exception_fp_ieee_overflow 0
		.amdhsa_exception_fp_ieee_underflow 0
		.amdhsa_exception_fp_ieee_inexact 0
		.amdhsa_exception_int_div_zero 0
	.end_amdhsa_kernel
	.section	.text._ZN7rocprim17ROCPRIM_400000_NS6detail17trampoline_kernelINS0_14default_configENS1_20scan_config_selectorIN3c108BFloat16EEEZZNS1_9scan_implILNS1_25lookback_scan_determinismE0ELb0ELb0ES3_PKS6_PS6_S6_ZZZN2at6native31launch_logcumsumexp_cuda_kernelERKNSD_10TensorBaseESH_lENKUlvE_clEvENKUlvE4_clEvEUlS6_S6_E_S6_EEDaPvRmT3_T4_T5_mT6_P12ihipStream_tbENKUlT_T0_E_clISt17integral_constantIbLb0EESX_IbLb1EEEEDaST_SU_EUlST_E_NS1_11comp_targetILNS1_3genE10ELNS1_11target_archE1200ELNS1_3gpuE4ELNS1_3repE0EEENS1_30default_config_static_selectorELNS0_4arch9wavefront6targetE1EEEvT1_,"axG",@progbits,_ZN7rocprim17ROCPRIM_400000_NS6detail17trampoline_kernelINS0_14default_configENS1_20scan_config_selectorIN3c108BFloat16EEEZZNS1_9scan_implILNS1_25lookback_scan_determinismE0ELb0ELb0ES3_PKS6_PS6_S6_ZZZN2at6native31launch_logcumsumexp_cuda_kernelERKNSD_10TensorBaseESH_lENKUlvE_clEvENKUlvE4_clEvEUlS6_S6_E_S6_EEDaPvRmT3_T4_T5_mT6_P12ihipStream_tbENKUlT_T0_E_clISt17integral_constantIbLb0EESX_IbLb1EEEEDaST_SU_EUlST_E_NS1_11comp_targetILNS1_3genE10ELNS1_11target_archE1200ELNS1_3gpuE4ELNS1_3repE0EEENS1_30default_config_static_selectorELNS0_4arch9wavefront6targetE1EEEvT1_,comdat
.Lfunc_end509:
	.size	_ZN7rocprim17ROCPRIM_400000_NS6detail17trampoline_kernelINS0_14default_configENS1_20scan_config_selectorIN3c108BFloat16EEEZZNS1_9scan_implILNS1_25lookback_scan_determinismE0ELb0ELb0ES3_PKS6_PS6_S6_ZZZN2at6native31launch_logcumsumexp_cuda_kernelERKNSD_10TensorBaseESH_lENKUlvE_clEvENKUlvE4_clEvEUlS6_S6_E_S6_EEDaPvRmT3_T4_T5_mT6_P12ihipStream_tbENKUlT_T0_E_clISt17integral_constantIbLb0EESX_IbLb1EEEEDaST_SU_EUlST_E_NS1_11comp_targetILNS1_3genE10ELNS1_11target_archE1200ELNS1_3gpuE4ELNS1_3repE0EEENS1_30default_config_static_selectorELNS0_4arch9wavefront6targetE1EEEvT1_, .Lfunc_end509-_ZN7rocprim17ROCPRIM_400000_NS6detail17trampoline_kernelINS0_14default_configENS1_20scan_config_selectorIN3c108BFloat16EEEZZNS1_9scan_implILNS1_25lookback_scan_determinismE0ELb0ELb0ES3_PKS6_PS6_S6_ZZZN2at6native31launch_logcumsumexp_cuda_kernelERKNSD_10TensorBaseESH_lENKUlvE_clEvENKUlvE4_clEvEUlS6_S6_E_S6_EEDaPvRmT3_T4_T5_mT6_P12ihipStream_tbENKUlT_T0_E_clISt17integral_constantIbLb0EESX_IbLb1EEEEDaST_SU_EUlST_E_NS1_11comp_targetILNS1_3genE10ELNS1_11target_archE1200ELNS1_3gpuE4ELNS1_3repE0EEENS1_30default_config_static_selectorELNS0_4arch9wavefront6targetE1EEEvT1_
                                        ; -- End function
	.set _ZN7rocprim17ROCPRIM_400000_NS6detail17trampoline_kernelINS0_14default_configENS1_20scan_config_selectorIN3c108BFloat16EEEZZNS1_9scan_implILNS1_25lookback_scan_determinismE0ELb0ELb0ES3_PKS6_PS6_S6_ZZZN2at6native31launch_logcumsumexp_cuda_kernelERKNSD_10TensorBaseESH_lENKUlvE_clEvENKUlvE4_clEvEUlS6_S6_E_S6_EEDaPvRmT3_T4_T5_mT6_P12ihipStream_tbENKUlT_T0_E_clISt17integral_constantIbLb0EESX_IbLb1EEEEDaST_SU_EUlST_E_NS1_11comp_targetILNS1_3genE10ELNS1_11target_archE1200ELNS1_3gpuE4ELNS1_3repE0EEENS1_30default_config_static_selectorELNS0_4arch9wavefront6targetE1EEEvT1_.num_vgpr, 0
	.set _ZN7rocprim17ROCPRIM_400000_NS6detail17trampoline_kernelINS0_14default_configENS1_20scan_config_selectorIN3c108BFloat16EEEZZNS1_9scan_implILNS1_25lookback_scan_determinismE0ELb0ELb0ES3_PKS6_PS6_S6_ZZZN2at6native31launch_logcumsumexp_cuda_kernelERKNSD_10TensorBaseESH_lENKUlvE_clEvENKUlvE4_clEvEUlS6_S6_E_S6_EEDaPvRmT3_T4_T5_mT6_P12ihipStream_tbENKUlT_T0_E_clISt17integral_constantIbLb0EESX_IbLb1EEEEDaST_SU_EUlST_E_NS1_11comp_targetILNS1_3genE10ELNS1_11target_archE1200ELNS1_3gpuE4ELNS1_3repE0EEENS1_30default_config_static_selectorELNS0_4arch9wavefront6targetE1EEEvT1_.num_agpr, 0
	.set _ZN7rocprim17ROCPRIM_400000_NS6detail17trampoline_kernelINS0_14default_configENS1_20scan_config_selectorIN3c108BFloat16EEEZZNS1_9scan_implILNS1_25lookback_scan_determinismE0ELb0ELb0ES3_PKS6_PS6_S6_ZZZN2at6native31launch_logcumsumexp_cuda_kernelERKNSD_10TensorBaseESH_lENKUlvE_clEvENKUlvE4_clEvEUlS6_S6_E_S6_EEDaPvRmT3_T4_T5_mT6_P12ihipStream_tbENKUlT_T0_E_clISt17integral_constantIbLb0EESX_IbLb1EEEEDaST_SU_EUlST_E_NS1_11comp_targetILNS1_3genE10ELNS1_11target_archE1200ELNS1_3gpuE4ELNS1_3repE0EEENS1_30default_config_static_selectorELNS0_4arch9wavefront6targetE1EEEvT1_.numbered_sgpr, 0
	.set _ZN7rocprim17ROCPRIM_400000_NS6detail17trampoline_kernelINS0_14default_configENS1_20scan_config_selectorIN3c108BFloat16EEEZZNS1_9scan_implILNS1_25lookback_scan_determinismE0ELb0ELb0ES3_PKS6_PS6_S6_ZZZN2at6native31launch_logcumsumexp_cuda_kernelERKNSD_10TensorBaseESH_lENKUlvE_clEvENKUlvE4_clEvEUlS6_S6_E_S6_EEDaPvRmT3_T4_T5_mT6_P12ihipStream_tbENKUlT_T0_E_clISt17integral_constantIbLb0EESX_IbLb1EEEEDaST_SU_EUlST_E_NS1_11comp_targetILNS1_3genE10ELNS1_11target_archE1200ELNS1_3gpuE4ELNS1_3repE0EEENS1_30default_config_static_selectorELNS0_4arch9wavefront6targetE1EEEvT1_.num_named_barrier, 0
	.set _ZN7rocprim17ROCPRIM_400000_NS6detail17trampoline_kernelINS0_14default_configENS1_20scan_config_selectorIN3c108BFloat16EEEZZNS1_9scan_implILNS1_25lookback_scan_determinismE0ELb0ELb0ES3_PKS6_PS6_S6_ZZZN2at6native31launch_logcumsumexp_cuda_kernelERKNSD_10TensorBaseESH_lENKUlvE_clEvENKUlvE4_clEvEUlS6_S6_E_S6_EEDaPvRmT3_T4_T5_mT6_P12ihipStream_tbENKUlT_T0_E_clISt17integral_constantIbLb0EESX_IbLb1EEEEDaST_SU_EUlST_E_NS1_11comp_targetILNS1_3genE10ELNS1_11target_archE1200ELNS1_3gpuE4ELNS1_3repE0EEENS1_30default_config_static_selectorELNS0_4arch9wavefront6targetE1EEEvT1_.private_seg_size, 0
	.set _ZN7rocprim17ROCPRIM_400000_NS6detail17trampoline_kernelINS0_14default_configENS1_20scan_config_selectorIN3c108BFloat16EEEZZNS1_9scan_implILNS1_25lookback_scan_determinismE0ELb0ELb0ES3_PKS6_PS6_S6_ZZZN2at6native31launch_logcumsumexp_cuda_kernelERKNSD_10TensorBaseESH_lENKUlvE_clEvENKUlvE4_clEvEUlS6_S6_E_S6_EEDaPvRmT3_T4_T5_mT6_P12ihipStream_tbENKUlT_T0_E_clISt17integral_constantIbLb0EESX_IbLb1EEEEDaST_SU_EUlST_E_NS1_11comp_targetILNS1_3genE10ELNS1_11target_archE1200ELNS1_3gpuE4ELNS1_3repE0EEENS1_30default_config_static_selectorELNS0_4arch9wavefront6targetE1EEEvT1_.uses_vcc, 0
	.set _ZN7rocprim17ROCPRIM_400000_NS6detail17trampoline_kernelINS0_14default_configENS1_20scan_config_selectorIN3c108BFloat16EEEZZNS1_9scan_implILNS1_25lookback_scan_determinismE0ELb0ELb0ES3_PKS6_PS6_S6_ZZZN2at6native31launch_logcumsumexp_cuda_kernelERKNSD_10TensorBaseESH_lENKUlvE_clEvENKUlvE4_clEvEUlS6_S6_E_S6_EEDaPvRmT3_T4_T5_mT6_P12ihipStream_tbENKUlT_T0_E_clISt17integral_constantIbLb0EESX_IbLb1EEEEDaST_SU_EUlST_E_NS1_11comp_targetILNS1_3genE10ELNS1_11target_archE1200ELNS1_3gpuE4ELNS1_3repE0EEENS1_30default_config_static_selectorELNS0_4arch9wavefront6targetE1EEEvT1_.uses_flat_scratch, 0
	.set _ZN7rocprim17ROCPRIM_400000_NS6detail17trampoline_kernelINS0_14default_configENS1_20scan_config_selectorIN3c108BFloat16EEEZZNS1_9scan_implILNS1_25lookback_scan_determinismE0ELb0ELb0ES3_PKS6_PS6_S6_ZZZN2at6native31launch_logcumsumexp_cuda_kernelERKNSD_10TensorBaseESH_lENKUlvE_clEvENKUlvE4_clEvEUlS6_S6_E_S6_EEDaPvRmT3_T4_T5_mT6_P12ihipStream_tbENKUlT_T0_E_clISt17integral_constantIbLb0EESX_IbLb1EEEEDaST_SU_EUlST_E_NS1_11comp_targetILNS1_3genE10ELNS1_11target_archE1200ELNS1_3gpuE4ELNS1_3repE0EEENS1_30default_config_static_selectorELNS0_4arch9wavefront6targetE1EEEvT1_.has_dyn_sized_stack, 0
	.set _ZN7rocprim17ROCPRIM_400000_NS6detail17trampoline_kernelINS0_14default_configENS1_20scan_config_selectorIN3c108BFloat16EEEZZNS1_9scan_implILNS1_25lookback_scan_determinismE0ELb0ELb0ES3_PKS6_PS6_S6_ZZZN2at6native31launch_logcumsumexp_cuda_kernelERKNSD_10TensorBaseESH_lENKUlvE_clEvENKUlvE4_clEvEUlS6_S6_E_S6_EEDaPvRmT3_T4_T5_mT6_P12ihipStream_tbENKUlT_T0_E_clISt17integral_constantIbLb0EESX_IbLb1EEEEDaST_SU_EUlST_E_NS1_11comp_targetILNS1_3genE10ELNS1_11target_archE1200ELNS1_3gpuE4ELNS1_3repE0EEENS1_30default_config_static_selectorELNS0_4arch9wavefront6targetE1EEEvT1_.has_recursion, 0
	.set _ZN7rocprim17ROCPRIM_400000_NS6detail17trampoline_kernelINS0_14default_configENS1_20scan_config_selectorIN3c108BFloat16EEEZZNS1_9scan_implILNS1_25lookback_scan_determinismE0ELb0ELb0ES3_PKS6_PS6_S6_ZZZN2at6native31launch_logcumsumexp_cuda_kernelERKNSD_10TensorBaseESH_lENKUlvE_clEvENKUlvE4_clEvEUlS6_S6_E_S6_EEDaPvRmT3_T4_T5_mT6_P12ihipStream_tbENKUlT_T0_E_clISt17integral_constantIbLb0EESX_IbLb1EEEEDaST_SU_EUlST_E_NS1_11comp_targetILNS1_3genE10ELNS1_11target_archE1200ELNS1_3gpuE4ELNS1_3repE0EEENS1_30default_config_static_selectorELNS0_4arch9wavefront6targetE1EEEvT1_.has_indirect_call, 0
	.section	.AMDGPU.csdata,"",@progbits
; Kernel info:
; codeLenInByte = 0
; TotalNumSgprs: 4
; NumVgprs: 0
; ScratchSize: 0
; MemoryBound: 0
; FloatMode: 240
; IeeeMode: 1
; LDSByteSize: 0 bytes/workgroup (compile time only)
; SGPRBlocks: 0
; VGPRBlocks: 0
; NumSGPRsForWavesPerEU: 4
; NumVGPRsForWavesPerEU: 1
; Occupancy: 10
; WaveLimiterHint : 0
; COMPUTE_PGM_RSRC2:SCRATCH_EN: 0
; COMPUTE_PGM_RSRC2:USER_SGPR: 6
; COMPUTE_PGM_RSRC2:TRAP_HANDLER: 0
; COMPUTE_PGM_RSRC2:TGID_X_EN: 1
; COMPUTE_PGM_RSRC2:TGID_Y_EN: 0
; COMPUTE_PGM_RSRC2:TGID_Z_EN: 0
; COMPUTE_PGM_RSRC2:TIDIG_COMP_CNT: 0
	.section	.text._ZN7rocprim17ROCPRIM_400000_NS6detail17trampoline_kernelINS0_14default_configENS1_20scan_config_selectorIN3c108BFloat16EEEZZNS1_9scan_implILNS1_25lookback_scan_determinismE0ELb0ELb0ES3_PKS6_PS6_S6_ZZZN2at6native31launch_logcumsumexp_cuda_kernelERKNSD_10TensorBaseESH_lENKUlvE_clEvENKUlvE4_clEvEUlS6_S6_E_S6_EEDaPvRmT3_T4_T5_mT6_P12ihipStream_tbENKUlT_T0_E_clISt17integral_constantIbLb0EESX_IbLb1EEEEDaST_SU_EUlST_E_NS1_11comp_targetILNS1_3genE9ELNS1_11target_archE1100ELNS1_3gpuE3ELNS1_3repE0EEENS1_30default_config_static_selectorELNS0_4arch9wavefront6targetE1EEEvT1_,"axG",@progbits,_ZN7rocprim17ROCPRIM_400000_NS6detail17trampoline_kernelINS0_14default_configENS1_20scan_config_selectorIN3c108BFloat16EEEZZNS1_9scan_implILNS1_25lookback_scan_determinismE0ELb0ELb0ES3_PKS6_PS6_S6_ZZZN2at6native31launch_logcumsumexp_cuda_kernelERKNSD_10TensorBaseESH_lENKUlvE_clEvENKUlvE4_clEvEUlS6_S6_E_S6_EEDaPvRmT3_T4_T5_mT6_P12ihipStream_tbENKUlT_T0_E_clISt17integral_constantIbLb0EESX_IbLb1EEEEDaST_SU_EUlST_E_NS1_11comp_targetILNS1_3genE9ELNS1_11target_archE1100ELNS1_3gpuE3ELNS1_3repE0EEENS1_30default_config_static_selectorELNS0_4arch9wavefront6targetE1EEEvT1_,comdat
	.globl	_ZN7rocprim17ROCPRIM_400000_NS6detail17trampoline_kernelINS0_14default_configENS1_20scan_config_selectorIN3c108BFloat16EEEZZNS1_9scan_implILNS1_25lookback_scan_determinismE0ELb0ELb0ES3_PKS6_PS6_S6_ZZZN2at6native31launch_logcumsumexp_cuda_kernelERKNSD_10TensorBaseESH_lENKUlvE_clEvENKUlvE4_clEvEUlS6_S6_E_S6_EEDaPvRmT3_T4_T5_mT6_P12ihipStream_tbENKUlT_T0_E_clISt17integral_constantIbLb0EESX_IbLb1EEEEDaST_SU_EUlST_E_NS1_11comp_targetILNS1_3genE9ELNS1_11target_archE1100ELNS1_3gpuE3ELNS1_3repE0EEENS1_30default_config_static_selectorELNS0_4arch9wavefront6targetE1EEEvT1_ ; -- Begin function _ZN7rocprim17ROCPRIM_400000_NS6detail17trampoline_kernelINS0_14default_configENS1_20scan_config_selectorIN3c108BFloat16EEEZZNS1_9scan_implILNS1_25lookback_scan_determinismE0ELb0ELb0ES3_PKS6_PS6_S6_ZZZN2at6native31launch_logcumsumexp_cuda_kernelERKNSD_10TensorBaseESH_lENKUlvE_clEvENKUlvE4_clEvEUlS6_S6_E_S6_EEDaPvRmT3_T4_T5_mT6_P12ihipStream_tbENKUlT_T0_E_clISt17integral_constantIbLb0EESX_IbLb1EEEEDaST_SU_EUlST_E_NS1_11comp_targetILNS1_3genE9ELNS1_11target_archE1100ELNS1_3gpuE3ELNS1_3repE0EEENS1_30default_config_static_selectorELNS0_4arch9wavefront6targetE1EEEvT1_
	.p2align	8
	.type	_ZN7rocprim17ROCPRIM_400000_NS6detail17trampoline_kernelINS0_14default_configENS1_20scan_config_selectorIN3c108BFloat16EEEZZNS1_9scan_implILNS1_25lookback_scan_determinismE0ELb0ELb0ES3_PKS6_PS6_S6_ZZZN2at6native31launch_logcumsumexp_cuda_kernelERKNSD_10TensorBaseESH_lENKUlvE_clEvENKUlvE4_clEvEUlS6_S6_E_S6_EEDaPvRmT3_T4_T5_mT6_P12ihipStream_tbENKUlT_T0_E_clISt17integral_constantIbLb0EESX_IbLb1EEEEDaST_SU_EUlST_E_NS1_11comp_targetILNS1_3genE9ELNS1_11target_archE1100ELNS1_3gpuE3ELNS1_3repE0EEENS1_30default_config_static_selectorELNS0_4arch9wavefront6targetE1EEEvT1_,@function
_ZN7rocprim17ROCPRIM_400000_NS6detail17trampoline_kernelINS0_14default_configENS1_20scan_config_selectorIN3c108BFloat16EEEZZNS1_9scan_implILNS1_25lookback_scan_determinismE0ELb0ELb0ES3_PKS6_PS6_S6_ZZZN2at6native31launch_logcumsumexp_cuda_kernelERKNSD_10TensorBaseESH_lENKUlvE_clEvENKUlvE4_clEvEUlS6_S6_E_S6_EEDaPvRmT3_T4_T5_mT6_P12ihipStream_tbENKUlT_T0_E_clISt17integral_constantIbLb0EESX_IbLb1EEEEDaST_SU_EUlST_E_NS1_11comp_targetILNS1_3genE9ELNS1_11target_archE1100ELNS1_3gpuE3ELNS1_3repE0EEENS1_30default_config_static_selectorELNS0_4arch9wavefront6targetE1EEEvT1_: ; @_ZN7rocprim17ROCPRIM_400000_NS6detail17trampoline_kernelINS0_14default_configENS1_20scan_config_selectorIN3c108BFloat16EEEZZNS1_9scan_implILNS1_25lookback_scan_determinismE0ELb0ELb0ES3_PKS6_PS6_S6_ZZZN2at6native31launch_logcumsumexp_cuda_kernelERKNSD_10TensorBaseESH_lENKUlvE_clEvENKUlvE4_clEvEUlS6_S6_E_S6_EEDaPvRmT3_T4_T5_mT6_P12ihipStream_tbENKUlT_T0_E_clISt17integral_constantIbLb0EESX_IbLb1EEEEDaST_SU_EUlST_E_NS1_11comp_targetILNS1_3genE9ELNS1_11target_archE1100ELNS1_3gpuE3ELNS1_3repE0EEENS1_30default_config_static_selectorELNS0_4arch9wavefront6targetE1EEEvT1_
; %bb.0:
	.section	.rodata,"a",@progbits
	.p2align	6, 0x0
	.amdhsa_kernel _ZN7rocprim17ROCPRIM_400000_NS6detail17trampoline_kernelINS0_14default_configENS1_20scan_config_selectorIN3c108BFloat16EEEZZNS1_9scan_implILNS1_25lookback_scan_determinismE0ELb0ELb0ES3_PKS6_PS6_S6_ZZZN2at6native31launch_logcumsumexp_cuda_kernelERKNSD_10TensorBaseESH_lENKUlvE_clEvENKUlvE4_clEvEUlS6_S6_E_S6_EEDaPvRmT3_T4_T5_mT6_P12ihipStream_tbENKUlT_T0_E_clISt17integral_constantIbLb0EESX_IbLb1EEEEDaST_SU_EUlST_E_NS1_11comp_targetILNS1_3genE9ELNS1_11target_archE1100ELNS1_3gpuE3ELNS1_3repE0EEENS1_30default_config_static_selectorELNS0_4arch9wavefront6targetE1EEEvT1_
		.amdhsa_group_segment_fixed_size 0
		.amdhsa_private_segment_fixed_size 0
		.amdhsa_kernarg_size 96
		.amdhsa_user_sgpr_count 6
		.amdhsa_user_sgpr_private_segment_buffer 1
		.amdhsa_user_sgpr_dispatch_ptr 0
		.amdhsa_user_sgpr_queue_ptr 0
		.amdhsa_user_sgpr_kernarg_segment_ptr 1
		.amdhsa_user_sgpr_dispatch_id 0
		.amdhsa_user_sgpr_flat_scratch_init 0
		.amdhsa_user_sgpr_private_segment_size 0
		.amdhsa_uses_dynamic_stack 0
		.amdhsa_system_sgpr_private_segment_wavefront_offset 0
		.amdhsa_system_sgpr_workgroup_id_x 1
		.amdhsa_system_sgpr_workgroup_id_y 0
		.amdhsa_system_sgpr_workgroup_id_z 0
		.amdhsa_system_sgpr_workgroup_info 0
		.amdhsa_system_vgpr_workitem_id 0
		.amdhsa_next_free_vgpr 1
		.amdhsa_next_free_sgpr 0
		.amdhsa_reserve_vcc 0
		.amdhsa_reserve_flat_scratch 0
		.amdhsa_float_round_mode_32 0
		.amdhsa_float_round_mode_16_64 0
		.amdhsa_float_denorm_mode_32 3
		.amdhsa_float_denorm_mode_16_64 3
		.amdhsa_dx10_clamp 1
		.amdhsa_ieee_mode 1
		.amdhsa_fp16_overflow 0
		.amdhsa_exception_fp_ieee_invalid_op 0
		.amdhsa_exception_fp_denorm_src 0
		.amdhsa_exception_fp_ieee_div_zero 0
		.amdhsa_exception_fp_ieee_overflow 0
		.amdhsa_exception_fp_ieee_underflow 0
		.amdhsa_exception_fp_ieee_inexact 0
		.amdhsa_exception_int_div_zero 0
	.end_amdhsa_kernel
	.section	.text._ZN7rocprim17ROCPRIM_400000_NS6detail17trampoline_kernelINS0_14default_configENS1_20scan_config_selectorIN3c108BFloat16EEEZZNS1_9scan_implILNS1_25lookback_scan_determinismE0ELb0ELb0ES3_PKS6_PS6_S6_ZZZN2at6native31launch_logcumsumexp_cuda_kernelERKNSD_10TensorBaseESH_lENKUlvE_clEvENKUlvE4_clEvEUlS6_S6_E_S6_EEDaPvRmT3_T4_T5_mT6_P12ihipStream_tbENKUlT_T0_E_clISt17integral_constantIbLb0EESX_IbLb1EEEEDaST_SU_EUlST_E_NS1_11comp_targetILNS1_3genE9ELNS1_11target_archE1100ELNS1_3gpuE3ELNS1_3repE0EEENS1_30default_config_static_selectorELNS0_4arch9wavefront6targetE1EEEvT1_,"axG",@progbits,_ZN7rocprim17ROCPRIM_400000_NS6detail17trampoline_kernelINS0_14default_configENS1_20scan_config_selectorIN3c108BFloat16EEEZZNS1_9scan_implILNS1_25lookback_scan_determinismE0ELb0ELb0ES3_PKS6_PS6_S6_ZZZN2at6native31launch_logcumsumexp_cuda_kernelERKNSD_10TensorBaseESH_lENKUlvE_clEvENKUlvE4_clEvEUlS6_S6_E_S6_EEDaPvRmT3_T4_T5_mT6_P12ihipStream_tbENKUlT_T0_E_clISt17integral_constantIbLb0EESX_IbLb1EEEEDaST_SU_EUlST_E_NS1_11comp_targetILNS1_3genE9ELNS1_11target_archE1100ELNS1_3gpuE3ELNS1_3repE0EEENS1_30default_config_static_selectorELNS0_4arch9wavefront6targetE1EEEvT1_,comdat
.Lfunc_end510:
	.size	_ZN7rocprim17ROCPRIM_400000_NS6detail17trampoline_kernelINS0_14default_configENS1_20scan_config_selectorIN3c108BFloat16EEEZZNS1_9scan_implILNS1_25lookback_scan_determinismE0ELb0ELb0ES3_PKS6_PS6_S6_ZZZN2at6native31launch_logcumsumexp_cuda_kernelERKNSD_10TensorBaseESH_lENKUlvE_clEvENKUlvE4_clEvEUlS6_S6_E_S6_EEDaPvRmT3_T4_T5_mT6_P12ihipStream_tbENKUlT_T0_E_clISt17integral_constantIbLb0EESX_IbLb1EEEEDaST_SU_EUlST_E_NS1_11comp_targetILNS1_3genE9ELNS1_11target_archE1100ELNS1_3gpuE3ELNS1_3repE0EEENS1_30default_config_static_selectorELNS0_4arch9wavefront6targetE1EEEvT1_, .Lfunc_end510-_ZN7rocprim17ROCPRIM_400000_NS6detail17trampoline_kernelINS0_14default_configENS1_20scan_config_selectorIN3c108BFloat16EEEZZNS1_9scan_implILNS1_25lookback_scan_determinismE0ELb0ELb0ES3_PKS6_PS6_S6_ZZZN2at6native31launch_logcumsumexp_cuda_kernelERKNSD_10TensorBaseESH_lENKUlvE_clEvENKUlvE4_clEvEUlS6_S6_E_S6_EEDaPvRmT3_T4_T5_mT6_P12ihipStream_tbENKUlT_T0_E_clISt17integral_constantIbLb0EESX_IbLb1EEEEDaST_SU_EUlST_E_NS1_11comp_targetILNS1_3genE9ELNS1_11target_archE1100ELNS1_3gpuE3ELNS1_3repE0EEENS1_30default_config_static_selectorELNS0_4arch9wavefront6targetE1EEEvT1_
                                        ; -- End function
	.set _ZN7rocprim17ROCPRIM_400000_NS6detail17trampoline_kernelINS0_14default_configENS1_20scan_config_selectorIN3c108BFloat16EEEZZNS1_9scan_implILNS1_25lookback_scan_determinismE0ELb0ELb0ES3_PKS6_PS6_S6_ZZZN2at6native31launch_logcumsumexp_cuda_kernelERKNSD_10TensorBaseESH_lENKUlvE_clEvENKUlvE4_clEvEUlS6_S6_E_S6_EEDaPvRmT3_T4_T5_mT6_P12ihipStream_tbENKUlT_T0_E_clISt17integral_constantIbLb0EESX_IbLb1EEEEDaST_SU_EUlST_E_NS1_11comp_targetILNS1_3genE9ELNS1_11target_archE1100ELNS1_3gpuE3ELNS1_3repE0EEENS1_30default_config_static_selectorELNS0_4arch9wavefront6targetE1EEEvT1_.num_vgpr, 0
	.set _ZN7rocprim17ROCPRIM_400000_NS6detail17trampoline_kernelINS0_14default_configENS1_20scan_config_selectorIN3c108BFloat16EEEZZNS1_9scan_implILNS1_25lookback_scan_determinismE0ELb0ELb0ES3_PKS6_PS6_S6_ZZZN2at6native31launch_logcumsumexp_cuda_kernelERKNSD_10TensorBaseESH_lENKUlvE_clEvENKUlvE4_clEvEUlS6_S6_E_S6_EEDaPvRmT3_T4_T5_mT6_P12ihipStream_tbENKUlT_T0_E_clISt17integral_constantIbLb0EESX_IbLb1EEEEDaST_SU_EUlST_E_NS1_11comp_targetILNS1_3genE9ELNS1_11target_archE1100ELNS1_3gpuE3ELNS1_3repE0EEENS1_30default_config_static_selectorELNS0_4arch9wavefront6targetE1EEEvT1_.num_agpr, 0
	.set _ZN7rocprim17ROCPRIM_400000_NS6detail17trampoline_kernelINS0_14default_configENS1_20scan_config_selectorIN3c108BFloat16EEEZZNS1_9scan_implILNS1_25lookback_scan_determinismE0ELb0ELb0ES3_PKS6_PS6_S6_ZZZN2at6native31launch_logcumsumexp_cuda_kernelERKNSD_10TensorBaseESH_lENKUlvE_clEvENKUlvE4_clEvEUlS6_S6_E_S6_EEDaPvRmT3_T4_T5_mT6_P12ihipStream_tbENKUlT_T0_E_clISt17integral_constantIbLb0EESX_IbLb1EEEEDaST_SU_EUlST_E_NS1_11comp_targetILNS1_3genE9ELNS1_11target_archE1100ELNS1_3gpuE3ELNS1_3repE0EEENS1_30default_config_static_selectorELNS0_4arch9wavefront6targetE1EEEvT1_.numbered_sgpr, 0
	.set _ZN7rocprim17ROCPRIM_400000_NS6detail17trampoline_kernelINS0_14default_configENS1_20scan_config_selectorIN3c108BFloat16EEEZZNS1_9scan_implILNS1_25lookback_scan_determinismE0ELb0ELb0ES3_PKS6_PS6_S6_ZZZN2at6native31launch_logcumsumexp_cuda_kernelERKNSD_10TensorBaseESH_lENKUlvE_clEvENKUlvE4_clEvEUlS6_S6_E_S6_EEDaPvRmT3_T4_T5_mT6_P12ihipStream_tbENKUlT_T0_E_clISt17integral_constantIbLb0EESX_IbLb1EEEEDaST_SU_EUlST_E_NS1_11comp_targetILNS1_3genE9ELNS1_11target_archE1100ELNS1_3gpuE3ELNS1_3repE0EEENS1_30default_config_static_selectorELNS0_4arch9wavefront6targetE1EEEvT1_.num_named_barrier, 0
	.set _ZN7rocprim17ROCPRIM_400000_NS6detail17trampoline_kernelINS0_14default_configENS1_20scan_config_selectorIN3c108BFloat16EEEZZNS1_9scan_implILNS1_25lookback_scan_determinismE0ELb0ELb0ES3_PKS6_PS6_S6_ZZZN2at6native31launch_logcumsumexp_cuda_kernelERKNSD_10TensorBaseESH_lENKUlvE_clEvENKUlvE4_clEvEUlS6_S6_E_S6_EEDaPvRmT3_T4_T5_mT6_P12ihipStream_tbENKUlT_T0_E_clISt17integral_constantIbLb0EESX_IbLb1EEEEDaST_SU_EUlST_E_NS1_11comp_targetILNS1_3genE9ELNS1_11target_archE1100ELNS1_3gpuE3ELNS1_3repE0EEENS1_30default_config_static_selectorELNS0_4arch9wavefront6targetE1EEEvT1_.private_seg_size, 0
	.set _ZN7rocprim17ROCPRIM_400000_NS6detail17trampoline_kernelINS0_14default_configENS1_20scan_config_selectorIN3c108BFloat16EEEZZNS1_9scan_implILNS1_25lookback_scan_determinismE0ELb0ELb0ES3_PKS6_PS6_S6_ZZZN2at6native31launch_logcumsumexp_cuda_kernelERKNSD_10TensorBaseESH_lENKUlvE_clEvENKUlvE4_clEvEUlS6_S6_E_S6_EEDaPvRmT3_T4_T5_mT6_P12ihipStream_tbENKUlT_T0_E_clISt17integral_constantIbLb0EESX_IbLb1EEEEDaST_SU_EUlST_E_NS1_11comp_targetILNS1_3genE9ELNS1_11target_archE1100ELNS1_3gpuE3ELNS1_3repE0EEENS1_30default_config_static_selectorELNS0_4arch9wavefront6targetE1EEEvT1_.uses_vcc, 0
	.set _ZN7rocprim17ROCPRIM_400000_NS6detail17trampoline_kernelINS0_14default_configENS1_20scan_config_selectorIN3c108BFloat16EEEZZNS1_9scan_implILNS1_25lookback_scan_determinismE0ELb0ELb0ES3_PKS6_PS6_S6_ZZZN2at6native31launch_logcumsumexp_cuda_kernelERKNSD_10TensorBaseESH_lENKUlvE_clEvENKUlvE4_clEvEUlS6_S6_E_S6_EEDaPvRmT3_T4_T5_mT6_P12ihipStream_tbENKUlT_T0_E_clISt17integral_constantIbLb0EESX_IbLb1EEEEDaST_SU_EUlST_E_NS1_11comp_targetILNS1_3genE9ELNS1_11target_archE1100ELNS1_3gpuE3ELNS1_3repE0EEENS1_30default_config_static_selectorELNS0_4arch9wavefront6targetE1EEEvT1_.uses_flat_scratch, 0
	.set _ZN7rocprim17ROCPRIM_400000_NS6detail17trampoline_kernelINS0_14default_configENS1_20scan_config_selectorIN3c108BFloat16EEEZZNS1_9scan_implILNS1_25lookback_scan_determinismE0ELb0ELb0ES3_PKS6_PS6_S6_ZZZN2at6native31launch_logcumsumexp_cuda_kernelERKNSD_10TensorBaseESH_lENKUlvE_clEvENKUlvE4_clEvEUlS6_S6_E_S6_EEDaPvRmT3_T4_T5_mT6_P12ihipStream_tbENKUlT_T0_E_clISt17integral_constantIbLb0EESX_IbLb1EEEEDaST_SU_EUlST_E_NS1_11comp_targetILNS1_3genE9ELNS1_11target_archE1100ELNS1_3gpuE3ELNS1_3repE0EEENS1_30default_config_static_selectorELNS0_4arch9wavefront6targetE1EEEvT1_.has_dyn_sized_stack, 0
	.set _ZN7rocprim17ROCPRIM_400000_NS6detail17trampoline_kernelINS0_14default_configENS1_20scan_config_selectorIN3c108BFloat16EEEZZNS1_9scan_implILNS1_25lookback_scan_determinismE0ELb0ELb0ES3_PKS6_PS6_S6_ZZZN2at6native31launch_logcumsumexp_cuda_kernelERKNSD_10TensorBaseESH_lENKUlvE_clEvENKUlvE4_clEvEUlS6_S6_E_S6_EEDaPvRmT3_T4_T5_mT6_P12ihipStream_tbENKUlT_T0_E_clISt17integral_constantIbLb0EESX_IbLb1EEEEDaST_SU_EUlST_E_NS1_11comp_targetILNS1_3genE9ELNS1_11target_archE1100ELNS1_3gpuE3ELNS1_3repE0EEENS1_30default_config_static_selectorELNS0_4arch9wavefront6targetE1EEEvT1_.has_recursion, 0
	.set _ZN7rocprim17ROCPRIM_400000_NS6detail17trampoline_kernelINS0_14default_configENS1_20scan_config_selectorIN3c108BFloat16EEEZZNS1_9scan_implILNS1_25lookback_scan_determinismE0ELb0ELb0ES3_PKS6_PS6_S6_ZZZN2at6native31launch_logcumsumexp_cuda_kernelERKNSD_10TensorBaseESH_lENKUlvE_clEvENKUlvE4_clEvEUlS6_S6_E_S6_EEDaPvRmT3_T4_T5_mT6_P12ihipStream_tbENKUlT_T0_E_clISt17integral_constantIbLb0EESX_IbLb1EEEEDaST_SU_EUlST_E_NS1_11comp_targetILNS1_3genE9ELNS1_11target_archE1100ELNS1_3gpuE3ELNS1_3repE0EEENS1_30default_config_static_selectorELNS0_4arch9wavefront6targetE1EEEvT1_.has_indirect_call, 0
	.section	.AMDGPU.csdata,"",@progbits
; Kernel info:
; codeLenInByte = 0
; TotalNumSgprs: 4
; NumVgprs: 0
; ScratchSize: 0
; MemoryBound: 0
; FloatMode: 240
; IeeeMode: 1
; LDSByteSize: 0 bytes/workgroup (compile time only)
; SGPRBlocks: 0
; VGPRBlocks: 0
; NumSGPRsForWavesPerEU: 4
; NumVGPRsForWavesPerEU: 1
; Occupancy: 10
; WaveLimiterHint : 0
; COMPUTE_PGM_RSRC2:SCRATCH_EN: 0
; COMPUTE_PGM_RSRC2:USER_SGPR: 6
; COMPUTE_PGM_RSRC2:TRAP_HANDLER: 0
; COMPUTE_PGM_RSRC2:TGID_X_EN: 1
; COMPUTE_PGM_RSRC2:TGID_Y_EN: 0
; COMPUTE_PGM_RSRC2:TGID_Z_EN: 0
; COMPUTE_PGM_RSRC2:TIDIG_COMP_CNT: 0
	.section	.text._ZN7rocprim17ROCPRIM_400000_NS6detail17trampoline_kernelINS0_14default_configENS1_20scan_config_selectorIN3c108BFloat16EEEZZNS1_9scan_implILNS1_25lookback_scan_determinismE0ELb0ELb0ES3_PKS6_PS6_S6_ZZZN2at6native31launch_logcumsumexp_cuda_kernelERKNSD_10TensorBaseESH_lENKUlvE_clEvENKUlvE4_clEvEUlS6_S6_E_S6_EEDaPvRmT3_T4_T5_mT6_P12ihipStream_tbENKUlT_T0_E_clISt17integral_constantIbLb0EESX_IbLb1EEEEDaST_SU_EUlST_E_NS1_11comp_targetILNS1_3genE8ELNS1_11target_archE1030ELNS1_3gpuE2ELNS1_3repE0EEENS1_30default_config_static_selectorELNS0_4arch9wavefront6targetE1EEEvT1_,"axG",@progbits,_ZN7rocprim17ROCPRIM_400000_NS6detail17trampoline_kernelINS0_14default_configENS1_20scan_config_selectorIN3c108BFloat16EEEZZNS1_9scan_implILNS1_25lookback_scan_determinismE0ELb0ELb0ES3_PKS6_PS6_S6_ZZZN2at6native31launch_logcumsumexp_cuda_kernelERKNSD_10TensorBaseESH_lENKUlvE_clEvENKUlvE4_clEvEUlS6_S6_E_S6_EEDaPvRmT3_T4_T5_mT6_P12ihipStream_tbENKUlT_T0_E_clISt17integral_constantIbLb0EESX_IbLb1EEEEDaST_SU_EUlST_E_NS1_11comp_targetILNS1_3genE8ELNS1_11target_archE1030ELNS1_3gpuE2ELNS1_3repE0EEENS1_30default_config_static_selectorELNS0_4arch9wavefront6targetE1EEEvT1_,comdat
	.globl	_ZN7rocprim17ROCPRIM_400000_NS6detail17trampoline_kernelINS0_14default_configENS1_20scan_config_selectorIN3c108BFloat16EEEZZNS1_9scan_implILNS1_25lookback_scan_determinismE0ELb0ELb0ES3_PKS6_PS6_S6_ZZZN2at6native31launch_logcumsumexp_cuda_kernelERKNSD_10TensorBaseESH_lENKUlvE_clEvENKUlvE4_clEvEUlS6_S6_E_S6_EEDaPvRmT3_T4_T5_mT6_P12ihipStream_tbENKUlT_T0_E_clISt17integral_constantIbLb0EESX_IbLb1EEEEDaST_SU_EUlST_E_NS1_11comp_targetILNS1_3genE8ELNS1_11target_archE1030ELNS1_3gpuE2ELNS1_3repE0EEENS1_30default_config_static_selectorELNS0_4arch9wavefront6targetE1EEEvT1_ ; -- Begin function _ZN7rocprim17ROCPRIM_400000_NS6detail17trampoline_kernelINS0_14default_configENS1_20scan_config_selectorIN3c108BFloat16EEEZZNS1_9scan_implILNS1_25lookback_scan_determinismE0ELb0ELb0ES3_PKS6_PS6_S6_ZZZN2at6native31launch_logcumsumexp_cuda_kernelERKNSD_10TensorBaseESH_lENKUlvE_clEvENKUlvE4_clEvEUlS6_S6_E_S6_EEDaPvRmT3_T4_T5_mT6_P12ihipStream_tbENKUlT_T0_E_clISt17integral_constantIbLb0EESX_IbLb1EEEEDaST_SU_EUlST_E_NS1_11comp_targetILNS1_3genE8ELNS1_11target_archE1030ELNS1_3gpuE2ELNS1_3repE0EEENS1_30default_config_static_selectorELNS0_4arch9wavefront6targetE1EEEvT1_
	.p2align	8
	.type	_ZN7rocprim17ROCPRIM_400000_NS6detail17trampoline_kernelINS0_14default_configENS1_20scan_config_selectorIN3c108BFloat16EEEZZNS1_9scan_implILNS1_25lookback_scan_determinismE0ELb0ELb0ES3_PKS6_PS6_S6_ZZZN2at6native31launch_logcumsumexp_cuda_kernelERKNSD_10TensorBaseESH_lENKUlvE_clEvENKUlvE4_clEvEUlS6_S6_E_S6_EEDaPvRmT3_T4_T5_mT6_P12ihipStream_tbENKUlT_T0_E_clISt17integral_constantIbLb0EESX_IbLb1EEEEDaST_SU_EUlST_E_NS1_11comp_targetILNS1_3genE8ELNS1_11target_archE1030ELNS1_3gpuE2ELNS1_3repE0EEENS1_30default_config_static_selectorELNS0_4arch9wavefront6targetE1EEEvT1_,@function
_ZN7rocprim17ROCPRIM_400000_NS6detail17trampoline_kernelINS0_14default_configENS1_20scan_config_selectorIN3c108BFloat16EEEZZNS1_9scan_implILNS1_25lookback_scan_determinismE0ELb0ELb0ES3_PKS6_PS6_S6_ZZZN2at6native31launch_logcumsumexp_cuda_kernelERKNSD_10TensorBaseESH_lENKUlvE_clEvENKUlvE4_clEvEUlS6_S6_E_S6_EEDaPvRmT3_T4_T5_mT6_P12ihipStream_tbENKUlT_T0_E_clISt17integral_constantIbLb0EESX_IbLb1EEEEDaST_SU_EUlST_E_NS1_11comp_targetILNS1_3genE8ELNS1_11target_archE1030ELNS1_3gpuE2ELNS1_3repE0EEENS1_30default_config_static_selectorELNS0_4arch9wavefront6targetE1EEEvT1_: ; @_ZN7rocprim17ROCPRIM_400000_NS6detail17trampoline_kernelINS0_14default_configENS1_20scan_config_selectorIN3c108BFloat16EEEZZNS1_9scan_implILNS1_25lookback_scan_determinismE0ELb0ELb0ES3_PKS6_PS6_S6_ZZZN2at6native31launch_logcumsumexp_cuda_kernelERKNSD_10TensorBaseESH_lENKUlvE_clEvENKUlvE4_clEvEUlS6_S6_E_S6_EEDaPvRmT3_T4_T5_mT6_P12ihipStream_tbENKUlT_T0_E_clISt17integral_constantIbLb0EESX_IbLb1EEEEDaST_SU_EUlST_E_NS1_11comp_targetILNS1_3genE8ELNS1_11target_archE1030ELNS1_3gpuE2ELNS1_3repE0EEENS1_30default_config_static_selectorELNS0_4arch9wavefront6targetE1EEEvT1_
; %bb.0:
	.section	.rodata,"a",@progbits
	.p2align	6, 0x0
	.amdhsa_kernel _ZN7rocprim17ROCPRIM_400000_NS6detail17trampoline_kernelINS0_14default_configENS1_20scan_config_selectorIN3c108BFloat16EEEZZNS1_9scan_implILNS1_25lookback_scan_determinismE0ELb0ELb0ES3_PKS6_PS6_S6_ZZZN2at6native31launch_logcumsumexp_cuda_kernelERKNSD_10TensorBaseESH_lENKUlvE_clEvENKUlvE4_clEvEUlS6_S6_E_S6_EEDaPvRmT3_T4_T5_mT6_P12ihipStream_tbENKUlT_T0_E_clISt17integral_constantIbLb0EESX_IbLb1EEEEDaST_SU_EUlST_E_NS1_11comp_targetILNS1_3genE8ELNS1_11target_archE1030ELNS1_3gpuE2ELNS1_3repE0EEENS1_30default_config_static_selectorELNS0_4arch9wavefront6targetE1EEEvT1_
		.amdhsa_group_segment_fixed_size 0
		.amdhsa_private_segment_fixed_size 0
		.amdhsa_kernarg_size 96
		.amdhsa_user_sgpr_count 6
		.amdhsa_user_sgpr_private_segment_buffer 1
		.amdhsa_user_sgpr_dispatch_ptr 0
		.amdhsa_user_sgpr_queue_ptr 0
		.amdhsa_user_sgpr_kernarg_segment_ptr 1
		.amdhsa_user_sgpr_dispatch_id 0
		.amdhsa_user_sgpr_flat_scratch_init 0
		.amdhsa_user_sgpr_private_segment_size 0
		.amdhsa_uses_dynamic_stack 0
		.amdhsa_system_sgpr_private_segment_wavefront_offset 0
		.amdhsa_system_sgpr_workgroup_id_x 1
		.amdhsa_system_sgpr_workgroup_id_y 0
		.amdhsa_system_sgpr_workgroup_id_z 0
		.amdhsa_system_sgpr_workgroup_info 0
		.amdhsa_system_vgpr_workitem_id 0
		.amdhsa_next_free_vgpr 1
		.amdhsa_next_free_sgpr 0
		.amdhsa_reserve_vcc 0
		.amdhsa_reserve_flat_scratch 0
		.amdhsa_float_round_mode_32 0
		.amdhsa_float_round_mode_16_64 0
		.amdhsa_float_denorm_mode_32 3
		.amdhsa_float_denorm_mode_16_64 3
		.amdhsa_dx10_clamp 1
		.amdhsa_ieee_mode 1
		.amdhsa_fp16_overflow 0
		.amdhsa_exception_fp_ieee_invalid_op 0
		.amdhsa_exception_fp_denorm_src 0
		.amdhsa_exception_fp_ieee_div_zero 0
		.amdhsa_exception_fp_ieee_overflow 0
		.amdhsa_exception_fp_ieee_underflow 0
		.amdhsa_exception_fp_ieee_inexact 0
		.amdhsa_exception_int_div_zero 0
	.end_amdhsa_kernel
	.section	.text._ZN7rocprim17ROCPRIM_400000_NS6detail17trampoline_kernelINS0_14default_configENS1_20scan_config_selectorIN3c108BFloat16EEEZZNS1_9scan_implILNS1_25lookback_scan_determinismE0ELb0ELb0ES3_PKS6_PS6_S6_ZZZN2at6native31launch_logcumsumexp_cuda_kernelERKNSD_10TensorBaseESH_lENKUlvE_clEvENKUlvE4_clEvEUlS6_S6_E_S6_EEDaPvRmT3_T4_T5_mT6_P12ihipStream_tbENKUlT_T0_E_clISt17integral_constantIbLb0EESX_IbLb1EEEEDaST_SU_EUlST_E_NS1_11comp_targetILNS1_3genE8ELNS1_11target_archE1030ELNS1_3gpuE2ELNS1_3repE0EEENS1_30default_config_static_selectorELNS0_4arch9wavefront6targetE1EEEvT1_,"axG",@progbits,_ZN7rocprim17ROCPRIM_400000_NS6detail17trampoline_kernelINS0_14default_configENS1_20scan_config_selectorIN3c108BFloat16EEEZZNS1_9scan_implILNS1_25lookback_scan_determinismE0ELb0ELb0ES3_PKS6_PS6_S6_ZZZN2at6native31launch_logcumsumexp_cuda_kernelERKNSD_10TensorBaseESH_lENKUlvE_clEvENKUlvE4_clEvEUlS6_S6_E_S6_EEDaPvRmT3_T4_T5_mT6_P12ihipStream_tbENKUlT_T0_E_clISt17integral_constantIbLb0EESX_IbLb1EEEEDaST_SU_EUlST_E_NS1_11comp_targetILNS1_3genE8ELNS1_11target_archE1030ELNS1_3gpuE2ELNS1_3repE0EEENS1_30default_config_static_selectorELNS0_4arch9wavefront6targetE1EEEvT1_,comdat
.Lfunc_end511:
	.size	_ZN7rocprim17ROCPRIM_400000_NS6detail17trampoline_kernelINS0_14default_configENS1_20scan_config_selectorIN3c108BFloat16EEEZZNS1_9scan_implILNS1_25lookback_scan_determinismE0ELb0ELb0ES3_PKS6_PS6_S6_ZZZN2at6native31launch_logcumsumexp_cuda_kernelERKNSD_10TensorBaseESH_lENKUlvE_clEvENKUlvE4_clEvEUlS6_S6_E_S6_EEDaPvRmT3_T4_T5_mT6_P12ihipStream_tbENKUlT_T0_E_clISt17integral_constantIbLb0EESX_IbLb1EEEEDaST_SU_EUlST_E_NS1_11comp_targetILNS1_3genE8ELNS1_11target_archE1030ELNS1_3gpuE2ELNS1_3repE0EEENS1_30default_config_static_selectorELNS0_4arch9wavefront6targetE1EEEvT1_, .Lfunc_end511-_ZN7rocprim17ROCPRIM_400000_NS6detail17trampoline_kernelINS0_14default_configENS1_20scan_config_selectorIN3c108BFloat16EEEZZNS1_9scan_implILNS1_25lookback_scan_determinismE0ELb0ELb0ES3_PKS6_PS6_S6_ZZZN2at6native31launch_logcumsumexp_cuda_kernelERKNSD_10TensorBaseESH_lENKUlvE_clEvENKUlvE4_clEvEUlS6_S6_E_S6_EEDaPvRmT3_T4_T5_mT6_P12ihipStream_tbENKUlT_T0_E_clISt17integral_constantIbLb0EESX_IbLb1EEEEDaST_SU_EUlST_E_NS1_11comp_targetILNS1_3genE8ELNS1_11target_archE1030ELNS1_3gpuE2ELNS1_3repE0EEENS1_30default_config_static_selectorELNS0_4arch9wavefront6targetE1EEEvT1_
                                        ; -- End function
	.set _ZN7rocprim17ROCPRIM_400000_NS6detail17trampoline_kernelINS0_14default_configENS1_20scan_config_selectorIN3c108BFloat16EEEZZNS1_9scan_implILNS1_25lookback_scan_determinismE0ELb0ELb0ES3_PKS6_PS6_S6_ZZZN2at6native31launch_logcumsumexp_cuda_kernelERKNSD_10TensorBaseESH_lENKUlvE_clEvENKUlvE4_clEvEUlS6_S6_E_S6_EEDaPvRmT3_T4_T5_mT6_P12ihipStream_tbENKUlT_T0_E_clISt17integral_constantIbLb0EESX_IbLb1EEEEDaST_SU_EUlST_E_NS1_11comp_targetILNS1_3genE8ELNS1_11target_archE1030ELNS1_3gpuE2ELNS1_3repE0EEENS1_30default_config_static_selectorELNS0_4arch9wavefront6targetE1EEEvT1_.num_vgpr, 0
	.set _ZN7rocprim17ROCPRIM_400000_NS6detail17trampoline_kernelINS0_14default_configENS1_20scan_config_selectorIN3c108BFloat16EEEZZNS1_9scan_implILNS1_25lookback_scan_determinismE0ELb0ELb0ES3_PKS6_PS6_S6_ZZZN2at6native31launch_logcumsumexp_cuda_kernelERKNSD_10TensorBaseESH_lENKUlvE_clEvENKUlvE4_clEvEUlS6_S6_E_S6_EEDaPvRmT3_T4_T5_mT6_P12ihipStream_tbENKUlT_T0_E_clISt17integral_constantIbLb0EESX_IbLb1EEEEDaST_SU_EUlST_E_NS1_11comp_targetILNS1_3genE8ELNS1_11target_archE1030ELNS1_3gpuE2ELNS1_3repE0EEENS1_30default_config_static_selectorELNS0_4arch9wavefront6targetE1EEEvT1_.num_agpr, 0
	.set _ZN7rocprim17ROCPRIM_400000_NS6detail17trampoline_kernelINS0_14default_configENS1_20scan_config_selectorIN3c108BFloat16EEEZZNS1_9scan_implILNS1_25lookback_scan_determinismE0ELb0ELb0ES3_PKS6_PS6_S6_ZZZN2at6native31launch_logcumsumexp_cuda_kernelERKNSD_10TensorBaseESH_lENKUlvE_clEvENKUlvE4_clEvEUlS6_S6_E_S6_EEDaPvRmT3_T4_T5_mT6_P12ihipStream_tbENKUlT_T0_E_clISt17integral_constantIbLb0EESX_IbLb1EEEEDaST_SU_EUlST_E_NS1_11comp_targetILNS1_3genE8ELNS1_11target_archE1030ELNS1_3gpuE2ELNS1_3repE0EEENS1_30default_config_static_selectorELNS0_4arch9wavefront6targetE1EEEvT1_.numbered_sgpr, 0
	.set _ZN7rocprim17ROCPRIM_400000_NS6detail17trampoline_kernelINS0_14default_configENS1_20scan_config_selectorIN3c108BFloat16EEEZZNS1_9scan_implILNS1_25lookback_scan_determinismE0ELb0ELb0ES3_PKS6_PS6_S6_ZZZN2at6native31launch_logcumsumexp_cuda_kernelERKNSD_10TensorBaseESH_lENKUlvE_clEvENKUlvE4_clEvEUlS6_S6_E_S6_EEDaPvRmT3_T4_T5_mT6_P12ihipStream_tbENKUlT_T0_E_clISt17integral_constantIbLb0EESX_IbLb1EEEEDaST_SU_EUlST_E_NS1_11comp_targetILNS1_3genE8ELNS1_11target_archE1030ELNS1_3gpuE2ELNS1_3repE0EEENS1_30default_config_static_selectorELNS0_4arch9wavefront6targetE1EEEvT1_.num_named_barrier, 0
	.set _ZN7rocprim17ROCPRIM_400000_NS6detail17trampoline_kernelINS0_14default_configENS1_20scan_config_selectorIN3c108BFloat16EEEZZNS1_9scan_implILNS1_25lookback_scan_determinismE0ELb0ELb0ES3_PKS6_PS6_S6_ZZZN2at6native31launch_logcumsumexp_cuda_kernelERKNSD_10TensorBaseESH_lENKUlvE_clEvENKUlvE4_clEvEUlS6_S6_E_S6_EEDaPvRmT3_T4_T5_mT6_P12ihipStream_tbENKUlT_T0_E_clISt17integral_constantIbLb0EESX_IbLb1EEEEDaST_SU_EUlST_E_NS1_11comp_targetILNS1_3genE8ELNS1_11target_archE1030ELNS1_3gpuE2ELNS1_3repE0EEENS1_30default_config_static_selectorELNS0_4arch9wavefront6targetE1EEEvT1_.private_seg_size, 0
	.set _ZN7rocprim17ROCPRIM_400000_NS6detail17trampoline_kernelINS0_14default_configENS1_20scan_config_selectorIN3c108BFloat16EEEZZNS1_9scan_implILNS1_25lookback_scan_determinismE0ELb0ELb0ES3_PKS6_PS6_S6_ZZZN2at6native31launch_logcumsumexp_cuda_kernelERKNSD_10TensorBaseESH_lENKUlvE_clEvENKUlvE4_clEvEUlS6_S6_E_S6_EEDaPvRmT3_T4_T5_mT6_P12ihipStream_tbENKUlT_T0_E_clISt17integral_constantIbLb0EESX_IbLb1EEEEDaST_SU_EUlST_E_NS1_11comp_targetILNS1_3genE8ELNS1_11target_archE1030ELNS1_3gpuE2ELNS1_3repE0EEENS1_30default_config_static_selectorELNS0_4arch9wavefront6targetE1EEEvT1_.uses_vcc, 0
	.set _ZN7rocprim17ROCPRIM_400000_NS6detail17trampoline_kernelINS0_14default_configENS1_20scan_config_selectorIN3c108BFloat16EEEZZNS1_9scan_implILNS1_25lookback_scan_determinismE0ELb0ELb0ES3_PKS6_PS6_S6_ZZZN2at6native31launch_logcumsumexp_cuda_kernelERKNSD_10TensorBaseESH_lENKUlvE_clEvENKUlvE4_clEvEUlS6_S6_E_S6_EEDaPvRmT3_T4_T5_mT6_P12ihipStream_tbENKUlT_T0_E_clISt17integral_constantIbLb0EESX_IbLb1EEEEDaST_SU_EUlST_E_NS1_11comp_targetILNS1_3genE8ELNS1_11target_archE1030ELNS1_3gpuE2ELNS1_3repE0EEENS1_30default_config_static_selectorELNS0_4arch9wavefront6targetE1EEEvT1_.uses_flat_scratch, 0
	.set _ZN7rocprim17ROCPRIM_400000_NS6detail17trampoline_kernelINS0_14default_configENS1_20scan_config_selectorIN3c108BFloat16EEEZZNS1_9scan_implILNS1_25lookback_scan_determinismE0ELb0ELb0ES3_PKS6_PS6_S6_ZZZN2at6native31launch_logcumsumexp_cuda_kernelERKNSD_10TensorBaseESH_lENKUlvE_clEvENKUlvE4_clEvEUlS6_S6_E_S6_EEDaPvRmT3_T4_T5_mT6_P12ihipStream_tbENKUlT_T0_E_clISt17integral_constantIbLb0EESX_IbLb1EEEEDaST_SU_EUlST_E_NS1_11comp_targetILNS1_3genE8ELNS1_11target_archE1030ELNS1_3gpuE2ELNS1_3repE0EEENS1_30default_config_static_selectorELNS0_4arch9wavefront6targetE1EEEvT1_.has_dyn_sized_stack, 0
	.set _ZN7rocprim17ROCPRIM_400000_NS6detail17trampoline_kernelINS0_14default_configENS1_20scan_config_selectorIN3c108BFloat16EEEZZNS1_9scan_implILNS1_25lookback_scan_determinismE0ELb0ELb0ES3_PKS6_PS6_S6_ZZZN2at6native31launch_logcumsumexp_cuda_kernelERKNSD_10TensorBaseESH_lENKUlvE_clEvENKUlvE4_clEvEUlS6_S6_E_S6_EEDaPvRmT3_T4_T5_mT6_P12ihipStream_tbENKUlT_T0_E_clISt17integral_constantIbLb0EESX_IbLb1EEEEDaST_SU_EUlST_E_NS1_11comp_targetILNS1_3genE8ELNS1_11target_archE1030ELNS1_3gpuE2ELNS1_3repE0EEENS1_30default_config_static_selectorELNS0_4arch9wavefront6targetE1EEEvT1_.has_recursion, 0
	.set _ZN7rocprim17ROCPRIM_400000_NS6detail17trampoline_kernelINS0_14default_configENS1_20scan_config_selectorIN3c108BFloat16EEEZZNS1_9scan_implILNS1_25lookback_scan_determinismE0ELb0ELb0ES3_PKS6_PS6_S6_ZZZN2at6native31launch_logcumsumexp_cuda_kernelERKNSD_10TensorBaseESH_lENKUlvE_clEvENKUlvE4_clEvEUlS6_S6_E_S6_EEDaPvRmT3_T4_T5_mT6_P12ihipStream_tbENKUlT_T0_E_clISt17integral_constantIbLb0EESX_IbLb1EEEEDaST_SU_EUlST_E_NS1_11comp_targetILNS1_3genE8ELNS1_11target_archE1030ELNS1_3gpuE2ELNS1_3repE0EEENS1_30default_config_static_selectorELNS0_4arch9wavefront6targetE1EEEvT1_.has_indirect_call, 0
	.section	.AMDGPU.csdata,"",@progbits
; Kernel info:
; codeLenInByte = 0
; TotalNumSgprs: 4
; NumVgprs: 0
; ScratchSize: 0
; MemoryBound: 0
; FloatMode: 240
; IeeeMode: 1
; LDSByteSize: 0 bytes/workgroup (compile time only)
; SGPRBlocks: 0
; VGPRBlocks: 0
; NumSGPRsForWavesPerEU: 4
; NumVGPRsForWavesPerEU: 1
; Occupancy: 10
; WaveLimiterHint : 0
; COMPUTE_PGM_RSRC2:SCRATCH_EN: 0
; COMPUTE_PGM_RSRC2:USER_SGPR: 6
; COMPUTE_PGM_RSRC2:TRAP_HANDLER: 0
; COMPUTE_PGM_RSRC2:TGID_X_EN: 1
; COMPUTE_PGM_RSRC2:TGID_Y_EN: 0
; COMPUTE_PGM_RSRC2:TGID_Z_EN: 0
; COMPUTE_PGM_RSRC2:TIDIG_COMP_CNT: 0
	.section	.text._ZN7rocprim17ROCPRIM_400000_NS6detail17trampoline_kernelINS0_14default_configENS1_20scan_config_selectorIN3c108BFloat16EEEZZNS1_9scan_implILNS1_25lookback_scan_determinismE0ELb0ELb0ES3_PKS6_PS6_S6_ZZZN2at6native31launch_logcumsumexp_cuda_kernelERKNSD_10TensorBaseESH_lENKUlvE_clEvENKUlvE4_clEvEUlS6_S6_E_S6_EEDaPvRmT3_T4_T5_mT6_P12ihipStream_tbENKUlT_T0_E_clISt17integral_constantIbLb0EESX_IbLb1EEEEDaST_SU_EUlST_E0_NS1_11comp_targetILNS1_3genE0ELNS1_11target_archE4294967295ELNS1_3gpuE0ELNS1_3repE0EEENS1_30default_config_static_selectorELNS0_4arch9wavefront6targetE1EEEvT1_,"axG",@progbits,_ZN7rocprim17ROCPRIM_400000_NS6detail17trampoline_kernelINS0_14default_configENS1_20scan_config_selectorIN3c108BFloat16EEEZZNS1_9scan_implILNS1_25lookback_scan_determinismE0ELb0ELb0ES3_PKS6_PS6_S6_ZZZN2at6native31launch_logcumsumexp_cuda_kernelERKNSD_10TensorBaseESH_lENKUlvE_clEvENKUlvE4_clEvEUlS6_S6_E_S6_EEDaPvRmT3_T4_T5_mT6_P12ihipStream_tbENKUlT_T0_E_clISt17integral_constantIbLb0EESX_IbLb1EEEEDaST_SU_EUlST_E0_NS1_11comp_targetILNS1_3genE0ELNS1_11target_archE4294967295ELNS1_3gpuE0ELNS1_3repE0EEENS1_30default_config_static_selectorELNS0_4arch9wavefront6targetE1EEEvT1_,comdat
	.globl	_ZN7rocprim17ROCPRIM_400000_NS6detail17trampoline_kernelINS0_14default_configENS1_20scan_config_selectorIN3c108BFloat16EEEZZNS1_9scan_implILNS1_25lookback_scan_determinismE0ELb0ELb0ES3_PKS6_PS6_S6_ZZZN2at6native31launch_logcumsumexp_cuda_kernelERKNSD_10TensorBaseESH_lENKUlvE_clEvENKUlvE4_clEvEUlS6_S6_E_S6_EEDaPvRmT3_T4_T5_mT6_P12ihipStream_tbENKUlT_T0_E_clISt17integral_constantIbLb0EESX_IbLb1EEEEDaST_SU_EUlST_E0_NS1_11comp_targetILNS1_3genE0ELNS1_11target_archE4294967295ELNS1_3gpuE0ELNS1_3repE0EEENS1_30default_config_static_selectorELNS0_4arch9wavefront6targetE1EEEvT1_ ; -- Begin function _ZN7rocprim17ROCPRIM_400000_NS6detail17trampoline_kernelINS0_14default_configENS1_20scan_config_selectorIN3c108BFloat16EEEZZNS1_9scan_implILNS1_25lookback_scan_determinismE0ELb0ELb0ES3_PKS6_PS6_S6_ZZZN2at6native31launch_logcumsumexp_cuda_kernelERKNSD_10TensorBaseESH_lENKUlvE_clEvENKUlvE4_clEvEUlS6_S6_E_S6_EEDaPvRmT3_T4_T5_mT6_P12ihipStream_tbENKUlT_T0_E_clISt17integral_constantIbLb0EESX_IbLb1EEEEDaST_SU_EUlST_E0_NS1_11comp_targetILNS1_3genE0ELNS1_11target_archE4294967295ELNS1_3gpuE0ELNS1_3repE0EEENS1_30default_config_static_selectorELNS0_4arch9wavefront6targetE1EEEvT1_
	.p2align	8
	.type	_ZN7rocprim17ROCPRIM_400000_NS6detail17trampoline_kernelINS0_14default_configENS1_20scan_config_selectorIN3c108BFloat16EEEZZNS1_9scan_implILNS1_25lookback_scan_determinismE0ELb0ELb0ES3_PKS6_PS6_S6_ZZZN2at6native31launch_logcumsumexp_cuda_kernelERKNSD_10TensorBaseESH_lENKUlvE_clEvENKUlvE4_clEvEUlS6_S6_E_S6_EEDaPvRmT3_T4_T5_mT6_P12ihipStream_tbENKUlT_T0_E_clISt17integral_constantIbLb0EESX_IbLb1EEEEDaST_SU_EUlST_E0_NS1_11comp_targetILNS1_3genE0ELNS1_11target_archE4294967295ELNS1_3gpuE0ELNS1_3repE0EEENS1_30default_config_static_selectorELNS0_4arch9wavefront6targetE1EEEvT1_,@function
_ZN7rocprim17ROCPRIM_400000_NS6detail17trampoline_kernelINS0_14default_configENS1_20scan_config_selectorIN3c108BFloat16EEEZZNS1_9scan_implILNS1_25lookback_scan_determinismE0ELb0ELb0ES3_PKS6_PS6_S6_ZZZN2at6native31launch_logcumsumexp_cuda_kernelERKNSD_10TensorBaseESH_lENKUlvE_clEvENKUlvE4_clEvEUlS6_S6_E_S6_EEDaPvRmT3_T4_T5_mT6_P12ihipStream_tbENKUlT_T0_E_clISt17integral_constantIbLb0EESX_IbLb1EEEEDaST_SU_EUlST_E0_NS1_11comp_targetILNS1_3genE0ELNS1_11target_archE4294967295ELNS1_3gpuE0ELNS1_3repE0EEENS1_30default_config_static_selectorELNS0_4arch9wavefront6targetE1EEEvT1_: ; @_ZN7rocprim17ROCPRIM_400000_NS6detail17trampoline_kernelINS0_14default_configENS1_20scan_config_selectorIN3c108BFloat16EEEZZNS1_9scan_implILNS1_25lookback_scan_determinismE0ELb0ELb0ES3_PKS6_PS6_S6_ZZZN2at6native31launch_logcumsumexp_cuda_kernelERKNSD_10TensorBaseESH_lENKUlvE_clEvENKUlvE4_clEvEUlS6_S6_E_S6_EEDaPvRmT3_T4_T5_mT6_P12ihipStream_tbENKUlT_T0_E_clISt17integral_constantIbLb0EESX_IbLb1EEEEDaST_SU_EUlST_E0_NS1_11comp_targetILNS1_3genE0ELNS1_11target_archE4294967295ELNS1_3gpuE0ELNS1_3repE0EEENS1_30default_config_static_selectorELNS0_4arch9wavefront6targetE1EEEvT1_
; %bb.0:
	.section	.rodata,"a",@progbits
	.p2align	6, 0x0
	.amdhsa_kernel _ZN7rocprim17ROCPRIM_400000_NS6detail17trampoline_kernelINS0_14default_configENS1_20scan_config_selectorIN3c108BFloat16EEEZZNS1_9scan_implILNS1_25lookback_scan_determinismE0ELb0ELb0ES3_PKS6_PS6_S6_ZZZN2at6native31launch_logcumsumexp_cuda_kernelERKNSD_10TensorBaseESH_lENKUlvE_clEvENKUlvE4_clEvEUlS6_S6_E_S6_EEDaPvRmT3_T4_T5_mT6_P12ihipStream_tbENKUlT_T0_E_clISt17integral_constantIbLb0EESX_IbLb1EEEEDaST_SU_EUlST_E0_NS1_11comp_targetILNS1_3genE0ELNS1_11target_archE4294967295ELNS1_3gpuE0ELNS1_3repE0EEENS1_30default_config_static_selectorELNS0_4arch9wavefront6targetE1EEEvT1_
		.amdhsa_group_segment_fixed_size 0
		.amdhsa_private_segment_fixed_size 0
		.amdhsa_kernarg_size 32
		.amdhsa_user_sgpr_count 6
		.amdhsa_user_sgpr_private_segment_buffer 1
		.amdhsa_user_sgpr_dispatch_ptr 0
		.amdhsa_user_sgpr_queue_ptr 0
		.amdhsa_user_sgpr_kernarg_segment_ptr 1
		.amdhsa_user_sgpr_dispatch_id 0
		.amdhsa_user_sgpr_flat_scratch_init 0
		.amdhsa_user_sgpr_private_segment_size 0
		.amdhsa_uses_dynamic_stack 0
		.amdhsa_system_sgpr_private_segment_wavefront_offset 0
		.amdhsa_system_sgpr_workgroup_id_x 1
		.amdhsa_system_sgpr_workgroup_id_y 0
		.amdhsa_system_sgpr_workgroup_id_z 0
		.amdhsa_system_sgpr_workgroup_info 0
		.amdhsa_system_vgpr_workitem_id 0
		.amdhsa_next_free_vgpr 1
		.amdhsa_next_free_sgpr 0
		.amdhsa_reserve_vcc 0
		.amdhsa_reserve_flat_scratch 0
		.amdhsa_float_round_mode_32 0
		.amdhsa_float_round_mode_16_64 0
		.amdhsa_float_denorm_mode_32 3
		.amdhsa_float_denorm_mode_16_64 3
		.amdhsa_dx10_clamp 1
		.amdhsa_ieee_mode 1
		.amdhsa_fp16_overflow 0
		.amdhsa_exception_fp_ieee_invalid_op 0
		.amdhsa_exception_fp_denorm_src 0
		.amdhsa_exception_fp_ieee_div_zero 0
		.amdhsa_exception_fp_ieee_overflow 0
		.amdhsa_exception_fp_ieee_underflow 0
		.amdhsa_exception_fp_ieee_inexact 0
		.amdhsa_exception_int_div_zero 0
	.end_amdhsa_kernel
	.section	.text._ZN7rocprim17ROCPRIM_400000_NS6detail17trampoline_kernelINS0_14default_configENS1_20scan_config_selectorIN3c108BFloat16EEEZZNS1_9scan_implILNS1_25lookback_scan_determinismE0ELb0ELb0ES3_PKS6_PS6_S6_ZZZN2at6native31launch_logcumsumexp_cuda_kernelERKNSD_10TensorBaseESH_lENKUlvE_clEvENKUlvE4_clEvEUlS6_S6_E_S6_EEDaPvRmT3_T4_T5_mT6_P12ihipStream_tbENKUlT_T0_E_clISt17integral_constantIbLb0EESX_IbLb1EEEEDaST_SU_EUlST_E0_NS1_11comp_targetILNS1_3genE0ELNS1_11target_archE4294967295ELNS1_3gpuE0ELNS1_3repE0EEENS1_30default_config_static_selectorELNS0_4arch9wavefront6targetE1EEEvT1_,"axG",@progbits,_ZN7rocprim17ROCPRIM_400000_NS6detail17trampoline_kernelINS0_14default_configENS1_20scan_config_selectorIN3c108BFloat16EEEZZNS1_9scan_implILNS1_25lookback_scan_determinismE0ELb0ELb0ES3_PKS6_PS6_S6_ZZZN2at6native31launch_logcumsumexp_cuda_kernelERKNSD_10TensorBaseESH_lENKUlvE_clEvENKUlvE4_clEvEUlS6_S6_E_S6_EEDaPvRmT3_T4_T5_mT6_P12ihipStream_tbENKUlT_T0_E_clISt17integral_constantIbLb0EESX_IbLb1EEEEDaST_SU_EUlST_E0_NS1_11comp_targetILNS1_3genE0ELNS1_11target_archE4294967295ELNS1_3gpuE0ELNS1_3repE0EEENS1_30default_config_static_selectorELNS0_4arch9wavefront6targetE1EEEvT1_,comdat
.Lfunc_end512:
	.size	_ZN7rocprim17ROCPRIM_400000_NS6detail17trampoline_kernelINS0_14default_configENS1_20scan_config_selectorIN3c108BFloat16EEEZZNS1_9scan_implILNS1_25lookback_scan_determinismE0ELb0ELb0ES3_PKS6_PS6_S6_ZZZN2at6native31launch_logcumsumexp_cuda_kernelERKNSD_10TensorBaseESH_lENKUlvE_clEvENKUlvE4_clEvEUlS6_S6_E_S6_EEDaPvRmT3_T4_T5_mT6_P12ihipStream_tbENKUlT_T0_E_clISt17integral_constantIbLb0EESX_IbLb1EEEEDaST_SU_EUlST_E0_NS1_11comp_targetILNS1_3genE0ELNS1_11target_archE4294967295ELNS1_3gpuE0ELNS1_3repE0EEENS1_30default_config_static_selectorELNS0_4arch9wavefront6targetE1EEEvT1_, .Lfunc_end512-_ZN7rocprim17ROCPRIM_400000_NS6detail17trampoline_kernelINS0_14default_configENS1_20scan_config_selectorIN3c108BFloat16EEEZZNS1_9scan_implILNS1_25lookback_scan_determinismE0ELb0ELb0ES3_PKS6_PS6_S6_ZZZN2at6native31launch_logcumsumexp_cuda_kernelERKNSD_10TensorBaseESH_lENKUlvE_clEvENKUlvE4_clEvEUlS6_S6_E_S6_EEDaPvRmT3_T4_T5_mT6_P12ihipStream_tbENKUlT_T0_E_clISt17integral_constantIbLb0EESX_IbLb1EEEEDaST_SU_EUlST_E0_NS1_11comp_targetILNS1_3genE0ELNS1_11target_archE4294967295ELNS1_3gpuE0ELNS1_3repE0EEENS1_30default_config_static_selectorELNS0_4arch9wavefront6targetE1EEEvT1_
                                        ; -- End function
	.set _ZN7rocprim17ROCPRIM_400000_NS6detail17trampoline_kernelINS0_14default_configENS1_20scan_config_selectorIN3c108BFloat16EEEZZNS1_9scan_implILNS1_25lookback_scan_determinismE0ELb0ELb0ES3_PKS6_PS6_S6_ZZZN2at6native31launch_logcumsumexp_cuda_kernelERKNSD_10TensorBaseESH_lENKUlvE_clEvENKUlvE4_clEvEUlS6_S6_E_S6_EEDaPvRmT3_T4_T5_mT6_P12ihipStream_tbENKUlT_T0_E_clISt17integral_constantIbLb0EESX_IbLb1EEEEDaST_SU_EUlST_E0_NS1_11comp_targetILNS1_3genE0ELNS1_11target_archE4294967295ELNS1_3gpuE0ELNS1_3repE0EEENS1_30default_config_static_selectorELNS0_4arch9wavefront6targetE1EEEvT1_.num_vgpr, 0
	.set _ZN7rocprim17ROCPRIM_400000_NS6detail17trampoline_kernelINS0_14default_configENS1_20scan_config_selectorIN3c108BFloat16EEEZZNS1_9scan_implILNS1_25lookback_scan_determinismE0ELb0ELb0ES3_PKS6_PS6_S6_ZZZN2at6native31launch_logcumsumexp_cuda_kernelERKNSD_10TensorBaseESH_lENKUlvE_clEvENKUlvE4_clEvEUlS6_S6_E_S6_EEDaPvRmT3_T4_T5_mT6_P12ihipStream_tbENKUlT_T0_E_clISt17integral_constantIbLb0EESX_IbLb1EEEEDaST_SU_EUlST_E0_NS1_11comp_targetILNS1_3genE0ELNS1_11target_archE4294967295ELNS1_3gpuE0ELNS1_3repE0EEENS1_30default_config_static_selectorELNS0_4arch9wavefront6targetE1EEEvT1_.num_agpr, 0
	.set _ZN7rocprim17ROCPRIM_400000_NS6detail17trampoline_kernelINS0_14default_configENS1_20scan_config_selectorIN3c108BFloat16EEEZZNS1_9scan_implILNS1_25lookback_scan_determinismE0ELb0ELb0ES3_PKS6_PS6_S6_ZZZN2at6native31launch_logcumsumexp_cuda_kernelERKNSD_10TensorBaseESH_lENKUlvE_clEvENKUlvE4_clEvEUlS6_S6_E_S6_EEDaPvRmT3_T4_T5_mT6_P12ihipStream_tbENKUlT_T0_E_clISt17integral_constantIbLb0EESX_IbLb1EEEEDaST_SU_EUlST_E0_NS1_11comp_targetILNS1_3genE0ELNS1_11target_archE4294967295ELNS1_3gpuE0ELNS1_3repE0EEENS1_30default_config_static_selectorELNS0_4arch9wavefront6targetE1EEEvT1_.numbered_sgpr, 0
	.set _ZN7rocprim17ROCPRIM_400000_NS6detail17trampoline_kernelINS0_14default_configENS1_20scan_config_selectorIN3c108BFloat16EEEZZNS1_9scan_implILNS1_25lookback_scan_determinismE0ELb0ELb0ES3_PKS6_PS6_S6_ZZZN2at6native31launch_logcumsumexp_cuda_kernelERKNSD_10TensorBaseESH_lENKUlvE_clEvENKUlvE4_clEvEUlS6_S6_E_S6_EEDaPvRmT3_T4_T5_mT6_P12ihipStream_tbENKUlT_T0_E_clISt17integral_constantIbLb0EESX_IbLb1EEEEDaST_SU_EUlST_E0_NS1_11comp_targetILNS1_3genE0ELNS1_11target_archE4294967295ELNS1_3gpuE0ELNS1_3repE0EEENS1_30default_config_static_selectorELNS0_4arch9wavefront6targetE1EEEvT1_.num_named_barrier, 0
	.set _ZN7rocprim17ROCPRIM_400000_NS6detail17trampoline_kernelINS0_14default_configENS1_20scan_config_selectorIN3c108BFloat16EEEZZNS1_9scan_implILNS1_25lookback_scan_determinismE0ELb0ELb0ES3_PKS6_PS6_S6_ZZZN2at6native31launch_logcumsumexp_cuda_kernelERKNSD_10TensorBaseESH_lENKUlvE_clEvENKUlvE4_clEvEUlS6_S6_E_S6_EEDaPvRmT3_T4_T5_mT6_P12ihipStream_tbENKUlT_T0_E_clISt17integral_constantIbLb0EESX_IbLb1EEEEDaST_SU_EUlST_E0_NS1_11comp_targetILNS1_3genE0ELNS1_11target_archE4294967295ELNS1_3gpuE0ELNS1_3repE0EEENS1_30default_config_static_selectorELNS0_4arch9wavefront6targetE1EEEvT1_.private_seg_size, 0
	.set _ZN7rocprim17ROCPRIM_400000_NS6detail17trampoline_kernelINS0_14default_configENS1_20scan_config_selectorIN3c108BFloat16EEEZZNS1_9scan_implILNS1_25lookback_scan_determinismE0ELb0ELb0ES3_PKS6_PS6_S6_ZZZN2at6native31launch_logcumsumexp_cuda_kernelERKNSD_10TensorBaseESH_lENKUlvE_clEvENKUlvE4_clEvEUlS6_S6_E_S6_EEDaPvRmT3_T4_T5_mT6_P12ihipStream_tbENKUlT_T0_E_clISt17integral_constantIbLb0EESX_IbLb1EEEEDaST_SU_EUlST_E0_NS1_11comp_targetILNS1_3genE0ELNS1_11target_archE4294967295ELNS1_3gpuE0ELNS1_3repE0EEENS1_30default_config_static_selectorELNS0_4arch9wavefront6targetE1EEEvT1_.uses_vcc, 0
	.set _ZN7rocprim17ROCPRIM_400000_NS6detail17trampoline_kernelINS0_14default_configENS1_20scan_config_selectorIN3c108BFloat16EEEZZNS1_9scan_implILNS1_25lookback_scan_determinismE0ELb0ELb0ES3_PKS6_PS6_S6_ZZZN2at6native31launch_logcumsumexp_cuda_kernelERKNSD_10TensorBaseESH_lENKUlvE_clEvENKUlvE4_clEvEUlS6_S6_E_S6_EEDaPvRmT3_T4_T5_mT6_P12ihipStream_tbENKUlT_T0_E_clISt17integral_constantIbLb0EESX_IbLb1EEEEDaST_SU_EUlST_E0_NS1_11comp_targetILNS1_3genE0ELNS1_11target_archE4294967295ELNS1_3gpuE0ELNS1_3repE0EEENS1_30default_config_static_selectorELNS0_4arch9wavefront6targetE1EEEvT1_.uses_flat_scratch, 0
	.set _ZN7rocprim17ROCPRIM_400000_NS6detail17trampoline_kernelINS0_14default_configENS1_20scan_config_selectorIN3c108BFloat16EEEZZNS1_9scan_implILNS1_25lookback_scan_determinismE0ELb0ELb0ES3_PKS6_PS6_S6_ZZZN2at6native31launch_logcumsumexp_cuda_kernelERKNSD_10TensorBaseESH_lENKUlvE_clEvENKUlvE4_clEvEUlS6_S6_E_S6_EEDaPvRmT3_T4_T5_mT6_P12ihipStream_tbENKUlT_T0_E_clISt17integral_constantIbLb0EESX_IbLb1EEEEDaST_SU_EUlST_E0_NS1_11comp_targetILNS1_3genE0ELNS1_11target_archE4294967295ELNS1_3gpuE0ELNS1_3repE0EEENS1_30default_config_static_selectorELNS0_4arch9wavefront6targetE1EEEvT1_.has_dyn_sized_stack, 0
	.set _ZN7rocprim17ROCPRIM_400000_NS6detail17trampoline_kernelINS0_14default_configENS1_20scan_config_selectorIN3c108BFloat16EEEZZNS1_9scan_implILNS1_25lookback_scan_determinismE0ELb0ELb0ES3_PKS6_PS6_S6_ZZZN2at6native31launch_logcumsumexp_cuda_kernelERKNSD_10TensorBaseESH_lENKUlvE_clEvENKUlvE4_clEvEUlS6_S6_E_S6_EEDaPvRmT3_T4_T5_mT6_P12ihipStream_tbENKUlT_T0_E_clISt17integral_constantIbLb0EESX_IbLb1EEEEDaST_SU_EUlST_E0_NS1_11comp_targetILNS1_3genE0ELNS1_11target_archE4294967295ELNS1_3gpuE0ELNS1_3repE0EEENS1_30default_config_static_selectorELNS0_4arch9wavefront6targetE1EEEvT1_.has_recursion, 0
	.set _ZN7rocprim17ROCPRIM_400000_NS6detail17trampoline_kernelINS0_14default_configENS1_20scan_config_selectorIN3c108BFloat16EEEZZNS1_9scan_implILNS1_25lookback_scan_determinismE0ELb0ELb0ES3_PKS6_PS6_S6_ZZZN2at6native31launch_logcumsumexp_cuda_kernelERKNSD_10TensorBaseESH_lENKUlvE_clEvENKUlvE4_clEvEUlS6_S6_E_S6_EEDaPvRmT3_T4_T5_mT6_P12ihipStream_tbENKUlT_T0_E_clISt17integral_constantIbLb0EESX_IbLb1EEEEDaST_SU_EUlST_E0_NS1_11comp_targetILNS1_3genE0ELNS1_11target_archE4294967295ELNS1_3gpuE0ELNS1_3repE0EEENS1_30default_config_static_selectorELNS0_4arch9wavefront6targetE1EEEvT1_.has_indirect_call, 0
	.section	.AMDGPU.csdata,"",@progbits
; Kernel info:
; codeLenInByte = 0
; TotalNumSgprs: 4
; NumVgprs: 0
; ScratchSize: 0
; MemoryBound: 0
; FloatMode: 240
; IeeeMode: 1
; LDSByteSize: 0 bytes/workgroup (compile time only)
; SGPRBlocks: 0
; VGPRBlocks: 0
; NumSGPRsForWavesPerEU: 4
; NumVGPRsForWavesPerEU: 1
; Occupancy: 10
; WaveLimiterHint : 0
; COMPUTE_PGM_RSRC2:SCRATCH_EN: 0
; COMPUTE_PGM_RSRC2:USER_SGPR: 6
; COMPUTE_PGM_RSRC2:TRAP_HANDLER: 0
; COMPUTE_PGM_RSRC2:TGID_X_EN: 1
; COMPUTE_PGM_RSRC2:TGID_Y_EN: 0
; COMPUTE_PGM_RSRC2:TGID_Z_EN: 0
; COMPUTE_PGM_RSRC2:TIDIG_COMP_CNT: 0
	.section	.text._ZN7rocprim17ROCPRIM_400000_NS6detail17trampoline_kernelINS0_14default_configENS1_20scan_config_selectorIN3c108BFloat16EEEZZNS1_9scan_implILNS1_25lookback_scan_determinismE0ELb0ELb0ES3_PKS6_PS6_S6_ZZZN2at6native31launch_logcumsumexp_cuda_kernelERKNSD_10TensorBaseESH_lENKUlvE_clEvENKUlvE4_clEvEUlS6_S6_E_S6_EEDaPvRmT3_T4_T5_mT6_P12ihipStream_tbENKUlT_T0_E_clISt17integral_constantIbLb0EESX_IbLb1EEEEDaST_SU_EUlST_E0_NS1_11comp_targetILNS1_3genE5ELNS1_11target_archE942ELNS1_3gpuE9ELNS1_3repE0EEENS1_30default_config_static_selectorELNS0_4arch9wavefront6targetE1EEEvT1_,"axG",@progbits,_ZN7rocprim17ROCPRIM_400000_NS6detail17trampoline_kernelINS0_14default_configENS1_20scan_config_selectorIN3c108BFloat16EEEZZNS1_9scan_implILNS1_25lookback_scan_determinismE0ELb0ELb0ES3_PKS6_PS6_S6_ZZZN2at6native31launch_logcumsumexp_cuda_kernelERKNSD_10TensorBaseESH_lENKUlvE_clEvENKUlvE4_clEvEUlS6_S6_E_S6_EEDaPvRmT3_T4_T5_mT6_P12ihipStream_tbENKUlT_T0_E_clISt17integral_constantIbLb0EESX_IbLb1EEEEDaST_SU_EUlST_E0_NS1_11comp_targetILNS1_3genE5ELNS1_11target_archE942ELNS1_3gpuE9ELNS1_3repE0EEENS1_30default_config_static_selectorELNS0_4arch9wavefront6targetE1EEEvT1_,comdat
	.globl	_ZN7rocprim17ROCPRIM_400000_NS6detail17trampoline_kernelINS0_14default_configENS1_20scan_config_selectorIN3c108BFloat16EEEZZNS1_9scan_implILNS1_25lookback_scan_determinismE0ELb0ELb0ES3_PKS6_PS6_S6_ZZZN2at6native31launch_logcumsumexp_cuda_kernelERKNSD_10TensorBaseESH_lENKUlvE_clEvENKUlvE4_clEvEUlS6_S6_E_S6_EEDaPvRmT3_T4_T5_mT6_P12ihipStream_tbENKUlT_T0_E_clISt17integral_constantIbLb0EESX_IbLb1EEEEDaST_SU_EUlST_E0_NS1_11comp_targetILNS1_3genE5ELNS1_11target_archE942ELNS1_3gpuE9ELNS1_3repE0EEENS1_30default_config_static_selectorELNS0_4arch9wavefront6targetE1EEEvT1_ ; -- Begin function _ZN7rocprim17ROCPRIM_400000_NS6detail17trampoline_kernelINS0_14default_configENS1_20scan_config_selectorIN3c108BFloat16EEEZZNS1_9scan_implILNS1_25lookback_scan_determinismE0ELb0ELb0ES3_PKS6_PS6_S6_ZZZN2at6native31launch_logcumsumexp_cuda_kernelERKNSD_10TensorBaseESH_lENKUlvE_clEvENKUlvE4_clEvEUlS6_S6_E_S6_EEDaPvRmT3_T4_T5_mT6_P12ihipStream_tbENKUlT_T0_E_clISt17integral_constantIbLb0EESX_IbLb1EEEEDaST_SU_EUlST_E0_NS1_11comp_targetILNS1_3genE5ELNS1_11target_archE942ELNS1_3gpuE9ELNS1_3repE0EEENS1_30default_config_static_selectorELNS0_4arch9wavefront6targetE1EEEvT1_
	.p2align	8
	.type	_ZN7rocprim17ROCPRIM_400000_NS6detail17trampoline_kernelINS0_14default_configENS1_20scan_config_selectorIN3c108BFloat16EEEZZNS1_9scan_implILNS1_25lookback_scan_determinismE0ELb0ELb0ES3_PKS6_PS6_S6_ZZZN2at6native31launch_logcumsumexp_cuda_kernelERKNSD_10TensorBaseESH_lENKUlvE_clEvENKUlvE4_clEvEUlS6_S6_E_S6_EEDaPvRmT3_T4_T5_mT6_P12ihipStream_tbENKUlT_T0_E_clISt17integral_constantIbLb0EESX_IbLb1EEEEDaST_SU_EUlST_E0_NS1_11comp_targetILNS1_3genE5ELNS1_11target_archE942ELNS1_3gpuE9ELNS1_3repE0EEENS1_30default_config_static_selectorELNS0_4arch9wavefront6targetE1EEEvT1_,@function
_ZN7rocprim17ROCPRIM_400000_NS6detail17trampoline_kernelINS0_14default_configENS1_20scan_config_selectorIN3c108BFloat16EEEZZNS1_9scan_implILNS1_25lookback_scan_determinismE0ELb0ELb0ES3_PKS6_PS6_S6_ZZZN2at6native31launch_logcumsumexp_cuda_kernelERKNSD_10TensorBaseESH_lENKUlvE_clEvENKUlvE4_clEvEUlS6_S6_E_S6_EEDaPvRmT3_T4_T5_mT6_P12ihipStream_tbENKUlT_T0_E_clISt17integral_constantIbLb0EESX_IbLb1EEEEDaST_SU_EUlST_E0_NS1_11comp_targetILNS1_3genE5ELNS1_11target_archE942ELNS1_3gpuE9ELNS1_3repE0EEENS1_30default_config_static_selectorELNS0_4arch9wavefront6targetE1EEEvT1_: ; @_ZN7rocprim17ROCPRIM_400000_NS6detail17trampoline_kernelINS0_14default_configENS1_20scan_config_selectorIN3c108BFloat16EEEZZNS1_9scan_implILNS1_25lookback_scan_determinismE0ELb0ELb0ES3_PKS6_PS6_S6_ZZZN2at6native31launch_logcumsumexp_cuda_kernelERKNSD_10TensorBaseESH_lENKUlvE_clEvENKUlvE4_clEvEUlS6_S6_E_S6_EEDaPvRmT3_T4_T5_mT6_P12ihipStream_tbENKUlT_T0_E_clISt17integral_constantIbLb0EESX_IbLb1EEEEDaST_SU_EUlST_E0_NS1_11comp_targetILNS1_3genE5ELNS1_11target_archE942ELNS1_3gpuE9ELNS1_3repE0EEENS1_30default_config_static_selectorELNS0_4arch9wavefront6targetE1EEEvT1_
; %bb.0:
	.section	.rodata,"a",@progbits
	.p2align	6, 0x0
	.amdhsa_kernel _ZN7rocprim17ROCPRIM_400000_NS6detail17trampoline_kernelINS0_14default_configENS1_20scan_config_selectorIN3c108BFloat16EEEZZNS1_9scan_implILNS1_25lookback_scan_determinismE0ELb0ELb0ES3_PKS6_PS6_S6_ZZZN2at6native31launch_logcumsumexp_cuda_kernelERKNSD_10TensorBaseESH_lENKUlvE_clEvENKUlvE4_clEvEUlS6_S6_E_S6_EEDaPvRmT3_T4_T5_mT6_P12ihipStream_tbENKUlT_T0_E_clISt17integral_constantIbLb0EESX_IbLb1EEEEDaST_SU_EUlST_E0_NS1_11comp_targetILNS1_3genE5ELNS1_11target_archE942ELNS1_3gpuE9ELNS1_3repE0EEENS1_30default_config_static_selectorELNS0_4arch9wavefront6targetE1EEEvT1_
		.amdhsa_group_segment_fixed_size 0
		.amdhsa_private_segment_fixed_size 0
		.amdhsa_kernarg_size 32
		.amdhsa_user_sgpr_count 6
		.amdhsa_user_sgpr_private_segment_buffer 1
		.amdhsa_user_sgpr_dispatch_ptr 0
		.amdhsa_user_sgpr_queue_ptr 0
		.amdhsa_user_sgpr_kernarg_segment_ptr 1
		.amdhsa_user_sgpr_dispatch_id 0
		.amdhsa_user_sgpr_flat_scratch_init 0
		.amdhsa_user_sgpr_private_segment_size 0
		.amdhsa_uses_dynamic_stack 0
		.amdhsa_system_sgpr_private_segment_wavefront_offset 0
		.amdhsa_system_sgpr_workgroup_id_x 1
		.amdhsa_system_sgpr_workgroup_id_y 0
		.amdhsa_system_sgpr_workgroup_id_z 0
		.amdhsa_system_sgpr_workgroup_info 0
		.amdhsa_system_vgpr_workitem_id 0
		.amdhsa_next_free_vgpr 1
		.amdhsa_next_free_sgpr 0
		.amdhsa_reserve_vcc 0
		.amdhsa_reserve_flat_scratch 0
		.amdhsa_float_round_mode_32 0
		.amdhsa_float_round_mode_16_64 0
		.amdhsa_float_denorm_mode_32 3
		.amdhsa_float_denorm_mode_16_64 3
		.amdhsa_dx10_clamp 1
		.amdhsa_ieee_mode 1
		.amdhsa_fp16_overflow 0
		.amdhsa_exception_fp_ieee_invalid_op 0
		.amdhsa_exception_fp_denorm_src 0
		.amdhsa_exception_fp_ieee_div_zero 0
		.amdhsa_exception_fp_ieee_overflow 0
		.amdhsa_exception_fp_ieee_underflow 0
		.amdhsa_exception_fp_ieee_inexact 0
		.amdhsa_exception_int_div_zero 0
	.end_amdhsa_kernel
	.section	.text._ZN7rocprim17ROCPRIM_400000_NS6detail17trampoline_kernelINS0_14default_configENS1_20scan_config_selectorIN3c108BFloat16EEEZZNS1_9scan_implILNS1_25lookback_scan_determinismE0ELb0ELb0ES3_PKS6_PS6_S6_ZZZN2at6native31launch_logcumsumexp_cuda_kernelERKNSD_10TensorBaseESH_lENKUlvE_clEvENKUlvE4_clEvEUlS6_S6_E_S6_EEDaPvRmT3_T4_T5_mT6_P12ihipStream_tbENKUlT_T0_E_clISt17integral_constantIbLb0EESX_IbLb1EEEEDaST_SU_EUlST_E0_NS1_11comp_targetILNS1_3genE5ELNS1_11target_archE942ELNS1_3gpuE9ELNS1_3repE0EEENS1_30default_config_static_selectorELNS0_4arch9wavefront6targetE1EEEvT1_,"axG",@progbits,_ZN7rocprim17ROCPRIM_400000_NS6detail17trampoline_kernelINS0_14default_configENS1_20scan_config_selectorIN3c108BFloat16EEEZZNS1_9scan_implILNS1_25lookback_scan_determinismE0ELb0ELb0ES3_PKS6_PS6_S6_ZZZN2at6native31launch_logcumsumexp_cuda_kernelERKNSD_10TensorBaseESH_lENKUlvE_clEvENKUlvE4_clEvEUlS6_S6_E_S6_EEDaPvRmT3_T4_T5_mT6_P12ihipStream_tbENKUlT_T0_E_clISt17integral_constantIbLb0EESX_IbLb1EEEEDaST_SU_EUlST_E0_NS1_11comp_targetILNS1_3genE5ELNS1_11target_archE942ELNS1_3gpuE9ELNS1_3repE0EEENS1_30default_config_static_selectorELNS0_4arch9wavefront6targetE1EEEvT1_,comdat
.Lfunc_end513:
	.size	_ZN7rocprim17ROCPRIM_400000_NS6detail17trampoline_kernelINS0_14default_configENS1_20scan_config_selectorIN3c108BFloat16EEEZZNS1_9scan_implILNS1_25lookback_scan_determinismE0ELb0ELb0ES3_PKS6_PS6_S6_ZZZN2at6native31launch_logcumsumexp_cuda_kernelERKNSD_10TensorBaseESH_lENKUlvE_clEvENKUlvE4_clEvEUlS6_S6_E_S6_EEDaPvRmT3_T4_T5_mT6_P12ihipStream_tbENKUlT_T0_E_clISt17integral_constantIbLb0EESX_IbLb1EEEEDaST_SU_EUlST_E0_NS1_11comp_targetILNS1_3genE5ELNS1_11target_archE942ELNS1_3gpuE9ELNS1_3repE0EEENS1_30default_config_static_selectorELNS0_4arch9wavefront6targetE1EEEvT1_, .Lfunc_end513-_ZN7rocprim17ROCPRIM_400000_NS6detail17trampoline_kernelINS0_14default_configENS1_20scan_config_selectorIN3c108BFloat16EEEZZNS1_9scan_implILNS1_25lookback_scan_determinismE0ELb0ELb0ES3_PKS6_PS6_S6_ZZZN2at6native31launch_logcumsumexp_cuda_kernelERKNSD_10TensorBaseESH_lENKUlvE_clEvENKUlvE4_clEvEUlS6_S6_E_S6_EEDaPvRmT3_T4_T5_mT6_P12ihipStream_tbENKUlT_T0_E_clISt17integral_constantIbLb0EESX_IbLb1EEEEDaST_SU_EUlST_E0_NS1_11comp_targetILNS1_3genE5ELNS1_11target_archE942ELNS1_3gpuE9ELNS1_3repE0EEENS1_30default_config_static_selectorELNS0_4arch9wavefront6targetE1EEEvT1_
                                        ; -- End function
	.set _ZN7rocprim17ROCPRIM_400000_NS6detail17trampoline_kernelINS0_14default_configENS1_20scan_config_selectorIN3c108BFloat16EEEZZNS1_9scan_implILNS1_25lookback_scan_determinismE0ELb0ELb0ES3_PKS6_PS6_S6_ZZZN2at6native31launch_logcumsumexp_cuda_kernelERKNSD_10TensorBaseESH_lENKUlvE_clEvENKUlvE4_clEvEUlS6_S6_E_S6_EEDaPvRmT3_T4_T5_mT6_P12ihipStream_tbENKUlT_T0_E_clISt17integral_constantIbLb0EESX_IbLb1EEEEDaST_SU_EUlST_E0_NS1_11comp_targetILNS1_3genE5ELNS1_11target_archE942ELNS1_3gpuE9ELNS1_3repE0EEENS1_30default_config_static_selectorELNS0_4arch9wavefront6targetE1EEEvT1_.num_vgpr, 0
	.set _ZN7rocprim17ROCPRIM_400000_NS6detail17trampoline_kernelINS0_14default_configENS1_20scan_config_selectorIN3c108BFloat16EEEZZNS1_9scan_implILNS1_25lookback_scan_determinismE0ELb0ELb0ES3_PKS6_PS6_S6_ZZZN2at6native31launch_logcumsumexp_cuda_kernelERKNSD_10TensorBaseESH_lENKUlvE_clEvENKUlvE4_clEvEUlS6_S6_E_S6_EEDaPvRmT3_T4_T5_mT6_P12ihipStream_tbENKUlT_T0_E_clISt17integral_constantIbLb0EESX_IbLb1EEEEDaST_SU_EUlST_E0_NS1_11comp_targetILNS1_3genE5ELNS1_11target_archE942ELNS1_3gpuE9ELNS1_3repE0EEENS1_30default_config_static_selectorELNS0_4arch9wavefront6targetE1EEEvT1_.num_agpr, 0
	.set _ZN7rocprim17ROCPRIM_400000_NS6detail17trampoline_kernelINS0_14default_configENS1_20scan_config_selectorIN3c108BFloat16EEEZZNS1_9scan_implILNS1_25lookback_scan_determinismE0ELb0ELb0ES3_PKS6_PS6_S6_ZZZN2at6native31launch_logcumsumexp_cuda_kernelERKNSD_10TensorBaseESH_lENKUlvE_clEvENKUlvE4_clEvEUlS6_S6_E_S6_EEDaPvRmT3_T4_T5_mT6_P12ihipStream_tbENKUlT_T0_E_clISt17integral_constantIbLb0EESX_IbLb1EEEEDaST_SU_EUlST_E0_NS1_11comp_targetILNS1_3genE5ELNS1_11target_archE942ELNS1_3gpuE9ELNS1_3repE0EEENS1_30default_config_static_selectorELNS0_4arch9wavefront6targetE1EEEvT1_.numbered_sgpr, 0
	.set _ZN7rocprim17ROCPRIM_400000_NS6detail17trampoline_kernelINS0_14default_configENS1_20scan_config_selectorIN3c108BFloat16EEEZZNS1_9scan_implILNS1_25lookback_scan_determinismE0ELb0ELb0ES3_PKS6_PS6_S6_ZZZN2at6native31launch_logcumsumexp_cuda_kernelERKNSD_10TensorBaseESH_lENKUlvE_clEvENKUlvE4_clEvEUlS6_S6_E_S6_EEDaPvRmT3_T4_T5_mT6_P12ihipStream_tbENKUlT_T0_E_clISt17integral_constantIbLb0EESX_IbLb1EEEEDaST_SU_EUlST_E0_NS1_11comp_targetILNS1_3genE5ELNS1_11target_archE942ELNS1_3gpuE9ELNS1_3repE0EEENS1_30default_config_static_selectorELNS0_4arch9wavefront6targetE1EEEvT1_.num_named_barrier, 0
	.set _ZN7rocprim17ROCPRIM_400000_NS6detail17trampoline_kernelINS0_14default_configENS1_20scan_config_selectorIN3c108BFloat16EEEZZNS1_9scan_implILNS1_25lookback_scan_determinismE0ELb0ELb0ES3_PKS6_PS6_S6_ZZZN2at6native31launch_logcumsumexp_cuda_kernelERKNSD_10TensorBaseESH_lENKUlvE_clEvENKUlvE4_clEvEUlS6_S6_E_S6_EEDaPvRmT3_T4_T5_mT6_P12ihipStream_tbENKUlT_T0_E_clISt17integral_constantIbLb0EESX_IbLb1EEEEDaST_SU_EUlST_E0_NS1_11comp_targetILNS1_3genE5ELNS1_11target_archE942ELNS1_3gpuE9ELNS1_3repE0EEENS1_30default_config_static_selectorELNS0_4arch9wavefront6targetE1EEEvT1_.private_seg_size, 0
	.set _ZN7rocprim17ROCPRIM_400000_NS6detail17trampoline_kernelINS0_14default_configENS1_20scan_config_selectorIN3c108BFloat16EEEZZNS1_9scan_implILNS1_25lookback_scan_determinismE0ELb0ELb0ES3_PKS6_PS6_S6_ZZZN2at6native31launch_logcumsumexp_cuda_kernelERKNSD_10TensorBaseESH_lENKUlvE_clEvENKUlvE4_clEvEUlS6_S6_E_S6_EEDaPvRmT3_T4_T5_mT6_P12ihipStream_tbENKUlT_T0_E_clISt17integral_constantIbLb0EESX_IbLb1EEEEDaST_SU_EUlST_E0_NS1_11comp_targetILNS1_3genE5ELNS1_11target_archE942ELNS1_3gpuE9ELNS1_3repE0EEENS1_30default_config_static_selectorELNS0_4arch9wavefront6targetE1EEEvT1_.uses_vcc, 0
	.set _ZN7rocprim17ROCPRIM_400000_NS6detail17trampoline_kernelINS0_14default_configENS1_20scan_config_selectorIN3c108BFloat16EEEZZNS1_9scan_implILNS1_25lookback_scan_determinismE0ELb0ELb0ES3_PKS6_PS6_S6_ZZZN2at6native31launch_logcumsumexp_cuda_kernelERKNSD_10TensorBaseESH_lENKUlvE_clEvENKUlvE4_clEvEUlS6_S6_E_S6_EEDaPvRmT3_T4_T5_mT6_P12ihipStream_tbENKUlT_T0_E_clISt17integral_constantIbLb0EESX_IbLb1EEEEDaST_SU_EUlST_E0_NS1_11comp_targetILNS1_3genE5ELNS1_11target_archE942ELNS1_3gpuE9ELNS1_3repE0EEENS1_30default_config_static_selectorELNS0_4arch9wavefront6targetE1EEEvT1_.uses_flat_scratch, 0
	.set _ZN7rocprim17ROCPRIM_400000_NS6detail17trampoline_kernelINS0_14default_configENS1_20scan_config_selectorIN3c108BFloat16EEEZZNS1_9scan_implILNS1_25lookback_scan_determinismE0ELb0ELb0ES3_PKS6_PS6_S6_ZZZN2at6native31launch_logcumsumexp_cuda_kernelERKNSD_10TensorBaseESH_lENKUlvE_clEvENKUlvE4_clEvEUlS6_S6_E_S6_EEDaPvRmT3_T4_T5_mT6_P12ihipStream_tbENKUlT_T0_E_clISt17integral_constantIbLb0EESX_IbLb1EEEEDaST_SU_EUlST_E0_NS1_11comp_targetILNS1_3genE5ELNS1_11target_archE942ELNS1_3gpuE9ELNS1_3repE0EEENS1_30default_config_static_selectorELNS0_4arch9wavefront6targetE1EEEvT1_.has_dyn_sized_stack, 0
	.set _ZN7rocprim17ROCPRIM_400000_NS6detail17trampoline_kernelINS0_14default_configENS1_20scan_config_selectorIN3c108BFloat16EEEZZNS1_9scan_implILNS1_25lookback_scan_determinismE0ELb0ELb0ES3_PKS6_PS6_S6_ZZZN2at6native31launch_logcumsumexp_cuda_kernelERKNSD_10TensorBaseESH_lENKUlvE_clEvENKUlvE4_clEvEUlS6_S6_E_S6_EEDaPvRmT3_T4_T5_mT6_P12ihipStream_tbENKUlT_T0_E_clISt17integral_constantIbLb0EESX_IbLb1EEEEDaST_SU_EUlST_E0_NS1_11comp_targetILNS1_3genE5ELNS1_11target_archE942ELNS1_3gpuE9ELNS1_3repE0EEENS1_30default_config_static_selectorELNS0_4arch9wavefront6targetE1EEEvT1_.has_recursion, 0
	.set _ZN7rocprim17ROCPRIM_400000_NS6detail17trampoline_kernelINS0_14default_configENS1_20scan_config_selectorIN3c108BFloat16EEEZZNS1_9scan_implILNS1_25lookback_scan_determinismE0ELb0ELb0ES3_PKS6_PS6_S6_ZZZN2at6native31launch_logcumsumexp_cuda_kernelERKNSD_10TensorBaseESH_lENKUlvE_clEvENKUlvE4_clEvEUlS6_S6_E_S6_EEDaPvRmT3_T4_T5_mT6_P12ihipStream_tbENKUlT_T0_E_clISt17integral_constantIbLb0EESX_IbLb1EEEEDaST_SU_EUlST_E0_NS1_11comp_targetILNS1_3genE5ELNS1_11target_archE942ELNS1_3gpuE9ELNS1_3repE0EEENS1_30default_config_static_selectorELNS0_4arch9wavefront6targetE1EEEvT1_.has_indirect_call, 0
	.section	.AMDGPU.csdata,"",@progbits
; Kernel info:
; codeLenInByte = 0
; TotalNumSgprs: 4
; NumVgprs: 0
; ScratchSize: 0
; MemoryBound: 0
; FloatMode: 240
; IeeeMode: 1
; LDSByteSize: 0 bytes/workgroup (compile time only)
; SGPRBlocks: 0
; VGPRBlocks: 0
; NumSGPRsForWavesPerEU: 4
; NumVGPRsForWavesPerEU: 1
; Occupancy: 10
; WaveLimiterHint : 0
; COMPUTE_PGM_RSRC2:SCRATCH_EN: 0
; COMPUTE_PGM_RSRC2:USER_SGPR: 6
; COMPUTE_PGM_RSRC2:TRAP_HANDLER: 0
; COMPUTE_PGM_RSRC2:TGID_X_EN: 1
; COMPUTE_PGM_RSRC2:TGID_Y_EN: 0
; COMPUTE_PGM_RSRC2:TGID_Z_EN: 0
; COMPUTE_PGM_RSRC2:TIDIG_COMP_CNT: 0
	.section	.text._ZN7rocprim17ROCPRIM_400000_NS6detail17trampoline_kernelINS0_14default_configENS1_20scan_config_selectorIN3c108BFloat16EEEZZNS1_9scan_implILNS1_25lookback_scan_determinismE0ELb0ELb0ES3_PKS6_PS6_S6_ZZZN2at6native31launch_logcumsumexp_cuda_kernelERKNSD_10TensorBaseESH_lENKUlvE_clEvENKUlvE4_clEvEUlS6_S6_E_S6_EEDaPvRmT3_T4_T5_mT6_P12ihipStream_tbENKUlT_T0_E_clISt17integral_constantIbLb0EESX_IbLb1EEEEDaST_SU_EUlST_E0_NS1_11comp_targetILNS1_3genE4ELNS1_11target_archE910ELNS1_3gpuE8ELNS1_3repE0EEENS1_30default_config_static_selectorELNS0_4arch9wavefront6targetE1EEEvT1_,"axG",@progbits,_ZN7rocprim17ROCPRIM_400000_NS6detail17trampoline_kernelINS0_14default_configENS1_20scan_config_selectorIN3c108BFloat16EEEZZNS1_9scan_implILNS1_25lookback_scan_determinismE0ELb0ELb0ES3_PKS6_PS6_S6_ZZZN2at6native31launch_logcumsumexp_cuda_kernelERKNSD_10TensorBaseESH_lENKUlvE_clEvENKUlvE4_clEvEUlS6_S6_E_S6_EEDaPvRmT3_T4_T5_mT6_P12ihipStream_tbENKUlT_T0_E_clISt17integral_constantIbLb0EESX_IbLb1EEEEDaST_SU_EUlST_E0_NS1_11comp_targetILNS1_3genE4ELNS1_11target_archE910ELNS1_3gpuE8ELNS1_3repE0EEENS1_30default_config_static_selectorELNS0_4arch9wavefront6targetE1EEEvT1_,comdat
	.globl	_ZN7rocprim17ROCPRIM_400000_NS6detail17trampoline_kernelINS0_14default_configENS1_20scan_config_selectorIN3c108BFloat16EEEZZNS1_9scan_implILNS1_25lookback_scan_determinismE0ELb0ELb0ES3_PKS6_PS6_S6_ZZZN2at6native31launch_logcumsumexp_cuda_kernelERKNSD_10TensorBaseESH_lENKUlvE_clEvENKUlvE4_clEvEUlS6_S6_E_S6_EEDaPvRmT3_T4_T5_mT6_P12ihipStream_tbENKUlT_T0_E_clISt17integral_constantIbLb0EESX_IbLb1EEEEDaST_SU_EUlST_E0_NS1_11comp_targetILNS1_3genE4ELNS1_11target_archE910ELNS1_3gpuE8ELNS1_3repE0EEENS1_30default_config_static_selectorELNS0_4arch9wavefront6targetE1EEEvT1_ ; -- Begin function _ZN7rocprim17ROCPRIM_400000_NS6detail17trampoline_kernelINS0_14default_configENS1_20scan_config_selectorIN3c108BFloat16EEEZZNS1_9scan_implILNS1_25lookback_scan_determinismE0ELb0ELb0ES3_PKS6_PS6_S6_ZZZN2at6native31launch_logcumsumexp_cuda_kernelERKNSD_10TensorBaseESH_lENKUlvE_clEvENKUlvE4_clEvEUlS6_S6_E_S6_EEDaPvRmT3_T4_T5_mT6_P12ihipStream_tbENKUlT_T0_E_clISt17integral_constantIbLb0EESX_IbLb1EEEEDaST_SU_EUlST_E0_NS1_11comp_targetILNS1_3genE4ELNS1_11target_archE910ELNS1_3gpuE8ELNS1_3repE0EEENS1_30default_config_static_selectorELNS0_4arch9wavefront6targetE1EEEvT1_
	.p2align	8
	.type	_ZN7rocprim17ROCPRIM_400000_NS6detail17trampoline_kernelINS0_14default_configENS1_20scan_config_selectorIN3c108BFloat16EEEZZNS1_9scan_implILNS1_25lookback_scan_determinismE0ELb0ELb0ES3_PKS6_PS6_S6_ZZZN2at6native31launch_logcumsumexp_cuda_kernelERKNSD_10TensorBaseESH_lENKUlvE_clEvENKUlvE4_clEvEUlS6_S6_E_S6_EEDaPvRmT3_T4_T5_mT6_P12ihipStream_tbENKUlT_T0_E_clISt17integral_constantIbLb0EESX_IbLb1EEEEDaST_SU_EUlST_E0_NS1_11comp_targetILNS1_3genE4ELNS1_11target_archE910ELNS1_3gpuE8ELNS1_3repE0EEENS1_30default_config_static_selectorELNS0_4arch9wavefront6targetE1EEEvT1_,@function
_ZN7rocprim17ROCPRIM_400000_NS6detail17trampoline_kernelINS0_14default_configENS1_20scan_config_selectorIN3c108BFloat16EEEZZNS1_9scan_implILNS1_25lookback_scan_determinismE0ELb0ELb0ES3_PKS6_PS6_S6_ZZZN2at6native31launch_logcumsumexp_cuda_kernelERKNSD_10TensorBaseESH_lENKUlvE_clEvENKUlvE4_clEvEUlS6_S6_E_S6_EEDaPvRmT3_T4_T5_mT6_P12ihipStream_tbENKUlT_T0_E_clISt17integral_constantIbLb0EESX_IbLb1EEEEDaST_SU_EUlST_E0_NS1_11comp_targetILNS1_3genE4ELNS1_11target_archE910ELNS1_3gpuE8ELNS1_3repE0EEENS1_30default_config_static_selectorELNS0_4arch9wavefront6targetE1EEEvT1_: ; @_ZN7rocprim17ROCPRIM_400000_NS6detail17trampoline_kernelINS0_14default_configENS1_20scan_config_selectorIN3c108BFloat16EEEZZNS1_9scan_implILNS1_25lookback_scan_determinismE0ELb0ELb0ES3_PKS6_PS6_S6_ZZZN2at6native31launch_logcumsumexp_cuda_kernelERKNSD_10TensorBaseESH_lENKUlvE_clEvENKUlvE4_clEvEUlS6_S6_E_S6_EEDaPvRmT3_T4_T5_mT6_P12ihipStream_tbENKUlT_T0_E_clISt17integral_constantIbLb0EESX_IbLb1EEEEDaST_SU_EUlST_E0_NS1_11comp_targetILNS1_3genE4ELNS1_11target_archE910ELNS1_3gpuE8ELNS1_3repE0EEENS1_30default_config_static_selectorELNS0_4arch9wavefront6targetE1EEEvT1_
; %bb.0:
	.section	.rodata,"a",@progbits
	.p2align	6, 0x0
	.amdhsa_kernel _ZN7rocprim17ROCPRIM_400000_NS6detail17trampoline_kernelINS0_14default_configENS1_20scan_config_selectorIN3c108BFloat16EEEZZNS1_9scan_implILNS1_25lookback_scan_determinismE0ELb0ELb0ES3_PKS6_PS6_S6_ZZZN2at6native31launch_logcumsumexp_cuda_kernelERKNSD_10TensorBaseESH_lENKUlvE_clEvENKUlvE4_clEvEUlS6_S6_E_S6_EEDaPvRmT3_T4_T5_mT6_P12ihipStream_tbENKUlT_T0_E_clISt17integral_constantIbLb0EESX_IbLb1EEEEDaST_SU_EUlST_E0_NS1_11comp_targetILNS1_3genE4ELNS1_11target_archE910ELNS1_3gpuE8ELNS1_3repE0EEENS1_30default_config_static_selectorELNS0_4arch9wavefront6targetE1EEEvT1_
		.amdhsa_group_segment_fixed_size 0
		.amdhsa_private_segment_fixed_size 0
		.amdhsa_kernarg_size 32
		.amdhsa_user_sgpr_count 6
		.amdhsa_user_sgpr_private_segment_buffer 1
		.amdhsa_user_sgpr_dispatch_ptr 0
		.amdhsa_user_sgpr_queue_ptr 0
		.amdhsa_user_sgpr_kernarg_segment_ptr 1
		.amdhsa_user_sgpr_dispatch_id 0
		.amdhsa_user_sgpr_flat_scratch_init 0
		.amdhsa_user_sgpr_private_segment_size 0
		.amdhsa_uses_dynamic_stack 0
		.amdhsa_system_sgpr_private_segment_wavefront_offset 0
		.amdhsa_system_sgpr_workgroup_id_x 1
		.amdhsa_system_sgpr_workgroup_id_y 0
		.amdhsa_system_sgpr_workgroup_id_z 0
		.amdhsa_system_sgpr_workgroup_info 0
		.amdhsa_system_vgpr_workitem_id 0
		.amdhsa_next_free_vgpr 1
		.amdhsa_next_free_sgpr 0
		.amdhsa_reserve_vcc 0
		.amdhsa_reserve_flat_scratch 0
		.amdhsa_float_round_mode_32 0
		.amdhsa_float_round_mode_16_64 0
		.amdhsa_float_denorm_mode_32 3
		.amdhsa_float_denorm_mode_16_64 3
		.amdhsa_dx10_clamp 1
		.amdhsa_ieee_mode 1
		.amdhsa_fp16_overflow 0
		.amdhsa_exception_fp_ieee_invalid_op 0
		.amdhsa_exception_fp_denorm_src 0
		.amdhsa_exception_fp_ieee_div_zero 0
		.amdhsa_exception_fp_ieee_overflow 0
		.amdhsa_exception_fp_ieee_underflow 0
		.amdhsa_exception_fp_ieee_inexact 0
		.amdhsa_exception_int_div_zero 0
	.end_amdhsa_kernel
	.section	.text._ZN7rocprim17ROCPRIM_400000_NS6detail17trampoline_kernelINS0_14default_configENS1_20scan_config_selectorIN3c108BFloat16EEEZZNS1_9scan_implILNS1_25lookback_scan_determinismE0ELb0ELb0ES3_PKS6_PS6_S6_ZZZN2at6native31launch_logcumsumexp_cuda_kernelERKNSD_10TensorBaseESH_lENKUlvE_clEvENKUlvE4_clEvEUlS6_S6_E_S6_EEDaPvRmT3_T4_T5_mT6_P12ihipStream_tbENKUlT_T0_E_clISt17integral_constantIbLb0EESX_IbLb1EEEEDaST_SU_EUlST_E0_NS1_11comp_targetILNS1_3genE4ELNS1_11target_archE910ELNS1_3gpuE8ELNS1_3repE0EEENS1_30default_config_static_selectorELNS0_4arch9wavefront6targetE1EEEvT1_,"axG",@progbits,_ZN7rocprim17ROCPRIM_400000_NS6detail17trampoline_kernelINS0_14default_configENS1_20scan_config_selectorIN3c108BFloat16EEEZZNS1_9scan_implILNS1_25lookback_scan_determinismE0ELb0ELb0ES3_PKS6_PS6_S6_ZZZN2at6native31launch_logcumsumexp_cuda_kernelERKNSD_10TensorBaseESH_lENKUlvE_clEvENKUlvE4_clEvEUlS6_S6_E_S6_EEDaPvRmT3_T4_T5_mT6_P12ihipStream_tbENKUlT_T0_E_clISt17integral_constantIbLb0EESX_IbLb1EEEEDaST_SU_EUlST_E0_NS1_11comp_targetILNS1_3genE4ELNS1_11target_archE910ELNS1_3gpuE8ELNS1_3repE0EEENS1_30default_config_static_selectorELNS0_4arch9wavefront6targetE1EEEvT1_,comdat
.Lfunc_end514:
	.size	_ZN7rocprim17ROCPRIM_400000_NS6detail17trampoline_kernelINS0_14default_configENS1_20scan_config_selectorIN3c108BFloat16EEEZZNS1_9scan_implILNS1_25lookback_scan_determinismE0ELb0ELb0ES3_PKS6_PS6_S6_ZZZN2at6native31launch_logcumsumexp_cuda_kernelERKNSD_10TensorBaseESH_lENKUlvE_clEvENKUlvE4_clEvEUlS6_S6_E_S6_EEDaPvRmT3_T4_T5_mT6_P12ihipStream_tbENKUlT_T0_E_clISt17integral_constantIbLb0EESX_IbLb1EEEEDaST_SU_EUlST_E0_NS1_11comp_targetILNS1_3genE4ELNS1_11target_archE910ELNS1_3gpuE8ELNS1_3repE0EEENS1_30default_config_static_selectorELNS0_4arch9wavefront6targetE1EEEvT1_, .Lfunc_end514-_ZN7rocprim17ROCPRIM_400000_NS6detail17trampoline_kernelINS0_14default_configENS1_20scan_config_selectorIN3c108BFloat16EEEZZNS1_9scan_implILNS1_25lookback_scan_determinismE0ELb0ELb0ES3_PKS6_PS6_S6_ZZZN2at6native31launch_logcumsumexp_cuda_kernelERKNSD_10TensorBaseESH_lENKUlvE_clEvENKUlvE4_clEvEUlS6_S6_E_S6_EEDaPvRmT3_T4_T5_mT6_P12ihipStream_tbENKUlT_T0_E_clISt17integral_constantIbLb0EESX_IbLb1EEEEDaST_SU_EUlST_E0_NS1_11comp_targetILNS1_3genE4ELNS1_11target_archE910ELNS1_3gpuE8ELNS1_3repE0EEENS1_30default_config_static_selectorELNS0_4arch9wavefront6targetE1EEEvT1_
                                        ; -- End function
	.set _ZN7rocprim17ROCPRIM_400000_NS6detail17trampoline_kernelINS0_14default_configENS1_20scan_config_selectorIN3c108BFloat16EEEZZNS1_9scan_implILNS1_25lookback_scan_determinismE0ELb0ELb0ES3_PKS6_PS6_S6_ZZZN2at6native31launch_logcumsumexp_cuda_kernelERKNSD_10TensorBaseESH_lENKUlvE_clEvENKUlvE4_clEvEUlS6_S6_E_S6_EEDaPvRmT3_T4_T5_mT6_P12ihipStream_tbENKUlT_T0_E_clISt17integral_constantIbLb0EESX_IbLb1EEEEDaST_SU_EUlST_E0_NS1_11comp_targetILNS1_3genE4ELNS1_11target_archE910ELNS1_3gpuE8ELNS1_3repE0EEENS1_30default_config_static_selectorELNS0_4arch9wavefront6targetE1EEEvT1_.num_vgpr, 0
	.set _ZN7rocprim17ROCPRIM_400000_NS6detail17trampoline_kernelINS0_14default_configENS1_20scan_config_selectorIN3c108BFloat16EEEZZNS1_9scan_implILNS1_25lookback_scan_determinismE0ELb0ELb0ES3_PKS6_PS6_S6_ZZZN2at6native31launch_logcumsumexp_cuda_kernelERKNSD_10TensorBaseESH_lENKUlvE_clEvENKUlvE4_clEvEUlS6_S6_E_S6_EEDaPvRmT3_T4_T5_mT6_P12ihipStream_tbENKUlT_T0_E_clISt17integral_constantIbLb0EESX_IbLb1EEEEDaST_SU_EUlST_E0_NS1_11comp_targetILNS1_3genE4ELNS1_11target_archE910ELNS1_3gpuE8ELNS1_3repE0EEENS1_30default_config_static_selectorELNS0_4arch9wavefront6targetE1EEEvT1_.num_agpr, 0
	.set _ZN7rocprim17ROCPRIM_400000_NS6detail17trampoline_kernelINS0_14default_configENS1_20scan_config_selectorIN3c108BFloat16EEEZZNS1_9scan_implILNS1_25lookback_scan_determinismE0ELb0ELb0ES3_PKS6_PS6_S6_ZZZN2at6native31launch_logcumsumexp_cuda_kernelERKNSD_10TensorBaseESH_lENKUlvE_clEvENKUlvE4_clEvEUlS6_S6_E_S6_EEDaPvRmT3_T4_T5_mT6_P12ihipStream_tbENKUlT_T0_E_clISt17integral_constantIbLb0EESX_IbLb1EEEEDaST_SU_EUlST_E0_NS1_11comp_targetILNS1_3genE4ELNS1_11target_archE910ELNS1_3gpuE8ELNS1_3repE0EEENS1_30default_config_static_selectorELNS0_4arch9wavefront6targetE1EEEvT1_.numbered_sgpr, 0
	.set _ZN7rocprim17ROCPRIM_400000_NS6detail17trampoline_kernelINS0_14default_configENS1_20scan_config_selectorIN3c108BFloat16EEEZZNS1_9scan_implILNS1_25lookback_scan_determinismE0ELb0ELb0ES3_PKS6_PS6_S6_ZZZN2at6native31launch_logcumsumexp_cuda_kernelERKNSD_10TensorBaseESH_lENKUlvE_clEvENKUlvE4_clEvEUlS6_S6_E_S6_EEDaPvRmT3_T4_T5_mT6_P12ihipStream_tbENKUlT_T0_E_clISt17integral_constantIbLb0EESX_IbLb1EEEEDaST_SU_EUlST_E0_NS1_11comp_targetILNS1_3genE4ELNS1_11target_archE910ELNS1_3gpuE8ELNS1_3repE0EEENS1_30default_config_static_selectorELNS0_4arch9wavefront6targetE1EEEvT1_.num_named_barrier, 0
	.set _ZN7rocprim17ROCPRIM_400000_NS6detail17trampoline_kernelINS0_14default_configENS1_20scan_config_selectorIN3c108BFloat16EEEZZNS1_9scan_implILNS1_25lookback_scan_determinismE0ELb0ELb0ES3_PKS6_PS6_S6_ZZZN2at6native31launch_logcumsumexp_cuda_kernelERKNSD_10TensorBaseESH_lENKUlvE_clEvENKUlvE4_clEvEUlS6_S6_E_S6_EEDaPvRmT3_T4_T5_mT6_P12ihipStream_tbENKUlT_T0_E_clISt17integral_constantIbLb0EESX_IbLb1EEEEDaST_SU_EUlST_E0_NS1_11comp_targetILNS1_3genE4ELNS1_11target_archE910ELNS1_3gpuE8ELNS1_3repE0EEENS1_30default_config_static_selectorELNS0_4arch9wavefront6targetE1EEEvT1_.private_seg_size, 0
	.set _ZN7rocprim17ROCPRIM_400000_NS6detail17trampoline_kernelINS0_14default_configENS1_20scan_config_selectorIN3c108BFloat16EEEZZNS1_9scan_implILNS1_25lookback_scan_determinismE0ELb0ELb0ES3_PKS6_PS6_S6_ZZZN2at6native31launch_logcumsumexp_cuda_kernelERKNSD_10TensorBaseESH_lENKUlvE_clEvENKUlvE4_clEvEUlS6_S6_E_S6_EEDaPvRmT3_T4_T5_mT6_P12ihipStream_tbENKUlT_T0_E_clISt17integral_constantIbLb0EESX_IbLb1EEEEDaST_SU_EUlST_E0_NS1_11comp_targetILNS1_3genE4ELNS1_11target_archE910ELNS1_3gpuE8ELNS1_3repE0EEENS1_30default_config_static_selectorELNS0_4arch9wavefront6targetE1EEEvT1_.uses_vcc, 0
	.set _ZN7rocprim17ROCPRIM_400000_NS6detail17trampoline_kernelINS0_14default_configENS1_20scan_config_selectorIN3c108BFloat16EEEZZNS1_9scan_implILNS1_25lookback_scan_determinismE0ELb0ELb0ES3_PKS6_PS6_S6_ZZZN2at6native31launch_logcumsumexp_cuda_kernelERKNSD_10TensorBaseESH_lENKUlvE_clEvENKUlvE4_clEvEUlS6_S6_E_S6_EEDaPvRmT3_T4_T5_mT6_P12ihipStream_tbENKUlT_T0_E_clISt17integral_constantIbLb0EESX_IbLb1EEEEDaST_SU_EUlST_E0_NS1_11comp_targetILNS1_3genE4ELNS1_11target_archE910ELNS1_3gpuE8ELNS1_3repE0EEENS1_30default_config_static_selectorELNS0_4arch9wavefront6targetE1EEEvT1_.uses_flat_scratch, 0
	.set _ZN7rocprim17ROCPRIM_400000_NS6detail17trampoline_kernelINS0_14default_configENS1_20scan_config_selectorIN3c108BFloat16EEEZZNS1_9scan_implILNS1_25lookback_scan_determinismE0ELb0ELb0ES3_PKS6_PS6_S6_ZZZN2at6native31launch_logcumsumexp_cuda_kernelERKNSD_10TensorBaseESH_lENKUlvE_clEvENKUlvE4_clEvEUlS6_S6_E_S6_EEDaPvRmT3_T4_T5_mT6_P12ihipStream_tbENKUlT_T0_E_clISt17integral_constantIbLb0EESX_IbLb1EEEEDaST_SU_EUlST_E0_NS1_11comp_targetILNS1_3genE4ELNS1_11target_archE910ELNS1_3gpuE8ELNS1_3repE0EEENS1_30default_config_static_selectorELNS0_4arch9wavefront6targetE1EEEvT1_.has_dyn_sized_stack, 0
	.set _ZN7rocprim17ROCPRIM_400000_NS6detail17trampoline_kernelINS0_14default_configENS1_20scan_config_selectorIN3c108BFloat16EEEZZNS1_9scan_implILNS1_25lookback_scan_determinismE0ELb0ELb0ES3_PKS6_PS6_S6_ZZZN2at6native31launch_logcumsumexp_cuda_kernelERKNSD_10TensorBaseESH_lENKUlvE_clEvENKUlvE4_clEvEUlS6_S6_E_S6_EEDaPvRmT3_T4_T5_mT6_P12ihipStream_tbENKUlT_T0_E_clISt17integral_constantIbLb0EESX_IbLb1EEEEDaST_SU_EUlST_E0_NS1_11comp_targetILNS1_3genE4ELNS1_11target_archE910ELNS1_3gpuE8ELNS1_3repE0EEENS1_30default_config_static_selectorELNS0_4arch9wavefront6targetE1EEEvT1_.has_recursion, 0
	.set _ZN7rocprim17ROCPRIM_400000_NS6detail17trampoline_kernelINS0_14default_configENS1_20scan_config_selectorIN3c108BFloat16EEEZZNS1_9scan_implILNS1_25lookback_scan_determinismE0ELb0ELb0ES3_PKS6_PS6_S6_ZZZN2at6native31launch_logcumsumexp_cuda_kernelERKNSD_10TensorBaseESH_lENKUlvE_clEvENKUlvE4_clEvEUlS6_S6_E_S6_EEDaPvRmT3_T4_T5_mT6_P12ihipStream_tbENKUlT_T0_E_clISt17integral_constantIbLb0EESX_IbLb1EEEEDaST_SU_EUlST_E0_NS1_11comp_targetILNS1_3genE4ELNS1_11target_archE910ELNS1_3gpuE8ELNS1_3repE0EEENS1_30default_config_static_selectorELNS0_4arch9wavefront6targetE1EEEvT1_.has_indirect_call, 0
	.section	.AMDGPU.csdata,"",@progbits
; Kernel info:
; codeLenInByte = 0
; TotalNumSgprs: 4
; NumVgprs: 0
; ScratchSize: 0
; MemoryBound: 0
; FloatMode: 240
; IeeeMode: 1
; LDSByteSize: 0 bytes/workgroup (compile time only)
; SGPRBlocks: 0
; VGPRBlocks: 0
; NumSGPRsForWavesPerEU: 4
; NumVGPRsForWavesPerEU: 1
; Occupancy: 10
; WaveLimiterHint : 0
; COMPUTE_PGM_RSRC2:SCRATCH_EN: 0
; COMPUTE_PGM_RSRC2:USER_SGPR: 6
; COMPUTE_PGM_RSRC2:TRAP_HANDLER: 0
; COMPUTE_PGM_RSRC2:TGID_X_EN: 1
; COMPUTE_PGM_RSRC2:TGID_Y_EN: 0
; COMPUTE_PGM_RSRC2:TGID_Z_EN: 0
; COMPUTE_PGM_RSRC2:TIDIG_COMP_CNT: 0
	.section	.text._ZN7rocprim17ROCPRIM_400000_NS6detail17trampoline_kernelINS0_14default_configENS1_20scan_config_selectorIN3c108BFloat16EEEZZNS1_9scan_implILNS1_25lookback_scan_determinismE0ELb0ELb0ES3_PKS6_PS6_S6_ZZZN2at6native31launch_logcumsumexp_cuda_kernelERKNSD_10TensorBaseESH_lENKUlvE_clEvENKUlvE4_clEvEUlS6_S6_E_S6_EEDaPvRmT3_T4_T5_mT6_P12ihipStream_tbENKUlT_T0_E_clISt17integral_constantIbLb0EESX_IbLb1EEEEDaST_SU_EUlST_E0_NS1_11comp_targetILNS1_3genE3ELNS1_11target_archE908ELNS1_3gpuE7ELNS1_3repE0EEENS1_30default_config_static_selectorELNS0_4arch9wavefront6targetE1EEEvT1_,"axG",@progbits,_ZN7rocprim17ROCPRIM_400000_NS6detail17trampoline_kernelINS0_14default_configENS1_20scan_config_selectorIN3c108BFloat16EEEZZNS1_9scan_implILNS1_25lookback_scan_determinismE0ELb0ELb0ES3_PKS6_PS6_S6_ZZZN2at6native31launch_logcumsumexp_cuda_kernelERKNSD_10TensorBaseESH_lENKUlvE_clEvENKUlvE4_clEvEUlS6_S6_E_S6_EEDaPvRmT3_T4_T5_mT6_P12ihipStream_tbENKUlT_T0_E_clISt17integral_constantIbLb0EESX_IbLb1EEEEDaST_SU_EUlST_E0_NS1_11comp_targetILNS1_3genE3ELNS1_11target_archE908ELNS1_3gpuE7ELNS1_3repE0EEENS1_30default_config_static_selectorELNS0_4arch9wavefront6targetE1EEEvT1_,comdat
	.globl	_ZN7rocprim17ROCPRIM_400000_NS6detail17trampoline_kernelINS0_14default_configENS1_20scan_config_selectorIN3c108BFloat16EEEZZNS1_9scan_implILNS1_25lookback_scan_determinismE0ELb0ELb0ES3_PKS6_PS6_S6_ZZZN2at6native31launch_logcumsumexp_cuda_kernelERKNSD_10TensorBaseESH_lENKUlvE_clEvENKUlvE4_clEvEUlS6_S6_E_S6_EEDaPvRmT3_T4_T5_mT6_P12ihipStream_tbENKUlT_T0_E_clISt17integral_constantIbLb0EESX_IbLb1EEEEDaST_SU_EUlST_E0_NS1_11comp_targetILNS1_3genE3ELNS1_11target_archE908ELNS1_3gpuE7ELNS1_3repE0EEENS1_30default_config_static_selectorELNS0_4arch9wavefront6targetE1EEEvT1_ ; -- Begin function _ZN7rocprim17ROCPRIM_400000_NS6detail17trampoline_kernelINS0_14default_configENS1_20scan_config_selectorIN3c108BFloat16EEEZZNS1_9scan_implILNS1_25lookback_scan_determinismE0ELb0ELb0ES3_PKS6_PS6_S6_ZZZN2at6native31launch_logcumsumexp_cuda_kernelERKNSD_10TensorBaseESH_lENKUlvE_clEvENKUlvE4_clEvEUlS6_S6_E_S6_EEDaPvRmT3_T4_T5_mT6_P12ihipStream_tbENKUlT_T0_E_clISt17integral_constantIbLb0EESX_IbLb1EEEEDaST_SU_EUlST_E0_NS1_11comp_targetILNS1_3genE3ELNS1_11target_archE908ELNS1_3gpuE7ELNS1_3repE0EEENS1_30default_config_static_selectorELNS0_4arch9wavefront6targetE1EEEvT1_
	.p2align	8
	.type	_ZN7rocprim17ROCPRIM_400000_NS6detail17trampoline_kernelINS0_14default_configENS1_20scan_config_selectorIN3c108BFloat16EEEZZNS1_9scan_implILNS1_25lookback_scan_determinismE0ELb0ELb0ES3_PKS6_PS6_S6_ZZZN2at6native31launch_logcumsumexp_cuda_kernelERKNSD_10TensorBaseESH_lENKUlvE_clEvENKUlvE4_clEvEUlS6_S6_E_S6_EEDaPvRmT3_T4_T5_mT6_P12ihipStream_tbENKUlT_T0_E_clISt17integral_constantIbLb0EESX_IbLb1EEEEDaST_SU_EUlST_E0_NS1_11comp_targetILNS1_3genE3ELNS1_11target_archE908ELNS1_3gpuE7ELNS1_3repE0EEENS1_30default_config_static_selectorELNS0_4arch9wavefront6targetE1EEEvT1_,@function
_ZN7rocprim17ROCPRIM_400000_NS6detail17trampoline_kernelINS0_14default_configENS1_20scan_config_selectorIN3c108BFloat16EEEZZNS1_9scan_implILNS1_25lookback_scan_determinismE0ELb0ELb0ES3_PKS6_PS6_S6_ZZZN2at6native31launch_logcumsumexp_cuda_kernelERKNSD_10TensorBaseESH_lENKUlvE_clEvENKUlvE4_clEvEUlS6_S6_E_S6_EEDaPvRmT3_T4_T5_mT6_P12ihipStream_tbENKUlT_T0_E_clISt17integral_constantIbLb0EESX_IbLb1EEEEDaST_SU_EUlST_E0_NS1_11comp_targetILNS1_3genE3ELNS1_11target_archE908ELNS1_3gpuE7ELNS1_3repE0EEENS1_30default_config_static_selectorELNS0_4arch9wavefront6targetE1EEEvT1_: ; @_ZN7rocprim17ROCPRIM_400000_NS6detail17trampoline_kernelINS0_14default_configENS1_20scan_config_selectorIN3c108BFloat16EEEZZNS1_9scan_implILNS1_25lookback_scan_determinismE0ELb0ELb0ES3_PKS6_PS6_S6_ZZZN2at6native31launch_logcumsumexp_cuda_kernelERKNSD_10TensorBaseESH_lENKUlvE_clEvENKUlvE4_clEvEUlS6_S6_E_S6_EEDaPvRmT3_T4_T5_mT6_P12ihipStream_tbENKUlT_T0_E_clISt17integral_constantIbLb0EESX_IbLb1EEEEDaST_SU_EUlST_E0_NS1_11comp_targetILNS1_3genE3ELNS1_11target_archE908ELNS1_3gpuE7ELNS1_3repE0EEENS1_30default_config_static_selectorELNS0_4arch9wavefront6targetE1EEEvT1_
; %bb.0:
	.section	.rodata,"a",@progbits
	.p2align	6, 0x0
	.amdhsa_kernel _ZN7rocprim17ROCPRIM_400000_NS6detail17trampoline_kernelINS0_14default_configENS1_20scan_config_selectorIN3c108BFloat16EEEZZNS1_9scan_implILNS1_25lookback_scan_determinismE0ELb0ELb0ES3_PKS6_PS6_S6_ZZZN2at6native31launch_logcumsumexp_cuda_kernelERKNSD_10TensorBaseESH_lENKUlvE_clEvENKUlvE4_clEvEUlS6_S6_E_S6_EEDaPvRmT3_T4_T5_mT6_P12ihipStream_tbENKUlT_T0_E_clISt17integral_constantIbLb0EESX_IbLb1EEEEDaST_SU_EUlST_E0_NS1_11comp_targetILNS1_3genE3ELNS1_11target_archE908ELNS1_3gpuE7ELNS1_3repE0EEENS1_30default_config_static_selectorELNS0_4arch9wavefront6targetE1EEEvT1_
		.amdhsa_group_segment_fixed_size 0
		.amdhsa_private_segment_fixed_size 0
		.amdhsa_kernarg_size 32
		.amdhsa_user_sgpr_count 6
		.amdhsa_user_sgpr_private_segment_buffer 1
		.amdhsa_user_sgpr_dispatch_ptr 0
		.amdhsa_user_sgpr_queue_ptr 0
		.amdhsa_user_sgpr_kernarg_segment_ptr 1
		.amdhsa_user_sgpr_dispatch_id 0
		.amdhsa_user_sgpr_flat_scratch_init 0
		.amdhsa_user_sgpr_private_segment_size 0
		.amdhsa_uses_dynamic_stack 0
		.amdhsa_system_sgpr_private_segment_wavefront_offset 0
		.amdhsa_system_sgpr_workgroup_id_x 1
		.amdhsa_system_sgpr_workgroup_id_y 0
		.amdhsa_system_sgpr_workgroup_id_z 0
		.amdhsa_system_sgpr_workgroup_info 0
		.amdhsa_system_vgpr_workitem_id 0
		.amdhsa_next_free_vgpr 1
		.amdhsa_next_free_sgpr 0
		.amdhsa_reserve_vcc 0
		.amdhsa_reserve_flat_scratch 0
		.amdhsa_float_round_mode_32 0
		.amdhsa_float_round_mode_16_64 0
		.amdhsa_float_denorm_mode_32 3
		.amdhsa_float_denorm_mode_16_64 3
		.amdhsa_dx10_clamp 1
		.amdhsa_ieee_mode 1
		.amdhsa_fp16_overflow 0
		.amdhsa_exception_fp_ieee_invalid_op 0
		.amdhsa_exception_fp_denorm_src 0
		.amdhsa_exception_fp_ieee_div_zero 0
		.amdhsa_exception_fp_ieee_overflow 0
		.amdhsa_exception_fp_ieee_underflow 0
		.amdhsa_exception_fp_ieee_inexact 0
		.amdhsa_exception_int_div_zero 0
	.end_amdhsa_kernel
	.section	.text._ZN7rocprim17ROCPRIM_400000_NS6detail17trampoline_kernelINS0_14default_configENS1_20scan_config_selectorIN3c108BFloat16EEEZZNS1_9scan_implILNS1_25lookback_scan_determinismE0ELb0ELb0ES3_PKS6_PS6_S6_ZZZN2at6native31launch_logcumsumexp_cuda_kernelERKNSD_10TensorBaseESH_lENKUlvE_clEvENKUlvE4_clEvEUlS6_S6_E_S6_EEDaPvRmT3_T4_T5_mT6_P12ihipStream_tbENKUlT_T0_E_clISt17integral_constantIbLb0EESX_IbLb1EEEEDaST_SU_EUlST_E0_NS1_11comp_targetILNS1_3genE3ELNS1_11target_archE908ELNS1_3gpuE7ELNS1_3repE0EEENS1_30default_config_static_selectorELNS0_4arch9wavefront6targetE1EEEvT1_,"axG",@progbits,_ZN7rocprim17ROCPRIM_400000_NS6detail17trampoline_kernelINS0_14default_configENS1_20scan_config_selectorIN3c108BFloat16EEEZZNS1_9scan_implILNS1_25lookback_scan_determinismE0ELb0ELb0ES3_PKS6_PS6_S6_ZZZN2at6native31launch_logcumsumexp_cuda_kernelERKNSD_10TensorBaseESH_lENKUlvE_clEvENKUlvE4_clEvEUlS6_S6_E_S6_EEDaPvRmT3_T4_T5_mT6_P12ihipStream_tbENKUlT_T0_E_clISt17integral_constantIbLb0EESX_IbLb1EEEEDaST_SU_EUlST_E0_NS1_11comp_targetILNS1_3genE3ELNS1_11target_archE908ELNS1_3gpuE7ELNS1_3repE0EEENS1_30default_config_static_selectorELNS0_4arch9wavefront6targetE1EEEvT1_,comdat
.Lfunc_end515:
	.size	_ZN7rocprim17ROCPRIM_400000_NS6detail17trampoline_kernelINS0_14default_configENS1_20scan_config_selectorIN3c108BFloat16EEEZZNS1_9scan_implILNS1_25lookback_scan_determinismE0ELb0ELb0ES3_PKS6_PS6_S6_ZZZN2at6native31launch_logcumsumexp_cuda_kernelERKNSD_10TensorBaseESH_lENKUlvE_clEvENKUlvE4_clEvEUlS6_S6_E_S6_EEDaPvRmT3_T4_T5_mT6_P12ihipStream_tbENKUlT_T0_E_clISt17integral_constantIbLb0EESX_IbLb1EEEEDaST_SU_EUlST_E0_NS1_11comp_targetILNS1_3genE3ELNS1_11target_archE908ELNS1_3gpuE7ELNS1_3repE0EEENS1_30default_config_static_selectorELNS0_4arch9wavefront6targetE1EEEvT1_, .Lfunc_end515-_ZN7rocprim17ROCPRIM_400000_NS6detail17trampoline_kernelINS0_14default_configENS1_20scan_config_selectorIN3c108BFloat16EEEZZNS1_9scan_implILNS1_25lookback_scan_determinismE0ELb0ELb0ES3_PKS6_PS6_S6_ZZZN2at6native31launch_logcumsumexp_cuda_kernelERKNSD_10TensorBaseESH_lENKUlvE_clEvENKUlvE4_clEvEUlS6_S6_E_S6_EEDaPvRmT3_T4_T5_mT6_P12ihipStream_tbENKUlT_T0_E_clISt17integral_constantIbLb0EESX_IbLb1EEEEDaST_SU_EUlST_E0_NS1_11comp_targetILNS1_3genE3ELNS1_11target_archE908ELNS1_3gpuE7ELNS1_3repE0EEENS1_30default_config_static_selectorELNS0_4arch9wavefront6targetE1EEEvT1_
                                        ; -- End function
	.set _ZN7rocprim17ROCPRIM_400000_NS6detail17trampoline_kernelINS0_14default_configENS1_20scan_config_selectorIN3c108BFloat16EEEZZNS1_9scan_implILNS1_25lookback_scan_determinismE0ELb0ELb0ES3_PKS6_PS6_S6_ZZZN2at6native31launch_logcumsumexp_cuda_kernelERKNSD_10TensorBaseESH_lENKUlvE_clEvENKUlvE4_clEvEUlS6_S6_E_S6_EEDaPvRmT3_T4_T5_mT6_P12ihipStream_tbENKUlT_T0_E_clISt17integral_constantIbLb0EESX_IbLb1EEEEDaST_SU_EUlST_E0_NS1_11comp_targetILNS1_3genE3ELNS1_11target_archE908ELNS1_3gpuE7ELNS1_3repE0EEENS1_30default_config_static_selectorELNS0_4arch9wavefront6targetE1EEEvT1_.num_vgpr, 0
	.set _ZN7rocprim17ROCPRIM_400000_NS6detail17trampoline_kernelINS0_14default_configENS1_20scan_config_selectorIN3c108BFloat16EEEZZNS1_9scan_implILNS1_25lookback_scan_determinismE0ELb0ELb0ES3_PKS6_PS6_S6_ZZZN2at6native31launch_logcumsumexp_cuda_kernelERKNSD_10TensorBaseESH_lENKUlvE_clEvENKUlvE4_clEvEUlS6_S6_E_S6_EEDaPvRmT3_T4_T5_mT6_P12ihipStream_tbENKUlT_T0_E_clISt17integral_constantIbLb0EESX_IbLb1EEEEDaST_SU_EUlST_E0_NS1_11comp_targetILNS1_3genE3ELNS1_11target_archE908ELNS1_3gpuE7ELNS1_3repE0EEENS1_30default_config_static_selectorELNS0_4arch9wavefront6targetE1EEEvT1_.num_agpr, 0
	.set _ZN7rocprim17ROCPRIM_400000_NS6detail17trampoline_kernelINS0_14default_configENS1_20scan_config_selectorIN3c108BFloat16EEEZZNS1_9scan_implILNS1_25lookback_scan_determinismE0ELb0ELb0ES3_PKS6_PS6_S6_ZZZN2at6native31launch_logcumsumexp_cuda_kernelERKNSD_10TensorBaseESH_lENKUlvE_clEvENKUlvE4_clEvEUlS6_S6_E_S6_EEDaPvRmT3_T4_T5_mT6_P12ihipStream_tbENKUlT_T0_E_clISt17integral_constantIbLb0EESX_IbLb1EEEEDaST_SU_EUlST_E0_NS1_11comp_targetILNS1_3genE3ELNS1_11target_archE908ELNS1_3gpuE7ELNS1_3repE0EEENS1_30default_config_static_selectorELNS0_4arch9wavefront6targetE1EEEvT1_.numbered_sgpr, 0
	.set _ZN7rocprim17ROCPRIM_400000_NS6detail17trampoline_kernelINS0_14default_configENS1_20scan_config_selectorIN3c108BFloat16EEEZZNS1_9scan_implILNS1_25lookback_scan_determinismE0ELb0ELb0ES3_PKS6_PS6_S6_ZZZN2at6native31launch_logcumsumexp_cuda_kernelERKNSD_10TensorBaseESH_lENKUlvE_clEvENKUlvE4_clEvEUlS6_S6_E_S6_EEDaPvRmT3_T4_T5_mT6_P12ihipStream_tbENKUlT_T0_E_clISt17integral_constantIbLb0EESX_IbLb1EEEEDaST_SU_EUlST_E0_NS1_11comp_targetILNS1_3genE3ELNS1_11target_archE908ELNS1_3gpuE7ELNS1_3repE0EEENS1_30default_config_static_selectorELNS0_4arch9wavefront6targetE1EEEvT1_.num_named_barrier, 0
	.set _ZN7rocprim17ROCPRIM_400000_NS6detail17trampoline_kernelINS0_14default_configENS1_20scan_config_selectorIN3c108BFloat16EEEZZNS1_9scan_implILNS1_25lookback_scan_determinismE0ELb0ELb0ES3_PKS6_PS6_S6_ZZZN2at6native31launch_logcumsumexp_cuda_kernelERKNSD_10TensorBaseESH_lENKUlvE_clEvENKUlvE4_clEvEUlS6_S6_E_S6_EEDaPvRmT3_T4_T5_mT6_P12ihipStream_tbENKUlT_T0_E_clISt17integral_constantIbLb0EESX_IbLb1EEEEDaST_SU_EUlST_E0_NS1_11comp_targetILNS1_3genE3ELNS1_11target_archE908ELNS1_3gpuE7ELNS1_3repE0EEENS1_30default_config_static_selectorELNS0_4arch9wavefront6targetE1EEEvT1_.private_seg_size, 0
	.set _ZN7rocprim17ROCPRIM_400000_NS6detail17trampoline_kernelINS0_14default_configENS1_20scan_config_selectorIN3c108BFloat16EEEZZNS1_9scan_implILNS1_25lookback_scan_determinismE0ELb0ELb0ES3_PKS6_PS6_S6_ZZZN2at6native31launch_logcumsumexp_cuda_kernelERKNSD_10TensorBaseESH_lENKUlvE_clEvENKUlvE4_clEvEUlS6_S6_E_S6_EEDaPvRmT3_T4_T5_mT6_P12ihipStream_tbENKUlT_T0_E_clISt17integral_constantIbLb0EESX_IbLb1EEEEDaST_SU_EUlST_E0_NS1_11comp_targetILNS1_3genE3ELNS1_11target_archE908ELNS1_3gpuE7ELNS1_3repE0EEENS1_30default_config_static_selectorELNS0_4arch9wavefront6targetE1EEEvT1_.uses_vcc, 0
	.set _ZN7rocprim17ROCPRIM_400000_NS6detail17trampoline_kernelINS0_14default_configENS1_20scan_config_selectorIN3c108BFloat16EEEZZNS1_9scan_implILNS1_25lookback_scan_determinismE0ELb0ELb0ES3_PKS6_PS6_S6_ZZZN2at6native31launch_logcumsumexp_cuda_kernelERKNSD_10TensorBaseESH_lENKUlvE_clEvENKUlvE4_clEvEUlS6_S6_E_S6_EEDaPvRmT3_T4_T5_mT6_P12ihipStream_tbENKUlT_T0_E_clISt17integral_constantIbLb0EESX_IbLb1EEEEDaST_SU_EUlST_E0_NS1_11comp_targetILNS1_3genE3ELNS1_11target_archE908ELNS1_3gpuE7ELNS1_3repE0EEENS1_30default_config_static_selectorELNS0_4arch9wavefront6targetE1EEEvT1_.uses_flat_scratch, 0
	.set _ZN7rocprim17ROCPRIM_400000_NS6detail17trampoline_kernelINS0_14default_configENS1_20scan_config_selectorIN3c108BFloat16EEEZZNS1_9scan_implILNS1_25lookback_scan_determinismE0ELb0ELb0ES3_PKS6_PS6_S6_ZZZN2at6native31launch_logcumsumexp_cuda_kernelERKNSD_10TensorBaseESH_lENKUlvE_clEvENKUlvE4_clEvEUlS6_S6_E_S6_EEDaPvRmT3_T4_T5_mT6_P12ihipStream_tbENKUlT_T0_E_clISt17integral_constantIbLb0EESX_IbLb1EEEEDaST_SU_EUlST_E0_NS1_11comp_targetILNS1_3genE3ELNS1_11target_archE908ELNS1_3gpuE7ELNS1_3repE0EEENS1_30default_config_static_selectorELNS0_4arch9wavefront6targetE1EEEvT1_.has_dyn_sized_stack, 0
	.set _ZN7rocprim17ROCPRIM_400000_NS6detail17trampoline_kernelINS0_14default_configENS1_20scan_config_selectorIN3c108BFloat16EEEZZNS1_9scan_implILNS1_25lookback_scan_determinismE0ELb0ELb0ES3_PKS6_PS6_S6_ZZZN2at6native31launch_logcumsumexp_cuda_kernelERKNSD_10TensorBaseESH_lENKUlvE_clEvENKUlvE4_clEvEUlS6_S6_E_S6_EEDaPvRmT3_T4_T5_mT6_P12ihipStream_tbENKUlT_T0_E_clISt17integral_constantIbLb0EESX_IbLb1EEEEDaST_SU_EUlST_E0_NS1_11comp_targetILNS1_3genE3ELNS1_11target_archE908ELNS1_3gpuE7ELNS1_3repE0EEENS1_30default_config_static_selectorELNS0_4arch9wavefront6targetE1EEEvT1_.has_recursion, 0
	.set _ZN7rocprim17ROCPRIM_400000_NS6detail17trampoline_kernelINS0_14default_configENS1_20scan_config_selectorIN3c108BFloat16EEEZZNS1_9scan_implILNS1_25lookback_scan_determinismE0ELb0ELb0ES3_PKS6_PS6_S6_ZZZN2at6native31launch_logcumsumexp_cuda_kernelERKNSD_10TensorBaseESH_lENKUlvE_clEvENKUlvE4_clEvEUlS6_S6_E_S6_EEDaPvRmT3_T4_T5_mT6_P12ihipStream_tbENKUlT_T0_E_clISt17integral_constantIbLb0EESX_IbLb1EEEEDaST_SU_EUlST_E0_NS1_11comp_targetILNS1_3genE3ELNS1_11target_archE908ELNS1_3gpuE7ELNS1_3repE0EEENS1_30default_config_static_selectorELNS0_4arch9wavefront6targetE1EEEvT1_.has_indirect_call, 0
	.section	.AMDGPU.csdata,"",@progbits
; Kernel info:
; codeLenInByte = 0
; TotalNumSgprs: 4
; NumVgprs: 0
; ScratchSize: 0
; MemoryBound: 0
; FloatMode: 240
; IeeeMode: 1
; LDSByteSize: 0 bytes/workgroup (compile time only)
; SGPRBlocks: 0
; VGPRBlocks: 0
; NumSGPRsForWavesPerEU: 4
; NumVGPRsForWavesPerEU: 1
; Occupancy: 10
; WaveLimiterHint : 0
; COMPUTE_PGM_RSRC2:SCRATCH_EN: 0
; COMPUTE_PGM_RSRC2:USER_SGPR: 6
; COMPUTE_PGM_RSRC2:TRAP_HANDLER: 0
; COMPUTE_PGM_RSRC2:TGID_X_EN: 1
; COMPUTE_PGM_RSRC2:TGID_Y_EN: 0
; COMPUTE_PGM_RSRC2:TGID_Z_EN: 0
; COMPUTE_PGM_RSRC2:TIDIG_COMP_CNT: 0
	.section	.text._ZN7rocprim17ROCPRIM_400000_NS6detail17trampoline_kernelINS0_14default_configENS1_20scan_config_selectorIN3c108BFloat16EEEZZNS1_9scan_implILNS1_25lookback_scan_determinismE0ELb0ELb0ES3_PKS6_PS6_S6_ZZZN2at6native31launch_logcumsumexp_cuda_kernelERKNSD_10TensorBaseESH_lENKUlvE_clEvENKUlvE4_clEvEUlS6_S6_E_S6_EEDaPvRmT3_T4_T5_mT6_P12ihipStream_tbENKUlT_T0_E_clISt17integral_constantIbLb0EESX_IbLb1EEEEDaST_SU_EUlST_E0_NS1_11comp_targetILNS1_3genE2ELNS1_11target_archE906ELNS1_3gpuE6ELNS1_3repE0EEENS1_30default_config_static_selectorELNS0_4arch9wavefront6targetE1EEEvT1_,"axG",@progbits,_ZN7rocprim17ROCPRIM_400000_NS6detail17trampoline_kernelINS0_14default_configENS1_20scan_config_selectorIN3c108BFloat16EEEZZNS1_9scan_implILNS1_25lookback_scan_determinismE0ELb0ELb0ES3_PKS6_PS6_S6_ZZZN2at6native31launch_logcumsumexp_cuda_kernelERKNSD_10TensorBaseESH_lENKUlvE_clEvENKUlvE4_clEvEUlS6_S6_E_S6_EEDaPvRmT3_T4_T5_mT6_P12ihipStream_tbENKUlT_T0_E_clISt17integral_constantIbLb0EESX_IbLb1EEEEDaST_SU_EUlST_E0_NS1_11comp_targetILNS1_3genE2ELNS1_11target_archE906ELNS1_3gpuE6ELNS1_3repE0EEENS1_30default_config_static_selectorELNS0_4arch9wavefront6targetE1EEEvT1_,comdat
	.globl	_ZN7rocprim17ROCPRIM_400000_NS6detail17trampoline_kernelINS0_14default_configENS1_20scan_config_selectorIN3c108BFloat16EEEZZNS1_9scan_implILNS1_25lookback_scan_determinismE0ELb0ELb0ES3_PKS6_PS6_S6_ZZZN2at6native31launch_logcumsumexp_cuda_kernelERKNSD_10TensorBaseESH_lENKUlvE_clEvENKUlvE4_clEvEUlS6_S6_E_S6_EEDaPvRmT3_T4_T5_mT6_P12ihipStream_tbENKUlT_T0_E_clISt17integral_constantIbLb0EESX_IbLb1EEEEDaST_SU_EUlST_E0_NS1_11comp_targetILNS1_3genE2ELNS1_11target_archE906ELNS1_3gpuE6ELNS1_3repE0EEENS1_30default_config_static_selectorELNS0_4arch9wavefront6targetE1EEEvT1_ ; -- Begin function _ZN7rocprim17ROCPRIM_400000_NS6detail17trampoline_kernelINS0_14default_configENS1_20scan_config_selectorIN3c108BFloat16EEEZZNS1_9scan_implILNS1_25lookback_scan_determinismE0ELb0ELb0ES3_PKS6_PS6_S6_ZZZN2at6native31launch_logcumsumexp_cuda_kernelERKNSD_10TensorBaseESH_lENKUlvE_clEvENKUlvE4_clEvEUlS6_S6_E_S6_EEDaPvRmT3_T4_T5_mT6_P12ihipStream_tbENKUlT_T0_E_clISt17integral_constantIbLb0EESX_IbLb1EEEEDaST_SU_EUlST_E0_NS1_11comp_targetILNS1_3genE2ELNS1_11target_archE906ELNS1_3gpuE6ELNS1_3repE0EEENS1_30default_config_static_selectorELNS0_4arch9wavefront6targetE1EEEvT1_
	.p2align	8
	.type	_ZN7rocprim17ROCPRIM_400000_NS6detail17trampoline_kernelINS0_14default_configENS1_20scan_config_selectorIN3c108BFloat16EEEZZNS1_9scan_implILNS1_25lookback_scan_determinismE0ELb0ELb0ES3_PKS6_PS6_S6_ZZZN2at6native31launch_logcumsumexp_cuda_kernelERKNSD_10TensorBaseESH_lENKUlvE_clEvENKUlvE4_clEvEUlS6_S6_E_S6_EEDaPvRmT3_T4_T5_mT6_P12ihipStream_tbENKUlT_T0_E_clISt17integral_constantIbLb0EESX_IbLb1EEEEDaST_SU_EUlST_E0_NS1_11comp_targetILNS1_3genE2ELNS1_11target_archE906ELNS1_3gpuE6ELNS1_3repE0EEENS1_30default_config_static_selectorELNS0_4arch9wavefront6targetE1EEEvT1_,@function
_ZN7rocprim17ROCPRIM_400000_NS6detail17trampoline_kernelINS0_14default_configENS1_20scan_config_selectorIN3c108BFloat16EEEZZNS1_9scan_implILNS1_25lookback_scan_determinismE0ELb0ELb0ES3_PKS6_PS6_S6_ZZZN2at6native31launch_logcumsumexp_cuda_kernelERKNSD_10TensorBaseESH_lENKUlvE_clEvENKUlvE4_clEvEUlS6_S6_E_S6_EEDaPvRmT3_T4_T5_mT6_P12ihipStream_tbENKUlT_T0_E_clISt17integral_constantIbLb0EESX_IbLb1EEEEDaST_SU_EUlST_E0_NS1_11comp_targetILNS1_3genE2ELNS1_11target_archE906ELNS1_3gpuE6ELNS1_3repE0EEENS1_30default_config_static_selectorELNS0_4arch9wavefront6targetE1EEEvT1_: ; @_ZN7rocprim17ROCPRIM_400000_NS6detail17trampoline_kernelINS0_14default_configENS1_20scan_config_selectorIN3c108BFloat16EEEZZNS1_9scan_implILNS1_25lookback_scan_determinismE0ELb0ELb0ES3_PKS6_PS6_S6_ZZZN2at6native31launch_logcumsumexp_cuda_kernelERKNSD_10TensorBaseESH_lENKUlvE_clEvENKUlvE4_clEvEUlS6_S6_E_S6_EEDaPvRmT3_T4_T5_mT6_P12ihipStream_tbENKUlT_T0_E_clISt17integral_constantIbLb0EESX_IbLb1EEEEDaST_SU_EUlST_E0_NS1_11comp_targetILNS1_3genE2ELNS1_11target_archE906ELNS1_3gpuE6ELNS1_3repE0EEENS1_30default_config_static_selectorELNS0_4arch9wavefront6targetE1EEEvT1_
; %bb.0:
	s_load_dwordx4 s[0:3], s[4:5], 0x0
	v_mov_b32_e32 v1, 0
	v_lshlrev_b32_e32 v13, 1, v0
	s_waitcnt lgkmcnt(0)
	global_load_ushort v1, v1, s[0:1]
	v_cmp_gt_u32_e64 s[8:9], s2, v0
	s_waitcnt vmcnt(0)
	v_mov_b32_e32 v2, v1
	s_mov_b64 s[6:7], exec
                                        ; implicit-def: $vgpr73 : SGPR spill to VGPR lane
	v_writelane_b32 v73, s8, 0
	v_writelane_b32 v73, s9, 1
	s_and_b64 s[8:9], s[6:7], s[8:9]
	s_mov_b64 exec, s[8:9]
	s_cbranch_execz .LBB516_2
; %bb.1:
	global_load_ushort v2, v13, s[0:1]
.LBB516_2:
	s_or_b64 exec, exec, s[6:7]
	v_or_b32_e32 v3, 0x100, v0
	v_cmp_gt_u32_e64 s[8:9], s2, v3
	v_mov_b32_e32 v3, v1
	s_mov_b64 s[6:7], exec
	v_writelane_b32 v73, s8, 2
	v_writelane_b32 v73, s9, 3
	s_and_b64 s[8:9], s[6:7], s[8:9]
	s_mov_b64 exec, s[8:9]
	s_cbranch_execz .LBB516_4
; %bb.3:
	global_load_ushort v3, v13, s[0:1] offset:512
.LBB516_4:
	s_or_b64 exec, exec, s[6:7]
	v_or_b32_e32 v4, 0x200, v0
	v_cmp_gt_u32_e64 s[8:9], s2, v4
	v_mov_b32_e32 v4, v1
	s_mov_b64 s[6:7], exec
	v_writelane_b32 v73, s8, 4
	v_writelane_b32 v73, s9, 5
	s_and_b64 s[8:9], s[6:7], s[8:9]
	s_mov_b64 exec, s[8:9]
	s_cbranch_execz .LBB516_6
; %bb.5:
	global_load_ushort v4, v13, s[0:1] offset:1024
.LBB516_6:
	;; [unrolled: 13-line block ×6, first 2 shown]
	s_or_b64 exec, exec, s[6:7]
	v_or_b32_e32 v9, 0x700, v0
	v_cmp_gt_u32_e64 s[14:15], s2, v9
	v_mov_b32_e32 v9, v1
	s_and_saveexec_b64 s[6:7], s[14:15]
	s_cbranch_execz .LBB516_16
; %bb.15:
	global_load_ushort v9, v13, s[0:1] offset:3584
.LBB516_16:
	s_or_b64 exec, exec, s[6:7]
	v_or_b32_e32 v11, 0x800, v0
	v_cmp_gt_u32_e64 s[16:17], s2, v11
	v_mov_b32_e32 v10, v1
	s_and_saveexec_b64 s[6:7], s[16:17]
	s_cbranch_execz .LBB516_18
; %bb.17:
	v_lshlrev_b32_e32 v10, 1, v11
	global_load_ushort v10, v10, s[0:1]
.LBB516_18:
	s_or_b64 exec, exec, s[6:7]
	v_or_b32_e32 v12, 0x900, v0
	v_cmp_gt_u32_e64 s[18:19], s2, v12
	v_mov_b32_e32 v11, v1
	s_and_saveexec_b64 s[6:7], s[18:19]
	s_cbranch_execz .LBB516_20
; %bb.19:
	v_lshlrev_b32_e32 v11, 1, v12
	global_load_ushort v11, v11, s[0:1]
.LBB516_20:
	;; [unrolled: 10-line block ×15, first 2 shown]
	s_or_b64 exec, exec, s[6:7]
	v_or_b32_e32 v26, 0x1700, v0
	v_cmp_gt_u32_e64 s[48:49], s2, v26
	s_and_saveexec_b64 s[2:3], s[48:49]
	s_cbranch_execz .LBB516_48
; %bb.47:
	v_lshlrev_b32_e32 v1, 1, v26
	global_load_ushort v1, v1, s[0:1]
.LBB516_48:
	s_or_b64 exec, exec, s[2:3]
	s_waitcnt vmcnt(0)
	ds_write_b16 v13, v2
	ds_write_b16 v13, v3 offset:512
	ds_write_b16 v13, v4 offset:1024
	;; [unrolled: 1-line block ×23, first 2 shown]
	v_mad_u32_u24 v5, v0, 46, v13
	s_waitcnt lgkmcnt(0)
	s_barrier
	ds_read_b128 v[1:4], v5
	ds_read_b128 v[9:12], v5 offset:16
	ds_read_b128 v[5:8], v5 offset:32
	s_movk_i32 s6, 0x1f8
	s_waitcnt lgkmcnt(0)
	v_lshlrev_b32_e32 v49, 16, v1
	v_and_b32_e32 v14, 0xffff0000, v1
	v_max_f32_e32 v22, v14, v14
	v_max_f32_e32 v50, v49, v49
	v_min_f32_e32 v51, v50, v22
	v_cmp_u_f32_e64 s[0:1], v49, v49
	v_cndmask_b32_e64 v15, v51, v49, s[0:1]
	v_cmp_u_f32_e64 s[50:51], v14, v14
	v_max_f32_e32 v52, v50, v22
	v_cndmask_b32_e64 v17, v15, v14, s[50:51]
	v_cndmask_b32_e64 v15, v52, v49, s[0:1]
	;; [unrolled: 1-line block ×3, first 2 shown]
	v_cmp_neq_f32_e32 vcc, v17, v15
	v_cmp_class_f32_e64 s[2:3], v17, s6
	s_or_b64 s[8:9], vcc, s[2:3]
	v_mov_b32_e32 v16, v49
	s_barrier
	s_and_saveexec_b64 s[2:3], s[8:9]
	s_cbranch_execz .LBB516_50
; %bb.49:
	v_sub_f32_e32 v16, v17, v15
	s_mov_b32 s7, 0x3fb8aa3b
	v_mul_f32_e32 v17, 0x3fb8aa3b, v16
	v_fma_f32 v18, v16, s7, -v17
	v_rndne_f32_e32 v19, v17
	v_fmac_f32_e32 v18, 0x32a5705f, v16
	v_sub_f32_e32 v17, v17, v19
	v_add_f32_e32 v17, v17, v18
	v_exp_f32_e32 v17, v17
	v_cvt_i32_f32_e32 v18, v19
	s_mov_b32 s7, 0xc2ce8ed0
	v_cmp_ngt_f32_e32 vcc, s7, v16
	s_mov_b32 s7, 0x42b17218
	v_ldexp_f32 v17, v17, v18
	v_cndmask_b32_e32 v17, 0, v17, vcc
	v_mov_b32_e32 v18, 0x7f800000
	v_cmp_nlt_f32_e32 vcc, s7, v16
	v_cndmask_b32_e32 v19, v18, v17, vcc
	v_add_f32_e32 v20, 1.0, v19
	v_cvt_f64_f32_e32 v[16:17], v20
	v_add_f32_e32 v21, -1.0, v20
	v_sub_f32_e32 v23, v21, v20
	v_sub_f32_e32 v21, v19, v21
	v_frexp_exp_i32_f64_e32 v16, v[16:17]
	v_add_f32_e32 v17, 1.0, v23
	v_add_f32_e32 v17, v21, v17
	v_frexp_mant_f32_e32 v21, v20
	s_mov_b32 s8, 0x3f2aaaab
	v_cmp_gt_f32_e32 vcc, s8, v21
	s_mov_b32 s8, 0x3f317218
	s_mov_b32 s7, 0x7f800000
	v_subbrev_co_u32_e32 v16, vcc, 0, v16, vcc
	v_sub_u32_e32 v21, 0, v16
	v_ldexp_f32 v20, v20, v21
	v_ldexp_f32 v17, v17, v21
	v_add_f32_e32 v21, -1.0, v20
	v_add_f32_e32 v25, 1.0, v20
	v_add_f32_e32 v23, 1.0, v21
	v_add_f32_e32 v26, -1.0, v25
	v_sub_f32_e32 v23, v20, v23
	v_sub_f32_e32 v20, v20, v26
	v_add_f32_e32 v23, v17, v23
	v_add_f32_e32 v17, v17, v20
	;; [unrolled: 1-line block ×3, first 2 shown]
	v_rcp_f32_e32 v26, v20
	v_add_f32_e32 v24, v21, v23
	v_sub_f32_e32 v21, v21, v24
	v_add_f32_e32 v21, v23, v21
	v_sub_f32_e32 v23, v25, v20
	v_add_f32_e32 v17, v17, v23
	v_mul_f32_e32 v23, v24, v26
	v_mul_f32_e32 v25, v20, v23
	v_fma_f32 v27, v23, v20, -v25
	v_fmac_f32_e32 v27, v23, v17
	v_add_f32_e32 v28, v25, v27
	v_sub_f32_e32 v29, v24, v28
	v_sub_f32_e32 v24, v24, v29
	;; [unrolled: 1-line block ×4, first 2 shown]
	v_add_f32_e32 v21, v21, v24
	v_sub_f32_e32 v24, v25, v27
	v_add_f32_e32 v21, v24, v21
	v_add_f32_e32 v24, v29, v21
	v_mul_f32_e32 v25, v26, v24
	v_mul_f32_e32 v27, v20, v25
	v_fma_f32 v20, v25, v20, -v27
	v_fmac_f32_e32 v20, v25, v17
	v_sub_f32_e32 v17, v29, v24
	v_add_f32_e32 v17, v21, v17
	v_add_f32_e32 v21, v27, v20
	v_sub_f32_e32 v28, v24, v21
	v_sub_f32_e32 v24, v24, v28
	;; [unrolled: 1-line block ×4, first 2 shown]
	v_add_f32_e32 v17, v17, v21
	v_sub_f32_e32 v20, v27, v20
	v_add_f32_e32 v17, v20, v17
	v_add_f32_e32 v20, v23, v25
	;; [unrolled: 1-line block ×3, first 2 shown]
	v_sub_f32_e32 v21, v20, v23
	v_mul_f32_e32 v17, v26, v17
	v_sub_f32_e32 v21, v25, v21
	v_add_f32_e32 v17, v21, v17
	v_cvt_f32_i32_e32 v16, v16
	v_add_f32_e32 v21, v20, v17
	v_mul_f32_e32 v23, v21, v21
	v_mov_b32_e32 v24, 0x3ecc95a3
	v_fmac_f32_e32 v24, 0x3e9b6dac, v23
	v_mov_b32_e32 v25, 0x3f2aaada
	v_fmac_f32_e32 v25, v23, v24
	v_mul_f32_e32 v24, 0x3f317218, v16
	v_fma_f32 v26, v16, s8, -v24
	v_fmac_f32_e32 v26, 0xb102e308, v16
	v_sub_f32_e32 v16, v21, v20
	v_sub_f32_e32 v16, v17, v16
	v_add_f32_e32 v17, v24, v26
	v_sub_f32_e32 v20, v17, v24
	v_ldexp_f32 v24, v21, 1
	v_mul_f32_e32 v21, v21, v23
	v_mul_f32_e32 v21, v21, v25
	v_add_f32_e32 v23, v24, v21
	v_sub_f32_e32 v24, v23, v24
	v_ldexp_f32 v16, v16, 1
	v_sub_f32_e32 v21, v21, v24
	v_add_f32_e32 v16, v16, v21
	v_add_f32_e32 v21, v23, v16
	v_sub_f32_e32 v23, v21, v23
	v_sub_f32_e32 v16, v16, v23
	v_add_f32_e32 v23, v17, v21
	v_sub_f32_e32 v24, v23, v17
	v_sub_f32_e32 v25, v23, v24
	;; [unrolled: 1-line block ×5, first 2 shown]
	v_add_f32_e32 v17, v21, v17
	v_add_f32_e32 v21, v20, v16
	v_sub_f32_e32 v24, v21, v20
	v_sub_f32_e32 v25, v21, v24
	;; [unrolled: 1-line block ×4, first 2 shown]
	v_add_f32_e32 v17, v21, v17
	v_add_f32_e32 v16, v16, v20
	;; [unrolled: 1-line block ×3, first 2 shown]
	v_sub_f32_e32 v21, v20, v23
	v_sub_f32_e32 v17, v17, v21
	v_add_f32_e32 v16, v16, v17
	v_add_f32_e32 v16, v20, v16
	v_cmp_neq_f32_e32 vcc, s7, v19
	s_mov_b32 s7, 0x33800000
	v_cndmask_b32_e32 v16, v18, v16, vcc
	v_cmp_lt_f32_e64 vcc, |v19|, s7
	v_cndmask_b32_e32 v16, v16, v19, vcc
	v_add_f32_e32 v16, v15, v16
.LBB516_50:
	s_or_b64 exec, exec, s[2:3]
	v_bfe_u32 v15, v16, 16, 1
	s_movk_i32 s7, 0x7fff
	v_add3_u32 v15, v16, v15, s7
	v_and_b32_e32 v15, 0xffff0000, v15
	v_mov_b32_e32 v17, 0x7fc00000
	v_cmp_o_f32_e32 vcc, v16, v16
	v_cndmask_b32_e32 v19, v17, v15, vcc
	v_lshlrev_b32_e32 v15, 16, v2
	v_max_f32_e32 v18, v19, v19
	v_max_f32_e32 v16, v15, v15
	v_min_f32_e32 v20, v18, v16
	v_cmp_u_f32_e32 vcc, v19, v19
	v_max_f32_e32 v18, v18, v16
	v_cndmask_b32_e32 v20, v20, v19, vcc
	v_cmp_u_f32_e64 s[52:53], v15, v15
	v_cndmask_b32_e32 v18, v18, v19, vcc
	v_cndmask_b32_e64 v20, v20, v15, s[52:53]
	v_cndmask_b32_e64 v18, v18, v15, s[52:53]
	v_cmp_neq_f32_e32 vcc, v20, v18
	v_cmp_class_f32_e64 s[2:3], v20, s6
	s_or_b64 s[8:9], vcc, s[2:3]
	s_and_saveexec_b64 s[2:3], s[8:9]
	s_cbranch_execz .LBB516_52
; %bb.51:
	v_sub_f32_e32 v19, v20, v18
	s_mov_b32 s6, 0x3fb8aa3b
	v_mul_f32_e32 v20, 0x3fb8aa3b, v19
	v_fma_f32 v21, v19, s6, -v20
	v_rndne_f32_e32 v23, v20
	v_fmac_f32_e32 v21, 0x32a5705f, v19
	v_sub_f32_e32 v20, v20, v23
	v_add_f32_e32 v20, v20, v21
	v_exp_f32_e32 v20, v20
	v_cvt_i32_f32_e32 v21, v23
	s_mov_b32 s6, 0xc2ce8ed0
	v_cmp_ngt_f32_e32 vcc, s6, v19
	s_mov_b32 s6, 0x42b17218
	v_ldexp_f32 v20, v20, v21
	v_cndmask_b32_e32 v20, 0, v20, vcc
	v_mov_b32_e32 v21, 0x7f800000
	v_cmp_nlt_f32_e32 vcc, s6, v19
	v_cndmask_b32_e32 v23, v21, v20, vcc
	v_add_f32_e32 v24, 1.0, v23
	v_cvt_f64_f32_e32 v[19:20], v24
	v_add_f32_e32 v25, -1.0, v24
	v_sub_f32_e32 v26, v25, v24
	v_sub_f32_e32 v25, v23, v25
	v_frexp_exp_i32_f64_e32 v19, v[19:20]
	v_add_f32_e32 v20, 1.0, v26
	v_add_f32_e32 v20, v25, v20
	v_frexp_mant_f32_e32 v25, v24
	s_mov_b32 s8, 0x3f2aaaab
	v_cmp_gt_f32_e32 vcc, s8, v25
	s_mov_b32 s8, 0x3f317218
	s_mov_b32 s6, 0x7f800000
	v_subbrev_co_u32_e32 v19, vcc, 0, v19, vcc
	v_sub_u32_e32 v25, 0, v19
	v_ldexp_f32 v24, v24, v25
	v_ldexp_f32 v20, v20, v25
	v_add_f32_e32 v25, -1.0, v24
	v_add_f32_e32 v28, 1.0, v24
	v_add_f32_e32 v26, 1.0, v25
	v_add_f32_e32 v29, -1.0, v28
	v_sub_f32_e32 v26, v24, v26
	v_sub_f32_e32 v24, v24, v29
	v_add_f32_e32 v26, v20, v26
	v_add_f32_e32 v20, v20, v24
	;; [unrolled: 1-line block ×3, first 2 shown]
	v_rcp_f32_e32 v29, v24
	v_add_f32_e32 v27, v25, v26
	v_sub_f32_e32 v25, v25, v27
	v_add_f32_e32 v25, v26, v25
	v_sub_f32_e32 v26, v28, v24
	v_add_f32_e32 v20, v20, v26
	v_mul_f32_e32 v26, v27, v29
	v_mul_f32_e32 v28, v24, v26
	v_fma_f32 v30, v26, v24, -v28
	v_fmac_f32_e32 v30, v26, v20
	v_add_f32_e32 v31, v28, v30
	v_sub_f32_e32 v32, v27, v31
	v_sub_f32_e32 v27, v27, v32
	;; [unrolled: 1-line block ×4, first 2 shown]
	v_add_f32_e32 v25, v25, v27
	v_sub_f32_e32 v27, v28, v30
	v_add_f32_e32 v25, v27, v25
	v_add_f32_e32 v27, v32, v25
	v_mul_f32_e32 v28, v29, v27
	v_mul_f32_e32 v30, v24, v28
	v_fma_f32 v24, v28, v24, -v30
	v_fmac_f32_e32 v24, v28, v20
	v_sub_f32_e32 v20, v32, v27
	v_add_f32_e32 v20, v25, v20
	v_add_f32_e32 v25, v30, v24
	v_sub_f32_e32 v31, v27, v25
	v_sub_f32_e32 v27, v27, v31
	;; [unrolled: 1-line block ×4, first 2 shown]
	v_add_f32_e32 v20, v20, v25
	v_sub_f32_e32 v24, v30, v24
	v_add_f32_e32 v20, v24, v20
	v_add_f32_e32 v24, v26, v28
	;; [unrolled: 1-line block ×3, first 2 shown]
	v_sub_f32_e32 v25, v24, v26
	v_mul_f32_e32 v20, v29, v20
	v_sub_f32_e32 v25, v28, v25
	v_add_f32_e32 v20, v25, v20
	v_cvt_f32_i32_e32 v19, v19
	v_add_f32_e32 v25, v24, v20
	v_mul_f32_e32 v26, v25, v25
	v_mov_b32_e32 v27, 0x3ecc95a3
	v_fmac_f32_e32 v27, 0x3e9b6dac, v26
	v_mov_b32_e32 v28, 0x3f2aaada
	v_fmac_f32_e32 v28, v26, v27
	v_mul_f32_e32 v27, 0x3f317218, v19
	v_fma_f32 v29, v19, s8, -v27
	v_fmac_f32_e32 v29, 0xb102e308, v19
	v_sub_f32_e32 v19, v25, v24
	v_sub_f32_e32 v19, v20, v19
	v_add_f32_e32 v20, v27, v29
	v_sub_f32_e32 v24, v20, v27
	v_ldexp_f32 v27, v25, 1
	v_mul_f32_e32 v25, v25, v26
	v_mul_f32_e32 v25, v25, v28
	v_add_f32_e32 v26, v27, v25
	v_sub_f32_e32 v27, v26, v27
	v_ldexp_f32 v19, v19, 1
	v_sub_f32_e32 v25, v25, v27
	v_add_f32_e32 v19, v19, v25
	v_add_f32_e32 v25, v26, v19
	v_sub_f32_e32 v26, v25, v26
	v_sub_f32_e32 v19, v19, v26
	v_add_f32_e32 v26, v20, v25
	v_sub_f32_e32 v27, v26, v20
	v_sub_f32_e32 v28, v26, v27
	;; [unrolled: 1-line block ×5, first 2 shown]
	v_add_f32_e32 v20, v25, v20
	v_add_f32_e32 v25, v24, v19
	v_sub_f32_e32 v27, v25, v24
	v_sub_f32_e32 v28, v25, v27
	v_sub_f32_e32 v24, v24, v28
	v_sub_f32_e32 v19, v19, v27
	v_add_f32_e32 v20, v25, v20
	v_add_f32_e32 v19, v19, v24
	;; [unrolled: 1-line block ×3, first 2 shown]
	v_sub_f32_e32 v25, v24, v26
	v_sub_f32_e32 v20, v20, v25
	v_add_f32_e32 v19, v19, v20
	v_add_f32_e32 v19, v24, v19
	v_cmp_neq_f32_e32 vcc, s6, v23
	s_mov_b32 s6, 0x33800000
	v_cndmask_b32_e32 v19, v21, v19, vcc
	v_cmp_lt_f32_e64 vcc, |v23|, s6
	v_cndmask_b32_e32 v19, v19, v23, vcc
	v_add_f32_e32 v19, v18, v19
.LBB516_52:
	s_or_b64 exec, exec, s[2:3]
	v_bfe_u32 v18, v19, 16, 1
	v_add3_u32 v18, v19, v18, s7
	v_and_b32_e32 v18, 0xffff0000, v18
	v_cmp_o_f32_e32 vcc, v19, v19
	v_cndmask_b32_e32 v19, v17, v18, vcc
	v_and_b32_e32 v2, 0xffff0000, v2
	v_max_f32_e32 v17, v19, v19
	v_max_f32_e32 v18, v2, v2
	v_min_f32_e32 v20, v17, v18
	v_cmp_u_f32_e32 vcc, v19, v19
	v_max_f32_e32 v17, v17, v18
	v_cndmask_b32_e32 v20, v20, v19, vcc
	v_cmp_u_f32_e64 s[54:55], v2, v2
	v_cndmask_b32_e32 v17, v17, v19, vcc
	v_cndmask_b32_e64 v20, v20, v2, s[54:55]
	v_cndmask_b32_e64 v17, v17, v2, s[54:55]
	s_movk_i32 s6, 0x1f8
	v_cmp_neq_f32_e32 vcc, v20, v17
	v_cmp_class_f32_e64 s[2:3], v20, s6
	s_or_b64 s[8:9], vcc, s[2:3]
	s_and_saveexec_b64 s[2:3], s[8:9]
	s_cbranch_execz .LBB516_54
; %bb.53:
	v_sub_f32_e32 v19, v20, v17
	s_mov_b32 s7, 0x3fb8aa3b
	v_mul_f32_e32 v20, 0x3fb8aa3b, v19
	v_fma_f32 v21, v19, s7, -v20
	v_rndne_f32_e32 v23, v20
	v_fmac_f32_e32 v21, 0x32a5705f, v19
	v_sub_f32_e32 v20, v20, v23
	v_add_f32_e32 v20, v20, v21
	v_exp_f32_e32 v20, v20
	v_cvt_i32_f32_e32 v21, v23
	s_mov_b32 s7, 0xc2ce8ed0
	v_cmp_ngt_f32_e32 vcc, s7, v19
	s_mov_b32 s7, 0x42b17218
	v_ldexp_f32 v20, v20, v21
	v_cndmask_b32_e32 v20, 0, v20, vcc
	v_mov_b32_e32 v21, 0x7f800000
	v_cmp_nlt_f32_e32 vcc, s7, v19
	v_cndmask_b32_e32 v23, v21, v20, vcc
	v_add_f32_e32 v24, 1.0, v23
	v_cvt_f64_f32_e32 v[19:20], v24
	v_add_f32_e32 v25, -1.0, v24
	v_sub_f32_e32 v26, v25, v24
	v_sub_f32_e32 v25, v23, v25
	v_frexp_exp_i32_f64_e32 v19, v[19:20]
	v_add_f32_e32 v20, 1.0, v26
	v_add_f32_e32 v20, v25, v20
	v_frexp_mant_f32_e32 v25, v24
	s_mov_b32 s8, 0x3f2aaaab
	v_cmp_gt_f32_e32 vcc, s8, v25
	s_mov_b32 s8, 0x3f317218
	s_mov_b32 s7, 0x7f800000
	v_subbrev_co_u32_e32 v19, vcc, 0, v19, vcc
	v_sub_u32_e32 v25, 0, v19
	v_ldexp_f32 v24, v24, v25
	v_ldexp_f32 v20, v20, v25
	v_add_f32_e32 v25, -1.0, v24
	v_add_f32_e32 v28, 1.0, v24
	v_add_f32_e32 v26, 1.0, v25
	v_add_f32_e32 v29, -1.0, v28
	v_sub_f32_e32 v26, v24, v26
	v_sub_f32_e32 v24, v24, v29
	v_add_f32_e32 v26, v20, v26
	v_add_f32_e32 v20, v20, v24
	;; [unrolled: 1-line block ×3, first 2 shown]
	v_rcp_f32_e32 v29, v24
	v_add_f32_e32 v27, v25, v26
	v_sub_f32_e32 v25, v25, v27
	v_add_f32_e32 v25, v26, v25
	v_sub_f32_e32 v26, v28, v24
	v_add_f32_e32 v20, v20, v26
	v_mul_f32_e32 v26, v27, v29
	v_mul_f32_e32 v28, v24, v26
	v_fma_f32 v30, v26, v24, -v28
	v_fmac_f32_e32 v30, v26, v20
	v_add_f32_e32 v31, v28, v30
	v_sub_f32_e32 v32, v27, v31
	v_sub_f32_e32 v27, v27, v32
	;; [unrolled: 1-line block ×4, first 2 shown]
	v_add_f32_e32 v25, v25, v27
	v_sub_f32_e32 v27, v28, v30
	v_add_f32_e32 v25, v27, v25
	v_add_f32_e32 v27, v32, v25
	v_mul_f32_e32 v28, v29, v27
	v_mul_f32_e32 v30, v24, v28
	v_fma_f32 v24, v28, v24, -v30
	v_fmac_f32_e32 v24, v28, v20
	v_sub_f32_e32 v20, v32, v27
	v_add_f32_e32 v20, v25, v20
	v_add_f32_e32 v25, v30, v24
	v_sub_f32_e32 v31, v27, v25
	v_sub_f32_e32 v27, v27, v31
	;; [unrolled: 1-line block ×4, first 2 shown]
	v_add_f32_e32 v20, v20, v25
	v_sub_f32_e32 v24, v30, v24
	v_add_f32_e32 v20, v24, v20
	v_add_f32_e32 v24, v26, v28
	;; [unrolled: 1-line block ×3, first 2 shown]
	v_sub_f32_e32 v25, v24, v26
	v_mul_f32_e32 v20, v29, v20
	v_sub_f32_e32 v25, v28, v25
	v_add_f32_e32 v20, v25, v20
	v_cvt_f32_i32_e32 v19, v19
	v_add_f32_e32 v25, v24, v20
	v_mul_f32_e32 v26, v25, v25
	v_mov_b32_e32 v27, 0x3ecc95a3
	v_fmac_f32_e32 v27, 0x3e9b6dac, v26
	v_mov_b32_e32 v28, 0x3f2aaada
	v_fmac_f32_e32 v28, v26, v27
	v_mul_f32_e32 v27, 0x3f317218, v19
	v_fma_f32 v29, v19, s8, -v27
	v_fmac_f32_e32 v29, 0xb102e308, v19
	v_sub_f32_e32 v19, v25, v24
	v_sub_f32_e32 v19, v20, v19
	v_add_f32_e32 v20, v27, v29
	v_sub_f32_e32 v24, v20, v27
	v_ldexp_f32 v27, v25, 1
	v_mul_f32_e32 v25, v25, v26
	v_mul_f32_e32 v25, v25, v28
	v_add_f32_e32 v26, v27, v25
	v_sub_f32_e32 v27, v26, v27
	v_ldexp_f32 v19, v19, 1
	v_sub_f32_e32 v25, v25, v27
	v_add_f32_e32 v19, v19, v25
	v_add_f32_e32 v25, v26, v19
	v_sub_f32_e32 v26, v25, v26
	v_sub_f32_e32 v19, v19, v26
	v_add_f32_e32 v26, v20, v25
	v_sub_f32_e32 v27, v26, v20
	v_sub_f32_e32 v28, v26, v27
	;; [unrolled: 1-line block ×5, first 2 shown]
	v_add_f32_e32 v20, v25, v20
	v_add_f32_e32 v25, v24, v19
	v_sub_f32_e32 v27, v25, v24
	v_sub_f32_e32 v28, v25, v27
	;; [unrolled: 1-line block ×4, first 2 shown]
	v_add_f32_e32 v20, v25, v20
	v_add_f32_e32 v19, v19, v24
	;; [unrolled: 1-line block ×3, first 2 shown]
	v_sub_f32_e32 v25, v24, v26
	v_sub_f32_e32 v20, v20, v25
	v_add_f32_e32 v19, v19, v20
	v_add_f32_e32 v19, v24, v19
	v_cmp_neq_f32_e32 vcc, s7, v23
	s_mov_b32 s7, 0x33800000
	v_cndmask_b32_e32 v19, v21, v19, vcc
	v_cmp_lt_f32_e64 vcc, |v23|, s7
	v_cndmask_b32_e32 v19, v19, v23, vcc
	v_add_f32_e32 v19, v17, v19
.LBB516_54:
	s_or_b64 exec, exec, s[2:3]
	v_bfe_u32 v17, v19, 16, 1
	s_movk_i32 s7, 0x7fff
	v_add3_u32 v17, v19, v17, s7
	v_and_b32_e32 v17, 0xffff0000, v17
	v_mov_b32_e32 v20, 0x7fc00000
	v_cmp_o_f32_e32 vcc, v19, v19
	v_cndmask_b32_e32 v23, v20, v17, vcc
	v_lshlrev_b32_e32 v17, 16, v3
	v_max_f32_e32 v21, v23, v23
	v_max_f32_e32 v19, v17, v17
	v_min_f32_e32 v24, v21, v19
	v_cmp_u_f32_e32 vcc, v23, v23
	v_max_f32_e32 v21, v21, v19
	v_cndmask_b32_e32 v24, v24, v23, vcc
	v_cmp_u_f32_e64 s[56:57], v17, v17
	v_cndmask_b32_e32 v21, v21, v23, vcc
	v_cndmask_b32_e64 v24, v24, v17, s[56:57]
	v_cndmask_b32_e64 v21, v21, v17, s[56:57]
	v_cmp_neq_f32_e32 vcc, v24, v21
	v_cmp_class_f32_e64 s[2:3], v24, s6
	s_or_b64 s[8:9], vcc, s[2:3]
	s_and_saveexec_b64 s[2:3], s[8:9]
	s_cbranch_execz .LBB516_56
; %bb.55:
	v_sub_f32_e32 v23, v24, v21
	s_mov_b32 s6, 0x3fb8aa3b
	v_mul_f32_e32 v24, 0x3fb8aa3b, v23
	v_fma_f32 v25, v23, s6, -v24
	v_rndne_f32_e32 v26, v24
	v_fmac_f32_e32 v25, 0x32a5705f, v23
	v_sub_f32_e32 v24, v24, v26
	v_add_f32_e32 v24, v24, v25
	v_exp_f32_e32 v24, v24
	v_cvt_i32_f32_e32 v25, v26
	s_mov_b32 s6, 0xc2ce8ed0
	v_cmp_ngt_f32_e32 vcc, s6, v23
	s_mov_b32 s6, 0x42b17218
	v_ldexp_f32 v24, v24, v25
	v_cndmask_b32_e32 v24, 0, v24, vcc
	v_mov_b32_e32 v25, 0x7f800000
	v_cmp_nlt_f32_e32 vcc, s6, v23
	v_cndmask_b32_e32 v26, v25, v24, vcc
	v_add_f32_e32 v27, 1.0, v26
	v_cvt_f64_f32_e32 v[23:24], v27
	v_add_f32_e32 v28, -1.0, v27
	v_sub_f32_e32 v29, v28, v27
	v_sub_f32_e32 v28, v26, v28
	v_frexp_exp_i32_f64_e32 v23, v[23:24]
	v_add_f32_e32 v24, 1.0, v29
	v_add_f32_e32 v24, v28, v24
	v_frexp_mant_f32_e32 v28, v27
	s_mov_b32 s8, 0x3f2aaaab
	v_cmp_gt_f32_e32 vcc, s8, v28
	s_mov_b32 s8, 0x3f317218
	s_mov_b32 s6, 0x7f800000
	v_subbrev_co_u32_e32 v23, vcc, 0, v23, vcc
	v_sub_u32_e32 v28, 0, v23
	v_ldexp_f32 v27, v27, v28
	v_ldexp_f32 v24, v24, v28
	v_add_f32_e32 v28, -1.0, v27
	v_add_f32_e32 v31, 1.0, v27
	v_add_f32_e32 v29, 1.0, v28
	v_add_f32_e32 v32, -1.0, v31
	v_sub_f32_e32 v29, v27, v29
	v_sub_f32_e32 v27, v27, v32
	v_add_f32_e32 v29, v24, v29
	v_add_f32_e32 v24, v24, v27
	;; [unrolled: 1-line block ×3, first 2 shown]
	v_rcp_f32_e32 v32, v27
	v_add_f32_e32 v30, v28, v29
	v_sub_f32_e32 v28, v28, v30
	v_add_f32_e32 v28, v29, v28
	v_sub_f32_e32 v29, v31, v27
	v_add_f32_e32 v24, v24, v29
	v_mul_f32_e32 v29, v30, v32
	v_mul_f32_e32 v31, v27, v29
	v_fma_f32 v33, v29, v27, -v31
	v_fmac_f32_e32 v33, v29, v24
	v_add_f32_e32 v34, v31, v33
	v_sub_f32_e32 v35, v30, v34
	v_sub_f32_e32 v30, v30, v35
	;; [unrolled: 1-line block ×4, first 2 shown]
	v_add_f32_e32 v28, v28, v30
	v_sub_f32_e32 v30, v31, v33
	v_add_f32_e32 v28, v30, v28
	v_add_f32_e32 v30, v35, v28
	v_mul_f32_e32 v31, v32, v30
	v_mul_f32_e32 v33, v27, v31
	v_fma_f32 v27, v31, v27, -v33
	v_fmac_f32_e32 v27, v31, v24
	v_sub_f32_e32 v24, v35, v30
	v_add_f32_e32 v24, v28, v24
	v_add_f32_e32 v28, v33, v27
	v_sub_f32_e32 v34, v30, v28
	v_sub_f32_e32 v30, v30, v34
	;; [unrolled: 1-line block ×4, first 2 shown]
	v_add_f32_e32 v24, v24, v28
	v_sub_f32_e32 v27, v33, v27
	v_add_f32_e32 v24, v27, v24
	v_add_f32_e32 v27, v29, v31
	;; [unrolled: 1-line block ×3, first 2 shown]
	v_sub_f32_e32 v28, v27, v29
	v_mul_f32_e32 v24, v32, v24
	v_sub_f32_e32 v28, v31, v28
	v_add_f32_e32 v24, v28, v24
	v_cvt_f32_i32_e32 v23, v23
	v_add_f32_e32 v28, v27, v24
	v_mul_f32_e32 v29, v28, v28
	v_mov_b32_e32 v30, 0x3ecc95a3
	v_fmac_f32_e32 v30, 0x3e9b6dac, v29
	v_mov_b32_e32 v31, 0x3f2aaada
	v_fmac_f32_e32 v31, v29, v30
	v_mul_f32_e32 v30, 0x3f317218, v23
	v_fma_f32 v32, v23, s8, -v30
	v_fmac_f32_e32 v32, 0xb102e308, v23
	v_sub_f32_e32 v23, v28, v27
	v_sub_f32_e32 v23, v24, v23
	v_add_f32_e32 v24, v30, v32
	v_sub_f32_e32 v27, v24, v30
	v_ldexp_f32 v30, v28, 1
	v_mul_f32_e32 v28, v28, v29
	v_mul_f32_e32 v28, v28, v31
	v_add_f32_e32 v29, v30, v28
	v_sub_f32_e32 v30, v29, v30
	v_ldexp_f32 v23, v23, 1
	v_sub_f32_e32 v28, v28, v30
	v_add_f32_e32 v23, v23, v28
	v_add_f32_e32 v28, v29, v23
	v_sub_f32_e32 v29, v28, v29
	v_sub_f32_e32 v23, v23, v29
	v_add_f32_e32 v29, v24, v28
	v_sub_f32_e32 v30, v29, v24
	v_sub_f32_e32 v31, v29, v30
	;; [unrolled: 1-line block ×5, first 2 shown]
	v_add_f32_e32 v24, v28, v24
	v_add_f32_e32 v28, v27, v23
	v_sub_f32_e32 v30, v28, v27
	v_sub_f32_e32 v31, v28, v30
	v_sub_f32_e32 v27, v27, v31
	v_sub_f32_e32 v23, v23, v30
	v_add_f32_e32 v24, v28, v24
	v_add_f32_e32 v23, v23, v27
	;; [unrolled: 1-line block ×3, first 2 shown]
	v_sub_f32_e32 v28, v27, v29
	v_sub_f32_e32 v24, v24, v28
	v_add_f32_e32 v23, v23, v24
	v_add_f32_e32 v23, v27, v23
	v_cmp_neq_f32_e32 vcc, s6, v26
	s_mov_b32 s6, 0x33800000
	v_cndmask_b32_e32 v23, v25, v23, vcc
	v_cmp_lt_f32_e64 vcc, |v26|, s6
	v_cndmask_b32_e32 v23, v23, v26, vcc
	v_add_f32_e32 v23, v21, v23
.LBB516_56:
	s_or_b64 exec, exec, s[2:3]
	v_bfe_u32 v21, v23, 16, 1
	v_add3_u32 v21, v23, v21, s7
	v_and_b32_e32 v21, 0xffff0000, v21
	v_cmp_o_f32_e32 vcc, v23, v23
	v_cndmask_b32_e32 v23, v20, v21, vcc
	v_and_b32_e32 v3, 0xffff0000, v3
	v_max_f32_e32 v20, v23, v23
	v_max_f32_e32 v21, v3, v3
	v_min_f32_e32 v24, v20, v21
	v_cmp_u_f32_e32 vcc, v23, v23
	v_max_f32_e32 v20, v20, v21
	v_cndmask_b32_e32 v24, v24, v23, vcc
	v_cmp_u_f32_e64 s[58:59], v3, v3
	v_cndmask_b32_e32 v20, v20, v23, vcc
	v_cndmask_b32_e64 v24, v24, v3, s[58:59]
	v_cndmask_b32_e64 v20, v20, v3, s[58:59]
	s_movk_i32 s6, 0x1f8
	v_cmp_neq_f32_e32 vcc, v24, v20
	v_cmp_class_f32_e64 s[2:3], v24, s6
	s_or_b64 s[8:9], vcc, s[2:3]
	s_and_saveexec_b64 s[2:3], s[8:9]
	s_cbranch_execz .LBB516_58
; %bb.57:
	v_sub_f32_e32 v23, v24, v20
	s_mov_b32 s7, 0x3fb8aa3b
	v_mul_f32_e32 v24, 0x3fb8aa3b, v23
	v_fma_f32 v25, v23, s7, -v24
	v_rndne_f32_e32 v26, v24
	v_fmac_f32_e32 v25, 0x32a5705f, v23
	v_sub_f32_e32 v24, v24, v26
	v_add_f32_e32 v24, v24, v25
	v_exp_f32_e32 v24, v24
	v_cvt_i32_f32_e32 v25, v26
	s_mov_b32 s7, 0xc2ce8ed0
	v_cmp_ngt_f32_e32 vcc, s7, v23
	s_mov_b32 s7, 0x42b17218
	v_ldexp_f32 v24, v24, v25
	v_cndmask_b32_e32 v24, 0, v24, vcc
	v_mov_b32_e32 v25, 0x7f800000
	v_cmp_nlt_f32_e32 vcc, s7, v23
	v_cndmask_b32_e32 v26, v25, v24, vcc
	v_add_f32_e32 v27, 1.0, v26
	v_cvt_f64_f32_e32 v[23:24], v27
	v_add_f32_e32 v28, -1.0, v27
	v_sub_f32_e32 v29, v28, v27
	v_sub_f32_e32 v28, v26, v28
	v_frexp_exp_i32_f64_e32 v23, v[23:24]
	v_add_f32_e32 v24, 1.0, v29
	v_add_f32_e32 v24, v28, v24
	v_frexp_mant_f32_e32 v28, v27
	s_mov_b32 s8, 0x3f2aaaab
	v_cmp_gt_f32_e32 vcc, s8, v28
	s_mov_b32 s8, 0x3f317218
	s_mov_b32 s7, 0x7f800000
	v_subbrev_co_u32_e32 v23, vcc, 0, v23, vcc
	v_sub_u32_e32 v28, 0, v23
	v_ldexp_f32 v27, v27, v28
	v_ldexp_f32 v24, v24, v28
	v_add_f32_e32 v28, -1.0, v27
	v_add_f32_e32 v31, 1.0, v27
	v_add_f32_e32 v29, 1.0, v28
	v_add_f32_e32 v32, -1.0, v31
	v_sub_f32_e32 v29, v27, v29
	v_sub_f32_e32 v27, v27, v32
	v_add_f32_e32 v29, v24, v29
	v_add_f32_e32 v24, v24, v27
	;; [unrolled: 1-line block ×3, first 2 shown]
	v_rcp_f32_e32 v32, v27
	v_add_f32_e32 v30, v28, v29
	v_sub_f32_e32 v28, v28, v30
	v_add_f32_e32 v28, v29, v28
	v_sub_f32_e32 v29, v31, v27
	v_add_f32_e32 v24, v24, v29
	v_mul_f32_e32 v29, v30, v32
	v_mul_f32_e32 v31, v27, v29
	v_fma_f32 v33, v29, v27, -v31
	v_fmac_f32_e32 v33, v29, v24
	v_add_f32_e32 v34, v31, v33
	v_sub_f32_e32 v35, v30, v34
	v_sub_f32_e32 v30, v30, v35
	;; [unrolled: 1-line block ×4, first 2 shown]
	v_add_f32_e32 v28, v28, v30
	v_sub_f32_e32 v30, v31, v33
	v_add_f32_e32 v28, v30, v28
	v_add_f32_e32 v30, v35, v28
	v_mul_f32_e32 v31, v32, v30
	v_mul_f32_e32 v33, v27, v31
	v_fma_f32 v27, v31, v27, -v33
	v_fmac_f32_e32 v27, v31, v24
	v_sub_f32_e32 v24, v35, v30
	v_add_f32_e32 v24, v28, v24
	v_add_f32_e32 v28, v33, v27
	v_sub_f32_e32 v34, v30, v28
	v_sub_f32_e32 v30, v30, v34
	;; [unrolled: 1-line block ×4, first 2 shown]
	v_add_f32_e32 v24, v24, v28
	v_sub_f32_e32 v27, v33, v27
	v_add_f32_e32 v24, v27, v24
	v_add_f32_e32 v27, v29, v31
	;; [unrolled: 1-line block ×3, first 2 shown]
	v_sub_f32_e32 v28, v27, v29
	v_mul_f32_e32 v24, v32, v24
	v_sub_f32_e32 v28, v31, v28
	v_add_f32_e32 v24, v28, v24
	v_cvt_f32_i32_e32 v23, v23
	v_add_f32_e32 v28, v27, v24
	v_mul_f32_e32 v29, v28, v28
	v_mov_b32_e32 v30, 0x3ecc95a3
	v_fmac_f32_e32 v30, 0x3e9b6dac, v29
	v_mov_b32_e32 v31, 0x3f2aaada
	v_fmac_f32_e32 v31, v29, v30
	v_mul_f32_e32 v30, 0x3f317218, v23
	v_fma_f32 v32, v23, s8, -v30
	v_fmac_f32_e32 v32, 0xb102e308, v23
	v_sub_f32_e32 v23, v28, v27
	v_sub_f32_e32 v23, v24, v23
	v_add_f32_e32 v24, v30, v32
	v_sub_f32_e32 v27, v24, v30
	v_ldexp_f32 v30, v28, 1
	v_mul_f32_e32 v28, v28, v29
	v_mul_f32_e32 v28, v28, v31
	v_add_f32_e32 v29, v30, v28
	v_sub_f32_e32 v30, v29, v30
	v_ldexp_f32 v23, v23, 1
	v_sub_f32_e32 v28, v28, v30
	v_add_f32_e32 v23, v23, v28
	v_add_f32_e32 v28, v29, v23
	v_sub_f32_e32 v29, v28, v29
	v_sub_f32_e32 v23, v23, v29
	v_add_f32_e32 v29, v24, v28
	v_sub_f32_e32 v30, v29, v24
	v_sub_f32_e32 v31, v29, v30
	;; [unrolled: 1-line block ×5, first 2 shown]
	v_add_f32_e32 v24, v28, v24
	v_add_f32_e32 v28, v27, v23
	v_sub_f32_e32 v30, v28, v27
	v_sub_f32_e32 v31, v28, v30
	;; [unrolled: 1-line block ×4, first 2 shown]
	v_add_f32_e32 v24, v28, v24
	v_add_f32_e32 v23, v23, v27
	;; [unrolled: 1-line block ×3, first 2 shown]
	v_sub_f32_e32 v28, v27, v29
	v_sub_f32_e32 v24, v24, v28
	v_add_f32_e32 v23, v23, v24
	v_add_f32_e32 v23, v27, v23
	v_cmp_neq_f32_e32 vcc, s7, v26
	s_mov_b32 s7, 0x33800000
	v_cndmask_b32_e32 v23, v25, v23, vcc
	v_cmp_lt_f32_e64 vcc, |v26|, s7
	v_cndmask_b32_e32 v23, v23, v26, vcc
	v_add_f32_e32 v23, v20, v23
.LBB516_58:
	s_or_b64 exec, exec, s[2:3]
	v_bfe_u32 v20, v23, 16, 1
	s_movk_i32 s7, 0x7fff
	v_add3_u32 v20, v23, v20, s7
	v_and_b32_e32 v20, 0xffff0000, v20
	v_mov_b32_e32 v24, 0x7fc00000
	v_cmp_o_f32_e32 vcc, v23, v23
	v_cndmask_b32_e32 v26, v24, v20, vcc
	v_lshlrev_b32_e32 v20, 16, v4
	v_max_f32_e32 v25, v26, v26
	v_max_f32_e32 v23, v20, v20
	v_min_f32_e32 v27, v25, v23
	v_cmp_u_f32_e32 vcc, v26, v26
	v_max_f32_e32 v25, v25, v23
	v_cndmask_b32_e32 v27, v27, v26, vcc
	v_cmp_u_f32_e64 s[60:61], v20, v20
	v_cndmask_b32_e32 v25, v25, v26, vcc
	v_cndmask_b32_e64 v27, v27, v20, s[60:61]
	v_cndmask_b32_e64 v25, v25, v20, s[60:61]
	v_cmp_neq_f32_e32 vcc, v27, v25
	v_cmp_class_f32_e64 s[2:3], v27, s6
	s_or_b64 s[8:9], vcc, s[2:3]
	s_and_saveexec_b64 s[2:3], s[8:9]
	s_cbranch_execz .LBB516_60
; %bb.59:
	v_sub_f32_e32 v26, v27, v25
	s_mov_b32 s6, 0x3fb8aa3b
	v_mul_f32_e32 v27, 0x3fb8aa3b, v26
	v_fma_f32 v28, v26, s6, -v27
	v_rndne_f32_e32 v29, v27
	v_fmac_f32_e32 v28, 0x32a5705f, v26
	v_sub_f32_e32 v27, v27, v29
	v_add_f32_e32 v27, v27, v28
	v_exp_f32_e32 v27, v27
	v_cvt_i32_f32_e32 v28, v29
	s_mov_b32 s6, 0xc2ce8ed0
	v_cmp_ngt_f32_e32 vcc, s6, v26
	s_mov_b32 s6, 0x42b17218
	v_ldexp_f32 v27, v27, v28
	v_cndmask_b32_e32 v27, 0, v27, vcc
	v_mov_b32_e32 v28, 0x7f800000
	v_cmp_nlt_f32_e32 vcc, s6, v26
	v_cndmask_b32_e32 v29, v28, v27, vcc
	v_add_f32_e32 v30, 1.0, v29
	v_cvt_f64_f32_e32 v[26:27], v30
	v_add_f32_e32 v31, -1.0, v30
	v_sub_f32_e32 v32, v31, v30
	v_sub_f32_e32 v31, v29, v31
	v_frexp_exp_i32_f64_e32 v26, v[26:27]
	v_add_f32_e32 v27, 1.0, v32
	v_add_f32_e32 v27, v31, v27
	v_frexp_mant_f32_e32 v31, v30
	s_mov_b32 s8, 0x3f2aaaab
	v_cmp_gt_f32_e32 vcc, s8, v31
	s_mov_b32 s8, 0x3f317218
	s_mov_b32 s6, 0x7f800000
	v_subbrev_co_u32_e32 v26, vcc, 0, v26, vcc
	v_sub_u32_e32 v31, 0, v26
	v_ldexp_f32 v30, v30, v31
	v_ldexp_f32 v27, v27, v31
	v_add_f32_e32 v31, -1.0, v30
	v_add_f32_e32 v34, 1.0, v30
	v_add_f32_e32 v32, 1.0, v31
	v_add_f32_e32 v35, -1.0, v34
	v_sub_f32_e32 v32, v30, v32
	v_sub_f32_e32 v30, v30, v35
	v_add_f32_e32 v32, v27, v32
	v_add_f32_e32 v27, v27, v30
	;; [unrolled: 1-line block ×3, first 2 shown]
	v_rcp_f32_e32 v35, v30
	v_add_f32_e32 v33, v31, v32
	v_sub_f32_e32 v31, v31, v33
	v_add_f32_e32 v31, v32, v31
	v_sub_f32_e32 v32, v34, v30
	v_add_f32_e32 v27, v27, v32
	v_mul_f32_e32 v32, v33, v35
	v_mul_f32_e32 v34, v30, v32
	v_fma_f32 v36, v32, v30, -v34
	v_fmac_f32_e32 v36, v32, v27
	v_add_f32_e32 v37, v34, v36
	v_sub_f32_e32 v38, v33, v37
	v_sub_f32_e32 v33, v33, v38
	;; [unrolled: 1-line block ×4, first 2 shown]
	v_add_f32_e32 v31, v31, v33
	v_sub_f32_e32 v33, v34, v36
	v_add_f32_e32 v31, v33, v31
	v_add_f32_e32 v33, v38, v31
	v_mul_f32_e32 v34, v35, v33
	v_mul_f32_e32 v36, v30, v34
	v_fma_f32 v30, v34, v30, -v36
	v_fmac_f32_e32 v30, v34, v27
	v_sub_f32_e32 v27, v38, v33
	v_add_f32_e32 v27, v31, v27
	v_add_f32_e32 v31, v36, v30
	v_sub_f32_e32 v37, v33, v31
	v_sub_f32_e32 v33, v33, v37
	;; [unrolled: 1-line block ×4, first 2 shown]
	v_add_f32_e32 v27, v27, v31
	v_sub_f32_e32 v30, v36, v30
	v_add_f32_e32 v27, v30, v27
	v_add_f32_e32 v30, v32, v34
	;; [unrolled: 1-line block ×3, first 2 shown]
	v_sub_f32_e32 v31, v30, v32
	v_mul_f32_e32 v27, v35, v27
	v_sub_f32_e32 v31, v34, v31
	v_add_f32_e32 v27, v31, v27
	v_cvt_f32_i32_e32 v26, v26
	v_add_f32_e32 v31, v30, v27
	v_mul_f32_e32 v32, v31, v31
	v_mov_b32_e32 v33, 0x3ecc95a3
	v_fmac_f32_e32 v33, 0x3e9b6dac, v32
	v_mov_b32_e32 v34, 0x3f2aaada
	v_fmac_f32_e32 v34, v32, v33
	v_mul_f32_e32 v33, 0x3f317218, v26
	v_fma_f32 v35, v26, s8, -v33
	v_fmac_f32_e32 v35, 0xb102e308, v26
	v_sub_f32_e32 v26, v31, v30
	v_sub_f32_e32 v26, v27, v26
	v_add_f32_e32 v27, v33, v35
	v_sub_f32_e32 v30, v27, v33
	v_ldexp_f32 v33, v31, 1
	v_mul_f32_e32 v31, v31, v32
	v_mul_f32_e32 v31, v31, v34
	v_add_f32_e32 v32, v33, v31
	v_sub_f32_e32 v33, v32, v33
	v_ldexp_f32 v26, v26, 1
	v_sub_f32_e32 v31, v31, v33
	v_add_f32_e32 v26, v26, v31
	v_add_f32_e32 v31, v32, v26
	v_sub_f32_e32 v32, v31, v32
	v_sub_f32_e32 v26, v26, v32
	v_add_f32_e32 v32, v27, v31
	v_sub_f32_e32 v33, v32, v27
	v_sub_f32_e32 v34, v32, v33
	;; [unrolled: 1-line block ×5, first 2 shown]
	v_add_f32_e32 v27, v31, v27
	v_add_f32_e32 v31, v30, v26
	v_sub_f32_e32 v33, v31, v30
	v_sub_f32_e32 v34, v31, v33
	;; [unrolled: 1-line block ×4, first 2 shown]
	v_add_f32_e32 v27, v31, v27
	v_add_f32_e32 v26, v26, v30
	;; [unrolled: 1-line block ×3, first 2 shown]
	v_sub_f32_e32 v31, v30, v32
	v_sub_f32_e32 v27, v27, v31
	v_add_f32_e32 v26, v26, v27
	v_add_f32_e32 v26, v30, v26
	v_cmp_neq_f32_e32 vcc, s6, v29
	s_mov_b32 s6, 0x33800000
	v_cndmask_b32_e32 v26, v28, v26, vcc
	v_cmp_lt_f32_e64 vcc, |v29|, s6
	v_cndmask_b32_e32 v26, v26, v29, vcc
	v_add_f32_e32 v26, v25, v26
.LBB516_60:
	s_or_b64 exec, exec, s[2:3]
	v_bfe_u32 v25, v26, 16, 1
	v_add3_u32 v25, v26, v25, s7
	v_and_b32_e32 v25, 0xffff0000, v25
	v_cmp_o_f32_e32 vcc, v26, v26
	v_cndmask_b32_e32 v26, v24, v25, vcc
	v_and_b32_e32 v4, 0xffff0000, v4
	v_max_f32_e32 v24, v26, v26
	v_max_f32_e32 v25, v4, v4
	v_min_f32_e32 v27, v24, v25
	v_cmp_u_f32_e32 vcc, v26, v26
	v_max_f32_e32 v24, v24, v25
	v_cndmask_b32_e32 v27, v27, v26, vcc
	v_cmp_u_f32_e64 s[62:63], v4, v4
	v_cndmask_b32_e32 v24, v24, v26, vcc
	v_cndmask_b32_e64 v27, v27, v4, s[62:63]
	v_cndmask_b32_e64 v24, v24, v4, s[62:63]
	s_movk_i32 s6, 0x1f8
	v_cmp_neq_f32_e32 vcc, v27, v24
	v_cmp_class_f32_e64 s[2:3], v27, s6
	s_or_b64 s[8:9], vcc, s[2:3]
	s_and_saveexec_b64 s[2:3], s[8:9]
	s_cbranch_execz .LBB516_62
; %bb.61:
	v_sub_f32_e32 v26, v27, v24
	s_mov_b32 s7, 0x3fb8aa3b
	v_mul_f32_e32 v27, 0x3fb8aa3b, v26
	v_fma_f32 v28, v26, s7, -v27
	v_rndne_f32_e32 v29, v27
	v_fmac_f32_e32 v28, 0x32a5705f, v26
	v_sub_f32_e32 v27, v27, v29
	v_add_f32_e32 v27, v27, v28
	v_exp_f32_e32 v27, v27
	v_cvt_i32_f32_e32 v28, v29
	s_mov_b32 s7, 0xc2ce8ed0
	v_cmp_ngt_f32_e32 vcc, s7, v26
	s_mov_b32 s7, 0x42b17218
	v_ldexp_f32 v27, v27, v28
	v_cndmask_b32_e32 v27, 0, v27, vcc
	v_mov_b32_e32 v28, 0x7f800000
	v_cmp_nlt_f32_e32 vcc, s7, v26
	v_cndmask_b32_e32 v29, v28, v27, vcc
	v_add_f32_e32 v30, 1.0, v29
	v_cvt_f64_f32_e32 v[26:27], v30
	v_add_f32_e32 v31, -1.0, v30
	v_sub_f32_e32 v32, v31, v30
	v_sub_f32_e32 v31, v29, v31
	v_frexp_exp_i32_f64_e32 v26, v[26:27]
	v_add_f32_e32 v27, 1.0, v32
	v_add_f32_e32 v27, v31, v27
	v_frexp_mant_f32_e32 v31, v30
	s_mov_b32 s8, 0x3f2aaaab
	v_cmp_gt_f32_e32 vcc, s8, v31
	s_mov_b32 s8, 0x3f317218
	s_mov_b32 s7, 0x7f800000
	v_subbrev_co_u32_e32 v26, vcc, 0, v26, vcc
	v_sub_u32_e32 v31, 0, v26
	v_ldexp_f32 v30, v30, v31
	v_ldexp_f32 v27, v27, v31
	v_add_f32_e32 v31, -1.0, v30
	v_add_f32_e32 v34, 1.0, v30
	v_add_f32_e32 v32, 1.0, v31
	v_add_f32_e32 v35, -1.0, v34
	v_sub_f32_e32 v32, v30, v32
	v_sub_f32_e32 v30, v30, v35
	v_add_f32_e32 v32, v27, v32
	v_add_f32_e32 v27, v27, v30
	;; [unrolled: 1-line block ×3, first 2 shown]
	v_rcp_f32_e32 v35, v30
	v_add_f32_e32 v33, v31, v32
	v_sub_f32_e32 v31, v31, v33
	v_add_f32_e32 v31, v32, v31
	v_sub_f32_e32 v32, v34, v30
	v_add_f32_e32 v27, v27, v32
	v_mul_f32_e32 v32, v33, v35
	v_mul_f32_e32 v34, v30, v32
	v_fma_f32 v36, v32, v30, -v34
	v_fmac_f32_e32 v36, v32, v27
	v_add_f32_e32 v37, v34, v36
	v_sub_f32_e32 v38, v33, v37
	v_sub_f32_e32 v33, v33, v38
	;; [unrolled: 1-line block ×4, first 2 shown]
	v_add_f32_e32 v31, v31, v33
	v_sub_f32_e32 v33, v34, v36
	v_add_f32_e32 v31, v33, v31
	v_add_f32_e32 v33, v38, v31
	v_mul_f32_e32 v34, v35, v33
	v_mul_f32_e32 v36, v30, v34
	v_fma_f32 v30, v34, v30, -v36
	v_fmac_f32_e32 v30, v34, v27
	v_sub_f32_e32 v27, v38, v33
	v_add_f32_e32 v27, v31, v27
	v_add_f32_e32 v31, v36, v30
	v_sub_f32_e32 v37, v33, v31
	v_sub_f32_e32 v33, v33, v37
	;; [unrolled: 1-line block ×4, first 2 shown]
	v_add_f32_e32 v27, v27, v31
	v_sub_f32_e32 v30, v36, v30
	v_add_f32_e32 v27, v30, v27
	v_add_f32_e32 v30, v32, v34
	;; [unrolled: 1-line block ×3, first 2 shown]
	v_sub_f32_e32 v31, v30, v32
	v_mul_f32_e32 v27, v35, v27
	v_sub_f32_e32 v31, v34, v31
	v_add_f32_e32 v27, v31, v27
	v_cvt_f32_i32_e32 v26, v26
	v_add_f32_e32 v31, v30, v27
	v_mul_f32_e32 v32, v31, v31
	v_mov_b32_e32 v33, 0x3ecc95a3
	v_fmac_f32_e32 v33, 0x3e9b6dac, v32
	v_mov_b32_e32 v34, 0x3f2aaada
	v_fmac_f32_e32 v34, v32, v33
	v_mul_f32_e32 v33, 0x3f317218, v26
	v_fma_f32 v35, v26, s8, -v33
	v_fmac_f32_e32 v35, 0xb102e308, v26
	v_sub_f32_e32 v26, v31, v30
	v_sub_f32_e32 v26, v27, v26
	v_add_f32_e32 v27, v33, v35
	v_sub_f32_e32 v30, v27, v33
	v_ldexp_f32 v33, v31, 1
	v_mul_f32_e32 v31, v31, v32
	v_mul_f32_e32 v31, v31, v34
	v_add_f32_e32 v32, v33, v31
	v_sub_f32_e32 v33, v32, v33
	v_ldexp_f32 v26, v26, 1
	v_sub_f32_e32 v31, v31, v33
	v_add_f32_e32 v26, v26, v31
	v_add_f32_e32 v31, v32, v26
	v_sub_f32_e32 v32, v31, v32
	v_sub_f32_e32 v26, v26, v32
	v_add_f32_e32 v32, v27, v31
	v_sub_f32_e32 v33, v32, v27
	v_sub_f32_e32 v34, v32, v33
	;; [unrolled: 1-line block ×5, first 2 shown]
	v_add_f32_e32 v27, v31, v27
	v_add_f32_e32 v31, v30, v26
	v_sub_f32_e32 v33, v31, v30
	v_sub_f32_e32 v34, v31, v33
	;; [unrolled: 1-line block ×4, first 2 shown]
	v_add_f32_e32 v27, v31, v27
	v_add_f32_e32 v26, v26, v30
	;; [unrolled: 1-line block ×3, first 2 shown]
	v_sub_f32_e32 v31, v30, v32
	v_sub_f32_e32 v27, v27, v31
	v_add_f32_e32 v26, v26, v27
	v_add_f32_e32 v26, v30, v26
	v_cmp_neq_f32_e32 vcc, s7, v29
	s_mov_b32 s7, 0x33800000
	v_cndmask_b32_e32 v26, v28, v26, vcc
	v_cmp_lt_f32_e64 vcc, |v29|, s7
	v_cndmask_b32_e32 v26, v26, v29, vcc
	v_add_f32_e32 v26, v24, v26
.LBB516_62:
	s_or_b64 exec, exec, s[2:3]
	v_bfe_u32 v24, v26, 16, 1
	s_movk_i32 s7, 0x7fff
	v_add3_u32 v24, v26, v24, s7
	v_and_b32_e32 v24, 0xffff0000, v24
	v_mov_b32_e32 v27, 0x7fc00000
	v_cmp_o_f32_e32 vcc, v26, v26
	v_cndmask_b32_e32 v29, v27, v24, vcc
	v_lshlrev_b32_e32 v24, 16, v9
	v_max_f32_e32 v28, v29, v29
	v_max_f32_e32 v26, v24, v24
	v_min_f32_e32 v30, v28, v26
	v_cmp_u_f32_e32 vcc, v29, v29
	v_max_f32_e32 v28, v28, v26
	v_cndmask_b32_e32 v30, v30, v29, vcc
	v_cmp_u_f32_e64 s[64:65], v24, v24
	v_cndmask_b32_e32 v28, v28, v29, vcc
	v_cndmask_b32_e64 v30, v30, v24, s[64:65]
	v_cndmask_b32_e64 v28, v28, v24, s[64:65]
	v_cmp_neq_f32_e32 vcc, v30, v28
	v_cmp_class_f32_e64 s[2:3], v30, s6
	s_or_b64 s[8:9], vcc, s[2:3]
	s_and_saveexec_b64 s[2:3], s[8:9]
	s_cbranch_execz .LBB516_64
; %bb.63:
	v_sub_f32_e32 v29, v30, v28
	s_mov_b32 s6, 0x3fb8aa3b
	v_mul_f32_e32 v30, 0x3fb8aa3b, v29
	v_fma_f32 v31, v29, s6, -v30
	v_rndne_f32_e32 v32, v30
	v_fmac_f32_e32 v31, 0x32a5705f, v29
	v_sub_f32_e32 v30, v30, v32
	v_add_f32_e32 v30, v30, v31
	v_exp_f32_e32 v30, v30
	v_cvt_i32_f32_e32 v31, v32
	s_mov_b32 s6, 0xc2ce8ed0
	v_cmp_ngt_f32_e32 vcc, s6, v29
	s_mov_b32 s6, 0x42b17218
	v_ldexp_f32 v30, v30, v31
	v_cndmask_b32_e32 v30, 0, v30, vcc
	v_mov_b32_e32 v31, 0x7f800000
	v_cmp_nlt_f32_e32 vcc, s6, v29
	v_cndmask_b32_e32 v32, v31, v30, vcc
	v_add_f32_e32 v33, 1.0, v32
	v_cvt_f64_f32_e32 v[29:30], v33
	v_add_f32_e32 v34, -1.0, v33
	v_sub_f32_e32 v35, v34, v33
	v_sub_f32_e32 v34, v32, v34
	v_frexp_exp_i32_f64_e32 v29, v[29:30]
	v_add_f32_e32 v30, 1.0, v35
	v_add_f32_e32 v30, v34, v30
	v_frexp_mant_f32_e32 v34, v33
	s_mov_b32 s8, 0x3f2aaaab
	v_cmp_gt_f32_e32 vcc, s8, v34
	s_mov_b32 s8, 0x3f317218
	s_mov_b32 s6, 0x7f800000
	v_subbrev_co_u32_e32 v29, vcc, 0, v29, vcc
	v_sub_u32_e32 v34, 0, v29
	v_ldexp_f32 v33, v33, v34
	v_ldexp_f32 v30, v30, v34
	v_add_f32_e32 v34, -1.0, v33
	v_add_f32_e32 v37, 1.0, v33
	v_add_f32_e32 v35, 1.0, v34
	v_add_f32_e32 v38, -1.0, v37
	v_sub_f32_e32 v35, v33, v35
	v_sub_f32_e32 v33, v33, v38
	v_add_f32_e32 v35, v30, v35
	v_add_f32_e32 v30, v30, v33
	;; [unrolled: 1-line block ×3, first 2 shown]
	v_rcp_f32_e32 v38, v33
	v_add_f32_e32 v36, v34, v35
	v_sub_f32_e32 v34, v34, v36
	v_add_f32_e32 v34, v35, v34
	v_sub_f32_e32 v35, v37, v33
	v_add_f32_e32 v30, v30, v35
	v_mul_f32_e32 v35, v36, v38
	v_mul_f32_e32 v37, v33, v35
	v_fma_f32 v39, v35, v33, -v37
	v_fmac_f32_e32 v39, v35, v30
	v_add_f32_e32 v40, v37, v39
	v_sub_f32_e32 v41, v36, v40
	v_sub_f32_e32 v36, v36, v41
	;; [unrolled: 1-line block ×4, first 2 shown]
	v_add_f32_e32 v34, v34, v36
	v_sub_f32_e32 v36, v37, v39
	v_add_f32_e32 v34, v36, v34
	v_add_f32_e32 v36, v41, v34
	v_mul_f32_e32 v37, v38, v36
	v_mul_f32_e32 v39, v33, v37
	v_fma_f32 v33, v37, v33, -v39
	v_fmac_f32_e32 v33, v37, v30
	v_sub_f32_e32 v30, v41, v36
	v_add_f32_e32 v30, v34, v30
	v_add_f32_e32 v34, v39, v33
	v_sub_f32_e32 v40, v36, v34
	v_sub_f32_e32 v36, v36, v40
	;; [unrolled: 1-line block ×4, first 2 shown]
	v_add_f32_e32 v30, v30, v34
	v_sub_f32_e32 v33, v39, v33
	v_add_f32_e32 v30, v33, v30
	v_add_f32_e32 v33, v35, v37
	v_add_f32_e32 v30, v40, v30
	v_sub_f32_e32 v34, v33, v35
	v_mul_f32_e32 v30, v38, v30
	v_sub_f32_e32 v34, v37, v34
	v_add_f32_e32 v30, v34, v30
	v_cvt_f32_i32_e32 v29, v29
	v_add_f32_e32 v34, v33, v30
	v_mul_f32_e32 v35, v34, v34
	v_mov_b32_e32 v36, 0x3ecc95a3
	v_fmac_f32_e32 v36, 0x3e9b6dac, v35
	v_mov_b32_e32 v37, 0x3f2aaada
	v_fmac_f32_e32 v37, v35, v36
	v_mul_f32_e32 v36, 0x3f317218, v29
	v_fma_f32 v38, v29, s8, -v36
	v_fmac_f32_e32 v38, 0xb102e308, v29
	v_sub_f32_e32 v29, v34, v33
	v_sub_f32_e32 v29, v30, v29
	v_add_f32_e32 v30, v36, v38
	v_sub_f32_e32 v33, v30, v36
	v_ldexp_f32 v36, v34, 1
	v_mul_f32_e32 v34, v34, v35
	v_mul_f32_e32 v34, v34, v37
	v_add_f32_e32 v35, v36, v34
	v_sub_f32_e32 v36, v35, v36
	v_ldexp_f32 v29, v29, 1
	v_sub_f32_e32 v34, v34, v36
	v_add_f32_e32 v29, v29, v34
	v_add_f32_e32 v34, v35, v29
	v_sub_f32_e32 v35, v34, v35
	v_sub_f32_e32 v29, v29, v35
	v_add_f32_e32 v35, v30, v34
	v_sub_f32_e32 v36, v35, v30
	v_sub_f32_e32 v37, v35, v36
	;; [unrolled: 1-line block ×5, first 2 shown]
	v_add_f32_e32 v30, v34, v30
	v_add_f32_e32 v34, v33, v29
	v_sub_f32_e32 v36, v34, v33
	v_sub_f32_e32 v37, v34, v36
	;; [unrolled: 1-line block ×4, first 2 shown]
	v_add_f32_e32 v30, v34, v30
	v_add_f32_e32 v29, v29, v33
	;; [unrolled: 1-line block ×3, first 2 shown]
	v_sub_f32_e32 v34, v33, v35
	v_sub_f32_e32 v30, v30, v34
	v_add_f32_e32 v29, v29, v30
	v_add_f32_e32 v29, v33, v29
	v_cmp_neq_f32_e32 vcc, s6, v32
	s_mov_b32 s6, 0x33800000
	v_cndmask_b32_e32 v29, v31, v29, vcc
	v_cmp_lt_f32_e64 vcc, |v32|, s6
	v_cndmask_b32_e32 v29, v29, v32, vcc
	v_add_f32_e32 v29, v28, v29
.LBB516_64:
	s_or_b64 exec, exec, s[2:3]
	v_bfe_u32 v28, v29, 16, 1
	v_add3_u32 v28, v29, v28, s7
	v_and_b32_e32 v28, 0xffff0000, v28
	v_cmp_o_f32_e32 vcc, v29, v29
	v_cndmask_b32_e32 v29, v27, v28, vcc
	v_and_b32_e32 v9, 0xffff0000, v9
	v_max_f32_e32 v27, v29, v29
	v_max_f32_e32 v28, v9, v9
	v_min_f32_e32 v30, v27, v28
	v_cmp_u_f32_e32 vcc, v29, v29
	v_max_f32_e32 v27, v27, v28
	v_cndmask_b32_e32 v30, v30, v29, vcc
	v_cmp_u_f32_e64 s[66:67], v9, v9
	v_cndmask_b32_e32 v27, v27, v29, vcc
	v_cndmask_b32_e64 v30, v30, v9, s[66:67]
	v_cndmask_b32_e64 v27, v27, v9, s[66:67]
	s_movk_i32 s6, 0x1f8
	v_cmp_neq_f32_e32 vcc, v30, v27
	v_cmp_class_f32_e64 s[2:3], v30, s6
	s_or_b64 s[8:9], vcc, s[2:3]
	s_and_saveexec_b64 s[2:3], s[8:9]
	s_cbranch_execz .LBB516_66
; %bb.65:
	v_sub_f32_e32 v29, v30, v27
	s_mov_b32 s7, 0x3fb8aa3b
	v_mul_f32_e32 v30, 0x3fb8aa3b, v29
	v_fma_f32 v31, v29, s7, -v30
	v_rndne_f32_e32 v32, v30
	v_fmac_f32_e32 v31, 0x32a5705f, v29
	v_sub_f32_e32 v30, v30, v32
	v_add_f32_e32 v30, v30, v31
	v_exp_f32_e32 v30, v30
	v_cvt_i32_f32_e32 v31, v32
	s_mov_b32 s7, 0xc2ce8ed0
	v_cmp_ngt_f32_e32 vcc, s7, v29
	s_mov_b32 s7, 0x42b17218
	v_ldexp_f32 v30, v30, v31
	v_cndmask_b32_e32 v30, 0, v30, vcc
	v_mov_b32_e32 v31, 0x7f800000
	v_cmp_nlt_f32_e32 vcc, s7, v29
	v_cndmask_b32_e32 v32, v31, v30, vcc
	v_add_f32_e32 v33, 1.0, v32
	v_cvt_f64_f32_e32 v[29:30], v33
	v_add_f32_e32 v34, -1.0, v33
	v_sub_f32_e32 v35, v34, v33
	v_sub_f32_e32 v34, v32, v34
	v_frexp_exp_i32_f64_e32 v29, v[29:30]
	v_add_f32_e32 v30, 1.0, v35
	v_add_f32_e32 v30, v34, v30
	v_frexp_mant_f32_e32 v34, v33
	s_mov_b32 s8, 0x3f2aaaab
	v_cmp_gt_f32_e32 vcc, s8, v34
	s_mov_b32 s8, 0x3f317218
	s_mov_b32 s7, 0x7f800000
	v_subbrev_co_u32_e32 v29, vcc, 0, v29, vcc
	v_sub_u32_e32 v34, 0, v29
	v_ldexp_f32 v33, v33, v34
	v_ldexp_f32 v30, v30, v34
	v_add_f32_e32 v34, -1.0, v33
	v_add_f32_e32 v37, 1.0, v33
	v_add_f32_e32 v35, 1.0, v34
	v_add_f32_e32 v38, -1.0, v37
	v_sub_f32_e32 v35, v33, v35
	v_sub_f32_e32 v33, v33, v38
	v_add_f32_e32 v35, v30, v35
	v_add_f32_e32 v30, v30, v33
	;; [unrolled: 1-line block ×3, first 2 shown]
	v_rcp_f32_e32 v38, v33
	v_add_f32_e32 v36, v34, v35
	v_sub_f32_e32 v34, v34, v36
	v_add_f32_e32 v34, v35, v34
	v_sub_f32_e32 v35, v37, v33
	v_add_f32_e32 v30, v30, v35
	v_mul_f32_e32 v35, v36, v38
	v_mul_f32_e32 v37, v33, v35
	v_fma_f32 v39, v35, v33, -v37
	v_fmac_f32_e32 v39, v35, v30
	v_add_f32_e32 v40, v37, v39
	v_sub_f32_e32 v41, v36, v40
	v_sub_f32_e32 v36, v36, v41
	;; [unrolled: 1-line block ×4, first 2 shown]
	v_add_f32_e32 v34, v34, v36
	v_sub_f32_e32 v36, v37, v39
	v_add_f32_e32 v34, v36, v34
	v_add_f32_e32 v36, v41, v34
	v_mul_f32_e32 v37, v38, v36
	v_mul_f32_e32 v39, v33, v37
	v_fma_f32 v33, v37, v33, -v39
	v_fmac_f32_e32 v33, v37, v30
	v_sub_f32_e32 v30, v41, v36
	v_add_f32_e32 v30, v34, v30
	v_add_f32_e32 v34, v39, v33
	v_sub_f32_e32 v40, v36, v34
	v_sub_f32_e32 v36, v36, v40
	;; [unrolled: 1-line block ×4, first 2 shown]
	v_add_f32_e32 v30, v30, v34
	v_sub_f32_e32 v33, v39, v33
	v_add_f32_e32 v30, v33, v30
	v_add_f32_e32 v33, v35, v37
	v_add_f32_e32 v30, v40, v30
	v_sub_f32_e32 v34, v33, v35
	v_mul_f32_e32 v30, v38, v30
	v_sub_f32_e32 v34, v37, v34
	v_add_f32_e32 v30, v34, v30
	v_cvt_f32_i32_e32 v29, v29
	v_add_f32_e32 v34, v33, v30
	v_mul_f32_e32 v35, v34, v34
	v_mov_b32_e32 v36, 0x3ecc95a3
	v_fmac_f32_e32 v36, 0x3e9b6dac, v35
	v_mov_b32_e32 v37, 0x3f2aaada
	v_fmac_f32_e32 v37, v35, v36
	v_mul_f32_e32 v36, 0x3f317218, v29
	v_fma_f32 v38, v29, s8, -v36
	v_fmac_f32_e32 v38, 0xb102e308, v29
	v_sub_f32_e32 v29, v34, v33
	v_sub_f32_e32 v29, v30, v29
	v_add_f32_e32 v30, v36, v38
	v_sub_f32_e32 v33, v30, v36
	v_ldexp_f32 v36, v34, 1
	v_mul_f32_e32 v34, v34, v35
	v_mul_f32_e32 v34, v34, v37
	v_add_f32_e32 v35, v36, v34
	v_sub_f32_e32 v36, v35, v36
	v_ldexp_f32 v29, v29, 1
	v_sub_f32_e32 v34, v34, v36
	v_add_f32_e32 v29, v29, v34
	v_add_f32_e32 v34, v35, v29
	v_sub_f32_e32 v35, v34, v35
	v_sub_f32_e32 v29, v29, v35
	v_add_f32_e32 v35, v30, v34
	v_sub_f32_e32 v36, v35, v30
	v_sub_f32_e32 v37, v35, v36
	;; [unrolled: 1-line block ×5, first 2 shown]
	v_add_f32_e32 v30, v34, v30
	v_add_f32_e32 v34, v33, v29
	v_sub_f32_e32 v36, v34, v33
	v_sub_f32_e32 v37, v34, v36
	;; [unrolled: 1-line block ×4, first 2 shown]
	v_add_f32_e32 v30, v34, v30
	v_add_f32_e32 v29, v29, v33
	;; [unrolled: 1-line block ×3, first 2 shown]
	v_sub_f32_e32 v34, v33, v35
	v_sub_f32_e32 v30, v30, v34
	v_add_f32_e32 v29, v29, v30
	v_add_f32_e32 v29, v33, v29
	v_cmp_neq_f32_e32 vcc, s7, v32
	s_mov_b32 s7, 0x33800000
	v_cndmask_b32_e32 v29, v31, v29, vcc
	v_cmp_lt_f32_e64 vcc, |v32|, s7
	v_cndmask_b32_e32 v29, v29, v32, vcc
	v_add_f32_e32 v29, v27, v29
.LBB516_66:
	s_or_b64 exec, exec, s[2:3]
	v_bfe_u32 v27, v29, 16, 1
	s_movk_i32 s7, 0x7fff
	v_add3_u32 v27, v29, v27, s7
	v_and_b32_e32 v27, 0xffff0000, v27
	v_mov_b32_e32 v30, 0x7fc00000
	v_cmp_o_f32_e32 vcc, v29, v29
	v_cndmask_b32_e32 v32, v30, v27, vcc
	v_lshlrev_b32_e32 v27, 16, v10
	v_max_f32_e32 v31, v32, v32
	v_max_f32_e32 v29, v27, v27
	v_min_f32_e32 v33, v31, v29
	v_cmp_u_f32_e32 vcc, v32, v32
	v_max_f32_e32 v31, v31, v29
	v_cndmask_b32_e32 v33, v33, v32, vcc
	v_cmp_u_f32_e64 s[68:69], v27, v27
	v_cndmask_b32_e32 v31, v31, v32, vcc
	v_cndmask_b32_e64 v33, v33, v27, s[68:69]
	v_cndmask_b32_e64 v31, v31, v27, s[68:69]
	v_cmp_neq_f32_e32 vcc, v33, v31
	v_cmp_class_f32_e64 s[2:3], v33, s6
	s_or_b64 s[8:9], vcc, s[2:3]
	s_and_saveexec_b64 s[2:3], s[8:9]
	s_cbranch_execz .LBB516_68
; %bb.67:
	v_sub_f32_e32 v32, v33, v31
	s_mov_b32 s6, 0x3fb8aa3b
	v_mul_f32_e32 v33, 0x3fb8aa3b, v32
	v_fma_f32 v34, v32, s6, -v33
	v_rndne_f32_e32 v35, v33
	v_fmac_f32_e32 v34, 0x32a5705f, v32
	v_sub_f32_e32 v33, v33, v35
	v_add_f32_e32 v33, v33, v34
	v_exp_f32_e32 v33, v33
	v_cvt_i32_f32_e32 v34, v35
	s_mov_b32 s6, 0xc2ce8ed0
	v_cmp_ngt_f32_e32 vcc, s6, v32
	s_mov_b32 s6, 0x42b17218
	v_ldexp_f32 v33, v33, v34
	v_cndmask_b32_e32 v33, 0, v33, vcc
	v_mov_b32_e32 v34, 0x7f800000
	v_cmp_nlt_f32_e32 vcc, s6, v32
	v_cndmask_b32_e32 v35, v34, v33, vcc
	v_add_f32_e32 v36, 1.0, v35
	v_cvt_f64_f32_e32 v[32:33], v36
	v_add_f32_e32 v37, -1.0, v36
	v_sub_f32_e32 v38, v37, v36
	v_sub_f32_e32 v37, v35, v37
	v_frexp_exp_i32_f64_e32 v32, v[32:33]
	v_add_f32_e32 v33, 1.0, v38
	v_add_f32_e32 v33, v37, v33
	v_frexp_mant_f32_e32 v37, v36
	s_mov_b32 s8, 0x3f2aaaab
	v_cmp_gt_f32_e32 vcc, s8, v37
	s_mov_b32 s8, 0x3f317218
	s_mov_b32 s6, 0x7f800000
	v_subbrev_co_u32_e32 v32, vcc, 0, v32, vcc
	v_sub_u32_e32 v37, 0, v32
	v_ldexp_f32 v36, v36, v37
	v_ldexp_f32 v33, v33, v37
	v_add_f32_e32 v37, -1.0, v36
	v_add_f32_e32 v40, 1.0, v36
	v_add_f32_e32 v38, 1.0, v37
	v_add_f32_e32 v41, -1.0, v40
	v_sub_f32_e32 v38, v36, v38
	v_sub_f32_e32 v36, v36, v41
	v_add_f32_e32 v38, v33, v38
	v_add_f32_e32 v33, v33, v36
	v_add_f32_e32 v36, v40, v33
	v_rcp_f32_e32 v41, v36
	v_add_f32_e32 v39, v37, v38
	v_sub_f32_e32 v37, v37, v39
	v_add_f32_e32 v37, v38, v37
	v_sub_f32_e32 v38, v40, v36
	v_add_f32_e32 v33, v33, v38
	v_mul_f32_e32 v38, v39, v41
	v_mul_f32_e32 v40, v36, v38
	v_fma_f32 v42, v38, v36, -v40
	v_fmac_f32_e32 v42, v38, v33
	v_add_f32_e32 v43, v40, v42
	v_sub_f32_e32 v44, v39, v43
	v_sub_f32_e32 v39, v39, v44
	;; [unrolled: 1-line block ×4, first 2 shown]
	v_add_f32_e32 v37, v37, v39
	v_sub_f32_e32 v39, v40, v42
	v_add_f32_e32 v37, v39, v37
	v_add_f32_e32 v39, v44, v37
	v_mul_f32_e32 v40, v41, v39
	v_mul_f32_e32 v42, v36, v40
	v_fma_f32 v36, v40, v36, -v42
	v_fmac_f32_e32 v36, v40, v33
	v_sub_f32_e32 v33, v44, v39
	v_add_f32_e32 v33, v37, v33
	v_add_f32_e32 v37, v42, v36
	v_sub_f32_e32 v43, v39, v37
	v_sub_f32_e32 v39, v39, v43
	;; [unrolled: 1-line block ×4, first 2 shown]
	v_add_f32_e32 v33, v33, v37
	v_sub_f32_e32 v36, v42, v36
	v_add_f32_e32 v33, v36, v33
	v_add_f32_e32 v36, v38, v40
	v_add_f32_e32 v33, v43, v33
	v_sub_f32_e32 v37, v36, v38
	v_mul_f32_e32 v33, v41, v33
	v_sub_f32_e32 v37, v40, v37
	v_add_f32_e32 v33, v37, v33
	v_cvt_f32_i32_e32 v32, v32
	v_add_f32_e32 v37, v36, v33
	v_mul_f32_e32 v38, v37, v37
	v_mov_b32_e32 v39, 0x3ecc95a3
	v_fmac_f32_e32 v39, 0x3e9b6dac, v38
	v_mov_b32_e32 v40, 0x3f2aaada
	v_fmac_f32_e32 v40, v38, v39
	v_mul_f32_e32 v39, 0x3f317218, v32
	v_fma_f32 v41, v32, s8, -v39
	v_fmac_f32_e32 v41, 0xb102e308, v32
	v_sub_f32_e32 v32, v37, v36
	v_sub_f32_e32 v32, v33, v32
	v_add_f32_e32 v33, v39, v41
	v_sub_f32_e32 v36, v33, v39
	v_ldexp_f32 v39, v37, 1
	v_mul_f32_e32 v37, v37, v38
	v_mul_f32_e32 v37, v37, v40
	v_add_f32_e32 v38, v39, v37
	v_sub_f32_e32 v39, v38, v39
	v_ldexp_f32 v32, v32, 1
	v_sub_f32_e32 v37, v37, v39
	v_add_f32_e32 v32, v32, v37
	v_add_f32_e32 v37, v38, v32
	v_sub_f32_e32 v38, v37, v38
	v_sub_f32_e32 v32, v32, v38
	v_add_f32_e32 v38, v33, v37
	v_sub_f32_e32 v39, v38, v33
	v_sub_f32_e32 v40, v38, v39
	;; [unrolled: 1-line block ×5, first 2 shown]
	v_add_f32_e32 v33, v37, v33
	v_add_f32_e32 v37, v36, v32
	v_sub_f32_e32 v39, v37, v36
	v_sub_f32_e32 v40, v37, v39
	v_sub_f32_e32 v36, v36, v40
	v_sub_f32_e32 v32, v32, v39
	v_add_f32_e32 v33, v37, v33
	v_add_f32_e32 v32, v32, v36
	;; [unrolled: 1-line block ×3, first 2 shown]
	v_sub_f32_e32 v37, v36, v38
	v_sub_f32_e32 v33, v33, v37
	v_add_f32_e32 v32, v32, v33
	v_add_f32_e32 v32, v36, v32
	v_cmp_neq_f32_e32 vcc, s6, v35
	s_mov_b32 s6, 0x33800000
	v_cndmask_b32_e32 v32, v34, v32, vcc
	v_cmp_lt_f32_e64 vcc, |v35|, s6
	v_cndmask_b32_e32 v32, v32, v35, vcc
	v_add_f32_e32 v32, v31, v32
.LBB516_68:
	s_or_b64 exec, exec, s[2:3]
	v_bfe_u32 v31, v32, 16, 1
	v_add3_u32 v31, v32, v31, s7
	v_and_b32_e32 v31, 0xffff0000, v31
	v_cmp_o_f32_e32 vcc, v32, v32
	v_cndmask_b32_e32 v32, v30, v31, vcc
	v_and_b32_e32 v10, 0xffff0000, v10
	v_max_f32_e32 v30, v32, v32
	v_max_f32_e32 v31, v10, v10
	v_min_f32_e32 v33, v30, v31
	v_cmp_u_f32_e32 vcc, v32, v32
	v_max_f32_e32 v30, v30, v31
	v_cndmask_b32_e32 v33, v33, v32, vcc
	v_cmp_u_f32_e64 s[70:71], v10, v10
	v_cndmask_b32_e32 v30, v30, v32, vcc
	v_cndmask_b32_e64 v33, v33, v10, s[70:71]
	v_cndmask_b32_e64 v30, v30, v10, s[70:71]
	s_movk_i32 s6, 0x1f8
	v_cmp_neq_f32_e32 vcc, v33, v30
	v_cmp_class_f32_e64 s[2:3], v33, s6
	s_or_b64 s[8:9], vcc, s[2:3]
	s_and_saveexec_b64 s[2:3], s[8:9]
	s_cbranch_execz .LBB516_70
; %bb.69:
	v_sub_f32_e32 v32, v33, v30
	s_mov_b32 s7, 0x3fb8aa3b
	v_mul_f32_e32 v33, 0x3fb8aa3b, v32
	v_fma_f32 v34, v32, s7, -v33
	v_rndne_f32_e32 v35, v33
	v_fmac_f32_e32 v34, 0x32a5705f, v32
	v_sub_f32_e32 v33, v33, v35
	v_add_f32_e32 v33, v33, v34
	v_exp_f32_e32 v33, v33
	v_cvt_i32_f32_e32 v34, v35
	s_mov_b32 s7, 0xc2ce8ed0
	v_cmp_ngt_f32_e32 vcc, s7, v32
	s_mov_b32 s7, 0x42b17218
	v_ldexp_f32 v33, v33, v34
	v_cndmask_b32_e32 v33, 0, v33, vcc
	v_mov_b32_e32 v34, 0x7f800000
	v_cmp_nlt_f32_e32 vcc, s7, v32
	v_cndmask_b32_e32 v35, v34, v33, vcc
	v_add_f32_e32 v36, 1.0, v35
	v_cvt_f64_f32_e32 v[32:33], v36
	v_add_f32_e32 v37, -1.0, v36
	v_sub_f32_e32 v38, v37, v36
	v_sub_f32_e32 v37, v35, v37
	v_frexp_exp_i32_f64_e32 v32, v[32:33]
	v_add_f32_e32 v33, 1.0, v38
	v_add_f32_e32 v33, v37, v33
	v_frexp_mant_f32_e32 v37, v36
	s_mov_b32 s8, 0x3f2aaaab
	v_cmp_gt_f32_e32 vcc, s8, v37
	s_mov_b32 s8, 0x3f317218
	s_mov_b32 s7, 0x7f800000
	v_subbrev_co_u32_e32 v32, vcc, 0, v32, vcc
	v_sub_u32_e32 v37, 0, v32
	v_ldexp_f32 v36, v36, v37
	v_ldexp_f32 v33, v33, v37
	v_add_f32_e32 v37, -1.0, v36
	v_add_f32_e32 v40, 1.0, v36
	v_add_f32_e32 v38, 1.0, v37
	v_add_f32_e32 v41, -1.0, v40
	v_sub_f32_e32 v38, v36, v38
	v_sub_f32_e32 v36, v36, v41
	v_add_f32_e32 v38, v33, v38
	v_add_f32_e32 v33, v33, v36
	;; [unrolled: 1-line block ×3, first 2 shown]
	v_rcp_f32_e32 v41, v36
	v_add_f32_e32 v39, v37, v38
	v_sub_f32_e32 v37, v37, v39
	v_add_f32_e32 v37, v38, v37
	v_sub_f32_e32 v38, v40, v36
	v_add_f32_e32 v33, v33, v38
	v_mul_f32_e32 v38, v39, v41
	v_mul_f32_e32 v40, v36, v38
	v_fma_f32 v42, v38, v36, -v40
	v_fmac_f32_e32 v42, v38, v33
	v_add_f32_e32 v43, v40, v42
	v_sub_f32_e32 v44, v39, v43
	v_sub_f32_e32 v39, v39, v44
	;; [unrolled: 1-line block ×4, first 2 shown]
	v_add_f32_e32 v37, v37, v39
	v_sub_f32_e32 v39, v40, v42
	v_add_f32_e32 v37, v39, v37
	v_add_f32_e32 v39, v44, v37
	v_mul_f32_e32 v40, v41, v39
	v_mul_f32_e32 v42, v36, v40
	v_fma_f32 v36, v40, v36, -v42
	v_fmac_f32_e32 v36, v40, v33
	v_sub_f32_e32 v33, v44, v39
	v_add_f32_e32 v33, v37, v33
	v_add_f32_e32 v37, v42, v36
	v_sub_f32_e32 v43, v39, v37
	v_sub_f32_e32 v39, v39, v43
	;; [unrolled: 1-line block ×4, first 2 shown]
	v_add_f32_e32 v33, v33, v37
	v_sub_f32_e32 v36, v42, v36
	v_add_f32_e32 v33, v36, v33
	v_add_f32_e32 v36, v38, v40
	;; [unrolled: 1-line block ×3, first 2 shown]
	v_sub_f32_e32 v37, v36, v38
	v_mul_f32_e32 v33, v41, v33
	v_sub_f32_e32 v37, v40, v37
	v_add_f32_e32 v33, v37, v33
	v_cvt_f32_i32_e32 v32, v32
	v_add_f32_e32 v37, v36, v33
	v_mul_f32_e32 v38, v37, v37
	v_mov_b32_e32 v39, 0x3ecc95a3
	v_fmac_f32_e32 v39, 0x3e9b6dac, v38
	v_mov_b32_e32 v40, 0x3f2aaada
	v_fmac_f32_e32 v40, v38, v39
	v_mul_f32_e32 v39, 0x3f317218, v32
	v_fma_f32 v41, v32, s8, -v39
	v_fmac_f32_e32 v41, 0xb102e308, v32
	v_sub_f32_e32 v32, v37, v36
	v_sub_f32_e32 v32, v33, v32
	v_add_f32_e32 v33, v39, v41
	v_sub_f32_e32 v36, v33, v39
	v_ldexp_f32 v39, v37, 1
	v_mul_f32_e32 v37, v37, v38
	v_mul_f32_e32 v37, v37, v40
	v_add_f32_e32 v38, v39, v37
	v_sub_f32_e32 v39, v38, v39
	v_ldexp_f32 v32, v32, 1
	v_sub_f32_e32 v37, v37, v39
	v_add_f32_e32 v32, v32, v37
	v_add_f32_e32 v37, v38, v32
	v_sub_f32_e32 v38, v37, v38
	v_sub_f32_e32 v32, v32, v38
	v_add_f32_e32 v38, v33, v37
	v_sub_f32_e32 v39, v38, v33
	v_sub_f32_e32 v40, v38, v39
	;; [unrolled: 1-line block ×5, first 2 shown]
	v_add_f32_e32 v33, v37, v33
	v_add_f32_e32 v37, v36, v32
	v_sub_f32_e32 v39, v37, v36
	v_sub_f32_e32 v40, v37, v39
	;; [unrolled: 1-line block ×4, first 2 shown]
	v_add_f32_e32 v33, v37, v33
	v_add_f32_e32 v32, v32, v36
	;; [unrolled: 1-line block ×3, first 2 shown]
	v_sub_f32_e32 v37, v36, v38
	v_sub_f32_e32 v33, v33, v37
	v_add_f32_e32 v32, v32, v33
	v_add_f32_e32 v32, v36, v32
	v_cmp_neq_f32_e32 vcc, s7, v35
	s_mov_b32 s7, 0x33800000
	v_cndmask_b32_e32 v32, v34, v32, vcc
	v_cmp_lt_f32_e64 vcc, |v35|, s7
	v_cndmask_b32_e32 v32, v32, v35, vcc
	v_add_f32_e32 v32, v30, v32
.LBB516_70:
	s_or_b64 exec, exec, s[2:3]
	v_bfe_u32 v30, v32, 16, 1
	s_movk_i32 s7, 0x7fff
	v_add3_u32 v30, v32, v30, s7
	v_and_b32_e32 v30, 0xffff0000, v30
	v_mov_b32_e32 v33, 0x7fc00000
	v_cmp_o_f32_e32 vcc, v32, v32
	v_cndmask_b32_e32 v35, v33, v30, vcc
	v_lshlrev_b32_e32 v30, 16, v11
	v_max_f32_e32 v34, v35, v35
	v_max_f32_e32 v32, v30, v30
	v_min_f32_e32 v36, v34, v32
	v_cmp_u_f32_e32 vcc, v35, v35
	v_max_f32_e32 v34, v34, v32
	v_cndmask_b32_e32 v36, v36, v35, vcc
	v_cmp_u_f32_e64 s[72:73], v30, v30
	v_cndmask_b32_e32 v34, v34, v35, vcc
	v_cndmask_b32_e64 v36, v36, v30, s[72:73]
	v_cndmask_b32_e64 v34, v34, v30, s[72:73]
	v_cmp_neq_f32_e32 vcc, v36, v34
	v_cmp_class_f32_e64 s[2:3], v36, s6
	s_or_b64 s[8:9], vcc, s[2:3]
	s_and_saveexec_b64 s[2:3], s[8:9]
	s_cbranch_execz .LBB516_72
; %bb.71:
	v_sub_f32_e32 v35, v36, v34
	s_mov_b32 s6, 0x3fb8aa3b
	v_mul_f32_e32 v36, 0x3fb8aa3b, v35
	v_fma_f32 v37, v35, s6, -v36
	v_rndne_f32_e32 v38, v36
	v_fmac_f32_e32 v37, 0x32a5705f, v35
	v_sub_f32_e32 v36, v36, v38
	v_add_f32_e32 v36, v36, v37
	v_exp_f32_e32 v36, v36
	v_cvt_i32_f32_e32 v37, v38
	s_mov_b32 s6, 0xc2ce8ed0
	v_cmp_ngt_f32_e32 vcc, s6, v35
	s_mov_b32 s6, 0x42b17218
	v_ldexp_f32 v36, v36, v37
	v_cndmask_b32_e32 v36, 0, v36, vcc
	v_mov_b32_e32 v37, 0x7f800000
	v_cmp_nlt_f32_e32 vcc, s6, v35
	v_cndmask_b32_e32 v38, v37, v36, vcc
	v_add_f32_e32 v39, 1.0, v38
	v_cvt_f64_f32_e32 v[35:36], v39
	v_add_f32_e32 v40, -1.0, v39
	v_sub_f32_e32 v41, v40, v39
	v_sub_f32_e32 v40, v38, v40
	v_frexp_exp_i32_f64_e32 v35, v[35:36]
	v_add_f32_e32 v36, 1.0, v41
	v_add_f32_e32 v36, v40, v36
	v_frexp_mant_f32_e32 v40, v39
	s_mov_b32 s8, 0x3f2aaaab
	v_cmp_gt_f32_e32 vcc, s8, v40
	s_mov_b32 s8, 0x3f317218
	s_mov_b32 s6, 0x7f800000
	v_subbrev_co_u32_e32 v35, vcc, 0, v35, vcc
	v_sub_u32_e32 v40, 0, v35
	v_ldexp_f32 v39, v39, v40
	v_ldexp_f32 v36, v36, v40
	v_add_f32_e32 v40, -1.0, v39
	v_add_f32_e32 v43, 1.0, v39
	v_add_f32_e32 v41, 1.0, v40
	v_add_f32_e32 v44, -1.0, v43
	v_sub_f32_e32 v41, v39, v41
	v_sub_f32_e32 v39, v39, v44
	v_add_f32_e32 v41, v36, v41
	v_add_f32_e32 v36, v36, v39
	;; [unrolled: 1-line block ×3, first 2 shown]
	v_rcp_f32_e32 v44, v39
	v_add_f32_e32 v42, v40, v41
	v_sub_f32_e32 v40, v40, v42
	v_add_f32_e32 v40, v41, v40
	v_sub_f32_e32 v41, v43, v39
	v_add_f32_e32 v36, v36, v41
	v_mul_f32_e32 v41, v42, v44
	v_mul_f32_e32 v43, v39, v41
	v_fma_f32 v45, v41, v39, -v43
	v_fmac_f32_e32 v45, v41, v36
	v_add_f32_e32 v46, v43, v45
	v_sub_f32_e32 v47, v42, v46
	v_sub_f32_e32 v42, v42, v47
	;; [unrolled: 1-line block ×4, first 2 shown]
	v_add_f32_e32 v40, v40, v42
	v_sub_f32_e32 v42, v43, v45
	v_add_f32_e32 v40, v42, v40
	v_add_f32_e32 v42, v47, v40
	v_mul_f32_e32 v43, v44, v42
	v_mul_f32_e32 v45, v39, v43
	v_fma_f32 v39, v43, v39, -v45
	v_fmac_f32_e32 v39, v43, v36
	v_sub_f32_e32 v36, v47, v42
	v_add_f32_e32 v36, v40, v36
	v_add_f32_e32 v40, v45, v39
	v_sub_f32_e32 v46, v42, v40
	v_sub_f32_e32 v42, v42, v46
	;; [unrolled: 1-line block ×4, first 2 shown]
	v_add_f32_e32 v36, v36, v40
	v_sub_f32_e32 v39, v45, v39
	v_add_f32_e32 v36, v39, v36
	v_add_f32_e32 v39, v41, v43
	;; [unrolled: 1-line block ×3, first 2 shown]
	v_sub_f32_e32 v40, v39, v41
	v_mul_f32_e32 v36, v44, v36
	v_sub_f32_e32 v40, v43, v40
	v_add_f32_e32 v36, v40, v36
	v_cvt_f32_i32_e32 v35, v35
	v_add_f32_e32 v40, v39, v36
	v_mul_f32_e32 v41, v40, v40
	v_mov_b32_e32 v42, 0x3ecc95a3
	v_fmac_f32_e32 v42, 0x3e9b6dac, v41
	v_mov_b32_e32 v43, 0x3f2aaada
	v_fmac_f32_e32 v43, v41, v42
	v_mul_f32_e32 v42, 0x3f317218, v35
	v_fma_f32 v44, v35, s8, -v42
	v_fmac_f32_e32 v44, 0xb102e308, v35
	v_sub_f32_e32 v35, v40, v39
	v_sub_f32_e32 v35, v36, v35
	v_add_f32_e32 v36, v42, v44
	v_sub_f32_e32 v39, v36, v42
	v_ldexp_f32 v42, v40, 1
	v_mul_f32_e32 v40, v40, v41
	v_mul_f32_e32 v40, v40, v43
	v_add_f32_e32 v41, v42, v40
	v_sub_f32_e32 v42, v41, v42
	v_ldexp_f32 v35, v35, 1
	v_sub_f32_e32 v40, v40, v42
	v_add_f32_e32 v35, v35, v40
	v_add_f32_e32 v40, v41, v35
	v_sub_f32_e32 v41, v40, v41
	v_sub_f32_e32 v35, v35, v41
	v_add_f32_e32 v41, v36, v40
	v_sub_f32_e32 v42, v41, v36
	v_sub_f32_e32 v43, v41, v42
	;; [unrolled: 1-line block ×5, first 2 shown]
	v_add_f32_e32 v36, v40, v36
	v_add_f32_e32 v40, v39, v35
	v_sub_f32_e32 v42, v40, v39
	v_sub_f32_e32 v43, v40, v42
	;; [unrolled: 1-line block ×4, first 2 shown]
	v_add_f32_e32 v36, v40, v36
	v_add_f32_e32 v35, v35, v39
	;; [unrolled: 1-line block ×3, first 2 shown]
	v_sub_f32_e32 v40, v39, v41
	v_sub_f32_e32 v36, v36, v40
	v_add_f32_e32 v35, v35, v36
	v_add_f32_e32 v35, v39, v35
	v_cmp_neq_f32_e32 vcc, s6, v38
	s_mov_b32 s6, 0x33800000
	v_cndmask_b32_e32 v35, v37, v35, vcc
	v_cmp_lt_f32_e64 vcc, |v38|, s6
	v_cndmask_b32_e32 v35, v35, v38, vcc
	v_add_f32_e32 v35, v34, v35
.LBB516_72:
	s_or_b64 exec, exec, s[2:3]
	v_bfe_u32 v34, v35, 16, 1
	v_add3_u32 v34, v35, v34, s7
	v_and_b32_e32 v34, 0xffff0000, v34
	v_cmp_o_f32_e32 vcc, v35, v35
	v_cndmask_b32_e32 v35, v33, v34, vcc
	v_and_b32_e32 v11, 0xffff0000, v11
	v_max_f32_e32 v33, v35, v35
	v_max_f32_e32 v34, v11, v11
	v_min_f32_e32 v36, v33, v34
	v_cmp_u_f32_e32 vcc, v35, v35
	v_max_f32_e32 v33, v33, v34
	v_cndmask_b32_e32 v36, v36, v35, vcc
	v_cmp_u_f32_e64 s[74:75], v11, v11
	v_cndmask_b32_e32 v33, v33, v35, vcc
	v_cndmask_b32_e64 v36, v36, v11, s[74:75]
	v_cndmask_b32_e64 v33, v33, v11, s[74:75]
	s_movk_i32 s6, 0x1f8
	v_cmp_neq_f32_e32 vcc, v36, v33
	v_cmp_class_f32_e64 s[2:3], v36, s6
	s_or_b64 s[8:9], vcc, s[2:3]
	s_and_saveexec_b64 s[2:3], s[8:9]
	s_cbranch_execz .LBB516_74
; %bb.73:
	v_sub_f32_e32 v35, v36, v33
	s_mov_b32 s7, 0x3fb8aa3b
	v_mul_f32_e32 v36, 0x3fb8aa3b, v35
	v_fma_f32 v37, v35, s7, -v36
	v_rndne_f32_e32 v38, v36
	v_fmac_f32_e32 v37, 0x32a5705f, v35
	v_sub_f32_e32 v36, v36, v38
	v_add_f32_e32 v36, v36, v37
	v_exp_f32_e32 v36, v36
	v_cvt_i32_f32_e32 v37, v38
	s_mov_b32 s7, 0xc2ce8ed0
	v_cmp_ngt_f32_e32 vcc, s7, v35
	s_mov_b32 s7, 0x42b17218
	v_ldexp_f32 v36, v36, v37
	v_cndmask_b32_e32 v36, 0, v36, vcc
	v_mov_b32_e32 v37, 0x7f800000
	v_cmp_nlt_f32_e32 vcc, s7, v35
	v_cndmask_b32_e32 v38, v37, v36, vcc
	v_add_f32_e32 v39, 1.0, v38
	v_cvt_f64_f32_e32 v[35:36], v39
	v_add_f32_e32 v40, -1.0, v39
	v_sub_f32_e32 v41, v40, v39
	v_sub_f32_e32 v40, v38, v40
	v_frexp_exp_i32_f64_e32 v35, v[35:36]
	v_add_f32_e32 v36, 1.0, v41
	v_add_f32_e32 v36, v40, v36
	v_frexp_mant_f32_e32 v40, v39
	s_mov_b32 s8, 0x3f2aaaab
	v_cmp_gt_f32_e32 vcc, s8, v40
	s_mov_b32 s8, 0x3f317218
	s_mov_b32 s7, 0x7f800000
	v_subbrev_co_u32_e32 v35, vcc, 0, v35, vcc
	v_sub_u32_e32 v40, 0, v35
	v_ldexp_f32 v39, v39, v40
	v_ldexp_f32 v36, v36, v40
	v_add_f32_e32 v40, -1.0, v39
	v_add_f32_e32 v43, 1.0, v39
	v_add_f32_e32 v41, 1.0, v40
	v_add_f32_e32 v44, -1.0, v43
	v_sub_f32_e32 v41, v39, v41
	v_sub_f32_e32 v39, v39, v44
	v_add_f32_e32 v41, v36, v41
	v_add_f32_e32 v36, v36, v39
	v_add_f32_e32 v39, v43, v36
	v_rcp_f32_e32 v44, v39
	v_add_f32_e32 v42, v40, v41
	v_sub_f32_e32 v40, v40, v42
	v_add_f32_e32 v40, v41, v40
	v_sub_f32_e32 v41, v43, v39
	v_add_f32_e32 v36, v36, v41
	v_mul_f32_e32 v41, v42, v44
	v_mul_f32_e32 v43, v39, v41
	v_fma_f32 v45, v41, v39, -v43
	v_fmac_f32_e32 v45, v41, v36
	v_add_f32_e32 v46, v43, v45
	v_sub_f32_e32 v47, v42, v46
	v_sub_f32_e32 v42, v42, v47
	;; [unrolled: 1-line block ×4, first 2 shown]
	v_add_f32_e32 v40, v40, v42
	v_sub_f32_e32 v42, v43, v45
	v_add_f32_e32 v40, v42, v40
	v_add_f32_e32 v42, v47, v40
	v_mul_f32_e32 v43, v44, v42
	v_mul_f32_e32 v45, v39, v43
	v_fma_f32 v39, v43, v39, -v45
	v_fmac_f32_e32 v39, v43, v36
	v_sub_f32_e32 v36, v47, v42
	v_add_f32_e32 v36, v40, v36
	v_add_f32_e32 v40, v45, v39
	v_sub_f32_e32 v46, v42, v40
	v_sub_f32_e32 v42, v42, v46
	;; [unrolled: 1-line block ×4, first 2 shown]
	v_add_f32_e32 v36, v36, v40
	v_sub_f32_e32 v39, v45, v39
	v_add_f32_e32 v36, v39, v36
	v_add_f32_e32 v39, v41, v43
	;; [unrolled: 1-line block ×3, first 2 shown]
	v_sub_f32_e32 v40, v39, v41
	v_mul_f32_e32 v36, v44, v36
	v_sub_f32_e32 v40, v43, v40
	v_add_f32_e32 v36, v40, v36
	v_cvt_f32_i32_e32 v35, v35
	v_add_f32_e32 v40, v39, v36
	v_mul_f32_e32 v41, v40, v40
	v_mov_b32_e32 v42, 0x3ecc95a3
	v_fmac_f32_e32 v42, 0x3e9b6dac, v41
	v_mov_b32_e32 v43, 0x3f2aaada
	v_fmac_f32_e32 v43, v41, v42
	v_mul_f32_e32 v42, 0x3f317218, v35
	v_fma_f32 v44, v35, s8, -v42
	v_fmac_f32_e32 v44, 0xb102e308, v35
	v_sub_f32_e32 v35, v40, v39
	v_sub_f32_e32 v35, v36, v35
	v_add_f32_e32 v36, v42, v44
	v_sub_f32_e32 v39, v36, v42
	v_ldexp_f32 v42, v40, 1
	v_mul_f32_e32 v40, v40, v41
	v_mul_f32_e32 v40, v40, v43
	v_add_f32_e32 v41, v42, v40
	v_sub_f32_e32 v42, v41, v42
	v_ldexp_f32 v35, v35, 1
	v_sub_f32_e32 v40, v40, v42
	v_add_f32_e32 v35, v35, v40
	v_add_f32_e32 v40, v41, v35
	v_sub_f32_e32 v41, v40, v41
	v_sub_f32_e32 v35, v35, v41
	v_add_f32_e32 v41, v36, v40
	v_sub_f32_e32 v42, v41, v36
	v_sub_f32_e32 v43, v41, v42
	;; [unrolled: 1-line block ×5, first 2 shown]
	v_add_f32_e32 v36, v40, v36
	v_add_f32_e32 v40, v39, v35
	v_sub_f32_e32 v42, v40, v39
	v_sub_f32_e32 v43, v40, v42
	;; [unrolled: 1-line block ×4, first 2 shown]
	v_add_f32_e32 v36, v40, v36
	v_add_f32_e32 v35, v35, v39
	;; [unrolled: 1-line block ×3, first 2 shown]
	v_sub_f32_e32 v40, v39, v41
	v_sub_f32_e32 v36, v36, v40
	v_add_f32_e32 v35, v35, v36
	v_add_f32_e32 v35, v39, v35
	v_cmp_neq_f32_e32 vcc, s7, v38
	s_mov_b32 s7, 0x33800000
	v_cndmask_b32_e32 v35, v37, v35, vcc
	v_cmp_lt_f32_e64 vcc, |v38|, s7
	v_cndmask_b32_e32 v35, v35, v38, vcc
	v_add_f32_e32 v35, v33, v35
.LBB516_74:
	s_or_b64 exec, exec, s[2:3]
	v_bfe_u32 v33, v35, 16, 1
	s_movk_i32 s7, 0x7fff
	v_add3_u32 v33, v35, v33, s7
	v_and_b32_e32 v33, 0xffff0000, v33
	v_mov_b32_e32 v36, 0x7fc00000
	v_cmp_o_f32_e32 vcc, v35, v35
	v_cndmask_b32_e32 v38, v36, v33, vcc
	v_lshlrev_b32_e32 v33, 16, v12
	v_max_f32_e32 v37, v38, v38
	v_max_f32_e32 v35, v33, v33
	v_min_f32_e32 v39, v37, v35
	v_cmp_u_f32_e32 vcc, v38, v38
	v_max_f32_e32 v37, v37, v35
	v_cndmask_b32_e32 v39, v39, v38, vcc
	v_cmp_u_f32_e64 s[76:77], v33, v33
	v_cndmask_b32_e32 v37, v37, v38, vcc
	v_cndmask_b32_e64 v39, v39, v33, s[76:77]
	v_cndmask_b32_e64 v37, v37, v33, s[76:77]
	v_cmp_neq_f32_e32 vcc, v39, v37
	v_cmp_class_f32_e64 s[2:3], v39, s6
	s_or_b64 s[8:9], vcc, s[2:3]
	s_and_saveexec_b64 s[2:3], s[8:9]
	s_cbranch_execz .LBB516_76
; %bb.75:
	v_sub_f32_e32 v38, v39, v37
	s_mov_b32 s6, 0x3fb8aa3b
	v_mul_f32_e32 v39, 0x3fb8aa3b, v38
	v_fma_f32 v40, v38, s6, -v39
	v_rndne_f32_e32 v41, v39
	v_fmac_f32_e32 v40, 0x32a5705f, v38
	v_sub_f32_e32 v39, v39, v41
	v_add_f32_e32 v39, v39, v40
	v_exp_f32_e32 v39, v39
	v_cvt_i32_f32_e32 v40, v41
	s_mov_b32 s6, 0xc2ce8ed0
	v_cmp_ngt_f32_e32 vcc, s6, v38
	s_mov_b32 s6, 0x42b17218
	v_ldexp_f32 v39, v39, v40
	v_cndmask_b32_e32 v39, 0, v39, vcc
	v_mov_b32_e32 v40, 0x7f800000
	v_cmp_nlt_f32_e32 vcc, s6, v38
	v_cndmask_b32_e32 v41, v40, v39, vcc
	v_add_f32_e32 v42, 1.0, v41
	v_cvt_f64_f32_e32 v[38:39], v42
	v_add_f32_e32 v43, -1.0, v42
	v_sub_f32_e32 v44, v43, v42
	v_sub_f32_e32 v43, v41, v43
	v_frexp_exp_i32_f64_e32 v38, v[38:39]
	v_add_f32_e32 v39, 1.0, v44
	v_add_f32_e32 v39, v43, v39
	v_frexp_mant_f32_e32 v43, v42
	s_mov_b32 s8, 0x3f2aaaab
	v_cmp_gt_f32_e32 vcc, s8, v43
	s_mov_b32 s8, 0x3f317218
	s_mov_b32 s6, 0x7f800000
	v_subbrev_co_u32_e32 v38, vcc, 0, v38, vcc
	v_sub_u32_e32 v43, 0, v38
	v_ldexp_f32 v42, v42, v43
	v_ldexp_f32 v39, v39, v43
	v_add_f32_e32 v43, -1.0, v42
	v_add_f32_e32 v46, 1.0, v42
	v_add_f32_e32 v44, 1.0, v43
	v_add_f32_e32 v47, -1.0, v46
	v_sub_f32_e32 v44, v42, v44
	v_sub_f32_e32 v42, v42, v47
	v_add_f32_e32 v44, v39, v44
	v_add_f32_e32 v39, v39, v42
	;; [unrolled: 1-line block ×3, first 2 shown]
	v_rcp_f32_e32 v47, v42
	v_add_f32_e32 v45, v43, v44
	v_sub_f32_e32 v43, v43, v45
	v_add_f32_e32 v43, v44, v43
	v_sub_f32_e32 v44, v46, v42
	v_add_f32_e32 v39, v39, v44
	v_mul_f32_e32 v44, v45, v47
	v_mul_f32_e32 v46, v42, v44
	v_fma_f32 v48, v44, v42, -v46
	v_fmac_f32_e32 v48, v44, v39
	v_add_f32_e32 v53, v46, v48
	v_sub_f32_e32 v54, v45, v53
	v_sub_f32_e32 v45, v45, v54
	;; [unrolled: 1-line block ×4, first 2 shown]
	v_add_f32_e32 v43, v43, v45
	v_sub_f32_e32 v45, v46, v48
	v_add_f32_e32 v43, v45, v43
	v_add_f32_e32 v45, v54, v43
	v_mul_f32_e32 v46, v47, v45
	v_mul_f32_e32 v48, v42, v46
	v_fma_f32 v42, v46, v42, -v48
	v_fmac_f32_e32 v42, v46, v39
	v_sub_f32_e32 v39, v54, v45
	v_add_f32_e32 v39, v43, v39
	v_add_f32_e32 v43, v48, v42
	v_sub_f32_e32 v53, v45, v43
	v_sub_f32_e32 v45, v45, v53
	;; [unrolled: 1-line block ×4, first 2 shown]
	v_add_f32_e32 v39, v39, v43
	v_sub_f32_e32 v42, v48, v42
	v_add_f32_e32 v39, v42, v39
	v_add_f32_e32 v42, v44, v46
	;; [unrolled: 1-line block ×3, first 2 shown]
	v_sub_f32_e32 v43, v42, v44
	v_mul_f32_e32 v39, v47, v39
	v_sub_f32_e32 v43, v46, v43
	v_add_f32_e32 v39, v43, v39
	v_cvt_f32_i32_e32 v38, v38
	v_add_f32_e32 v43, v42, v39
	v_mul_f32_e32 v44, v43, v43
	v_mov_b32_e32 v45, 0x3ecc95a3
	v_fmac_f32_e32 v45, 0x3e9b6dac, v44
	v_mov_b32_e32 v46, 0x3f2aaada
	v_fmac_f32_e32 v46, v44, v45
	v_mul_f32_e32 v45, 0x3f317218, v38
	v_fma_f32 v47, v38, s8, -v45
	v_fmac_f32_e32 v47, 0xb102e308, v38
	v_sub_f32_e32 v38, v43, v42
	v_sub_f32_e32 v38, v39, v38
	v_add_f32_e32 v39, v45, v47
	v_sub_f32_e32 v42, v39, v45
	v_ldexp_f32 v45, v43, 1
	v_mul_f32_e32 v43, v43, v44
	v_mul_f32_e32 v43, v43, v46
	v_add_f32_e32 v44, v45, v43
	v_sub_f32_e32 v45, v44, v45
	v_ldexp_f32 v38, v38, 1
	v_sub_f32_e32 v43, v43, v45
	v_add_f32_e32 v38, v38, v43
	v_add_f32_e32 v43, v44, v38
	v_sub_f32_e32 v44, v43, v44
	v_sub_f32_e32 v38, v38, v44
	v_add_f32_e32 v44, v39, v43
	v_sub_f32_e32 v45, v44, v39
	v_sub_f32_e32 v46, v44, v45
	;; [unrolled: 1-line block ×5, first 2 shown]
	v_add_f32_e32 v39, v43, v39
	v_add_f32_e32 v43, v42, v38
	v_sub_f32_e32 v45, v43, v42
	v_sub_f32_e32 v46, v43, v45
	;; [unrolled: 1-line block ×4, first 2 shown]
	v_add_f32_e32 v39, v43, v39
	v_add_f32_e32 v38, v38, v42
	;; [unrolled: 1-line block ×3, first 2 shown]
	v_sub_f32_e32 v43, v42, v44
	v_sub_f32_e32 v39, v39, v43
	v_add_f32_e32 v38, v38, v39
	v_add_f32_e32 v38, v42, v38
	v_cmp_neq_f32_e32 vcc, s6, v41
	s_mov_b32 s6, 0x33800000
	v_cndmask_b32_e32 v38, v40, v38, vcc
	v_cmp_lt_f32_e64 vcc, |v41|, s6
	v_cndmask_b32_e32 v38, v38, v41, vcc
	v_add_f32_e32 v38, v37, v38
.LBB516_76:
	s_or_b64 exec, exec, s[2:3]
	v_bfe_u32 v37, v38, 16, 1
	v_add3_u32 v37, v38, v37, s7
	v_and_b32_e32 v37, 0xffff0000, v37
	v_cmp_o_f32_e32 vcc, v38, v38
	v_cndmask_b32_e32 v38, v36, v37, vcc
	v_and_b32_e32 v12, 0xffff0000, v12
	v_max_f32_e32 v36, v38, v38
	v_max_f32_e32 v37, v12, v12
	v_min_f32_e32 v39, v36, v37
	v_cmp_u_f32_e32 vcc, v38, v38
	v_max_f32_e32 v36, v36, v37
	v_cndmask_b32_e32 v39, v39, v38, vcc
	v_cmp_u_f32_e64 s[78:79], v12, v12
	v_cndmask_b32_e32 v36, v36, v38, vcc
	v_cndmask_b32_e64 v39, v39, v12, s[78:79]
	v_cndmask_b32_e64 v36, v36, v12, s[78:79]
	s_movk_i32 s6, 0x1f8
	v_cmp_neq_f32_e32 vcc, v39, v36
	v_cmp_class_f32_e64 s[2:3], v39, s6
	s_or_b64 s[8:9], vcc, s[2:3]
	s_and_saveexec_b64 s[2:3], s[8:9]
	s_cbranch_execz .LBB516_78
; %bb.77:
	v_sub_f32_e32 v38, v39, v36
	s_mov_b32 s7, 0x3fb8aa3b
	v_mul_f32_e32 v39, 0x3fb8aa3b, v38
	v_fma_f32 v40, v38, s7, -v39
	v_rndne_f32_e32 v41, v39
	v_fmac_f32_e32 v40, 0x32a5705f, v38
	v_sub_f32_e32 v39, v39, v41
	v_add_f32_e32 v39, v39, v40
	v_exp_f32_e32 v39, v39
	v_cvt_i32_f32_e32 v40, v41
	s_mov_b32 s7, 0xc2ce8ed0
	v_cmp_ngt_f32_e32 vcc, s7, v38
	s_mov_b32 s7, 0x42b17218
	v_ldexp_f32 v39, v39, v40
	v_cndmask_b32_e32 v39, 0, v39, vcc
	v_mov_b32_e32 v40, 0x7f800000
	v_cmp_nlt_f32_e32 vcc, s7, v38
	v_cndmask_b32_e32 v41, v40, v39, vcc
	v_add_f32_e32 v42, 1.0, v41
	v_cvt_f64_f32_e32 v[38:39], v42
	v_add_f32_e32 v43, -1.0, v42
	v_sub_f32_e32 v44, v43, v42
	v_sub_f32_e32 v43, v41, v43
	v_frexp_exp_i32_f64_e32 v38, v[38:39]
	v_add_f32_e32 v39, 1.0, v44
	v_add_f32_e32 v39, v43, v39
	v_frexp_mant_f32_e32 v43, v42
	s_mov_b32 s8, 0x3f2aaaab
	v_cmp_gt_f32_e32 vcc, s8, v43
	s_mov_b32 s8, 0x3f317218
	s_mov_b32 s7, 0x7f800000
	v_subbrev_co_u32_e32 v38, vcc, 0, v38, vcc
	v_sub_u32_e32 v43, 0, v38
	v_ldexp_f32 v42, v42, v43
	v_ldexp_f32 v39, v39, v43
	v_add_f32_e32 v43, -1.0, v42
	v_add_f32_e32 v46, 1.0, v42
	v_add_f32_e32 v44, 1.0, v43
	v_add_f32_e32 v47, -1.0, v46
	v_sub_f32_e32 v44, v42, v44
	v_sub_f32_e32 v42, v42, v47
	v_add_f32_e32 v44, v39, v44
	v_add_f32_e32 v39, v39, v42
	;; [unrolled: 1-line block ×3, first 2 shown]
	v_rcp_f32_e32 v47, v42
	v_add_f32_e32 v45, v43, v44
	v_sub_f32_e32 v43, v43, v45
	v_add_f32_e32 v43, v44, v43
	v_sub_f32_e32 v44, v46, v42
	v_add_f32_e32 v39, v39, v44
	v_mul_f32_e32 v44, v45, v47
	v_mul_f32_e32 v46, v42, v44
	v_fma_f32 v48, v44, v42, -v46
	v_fmac_f32_e32 v48, v44, v39
	v_add_f32_e32 v53, v46, v48
	v_sub_f32_e32 v54, v45, v53
	v_sub_f32_e32 v45, v45, v54
	;; [unrolled: 1-line block ×4, first 2 shown]
	v_add_f32_e32 v43, v43, v45
	v_sub_f32_e32 v45, v46, v48
	v_add_f32_e32 v43, v45, v43
	v_add_f32_e32 v45, v54, v43
	v_mul_f32_e32 v46, v47, v45
	v_mul_f32_e32 v48, v42, v46
	v_fma_f32 v42, v46, v42, -v48
	v_fmac_f32_e32 v42, v46, v39
	v_sub_f32_e32 v39, v54, v45
	v_add_f32_e32 v39, v43, v39
	v_add_f32_e32 v43, v48, v42
	v_sub_f32_e32 v53, v45, v43
	v_sub_f32_e32 v45, v45, v53
	v_sub_f32_e32 v48, v43, v48
	v_sub_f32_e32 v43, v45, v43
	v_add_f32_e32 v39, v39, v43
	v_sub_f32_e32 v42, v48, v42
	v_add_f32_e32 v39, v42, v39
	v_add_f32_e32 v42, v44, v46
	;; [unrolled: 1-line block ×3, first 2 shown]
	v_sub_f32_e32 v43, v42, v44
	v_mul_f32_e32 v39, v47, v39
	v_sub_f32_e32 v43, v46, v43
	v_add_f32_e32 v39, v43, v39
	v_cvt_f32_i32_e32 v38, v38
	v_add_f32_e32 v43, v42, v39
	v_mul_f32_e32 v44, v43, v43
	v_mov_b32_e32 v45, 0x3ecc95a3
	v_fmac_f32_e32 v45, 0x3e9b6dac, v44
	v_mov_b32_e32 v46, 0x3f2aaada
	v_fmac_f32_e32 v46, v44, v45
	v_mul_f32_e32 v45, 0x3f317218, v38
	v_fma_f32 v47, v38, s8, -v45
	v_fmac_f32_e32 v47, 0xb102e308, v38
	v_sub_f32_e32 v38, v43, v42
	v_sub_f32_e32 v38, v39, v38
	v_add_f32_e32 v39, v45, v47
	v_sub_f32_e32 v42, v39, v45
	v_ldexp_f32 v45, v43, 1
	v_mul_f32_e32 v43, v43, v44
	v_mul_f32_e32 v43, v43, v46
	v_add_f32_e32 v44, v45, v43
	v_sub_f32_e32 v45, v44, v45
	v_ldexp_f32 v38, v38, 1
	v_sub_f32_e32 v43, v43, v45
	v_add_f32_e32 v38, v38, v43
	v_add_f32_e32 v43, v44, v38
	v_sub_f32_e32 v44, v43, v44
	v_sub_f32_e32 v38, v38, v44
	v_add_f32_e32 v44, v39, v43
	v_sub_f32_e32 v45, v44, v39
	v_sub_f32_e32 v46, v44, v45
	v_sub_f32_e32 v42, v47, v42
	v_sub_f32_e32 v39, v39, v46
	v_sub_f32_e32 v43, v43, v45
	v_add_f32_e32 v39, v43, v39
	v_add_f32_e32 v43, v42, v38
	v_sub_f32_e32 v45, v43, v42
	v_sub_f32_e32 v46, v43, v45
	;; [unrolled: 1-line block ×4, first 2 shown]
	v_add_f32_e32 v39, v43, v39
	v_add_f32_e32 v38, v38, v42
	;; [unrolled: 1-line block ×3, first 2 shown]
	v_sub_f32_e32 v43, v42, v44
	v_sub_f32_e32 v39, v39, v43
	v_add_f32_e32 v38, v38, v39
	v_add_f32_e32 v38, v42, v38
	v_cmp_neq_f32_e32 vcc, s7, v41
	s_mov_b32 s7, 0x33800000
	v_cndmask_b32_e32 v38, v40, v38, vcc
	v_cmp_lt_f32_e64 vcc, |v41|, s7
	v_cndmask_b32_e32 v38, v38, v41, vcc
	v_add_f32_e32 v38, v36, v38
.LBB516_78:
	s_or_b64 exec, exec, s[2:3]
	v_bfe_u32 v36, v38, 16, 1
	s_movk_i32 s7, 0x7fff
	v_add3_u32 v36, v38, v36, s7
	v_and_b32_e32 v36, 0xffff0000, v36
	v_mov_b32_e32 v39, 0x7fc00000
	v_cmp_o_f32_e32 vcc, v38, v38
	v_cndmask_b32_e32 v41, v39, v36, vcc
	v_lshlrev_b32_e32 v36, 16, v5
	v_max_f32_e32 v40, v41, v41
	v_max_f32_e32 v38, v36, v36
	v_min_f32_e32 v42, v40, v38
	v_cmp_u_f32_e32 vcc, v41, v41
	v_max_f32_e32 v40, v40, v38
	v_cndmask_b32_e32 v42, v42, v41, vcc
	v_cmp_u_f32_e64 s[80:81], v36, v36
	v_cndmask_b32_e32 v40, v40, v41, vcc
	v_cndmask_b32_e64 v42, v42, v36, s[80:81]
	v_cndmask_b32_e64 v40, v40, v36, s[80:81]
	v_cmp_neq_f32_e32 vcc, v42, v40
	v_cmp_class_f32_e64 s[2:3], v42, s6
	s_or_b64 s[8:9], vcc, s[2:3]
	s_and_saveexec_b64 s[2:3], s[8:9]
	s_cbranch_execz .LBB516_80
; %bb.79:
	v_sub_f32_e32 v41, v42, v40
	s_mov_b32 s6, 0x3fb8aa3b
	v_mul_f32_e32 v42, 0x3fb8aa3b, v41
	v_fma_f32 v43, v41, s6, -v42
	v_rndne_f32_e32 v44, v42
	v_fmac_f32_e32 v43, 0x32a5705f, v41
	v_sub_f32_e32 v42, v42, v44
	v_add_f32_e32 v42, v42, v43
	v_exp_f32_e32 v42, v42
	v_cvt_i32_f32_e32 v43, v44
	s_mov_b32 s6, 0xc2ce8ed0
	v_cmp_ngt_f32_e32 vcc, s6, v41
	s_mov_b32 s6, 0x42b17218
	v_ldexp_f32 v42, v42, v43
	v_cndmask_b32_e32 v42, 0, v42, vcc
	v_mov_b32_e32 v43, 0x7f800000
	v_cmp_nlt_f32_e32 vcc, s6, v41
	v_cndmask_b32_e32 v44, v43, v42, vcc
	v_add_f32_e32 v45, 1.0, v44
	v_cvt_f64_f32_e32 v[41:42], v45
	v_add_f32_e32 v46, -1.0, v45
	v_sub_f32_e32 v47, v46, v45
	v_sub_f32_e32 v46, v44, v46
	v_frexp_exp_i32_f64_e32 v41, v[41:42]
	v_add_f32_e32 v42, 1.0, v47
	v_add_f32_e32 v42, v46, v42
	v_frexp_mant_f32_e32 v46, v45
	s_mov_b32 s8, 0x3f2aaaab
	v_cmp_gt_f32_e32 vcc, s8, v46
	s_mov_b32 s8, 0x3f317218
	s_mov_b32 s6, 0x7f800000
	v_subbrev_co_u32_e32 v41, vcc, 0, v41, vcc
	v_sub_u32_e32 v46, 0, v41
	v_ldexp_f32 v45, v45, v46
	v_ldexp_f32 v42, v42, v46
	v_add_f32_e32 v46, -1.0, v45
	v_add_f32_e32 v53, 1.0, v45
	v_add_f32_e32 v47, 1.0, v46
	v_add_f32_e32 v54, -1.0, v53
	v_sub_f32_e32 v47, v45, v47
	v_sub_f32_e32 v45, v45, v54
	v_add_f32_e32 v47, v42, v47
	v_add_f32_e32 v42, v42, v45
	;; [unrolled: 1-line block ×3, first 2 shown]
	v_rcp_f32_e32 v54, v45
	v_add_f32_e32 v48, v46, v47
	v_sub_f32_e32 v46, v46, v48
	v_add_f32_e32 v46, v47, v46
	v_sub_f32_e32 v47, v53, v45
	v_add_f32_e32 v42, v42, v47
	v_mul_f32_e32 v47, v48, v54
	v_mul_f32_e32 v53, v45, v47
	v_fma_f32 v55, v47, v45, -v53
	v_fmac_f32_e32 v55, v47, v42
	v_add_f32_e32 v56, v53, v55
	v_sub_f32_e32 v57, v48, v56
	v_sub_f32_e32 v48, v48, v57
	;; [unrolled: 1-line block ×4, first 2 shown]
	v_add_f32_e32 v46, v46, v48
	v_sub_f32_e32 v48, v53, v55
	v_add_f32_e32 v46, v48, v46
	v_add_f32_e32 v48, v57, v46
	v_mul_f32_e32 v53, v54, v48
	v_mul_f32_e32 v55, v45, v53
	v_fma_f32 v45, v53, v45, -v55
	v_fmac_f32_e32 v45, v53, v42
	v_sub_f32_e32 v42, v57, v48
	v_add_f32_e32 v42, v46, v42
	v_add_f32_e32 v46, v55, v45
	v_sub_f32_e32 v56, v48, v46
	v_sub_f32_e32 v48, v48, v56
	;; [unrolled: 1-line block ×4, first 2 shown]
	v_add_f32_e32 v42, v42, v46
	v_sub_f32_e32 v45, v55, v45
	v_add_f32_e32 v42, v45, v42
	v_add_f32_e32 v45, v47, v53
	;; [unrolled: 1-line block ×3, first 2 shown]
	v_sub_f32_e32 v46, v45, v47
	v_mul_f32_e32 v42, v54, v42
	v_sub_f32_e32 v46, v53, v46
	v_add_f32_e32 v42, v46, v42
	v_cvt_f32_i32_e32 v41, v41
	v_add_f32_e32 v46, v45, v42
	v_mul_f32_e32 v47, v46, v46
	v_mov_b32_e32 v48, 0x3ecc95a3
	v_fmac_f32_e32 v48, 0x3e9b6dac, v47
	v_mov_b32_e32 v53, 0x3f2aaada
	v_fmac_f32_e32 v53, v47, v48
	v_mul_f32_e32 v48, 0x3f317218, v41
	v_fma_f32 v54, v41, s8, -v48
	v_fmac_f32_e32 v54, 0xb102e308, v41
	v_sub_f32_e32 v41, v46, v45
	v_sub_f32_e32 v41, v42, v41
	v_add_f32_e32 v42, v48, v54
	v_sub_f32_e32 v45, v42, v48
	v_ldexp_f32 v48, v46, 1
	v_mul_f32_e32 v46, v46, v47
	v_mul_f32_e32 v46, v46, v53
	v_add_f32_e32 v47, v48, v46
	v_sub_f32_e32 v48, v47, v48
	v_ldexp_f32 v41, v41, 1
	v_sub_f32_e32 v46, v46, v48
	v_add_f32_e32 v41, v41, v46
	v_add_f32_e32 v46, v47, v41
	v_sub_f32_e32 v47, v46, v47
	v_sub_f32_e32 v41, v41, v47
	v_add_f32_e32 v47, v42, v46
	v_sub_f32_e32 v48, v47, v42
	v_sub_f32_e32 v53, v47, v48
	;; [unrolled: 1-line block ×5, first 2 shown]
	v_add_f32_e32 v42, v46, v42
	v_add_f32_e32 v46, v45, v41
	v_sub_f32_e32 v48, v46, v45
	v_sub_f32_e32 v53, v46, v48
	v_sub_f32_e32 v45, v45, v53
	v_sub_f32_e32 v41, v41, v48
	v_add_f32_e32 v42, v46, v42
	v_add_f32_e32 v41, v41, v45
	;; [unrolled: 1-line block ×3, first 2 shown]
	v_sub_f32_e32 v46, v45, v47
	v_sub_f32_e32 v42, v42, v46
	v_add_f32_e32 v41, v41, v42
	v_add_f32_e32 v41, v45, v41
	v_cmp_neq_f32_e32 vcc, s6, v44
	s_mov_b32 s6, 0x33800000
	v_cndmask_b32_e32 v41, v43, v41, vcc
	v_cmp_lt_f32_e64 vcc, |v44|, s6
	v_cndmask_b32_e32 v41, v41, v44, vcc
	v_add_f32_e32 v41, v40, v41
.LBB516_80:
	s_or_b64 exec, exec, s[2:3]
	v_bfe_u32 v40, v41, 16, 1
	v_add3_u32 v40, v41, v40, s7
	v_and_b32_e32 v40, 0xffff0000, v40
	v_cmp_o_f32_e32 vcc, v41, v41
	v_cndmask_b32_e32 v41, v39, v40, vcc
	v_and_b32_e32 v5, 0xffff0000, v5
	v_max_f32_e32 v39, v41, v41
	v_max_f32_e32 v40, v5, v5
	v_min_f32_e32 v42, v39, v40
	v_cmp_u_f32_e32 vcc, v41, v41
	v_max_f32_e32 v39, v39, v40
	v_cndmask_b32_e32 v42, v42, v41, vcc
	v_cmp_u_f32_e64 s[82:83], v5, v5
	v_cndmask_b32_e32 v39, v39, v41, vcc
	v_cndmask_b32_e64 v42, v42, v5, s[82:83]
	v_cndmask_b32_e64 v39, v39, v5, s[82:83]
	s_movk_i32 s6, 0x1f8
	v_cmp_neq_f32_e32 vcc, v42, v39
	v_cmp_class_f32_e64 s[2:3], v42, s6
	s_or_b64 s[8:9], vcc, s[2:3]
	s_and_saveexec_b64 s[2:3], s[8:9]
	s_cbranch_execz .LBB516_82
; %bb.81:
	v_sub_f32_e32 v41, v42, v39
	s_mov_b32 s7, 0x3fb8aa3b
	v_mul_f32_e32 v42, 0x3fb8aa3b, v41
	v_fma_f32 v43, v41, s7, -v42
	v_rndne_f32_e32 v44, v42
	v_fmac_f32_e32 v43, 0x32a5705f, v41
	v_sub_f32_e32 v42, v42, v44
	v_add_f32_e32 v42, v42, v43
	v_exp_f32_e32 v42, v42
	v_cvt_i32_f32_e32 v43, v44
	s_mov_b32 s7, 0xc2ce8ed0
	v_cmp_ngt_f32_e32 vcc, s7, v41
	s_mov_b32 s7, 0x42b17218
	v_ldexp_f32 v42, v42, v43
	v_cndmask_b32_e32 v42, 0, v42, vcc
	v_mov_b32_e32 v43, 0x7f800000
	v_cmp_nlt_f32_e32 vcc, s7, v41
	v_cndmask_b32_e32 v44, v43, v42, vcc
	v_add_f32_e32 v45, 1.0, v44
	v_cvt_f64_f32_e32 v[41:42], v45
	v_add_f32_e32 v46, -1.0, v45
	v_sub_f32_e32 v47, v46, v45
	v_sub_f32_e32 v46, v44, v46
	v_frexp_exp_i32_f64_e32 v41, v[41:42]
	v_add_f32_e32 v42, 1.0, v47
	v_add_f32_e32 v42, v46, v42
	v_frexp_mant_f32_e32 v46, v45
	s_mov_b32 s8, 0x3f2aaaab
	v_cmp_gt_f32_e32 vcc, s8, v46
	s_mov_b32 s8, 0x3f317218
	s_mov_b32 s7, 0x7f800000
	v_subbrev_co_u32_e32 v41, vcc, 0, v41, vcc
	v_sub_u32_e32 v46, 0, v41
	v_ldexp_f32 v45, v45, v46
	v_ldexp_f32 v42, v42, v46
	v_add_f32_e32 v46, -1.0, v45
	v_add_f32_e32 v53, 1.0, v45
	v_add_f32_e32 v47, 1.0, v46
	v_add_f32_e32 v54, -1.0, v53
	v_sub_f32_e32 v47, v45, v47
	v_sub_f32_e32 v45, v45, v54
	v_add_f32_e32 v47, v42, v47
	v_add_f32_e32 v42, v42, v45
	;; [unrolled: 1-line block ×3, first 2 shown]
	v_rcp_f32_e32 v54, v45
	v_add_f32_e32 v48, v46, v47
	v_sub_f32_e32 v46, v46, v48
	v_add_f32_e32 v46, v47, v46
	v_sub_f32_e32 v47, v53, v45
	v_add_f32_e32 v42, v42, v47
	v_mul_f32_e32 v47, v48, v54
	v_mul_f32_e32 v53, v45, v47
	v_fma_f32 v55, v47, v45, -v53
	v_fmac_f32_e32 v55, v47, v42
	v_add_f32_e32 v56, v53, v55
	v_sub_f32_e32 v57, v48, v56
	v_sub_f32_e32 v48, v48, v57
	;; [unrolled: 1-line block ×4, first 2 shown]
	v_add_f32_e32 v46, v46, v48
	v_sub_f32_e32 v48, v53, v55
	v_add_f32_e32 v46, v48, v46
	v_add_f32_e32 v48, v57, v46
	v_mul_f32_e32 v53, v54, v48
	v_mul_f32_e32 v55, v45, v53
	v_fma_f32 v45, v53, v45, -v55
	v_fmac_f32_e32 v45, v53, v42
	v_sub_f32_e32 v42, v57, v48
	v_add_f32_e32 v42, v46, v42
	v_add_f32_e32 v46, v55, v45
	v_sub_f32_e32 v56, v48, v46
	v_sub_f32_e32 v48, v48, v56
	;; [unrolled: 1-line block ×4, first 2 shown]
	v_add_f32_e32 v42, v42, v46
	v_sub_f32_e32 v45, v55, v45
	v_add_f32_e32 v42, v45, v42
	v_add_f32_e32 v45, v47, v53
	;; [unrolled: 1-line block ×3, first 2 shown]
	v_sub_f32_e32 v46, v45, v47
	v_mul_f32_e32 v42, v54, v42
	v_sub_f32_e32 v46, v53, v46
	v_add_f32_e32 v42, v46, v42
	v_cvt_f32_i32_e32 v41, v41
	v_add_f32_e32 v46, v45, v42
	v_mul_f32_e32 v47, v46, v46
	v_mov_b32_e32 v48, 0x3ecc95a3
	v_fmac_f32_e32 v48, 0x3e9b6dac, v47
	v_mov_b32_e32 v53, 0x3f2aaada
	v_fmac_f32_e32 v53, v47, v48
	v_mul_f32_e32 v48, 0x3f317218, v41
	v_fma_f32 v54, v41, s8, -v48
	v_fmac_f32_e32 v54, 0xb102e308, v41
	v_sub_f32_e32 v41, v46, v45
	v_sub_f32_e32 v41, v42, v41
	v_add_f32_e32 v42, v48, v54
	v_sub_f32_e32 v45, v42, v48
	v_ldexp_f32 v48, v46, 1
	v_mul_f32_e32 v46, v46, v47
	v_mul_f32_e32 v46, v46, v53
	v_add_f32_e32 v47, v48, v46
	v_sub_f32_e32 v48, v47, v48
	v_ldexp_f32 v41, v41, 1
	v_sub_f32_e32 v46, v46, v48
	v_add_f32_e32 v41, v41, v46
	v_add_f32_e32 v46, v47, v41
	v_sub_f32_e32 v47, v46, v47
	v_sub_f32_e32 v41, v41, v47
	v_add_f32_e32 v47, v42, v46
	v_sub_f32_e32 v48, v47, v42
	v_sub_f32_e32 v53, v47, v48
	;; [unrolled: 1-line block ×5, first 2 shown]
	v_add_f32_e32 v42, v46, v42
	v_add_f32_e32 v46, v45, v41
	v_sub_f32_e32 v48, v46, v45
	v_sub_f32_e32 v53, v46, v48
	v_sub_f32_e32 v45, v45, v53
	v_sub_f32_e32 v41, v41, v48
	v_add_f32_e32 v42, v46, v42
	v_add_f32_e32 v41, v41, v45
	;; [unrolled: 1-line block ×3, first 2 shown]
	v_sub_f32_e32 v46, v45, v47
	v_sub_f32_e32 v42, v42, v46
	v_add_f32_e32 v41, v41, v42
	v_add_f32_e32 v41, v45, v41
	v_cmp_neq_f32_e32 vcc, s7, v44
	s_mov_b32 s7, 0x33800000
	v_cndmask_b32_e32 v41, v43, v41, vcc
	v_cmp_lt_f32_e64 vcc, |v44|, s7
	v_cndmask_b32_e32 v41, v41, v44, vcc
	v_add_f32_e32 v41, v39, v41
.LBB516_82:
	s_or_b64 exec, exec, s[2:3]
	v_bfe_u32 v39, v41, 16, 1
	s_movk_i32 s7, 0x7fff
	v_add3_u32 v39, v41, v39, s7
	v_and_b32_e32 v39, 0xffff0000, v39
	v_mov_b32_e32 v42, 0x7fc00000
	v_cmp_o_f32_e32 vcc, v41, v41
	v_cndmask_b32_e32 v44, v42, v39, vcc
	v_lshlrev_b32_e32 v39, 16, v6
	v_max_f32_e32 v43, v44, v44
	v_max_f32_e32 v41, v39, v39
	v_min_f32_e32 v45, v43, v41
	v_cmp_u_f32_e32 vcc, v44, v44
	v_max_f32_e32 v43, v43, v41
	v_cndmask_b32_e32 v45, v45, v44, vcc
	v_cmp_u_f32_e64 s[84:85], v39, v39
	v_cndmask_b32_e32 v43, v43, v44, vcc
	v_cndmask_b32_e64 v45, v45, v39, s[84:85]
	v_cndmask_b32_e64 v43, v43, v39, s[84:85]
	v_cmp_neq_f32_e32 vcc, v45, v43
	v_cmp_class_f32_e64 s[2:3], v45, s6
	s_or_b64 s[8:9], vcc, s[2:3]
	s_and_saveexec_b64 s[2:3], s[8:9]
	s_cbranch_execz .LBB516_84
; %bb.83:
	v_sub_f32_e32 v44, v45, v43
	s_mov_b32 s6, 0x3fb8aa3b
	v_mul_f32_e32 v45, 0x3fb8aa3b, v44
	v_fma_f32 v46, v44, s6, -v45
	v_rndne_f32_e32 v47, v45
	v_fmac_f32_e32 v46, 0x32a5705f, v44
	v_sub_f32_e32 v45, v45, v47
	v_add_f32_e32 v45, v45, v46
	v_exp_f32_e32 v45, v45
	v_cvt_i32_f32_e32 v46, v47
	s_mov_b32 s6, 0xc2ce8ed0
	v_cmp_ngt_f32_e32 vcc, s6, v44
	s_mov_b32 s6, 0x42b17218
	v_ldexp_f32 v45, v45, v46
	v_cndmask_b32_e32 v45, 0, v45, vcc
	v_mov_b32_e32 v46, 0x7f800000
	v_cmp_nlt_f32_e32 vcc, s6, v44
	v_cndmask_b32_e32 v47, v46, v45, vcc
	v_add_f32_e32 v48, 1.0, v47
	v_cvt_f64_f32_e32 v[44:45], v48
	v_add_f32_e32 v53, -1.0, v48
	v_sub_f32_e32 v54, v53, v48
	v_sub_f32_e32 v53, v47, v53
	v_frexp_exp_i32_f64_e32 v44, v[44:45]
	v_add_f32_e32 v45, 1.0, v54
	v_add_f32_e32 v45, v53, v45
	v_frexp_mant_f32_e32 v53, v48
	s_mov_b32 s8, 0x3f2aaaab
	v_cmp_gt_f32_e32 vcc, s8, v53
	s_mov_b32 s8, 0x3f317218
	s_mov_b32 s6, 0x7f800000
	v_subbrev_co_u32_e32 v44, vcc, 0, v44, vcc
	v_sub_u32_e32 v53, 0, v44
	v_ldexp_f32 v48, v48, v53
	v_ldexp_f32 v45, v45, v53
	v_add_f32_e32 v53, -1.0, v48
	v_add_f32_e32 v56, 1.0, v48
	v_add_f32_e32 v54, 1.0, v53
	v_add_f32_e32 v57, -1.0, v56
	v_sub_f32_e32 v54, v48, v54
	v_sub_f32_e32 v48, v48, v57
	v_add_f32_e32 v54, v45, v54
	v_add_f32_e32 v45, v45, v48
	;; [unrolled: 1-line block ×3, first 2 shown]
	v_rcp_f32_e32 v57, v48
	v_add_f32_e32 v55, v53, v54
	v_sub_f32_e32 v53, v53, v55
	v_add_f32_e32 v53, v54, v53
	v_sub_f32_e32 v54, v56, v48
	v_add_f32_e32 v45, v45, v54
	v_mul_f32_e32 v54, v55, v57
	v_mul_f32_e32 v56, v48, v54
	v_fma_f32 v58, v54, v48, -v56
	v_fmac_f32_e32 v58, v54, v45
	v_add_f32_e32 v59, v56, v58
	v_sub_f32_e32 v60, v55, v59
	v_sub_f32_e32 v55, v55, v60
	;; [unrolled: 1-line block ×4, first 2 shown]
	v_add_f32_e32 v53, v53, v55
	v_sub_f32_e32 v55, v56, v58
	v_add_f32_e32 v53, v55, v53
	v_add_f32_e32 v55, v60, v53
	v_mul_f32_e32 v56, v57, v55
	v_mul_f32_e32 v58, v48, v56
	v_fma_f32 v48, v56, v48, -v58
	v_fmac_f32_e32 v48, v56, v45
	v_sub_f32_e32 v45, v60, v55
	v_add_f32_e32 v45, v53, v45
	v_add_f32_e32 v53, v58, v48
	v_sub_f32_e32 v59, v55, v53
	v_sub_f32_e32 v55, v55, v59
	;; [unrolled: 1-line block ×4, first 2 shown]
	v_add_f32_e32 v45, v45, v53
	v_sub_f32_e32 v48, v58, v48
	v_add_f32_e32 v45, v48, v45
	v_add_f32_e32 v48, v54, v56
	;; [unrolled: 1-line block ×3, first 2 shown]
	v_sub_f32_e32 v53, v48, v54
	v_mul_f32_e32 v45, v57, v45
	v_sub_f32_e32 v53, v56, v53
	v_add_f32_e32 v45, v53, v45
	v_cvt_f32_i32_e32 v44, v44
	v_add_f32_e32 v53, v48, v45
	v_mul_f32_e32 v54, v53, v53
	v_mov_b32_e32 v55, 0x3ecc95a3
	v_fmac_f32_e32 v55, 0x3e9b6dac, v54
	v_mov_b32_e32 v56, 0x3f2aaada
	v_fmac_f32_e32 v56, v54, v55
	v_mul_f32_e32 v55, 0x3f317218, v44
	v_fma_f32 v57, v44, s8, -v55
	v_fmac_f32_e32 v57, 0xb102e308, v44
	v_sub_f32_e32 v44, v53, v48
	v_sub_f32_e32 v44, v45, v44
	v_add_f32_e32 v45, v55, v57
	v_sub_f32_e32 v48, v45, v55
	v_ldexp_f32 v55, v53, 1
	v_mul_f32_e32 v53, v53, v54
	v_mul_f32_e32 v53, v53, v56
	v_add_f32_e32 v54, v55, v53
	v_sub_f32_e32 v55, v54, v55
	v_ldexp_f32 v44, v44, 1
	v_sub_f32_e32 v53, v53, v55
	v_add_f32_e32 v44, v44, v53
	v_add_f32_e32 v53, v54, v44
	v_sub_f32_e32 v54, v53, v54
	v_sub_f32_e32 v44, v44, v54
	v_add_f32_e32 v54, v45, v53
	v_sub_f32_e32 v55, v54, v45
	v_sub_f32_e32 v56, v54, v55
	;; [unrolled: 1-line block ×5, first 2 shown]
	v_add_f32_e32 v45, v53, v45
	v_add_f32_e32 v53, v48, v44
	v_sub_f32_e32 v55, v53, v48
	v_sub_f32_e32 v56, v53, v55
	;; [unrolled: 1-line block ×4, first 2 shown]
	v_add_f32_e32 v45, v53, v45
	v_add_f32_e32 v44, v44, v48
	;; [unrolled: 1-line block ×3, first 2 shown]
	v_sub_f32_e32 v53, v48, v54
	v_sub_f32_e32 v45, v45, v53
	v_add_f32_e32 v44, v44, v45
	v_add_f32_e32 v44, v48, v44
	v_cmp_neq_f32_e32 vcc, s6, v47
	s_mov_b32 s6, 0x33800000
	v_cndmask_b32_e32 v44, v46, v44, vcc
	v_cmp_lt_f32_e64 vcc, |v47|, s6
	v_cndmask_b32_e32 v44, v44, v47, vcc
	v_add_f32_e32 v44, v43, v44
.LBB516_84:
	s_or_b64 exec, exec, s[2:3]
	v_bfe_u32 v43, v44, 16, 1
	v_add3_u32 v43, v44, v43, s7
	v_and_b32_e32 v43, 0xffff0000, v43
	v_cmp_o_f32_e32 vcc, v44, v44
	v_cndmask_b32_e32 v44, v42, v43, vcc
	v_and_b32_e32 v6, 0xffff0000, v6
	v_max_f32_e32 v42, v44, v44
	v_max_f32_e32 v43, v6, v6
	v_min_f32_e32 v45, v42, v43
	v_cmp_u_f32_e32 vcc, v44, v44
	v_max_f32_e32 v42, v42, v43
	v_cndmask_b32_e32 v45, v45, v44, vcc
	v_cmp_u_f32_e64 s[86:87], v6, v6
	v_cndmask_b32_e32 v42, v42, v44, vcc
	v_cndmask_b32_e64 v45, v45, v6, s[86:87]
	v_cndmask_b32_e64 v42, v42, v6, s[86:87]
	s_movk_i32 s6, 0x1f8
	v_cmp_neq_f32_e32 vcc, v45, v42
	v_cmp_class_f32_e64 s[2:3], v45, s6
	s_or_b64 s[8:9], vcc, s[2:3]
	s_and_saveexec_b64 s[2:3], s[8:9]
	s_cbranch_execz .LBB516_86
; %bb.85:
	v_sub_f32_e32 v44, v45, v42
	s_mov_b32 s7, 0x3fb8aa3b
	v_mul_f32_e32 v45, 0x3fb8aa3b, v44
	v_fma_f32 v46, v44, s7, -v45
	v_rndne_f32_e32 v47, v45
	v_fmac_f32_e32 v46, 0x32a5705f, v44
	v_sub_f32_e32 v45, v45, v47
	v_add_f32_e32 v45, v45, v46
	v_exp_f32_e32 v45, v45
	v_cvt_i32_f32_e32 v46, v47
	s_mov_b32 s7, 0xc2ce8ed0
	v_cmp_ngt_f32_e32 vcc, s7, v44
	s_mov_b32 s7, 0x42b17218
	v_ldexp_f32 v45, v45, v46
	v_cndmask_b32_e32 v45, 0, v45, vcc
	v_mov_b32_e32 v46, 0x7f800000
	v_cmp_nlt_f32_e32 vcc, s7, v44
	v_cndmask_b32_e32 v47, v46, v45, vcc
	v_add_f32_e32 v48, 1.0, v47
	v_cvt_f64_f32_e32 v[44:45], v48
	v_add_f32_e32 v53, -1.0, v48
	v_sub_f32_e32 v54, v53, v48
	v_sub_f32_e32 v53, v47, v53
	v_frexp_exp_i32_f64_e32 v44, v[44:45]
	v_add_f32_e32 v45, 1.0, v54
	v_add_f32_e32 v45, v53, v45
	v_frexp_mant_f32_e32 v53, v48
	s_mov_b32 s8, 0x3f2aaaab
	v_cmp_gt_f32_e32 vcc, s8, v53
	s_mov_b32 s8, 0x3f317218
	s_mov_b32 s7, 0x7f800000
	v_subbrev_co_u32_e32 v44, vcc, 0, v44, vcc
	v_sub_u32_e32 v53, 0, v44
	v_ldexp_f32 v48, v48, v53
	v_ldexp_f32 v45, v45, v53
	v_add_f32_e32 v53, -1.0, v48
	v_add_f32_e32 v56, 1.0, v48
	v_add_f32_e32 v54, 1.0, v53
	v_add_f32_e32 v57, -1.0, v56
	v_sub_f32_e32 v54, v48, v54
	v_sub_f32_e32 v48, v48, v57
	v_add_f32_e32 v54, v45, v54
	v_add_f32_e32 v45, v45, v48
	;; [unrolled: 1-line block ×3, first 2 shown]
	v_rcp_f32_e32 v57, v48
	v_add_f32_e32 v55, v53, v54
	v_sub_f32_e32 v53, v53, v55
	v_add_f32_e32 v53, v54, v53
	v_sub_f32_e32 v54, v56, v48
	v_add_f32_e32 v45, v45, v54
	v_mul_f32_e32 v54, v55, v57
	v_mul_f32_e32 v56, v48, v54
	v_fma_f32 v58, v54, v48, -v56
	v_fmac_f32_e32 v58, v54, v45
	v_add_f32_e32 v59, v56, v58
	v_sub_f32_e32 v60, v55, v59
	v_sub_f32_e32 v55, v55, v60
	;; [unrolled: 1-line block ×4, first 2 shown]
	v_add_f32_e32 v53, v53, v55
	v_sub_f32_e32 v55, v56, v58
	v_add_f32_e32 v53, v55, v53
	v_add_f32_e32 v55, v60, v53
	v_mul_f32_e32 v56, v57, v55
	v_mul_f32_e32 v58, v48, v56
	v_fma_f32 v48, v56, v48, -v58
	v_fmac_f32_e32 v48, v56, v45
	v_sub_f32_e32 v45, v60, v55
	v_add_f32_e32 v45, v53, v45
	v_add_f32_e32 v53, v58, v48
	v_sub_f32_e32 v59, v55, v53
	v_sub_f32_e32 v55, v55, v59
	;; [unrolled: 1-line block ×4, first 2 shown]
	v_add_f32_e32 v45, v45, v53
	v_sub_f32_e32 v48, v58, v48
	v_add_f32_e32 v45, v48, v45
	v_add_f32_e32 v48, v54, v56
	;; [unrolled: 1-line block ×3, first 2 shown]
	v_sub_f32_e32 v53, v48, v54
	v_mul_f32_e32 v45, v57, v45
	v_sub_f32_e32 v53, v56, v53
	v_add_f32_e32 v45, v53, v45
	v_cvt_f32_i32_e32 v44, v44
	v_add_f32_e32 v53, v48, v45
	v_mul_f32_e32 v54, v53, v53
	v_mov_b32_e32 v55, 0x3ecc95a3
	v_fmac_f32_e32 v55, 0x3e9b6dac, v54
	v_mov_b32_e32 v56, 0x3f2aaada
	v_fmac_f32_e32 v56, v54, v55
	v_mul_f32_e32 v55, 0x3f317218, v44
	v_fma_f32 v57, v44, s8, -v55
	v_fmac_f32_e32 v57, 0xb102e308, v44
	v_sub_f32_e32 v44, v53, v48
	v_sub_f32_e32 v44, v45, v44
	v_add_f32_e32 v45, v55, v57
	v_sub_f32_e32 v48, v45, v55
	v_ldexp_f32 v55, v53, 1
	v_mul_f32_e32 v53, v53, v54
	v_mul_f32_e32 v53, v53, v56
	v_add_f32_e32 v54, v55, v53
	v_sub_f32_e32 v55, v54, v55
	v_ldexp_f32 v44, v44, 1
	v_sub_f32_e32 v53, v53, v55
	v_add_f32_e32 v44, v44, v53
	v_add_f32_e32 v53, v54, v44
	v_sub_f32_e32 v54, v53, v54
	v_sub_f32_e32 v44, v44, v54
	v_add_f32_e32 v54, v45, v53
	v_sub_f32_e32 v55, v54, v45
	v_sub_f32_e32 v56, v54, v55
	;; [unrolled: 1-line block ×5, first 2 shown]
	v_add_f32_e32 v45, v53, v45
	v_add_f32_e32 v53, v48, v44
	v_sub_f32_e32 v55, v53, v48
	v_sub_f32_e32 v56, v53, v55
	;; [unrolled: 1-line block ×4, first 2 shown]
	v_add_f32_e32 v45, v53, v45
	v_add_f32_e32 v44, v44, v48
	v_add_f32_e32 v48, v54, v45
	v_sub_f32_e32 v53, v48, v54
	v_sub_f32_e32 v45, v45, v53
	v_add_f32_e32 v44, v44, v45
	v_add_f32_e32 v44, v48, v44
	v_cmp_neq_f32_e32 vcc, s7, v47
	s_mov_b32 s7, 0x33800000
	v_cndmask_b32_e32 v44, v46, v44, vcc
	v_cmp_lt_f32_e64 vcc, |v47|, s7
	v_cndmask_b32_e32 v44, v44, v47, vcc
	v_add_f32_e32 v44, v42, v44
.LBB516_86:
	s_or_b64 exec, exec, s[2:3]
	v_bfe_u32 v42, v44, 16, 1
	s_movk_i32 s7, 0x7fff
	v_add3_u32 v42, v44, v42, s7
	v_and_b32_e32 v42, 0xffff0000, v42
	v_mov_b32_e32 v45, 0x7fc00000
	v_cmp_o_f32_e32 vcc, v44, v44
	v_cndmask_b32_e32 v47, v45, v42, vcc
	v_lshlrev_b32_e32 v42, 16, v7
	v_max_f32_e32 v46, v47, v47
	v_max_f32_e32 v44, v42, v42
	v_min_f32_e32 v48, v46, v44
	v_cmp_u_f32_e32 vcc, v47, v47
	v_max_f32_e32 v46, v46, v44
	v_cndmask_b32_e32 v48, v48, v47, vcc
	v_cmp_u_f32_e64 s[88:89], v42, v42
	v_cndmask_b32_e32 v46, v46, v47, vcc
	v_cndmask_b32_e64 v48, v48, v42, s[88:89]
	v_cndmask_b32_e64 v46, v46, v42, s[88:89]
	v_cmp_neq_f32_e32 vcc, v48, v46
	v_cmp_class_f32_e64 s[2:3], v48, s6
	s_or_b64 s[8:9], vcc, s[2:3]
	s_and_saveexec_b64 s[2:3], s[8:9]
	s_cbranch_execz .LBB516_88
; %bb.87:
	v_sub_f32_e32 v47, v48, v46
	s_mov_b32 s6, 0x3fb8aa3b
	v_mul_f32_e32 v48, 0x3fb8aa3b, v47
	v_fma_f32 v53, v47, s6, -v48
	v_rndne_f32_e32 v54, v48
	v_fmac_f32_e32 v53, 0x32a5705f, v47
	v_sub_f32_e32 v48, v48, v54
	v_add_f32_e32 v48, v48, v53
	v_exp_f32_e32 v48, v48
	v_cvt_i32_f32_e32 v53, v54
	s_mov_b32 s6, 0xc2ce8ed0
	v_cmp_ngt_f32_e32 vcc, s6, v47
	s_mov_b32 s6, 0x42b17218
	v_ldexp_f32 v48, v48, v53
	v_cndmask_b32_e32 v48, 0, v48, vcc
	v_mov_b32_e32 v53, 0x7f800000
	v_cmp_nlt_f32_e32 vcc, s6, v47
	v_cndmask_b32_e32 v54, v53, v48, vcc
	v_add_f32_e32 v55, 1.0, v54
	v_cvt_f64_f32_e32 v[47:48], v55
	v_add_f32_e32 v56, -1.0, v55
	v_sub_f32_e32 v57, v56, v55
	v_sub_f32_e32 v56, v54, v56
	v_frexp_exp_i32_f64_e32 v47, v[47:48]
	v_add_f32_e32 v48, 1.0, v57
	v_add_f32_e32 v48, v56, v48
	v_frexp_mant_f32_e32 v56, v55
	s_mov_b32 s8, 0x3f2aaaab
	v_cmp_gt_f32_e32 vcc, s8, v56
	s_mov_b32 s8, 0x3f317218
	s_mov_b32 s6, 0x7f800000
	v_subbrev_co_u32_e32 v47, vcc, 0, v47, vcc
	v_sub_u32_e32 v56, 0, v47
	v_ldexp_f32 v55, v55, v56
	v_ldexp_f32 v48, v48, v56
	v_add_f32_e32 v56, -1.0, v55
	v_add_f32_e32 v59, 1.0, v55
	v_add_f32_e32 v57, 1.0, v56
	v_add_f32_e32 v60, -1.0, v59
	v_sub_f32_e32 v57, v55, v57
	v_sub_f32_e32 v55, v55, v60
	v_add_f32_e32 v57, v48, v57
	v_add_f32_e32 v48, v48, v55
	;; [unrolled: 1-line block ×3, first 2 shown]
	v_rcp_f32_e32 v60, v55
	v_add_f32_e32 v58, v56, v57
	v_sub_f32_e32 v56, v56, v58
	v_add_f32_e32 v56, v57, v56
	v_sub_f32_e32 v57, v59, v55
	v_add_f32_e32 v48, v48, v57
	v_mul_f32_e32 v57, v58, v60
	v_mul_f32_e32 v59, v55, v57
	v_fma_f32 v61, v57, v55, -v59
	v_fmac_f32_e32 v61, v57, v48
	v_add_f32_e32 v62, v59, v61
	v_sub_f32_e32 v63, v58, v62
	v_sub_f32_e32 v58, v58, v63
	;; [unrolled: 1-line block ×4, first 2 shown]
	v_add_f32_e32 v56, v56, v58
	v_sub_f32_e32 v58, v59, v61
	v_add_f32_e32 v56, v58, v56
	v_add_f32_e32 v58, v63, v56
	v_mul_f32_e32 v59, v60, v58
	v_mul_f32_e32 v61, v55, v59
	v_fma_f32 v55, v59, v55, -v61
	v_fmac_f32_e32 v55, v59, v48
	v_sub_f32_e32 v48, v63, v58
	v_add_f32_e32 v48, v56, v48
	v_add_f32_e32 v56, v61, v55
	v_sub_f32_e32 v62, v58, v56
	v_sub_f32_e32 v58, v58, v62
	;; [unrolled: 1-line block ×4, first 2 shown]
	v_add_f32_e32 v48, v48, v56
	v_sub_f32_e32 v55, v61, v55
	v_add_f32_e32 v48, v55, v48
	v_add_f32_e32 v55, v57, v59
	;; [unrolled: 1-line block ×3, first 2 shown]
	v_sub_f32_e32 v56, v55, v57
	v_mul_f32_e32 v48, v60, v48
	v_sub_f32_e32 v56, v59, v56
	v_add_f32_e32 v48, v56, v48
	v_cvt_f32_i32_e32 v47, v47
	v_add_f32_e32 v56, v55, v48
	v_mul_f32_e32 v57, v56, v56
	v_mov_b32_e32 v58, 0x3ecc95a3
	v_fmac_f32_e32 v58, 0x3e9b6dac, v57
	v_mov_b32_e32 v59, 0x3f2aaada
	v_fmac_f32_e32 v59, v57, v58
	v_mul_f32_e32 v58, 0x3f317218, v47
	v_fma_f32 v60, v47, s8, -v58
	v_fmac_f32_e32 v60, 0xb102e308, v47
	v_sub_f32_e32 v47, v56, v55
	v_sub_f32_e32 v47, v48, v47
	v_add_f32_e32 v48, v58, v60
	v_sub_f32_e32 v55, v48, v58
	v_ldexp_f32 v58, v56, 1
	v_mul_f32_e32 v56, v56, v57
	v_mul_f32_e32 v56, v56, v59
	v_add_f32_e32 v57, v58, v56
	v_sub_f32_e32 v58, v57, v58
	v_ldexp_f32 v47, v47, 1
	v_sub_f32_e32 v56, v56, v58
	v_add_f32_e32 v47, v47, v56
	v_add_f32_e32 v56, v57, v47
	v_sub_f32_e32 v57, v56, v57
	v_sub_f32_e32 v47, v47, v57
	v_add_f32_e32 v57, v48, v56
	v_sub_f32_e32 v58, v57, v48
	v_sub_f32_e32 v59, v57, v58
	;; [unrolled: 1-line block ×5, first 2 shown]
	v_add_f32_e32 v48, v56, v48
	v_add_f32_e32 v56, v55, v47
	v_sub_f32_e32 v58, v56, v55
	v_sub_f32_e32 v59, v56, v58
	;; [unrolled: 1-line block ×4, first 2 shown]
	v_add_f32_e32 v48, v56, v48
	v_add_f32_e32 v47, v47, v55
	;; [unrolled: 1-line block ×3, first 2 shown]
	v_sub_f32_e32 v56, v55, v57
	v_sub_f32_e32 v48, v48, v56
	v_add_f32_e32 v47, v47, v48
	v_add_f32_e32 v47, v55, v47
	v_cmp_neq_f32_e32 vcc, s6, v54
	s_mov_b32 s6, 0x33800000
	v_cndmask_b32_e32 v47, v53, v47, vcc
	v_cmp_lt_f32_e64 vcc, |v54|, s6
	v_cndmask_b32_e32 v47, v47, v54, vcc
	v_add_f32_e32 v47, v46, v47
.LBB516_88:
	s_or_b64 exec, exec, s[2:3]
	v_bfe_u32 v46, v47, 16, 1
	v_add3_u32 v46, v47, v46, s7
	v_and_b32_e32 v46, 0xffff0000, v46
	v_cmp_o_f32_e32 vcc, v47, v47
	v_cndmask_b32_e32 v47, v45, v46, vcc
	v_and_b32_e32 v7, 0xffff0000, v7
	v_max_f32_e32 v45, v47, v47
	v_max_f32_e32 v46, v7, v7
	v_min_f32_e32 v48, v45, v46
	v_cmp_u_f32_e32 vcc, v47, v47
	v_max_f32_e32 v45, v45, v46
	v_cndmask_b32_e32 v48, v48, v47, vcc
	v_cmp_u_f32_e64 s[90:91], v7, v7
	v_cndmask_b32_e32 v45, v45, v47, vcc
	v_cndmask_b32_e64 v48, v48, v7, s[90:91]
	v_cndmask_b32_e64 v45, v45, v7, s[90:91]
	s_movk_i32 s6, 0x1f8
	v_cmp_neq_f32_e32 vcc, v48, v45
	v_cmp_class_f32_e64 s[2:3], v48, s6
	s_or_b64 s[8:9], vcc, s[2:3]
	s_and_saveexec_b64 s[2:3], s[8:9]
	s_cbranch_execz .LBB516_90
; %bb.89:
	v_sub_f32_e32 v47, v48, v45
	s_mov_b32 s7, 0x3fb8aa3b
	v_mul_f32_e32 v48, 0x3fb8aa3b, v47
	v_fma_f32 v53, v47, s7, -v48
	v_rndne_f32_e32 v54, v48
	v_fmac_f32_e32 v53, 0x32a5705f, v47
	v_sub_f32_e32 v48, v48, v54
	v_add_f32_e32 v48, v48, v53
	v_exp_f32_e32 v48, v48
	v_cvt_i32_f32_e32 v53, v54
	s_mov_b32 s7, 0xc2ce8ed0
	v_cmp_ngt_f32_e32 vcc, s7, v47
	s_mov_b32 s7, 0x42b17218
	v_ldexp_f32 v48, v48, v53
	v_cndmask_b32_e32 v48, 0, v48, vcc
	v_mov_b32_e32 v53, 0x7f800000
	v_cmp_nlt_f32_e32 vcc, s7, v47
	v_cndmask_b32_e32 v54, v53, v48, vcc
	v_add_f32_e32 v55, 1.0, v54
	v_cvt_f64_f32_e32 v[47:48], v55
	v_add_f32_e32 v56, -1.0, v55
	v_sub_f32_e32 v57, v56, v55
	v_sub_f32_e32 v56, v54, v56
	v_frexp_exp_i32_f64_e32 v47, v[47:48]
	v_add_f32_e32 v48, 1.0, v57
	v_add_f32_e32 v48, v56, v48
	v_frexp_mant_f32_e32 v56, v55
	s_mov_b32 s8, 0x3f2aaaab
	v_cmp_gt_f32_e32 vcc, s8, v56
	s_mov_b32 s8, 0x3f317218
	s_mov_b32 s7, 0x7f800000
	v_subbrev_co_u32_e32 v47, vcc, 0, v47, vcc
	v_sub_u32_e32 v56, 0, v47
	v_ldexp_f32 v55, v55, v56
	v_ldexp_f32 v48, v48, v56
	v_add_f32_e32 v56, -1.0, v55
	v_add_f32_e32 v59, 1.0, v55
	v_add_f32_e32 v57, 1.0, v56
	v_add_f32_e32 v60, -1.0, v59
	v_sub_f32_e32 v57, v55, v57
	v_sub_f32_e32 v55, v55, v60
	v_add_f32_e32 v57, v48, v57
	v_add_f32_e32 v48, v48, v55
	;; [unrolled: 1-line block ×3, first 2 shown]
	v_rcp_f32_e32 v60, v55
	v_add_f32_e32 v58, v56, v57
	v_sub_f32_e32 v56, v56, v58
	v_add_f32_e32 v56, v57, v56
	v_sub_f32_e32 v57, v59, v55
	v_add_f32_e32 v48, v48, v57
	v_mul_f32_e32 v57, v58, v60
	v_mul_f32_e32 v59, v55, v57
	v_fma_f32 v61, v57, v55, -v59
	v_fmac_f32_e32 v61, v57, v48
	v_add_f32_e32 v62, v59, v61
	v_sub_f32_e32 v63, v58, v62
	v_sub_f32_e32 v58, v58, v63
	;; [unrolled: 1-line block ×4, first 2 shown]
	v_add_f32_e32 v56, v56, v58
	v_sub_f32_e32 v58, v59, v61
	v_add_f32_e32 v56, v58, v56
	v_add_f32_e32 v58, v63, v56
	v_mul_f32_e32 v59, v60, v58
	v_mul_f32_e32 v61, v55, v59
	v_fma_f32 v55, v59, v55, -v61
	v_fmac_f32_e32 v55, v59, v48
	v_sub_f32_e32 v48, v63, v58
	v_add_f32_e32 v48, v56, v48
	v_add_f32_e32 v56, v61, v55
	v_sub_f32_e32 v62, v58, v56
	v_sub_f32_e32 v58, v58, v62
	;; [unrolled: 1-line block ×4, first 2 shown]
	v_add_f32_e32 v48, v48, v56
	v_sub_f32_e32 v55, v61, v55
	v_add_f32_e32 v48, v55, v48
	v_add_f32_e32 v55, v57, v59
	;; [unrolled: 1-line block ×3, first 2 shown]
	v_sub_f32_e32 v56, v55, v57
	v_mul_f32_e32 v48, v60, v48
	v_sub_f32_e32 v56, v59, v56
	v_add_f32_e32 v48, v56, v48
	v_cvt_f32_i32_e32 v47, v47
	v_add_f32_e32 v56, v55, v48
	v_mul_f32_e32 v57, v56, v56
	v_mov_b32_e32 v58, 0x3ecc95a3
	v_fmac_f32_e32 v58, 0x3e9b6dac, v57
	v_mov_b32_e32 v59, 0x3f2aaada
	v_fmac_f32_e32 v59, v57, v58
	v_mul_f32_e32 v58, 0x3f317218, v47
	v_fma_f32 v60, v47, s8, -v58
	v_fmac_f32_e32 v60, 0xb102e308, v47
	v_sub_f32_e32 v47, v56, v55
	v_sub_f32_e32 v47, v48, v47
	v_add_f32_e32 v48, v58, v60
	v_sub_f32_e32 v55, v48, v58
	v_ldexp_f32 v58, v56, 1
	v_mul_f32_e32 v56, v56, v57
	v_mul_f32_e32 v56, v56, v59
	v_add_f32_e32 v57, v58, v56
	v_sub_f32_e32 v58, v57, v58
	v_ldexp_f32 v47, v47, 1
	v_sub_f32_e32 v56, v56, v58
	v_add_f32_e32 v47, v47, v56
	v_add_f32_e32 v56, v57, v47
	v_sub_f32_e32 v57, v56, v57
	v_sub_f32_e32 v47, v47, v57
	v_add_f32_e32 v57, v48, v56
	v_sub_f32_e32 v58, v57, v48
	v_sub_f32_e32 v59, v57, v58
	;; [unrolled: 1-line block ×5, first 2 shown]
	v_add_f32_e32 v48, v56, v48
	v_add_f32_e32 v56, v55, v47
	v_sub_f32_e32 v58, v56, v55
	v_sub_f32_e32 v59, v56, v58
	;; [unrolled: 1-line block ×4, first 2 shown]
	v_add_f32_e32 v48, v56, v48
	v_add_f32_e32 v47, v47, v55
	;; [unrolled: 1-line block ×3, first 2 shown]
	v_sub_f32_e32 v56, v55, v57
	v_sub_f32_e32 v48, v48, v56
	v_add_f32_e32 v47, v47, v48
	v_add_f32_e32 v47, v55, v47
	v_cmp_neq_f32_e32 vcc, s7, v54
	s_mov_b32 s7, 0x33800000
	v_cndmask_b32_e32 v47, v53, v47, vcc
	v_cmp_lt_f32_e64 vcc, |v54|, s7
	v_cndmask_b32_e32 v47, v47, v54, vcc
	v_add_f32_e32 v47, v45, v47
.LBB516_90:
	s_or_b64 exec, exec, s[2:3]
	v_bfe_u32 v45, v47, 16, 1
	s_movk_i32 s7, 0x7fff
	v_add3_u32 v45, v47, v45, s7
	v_and_b32_e32 v45, 0xffff0000, v45
	v_mov_b32_e32 v48, 0x7fc00000
	v_cmp_o_f32_e32 vcc, v47, v47
	v_cndmask_b32_e32 v54, v48, v45, vcc
	v_lshlrev_b32_e32 v45, 16, v8
	v_max_f32_e32 v53, v54, v54
	v_max_f32_e32 v47, v45, v45
	v_min_f32_e32 v55, v53, v47
	v_cmp_u_f32_e32 vcc, v54, v54
	v_max_f32_e32 v53, v53, v47
	v_cndmask_b32_e32 v55, v55, v54, vcc
	v_cmp_u_f32_e64 s[92:93], v45, v45
	v_cndmask_b32_e32 v53, v53, v54, vcc
	v_cndmask_b32_e64 v55, v55, v45, s[92:93]
	v_cndmask_b32_e64 v53, v53, v45, s[92:93]
	v_cmp_neq_f32_e32 vcc, v55, v53
	v_cmp_class_f32_e64 s[2:3], v55, s6
	s_or_b64 s[8:9], vcc, s[2:3]
	s_and_saveexec_b64 s[2:3], s[8:9]
	s_cbranch_execz .LBB516_92
; %bb.91:
	v_sub_f32_e32 v54, v55, v53
	s_mov_b32 s6, 0x3fb8aa3b
	v_mul_f32_e32 v55, 0x3fb8aa3b, v54
	v_fma_f32 v56, v54, s6, -v55
	v_rndne_f32_e32 v57, v55
	v_fmac_f32_e32 v56, 0x32a5705f, v54
	v_sub_f32_e32 v55, v55, v57
	v_add_f32_e32 v55, v55, v56
	v_exp_f32_e32 v55, v55
	v_cvt_i32_f32_e32 v56, v57
	s_mov_b32 s6, 0xc2ce8ed0
	v_cmp_ngt_f32_e32 vcc, s6, v54
	s_mov_b32 s6, 0x42b17218
	v_ldexp_f32 v55, v55, v56
	v_cndmask_b32_e32 v55, 0, v55, vcc
	v_mov_b32_e32 v56, 0x7f800000
	v_cmp_nlt_f32_e32 vcc, s6, v54
	v_cndmask_b32_e32 v57, v56, v55, vcc
	v_add_f32_e32 v58, 1.0, v57
	v_cvt_f64_f32_e32 v[54:55], v58
	v_add_f32_e32 v59, -1.0, v58
	v_sub_f32_e32 v60, v59, v58
	v_sub_f32_e32 v59, v57, v59
	v_frexp_exp_i32_f64_e32 v54, v[54:55]
	v_add_f32_e32 v55, 1.0, v60
	v_add_f32_e32 v55, v59, v55
	v_frexp_mant_f32_e32 v59, v58
	s_mov_b32 s8, 0x3f2aaaab
	v_cmp_gt_f32_e32 vcc, s8, v59
	s_mov_b32 s8, 0x3f317218
	s_mov_b32 s6, 0x7f800000
	v_subbrev_co_u32_e32 v54, vcc, 0, v54, vcc
	v_sub_u32_e32 v59, 0, v54
	v_ldexp_f32 v58, v58, v59
	v_ldexp_f32 v55, v55, v59
	v_add_f32_e32 v59, -1.0, v58
	v_add_f32_e32 v62, 1.0, v58
	v_add_f32_e32 v60, 1.0, v59
	v_add_f32_e32 v63, -1.0, v62
	v_sub_f32_e32 v60, v58, v60
	v_sub_f32_e32 v58, v58, v63
	v_add_f32_e32 v60, v55, v60
	v_add_f32_e32 v55, v55, v58
	;; [unrolled: 1-line block ×3, first 2 shown]
	v_rcp_f32_e32 v63, v58
	v_add_f32_e32 v61, v59, v60
	v_sub_f32_e32 v59, v59, v61
	v_add_f32_e32 v59, v60, v59
	v_sub_f32_e32 v60, v62, v58
	v_add_f32_e32 v55, v55, v60
	v_mul_f32_e32 v60, v61, v63
	v_mul_f32_e32 v62, v58, v60
	v_fma_f32 v64, v60, v58, -v62
	v_fmac_f32_e32 v64, v60, v55
	v_add_f32_e32 v65, v62, v64
	v_sub_f32_e32 v66, v61, v65
	v_sub_f32_e32 v61, v61, v66
	;; [unrolled: 1-line block ×4, first 2 shown]
	v_add_f32_e32 v59, v59, v61
	v_sub_f32_e32 v61, v62, v64
	v_add_f32_e32 v59, v61, v59
	v_add_f32_e32 v61, v66, v59
	v_mul_f32_e32 v62, v63, v61
	v_mul_f32_e32 v64, v58, v62
	v_fma_f32 v58, v62, v58, -v64
	v_fmac_f32_e32 v58, v62, v55
	v_sub_f32_e32 v55, v66, v61
	v_add_f32_e32 v55, v59, v55
	v_add_f32_e32 v59, v64, v58
	v_sub_f32_e32 v65, v61, v59
	v_sub_f32_e32 v61, v61, v65
	;; [unrolled: 1-line block ×4, first 2 shown]
	v_add_f32_e32 v55, v55, v59
	v_sub_f32_e32 v58, v64, v58
	v_add_f32_e32 v55, v58, v55
	v_add_f32_e32 v58, v60, v62
	;; [unrolled: 1-line block ×3, first 2 shown]
	v_sub_f32_e32 v59, v58, v60
	v_mul_f32_e32 v55, v63, v55
	v_sub_f32_e32 v59, v62, v59
	v_add_f32_e32 v55, v59, v55
	v_cvt_f32_i32_e32 v54, v54
	v_add_f32_e32 v59, v58, v55
	v_mul_f32_e32 v60, v59, v59
	v_mov_b32_e32 v61, 0x3ecc95a3
	v_fmac_f32_e32 v61, 0x3e9b6dac, v60
	v_mov_b32_e32 v62, 0x3f2aaada
	v_fmac_f32_e32 v62, v60, v61
	v_mul_f32_e32 v61, 0x3f317218, v54
	v_fma_f32 v63, v54, s8, -v61
	v_fmac_f32_e32 v63, 0xb102e308, v54
	v_sub_f32_e32 v54, v59, v58
	v_sub_f32_e32 v54, v55, v54
	v_add_f32_e32 v55, v61, v63
	v_sub_f32_e32 v58, v55, v61
	v_ldexp_f32 v61, v59, 1
	v_mul_f32_e32 v59, v59, v60
	v_mul_f32_e32 v59, v59, v62
	v_add_f32_e32 v60, v61, v59
	v_sub_f32_e32 v61, v60, v61
	v_ldexp_f32 v54, v54, 1
	v_sub_f32_e32 v59, v59, v61
	v_add_f32_e32 v54, v54, v59
	v_add_f32_e32 v59, v60, v54
	v_sub_f32_e32 v60, v59, v60
	v_sub_f32_e32 v54, v54, v60
	v_add_f32_e32 v60, v55, v59
	v_sub_f32_e32 v61, v60, v55
	v_sub_f32_e32 v62, v60, v61
	;; [unrolled: 1-line block ×5, first 2 shown]
	v_add_f32_e32 v55, v59, v55
	v_add_f32_e32 v59, v58, v54
	v_sub_f32_e32 v61, v59, v58
	v_sub_f32_e32 v62, v59, v61
	;; [unrolled: 1-line block ×4, first 2 shown]
	v_add_f32_e32 v55, v59, v55
	v_add_f32_e32 v54, v54, v58
	;; [unrolled: 1-line block ×3, first 2 shown]
	v_sub_f32_e32 v59, v58, v60
	v_sub_f32_e32 v55, v55, v59
	v_add_f32_e32 v54, v54, v55
	v_add_f32_e32 v54, v58, v54
	v_cmp_neq_f32_e32 vcc, s6, v57
	s_mov_b32 s6, 0x33800000
	v_cndmask_b32_e32 v54, v56, v54, vcc
	v_cmp_lt_f32_e64 vcc, |v57|, s6
	v_cndmask_b32_e32 v54, v54, v57, vcc
	v_add_f32_e32 v54, v53, v54
.LBB516_92:
	s_or_b64 exec, exec, s[2:3]
	v_bfe_u32 v53, v54, 16, 1
	v_add3_u32 v53, v54, v53, s7
	v_and_b32_e32 v53, 0xffff0000, v53
	v_cmp_o_f32_e32 vcc, v54, v54
	v_cndmask_b32_e32 v54, v48, v53, vcc
	v_and_b32_e32 v8, 0xffff0000, v8
	v_max_f32_e32 v53, v54, v54
	v_max_f32_e32 v48, v8, v8
	v_min_f32_e32 v55, v53, v48
	v_cmp_u_f32_e32 vcc, v54, v54
	v_max_f32_e32 v53, v53, v48
	v_cndmask_b32_e32 v55, v55, v54, vcc
	v_cmp_u_f32_e64 s[94:95], v8, v8
	v_cndmask_b32_e32 v53, v53, v54, vcc
	v_cndmask_b32_e64 v55, v55, v8, s[94:95]
	v_cndmask_b32_e64 v53, v53, v8, s[94:95]
	s_movk_i32 s2, 0x1f8
	v_cmp_neq_f32_e32 vcc, v55, v53
	v_cmp_class_f32_e64 s[2:3], v55, s2
	s_or_b64 s[6:7], vcc, s[2:3]
	s_and_saveexec_b64 s[2:3], s[6:7]
	s_cbranch_execz .LBB516_94
; %bb.93:
	v_sub_f32_e32 v54, v55, v53
	s_mov_b32 s6, 0x3fb8aa3b
	v_mul_f32_e32 v55, 0x3fb8aa3b, v54
	v_fma_f32 v56, v54, s6, -v55
	v_rndne_f32_e32 v57, v55
	v_fmac_f32_e32 v56, 0x32a5705f, v54
	v_sub_f32_e32 v55, v55, v57
	v_add_f32_e32 v55, v55, v56
	v_exp_f32_e32 v55, v55
	v_cvt_i32_f32_e32 v56, v57
	s_mov_b32 s6, 0xc2ce8ed0
	v_cmp_ngt_f32_e32 vcc, s6, v54
	s_mov_b32 s6, 0x42b17218
	v_ldexp_f32 v55, v55, v56
	v_cndmask_b32_e32 v55, 0, v55, vcc
	v_mov_b32_e32 v56, 0x7f800000
	v_cmp_nlt_f32_e32 vcc, s6, v54
	v_cndmask_b32_e32 v57, v56, v55, vcc
	v_add_f32_e32 v58, 1.0, v57
	v_cvt_f64_f32_e32 v[54:55], v58
	v_add_f32_e32 v59, -1.0, v58
	v_sub_f32_e32 v60, v59, v58
	v_sub_f32_e32 v59, v57, v59
	v_frexp_exp_i32_f64_e32 v54, v[54:55]
	v_add_f32_e32 v55, 1.0, v60
	v_add_f32_e32 v55, v59, v55
	v_frexp_mant_f32_e32 v59, v58
	s_mov_b32 s7, 0x3f2aaaab
	v_cmp_gt_f32_e32 vcc, s7, v59
	s_mov_b32 s7, 0x3f317218
	s_mov_b32 s6, 0x7f800000
	v_subbrev_co_u32_e32 v54, vcc, 0, v54, vcc
	v_sub_u32_e32 v59, 0, v54
	v_ldexp_f32 v58, v58, v59
	v_ldexp_f32 v55, v55, v59
	v_add_f32_e32 v59, -1.0, v58
	v_add_f32_e32 v62, 1.0, v58
	v_add_f32_e32 v60, 1.0, v59
	v_add_f32_e32 v63, -1.0, v62
	v_sub_f32_e32 v60, v58, v60
	v_sub_f32_e32 v58, v58, v63
	v_add_f32_e32 v60, v55, v60
	v_add_f32_e32 v55, v55, v58
	v_add_f32_e32 v58, v62, v55
	v_rcp_f32_e32 v63, v58
	v_add_f32_e32 v61, v59, v60
	v_sub_f32_e32 v59, v59, v61
	v_add_f32_e32 v59, v60, v59
	v_sub_f32_e32 v60, v62, v58
	v_add_f32_e32 v55, v55, v60
	v_mul_f32_e32 v60, v61, v63
	v_mul_f32_e32 v62, v58, v60
	v_fma_f32 v64, v60, v58, -v62
	v_fmac_f32_e32 v64, v60, v55
	v_add_f32_e32 v65, v62, v64
	v_sub_f32_e32 v66, v61, v65
	v_sub_f32_e32 v61, v61, v66
	v_sub_f32_e32 v62, v65, v62
	v_sub_f32_e32 v61, v61, v65
	v_add_f32_e32 v59, v59, v61
	v_sub_f32_e32 v61, v62, v64
	v_add_f32_e32 v59, v61, v59
	v_add_f32_e32 v61, v66, v59
	v_mul_f32_e32 v62, v63, v61
	v_mul_f32_e32 v64, v58, v62
	v_fma_f32 v58, v62, v58, -v64
	v_fmac_f32_e32 v58, v62, v55
	v_sub_f32_e32 v55, v66, v61
	v_add_f32_e32 v55, v59, v55
	v_add_f32_e32 v59, v64, v58
	v_sub_f32_e32 v65, v61, v59
	v_sub_f32_e32 v61, v61, v65
	;; [unrolled: 1-line block ×4, first 2 shown]
	v_add_f32_e32 v55, v55, v59
	v_sub_f32_e32 v58, v64, v58
	v_add_f32_e32 v55, v58, v55
	v_add_f32_e32 v58, v60, v62
	;; [unrolled: 1-line block ×3, first 2 shown]
	v_sub_f32_e32 v59, v58, v60
	v_mul_f32_e32 v55, v63, v55
	v_sub_f32_e32 v59, v62, v59
	v_add_f32_e32 v55, v59, v55
	v_cvt_f32_i32_e32 v54, v54
	v_add_f32_e32 v59, v58, v55
	v_mul_f32_e32 v60, v59, v59
	v_mov_b32_e32 v61, 0x3ecc95a3
	v_fmac_f32_e32 v61, 0x3e9b6dac, v60
	v_mov_b32_e32 v62, 0x3f2aaada
	v_fmac_f32_e32 v62, v60, v61
	v_mul_f32_e32 v61, 0x3f317218, v54
	v_fma_f32 v63, v54, s7, -v61
	v_fmac_f32_e32 v63, 0xb102e308, v54
	v_sub_f32_e32 v54, v59, v58
	v_sub_f32_e32 v54, v55, v54
	v_add_f32_e32 v55, v61, v63
	v_sub_f32_e32 v58, v55, v61
	v_ldexp_f32 v61, v59, 1
	v_mul_f32_e32 v59, v59, v60
	v_mul_f32_e32 v59, v59, v62
	v_add_f32_e32 v60, v61, v59
	v_sub_f32_e32 v61, v60, v61
	v_ldexp_f32 v54, v54, 1
	v_sub_f32_e32 v59, v59, v61
	v_add_f32_e32 v54, v54, v59
	v_add_f32_e32 v59, v60, v54
	v_sub_f32_e32 v60, v59, v60
	v_sub_f32_e32 v54, v54, v60
	v_add_f32_e32 v60, v55, v59
	v_sub_f32_e32 v61, v60, v55
	v_sub_f32_e32 v62, v60, v61
	;; [unrolled: 1-line block ×5, first 2 shown]
	v_add_f32_e32 v55, v59, v55
	v_add_f32_e32 v59, v58, v54
	v_sub_f32_e32 v61, v59, v58
	v_sub_f32_e32 v62, v59, v61
	;; [unrolled: 1-line block ×4, first 2 shown]
	v_add_f32_e32 v55, v59, v55
	v_add_f32_e32 v54, v54, v58
	;; [unrolled: 1-line block ×3, first 2 shown]
	v_sub_f32_e32 v59, v58, v60
	v_sub_f32_e32 v55, v55, v59
	v_add_f32_e32 v54, v54, v55
	v_add_f32_e32 v54, v58, v54
	v_cmp_neq_f32_e32 vcc, s6, v57
	s_mov_b32 s6, 0x33800000
	v_cndmask_b32_e32 v54, v56, v54, vcc
	v_cmp_lt_f32_e64 vcc, |v57|, s6
	v_cndmask_b32_e32 v54, v54, v57, vcc
	v_add_f32_e32 v54, v53, v54
.LBB516_94:
	s_or_b64 exec, exec, s[2:3]
	s_load_dwordx2 s[6:7], s[4:5], 0x18
	v_bfe_u32 v53, v54, 16, 1
	s_movk_i32 s2, 0x7fff
	v_add3_u32 v53, v54, v53, s2
	v_cmp_o_f32_e32 vcc, v54, v54
	v_mov_b32_e32 v54, 0x7fc0
	v_cndmask_b32_sdwa v54, v54, v53, vcc dst_sel:DWORD dst_unused:UNUSED_PAD src0_sel:DWORD src1_sel:WORD_1
	v_lshrrev_b32_e32 v53, 4, v0
	v_and_b32_e32 v53, 14, v53
	v_lshl_add_u32 v53, v0, 1, v53
	v_cmp_gt_u32_e32 vcc, 64, v0
	ds_write_b16 v53, v54
	s_waitcnt lgkmcnt(0)
	s_barrier
	s_and_saveexec_b64 s[8:9], vcc
	s_cbranch_execz .LBB516_134
; %bb.95:
	v_lshrrev_b32_e32 v53, 2, v0
	v_and_b32_e32 v53, 62, v53
	v_lshlrev_b32_e32 v55, 3, v0
	v_add_u32_e32 v53, v53, v55
	ds_read_u16 v55, v53
	ds_read_u16 v56, v53 offset:2
	s_movk_i32 s11, 0x1f8
	s_waitcnt lgkmcnt(1)
	v_lshlrev_b32_e32 v55, 16, v55
	s_waitcnt lgkmcnt(0)
	v_lshlrev_b32_e32 v57, 16, v56
	v_max_f32_e32 v58, v57, v57
	v_max_f32_e32 v56, v55, v55
	v_min_f32_e32 v59, v56, v58
	v_cmp_u_f32_e64 s[4:5], v55, v55
	v_max_f32_e32 v58, v56, v58
	v_cndmask_b32_e64 v59, v59, v55, s[4:5]
	v_cmp_u_f32_e32 vcc, v57, v57
	v_cndmask_b32_e64 v58, v58, v55, s[4:5]
	v_cndmask_b32_e32 v59, v59, v57, vcc
	v_cndmask_b32_e32 v57, v58, v57, vcc
	v_cmp_neq_f32_e32 vcc, v59, v57
	v_cmp_class_f32_e64 s[2:3], v59, s11
	s_or_b64 vcc, vcc, s[2:3]
	v_mov_b32_e32 v58, v55
	s_and_saveexec_b64 s[2:3], vcc
	s_cbranch_execz .LBB516_97
; %bb.96:
	v_sub_f32_e32 v58, v59, v57
	s_mov_b32 s10, 0x3fb8aa3b
	v_mul_f32_e32 v59, 0x3fb8aa3b, v58
	v_fma_f32 v60, v58, s10, -v59
	v_rndne_f32_e32 v61, v59
	v_fmac_f32_e32 v60, 0x32a5705f, v58
	v_sub_f32_e32 v59, v59, v61
	v_add_f32_e32 v59, v59, v60
	v_exp_f32_e32 v59, v59
	v_cvt_i32_f32_e32 v60, v61
	s_mov_b32 s10, 0xc2ce8ed0
	v_cmp_ngt_f32_e32 vcc, s10, v58
	s_mov_b32 s10, 0x42b17218
	v_ldexp_f32 v59, v59, v60
	v_cndmask_b32_e32 v59, 0, v59, vcc
	v_mov_b32_e32 v60, 0x7f800000
	v_cmp_nlt_f32_e32 vcc, s10, v58
	v_cndmask_b32_e32 v61, v60, v59, vcc
	v_add_f32_e32 v62, 1.0, v61
	v_cvt_f64_f32_e32 v[58:59], v62
	v_add_f32_e32 v63, -1.0, v62
	v_sub_f32_e32 v64, v63, v62
	v_sub_f32_e32 v63, v61, v63
	v_frexp_exp_i32_f64_e32 v58, v[58:59]
	v_add_f32_e32 v59, 1.0, v64
	v_add_f32_e32 v59, v63, v59
	v_frexp_mant_f32_e32 v63, v62
	s_mov_b32 s12, 0x3f2aaaab
	v_cmp_gt_f32_e32 vcc, s12, v63
	s_mov_b32 s12, 0x3f317218
	s_mov_b32 s10, 0x7f800000
	v_subbrev_co_u32_e32 v58, vcc, 0, v58, vcc
	v_sub_u32_e32 v63, 0, v58
	v_ldexp_f32 v62, v62, v63
	v_ldexp_f32 v59, v59, v63
	v_add_f32_e32 v63, -1.0, v62
	v_add_f32_e32 v66, 1.0, v62
	v_add_f32_e32 v64, 1.0, v63
	v_add_f32_e32 v67, -1.0, v66
	v_sub_f32_e32 v64, v62, v64
	v_sub_f32_e32 v62, v62, v67
	v_add_f32_e32 v64, v59, v64
	v_add_f32_e32 v59, v59, v62
	;; [unrolled: 1-line block ×3, first 2 shown]
	v_rcp_f32_e32 v67, v62
	v_add_f32_e32 v65, v63, v64
	v_sub_f32_e32 v63, v63, v65
	v_add_f32_e32 v63, v64, v63
	v_sub_f32_e32 v64, v66, v62
	v_add_f32_e32 v59, v59, v64
	v_mul_f32_e32 v64, v65, v67
	v_mul_f32_e32 v66, v62, v64
	v_fma_f32 v68, v64, v62, -v66
	v_fmac_f32_e32 v68, v64, v59
	v_add_f32_e32 v69, v66, v68
	v_sub_f32_e32 v70, v65, v69
	v_sub_f32_e32 v65, v65, v70
	;; [unrolled: 1-line block ×4, first 2 shown]
	v_add_f32_e32 v63, v63, v65
	v_sub_f32_e32 v65, v66, v68
	v_add_f32_e32 v63, v65, v63
	v_add_f32_e32 v65, v70, v63
	v_mul_f32_e32 v66, v67, v65
	v_mul_f32_e32 v68, v62, v66
	v_fma_f32 v62, v66, v62, -v68
	v_fmac_f32_e32 v62, v66, v59
	v_sub_f32_e32 v59, v70, v65
	v_add_f32_e32 v59, v63, v59
	v_add_f32_e32 v63, v68, v62
	v_sub_f32_e32 v69, v65, v63
	v_sub_f32_e32 v65, v65, v69
	;; [unrolled: 1-line block ×4, first 2 shown]
	v_add_f32_e32 v59, v59, v63
	v_sub_f32_e32 v62, v68, v62
	v_add_f32_e32 v59, v62, v59
	v_add_f32_e32 v62, v64, v66
	;; [unrolled: 1-line block ×3, first 2 shown]
	v_sub_f32_e32 v63, v62, v64
	v_mul_f32_e32 v59, v67, v59
	v_sub_f32_e32 v63, v66, v63
	v_add_f32_e32 v59, v63, v59
	v_cvt_f32_i32_e32 v58, v58
	v_add_f32_e32 v63, v62, v59
	v_mul_f32_e32 v64, v63, v63
	v_mov_b32_e32 v65, 0x3ecc95a3
	v_fmac_f32_e32 v65, 0x3e9b6dac, v64
	v_mov_b32_e32 v66, 0x3f2aaada
	v_fmac_f32_e32 v66, v64, v65
	v_mul_f32_e32 v65, 0x3f317218, v58
	v_fma_f32 v67, v58, s12, -v65
	v_fmac_f32_e32 v67, 0xb102e308, v58
	v_sub_f32_e32 v58, v63, v62
	v_sub_f32_e32 v58, v59, v58
	v_add_f32_e32 v59, v65, v67
	v_sub_f32_e32 v62, v59, v65
	v_ldexp_f32 v65, v63, 1
	v_mul_f32_e32 v63, v63, v64
	v_mul_f32_e32 v63, v63, v66
	v_add_f32_e32 v64, v65, v63
	v_sub_f32_e32 v65, v64, v65
	v_ldexp_f32 v58, v58, 1
	v_sub_f32_e32 v63, v63, v65
	v_add_f32_e32 v58, v58, v63
	v_add_f32_e32 v63, v64, v58
	v_sub_f32_e32 v64, v63, v64
	v_sub_f32_e32 v58, v58, v64
	v_add_f32_e32 v64, v59, v63
	v_sub_f32_e32 v65, v64, v59
	v_sub_f32_e32 v66, v64, v65
	;; [unrolled: 1-line block ×5, first 2 shown]
	v_add_f32_e32 v59, v63, v59
	v_add_f32_e32 v63, v62, v58
	v_sub_f32_e32 v65, v63, v62
	v_sub_f32_e32 v66, v63, v65
	;; [unrolled: 1-line block ×4, first 2 shown]
	v_add_f32_e32 v59, v63, v59
	v_add_f32_e32 v58, v58, v62
	;; [unrolled: 1-line block ×3, first 2 shown]
	v_sub_f32_e32 v63, v62, v64
	v_sub_f32_e32 v59, v59, v63
	v_add_f32_e32 v58, v58, v59
	v_add_f32_e32 v58, v62, v58
	v_cmp_neq_f32_e32 vcc, s10, v61
	s_mov_b32 s10, 0x33800000
	v_cndmask_b32_e32 v58, v60, v58, vcc
	v_cmp_lt_f32_e64 vcc, |v61|, s10
	v_cndmask_b32_e32 v58, v58, v61, vcc
	v_add_f32_e32 v58, v57, v58
.LBB516_97:
	s_or_b64 exec, exec, s[2:3]
	ds_read_u16 v60, v53 offset:4
	v_bfe_u32 v57, v58, 16, 1
	s_movk_i32 s10, 0x7fff
	v_add3_u32 v57, v58, v57, s10
	v_and_b32_e32 v59, 0xffff0000, v57
	v_mov_b32_e32 v57, 0x7fc00000
	v_cmp_o_f32_e32 vcc, v58, v58
	v_cndmask_b32_e32 v59, v57, v59, vcc
	s_waitcnt lgkmcnt(0)
	v_lshlrev_b32_e32 v58, 16, v60
	v_max_f32_e32 v61, v59, v59
	v_max_f32_e32 v62, v58, v58
	v_min_f32_e32 v60, v61, v62
	v_cmp_u_f32_e32 vcc, v59, v59
	v_max_f32_e32 v61, v61, v62
	v_cndmask_b32_e32 v60, v60, v59, vcc
	v_cmp_u_f32_e64 s[2:3], v58, v58
	v_cndmask_b32_e32 v61, v61, v59, vcc
	v_cndmask_b32_e64 v60, v60, v58, s[2:3]
	v_cndmask_b32_e64 v58, v61, v58, s[2:3]
	v_cmp_neq_f32_e32 vcc, v60, v58
	v_cmp_class_f32_e64 s[2:3], v60, s11
	s_or_b64 vcc, vcc, s[2:3]
	s_and_saveexec_b64 s[2:3], vcc
	s_cbranch_execz .LBB516_99
; %bb.98:
	v_sub_f32_e32 v59, v60, v58
	s_mov_b32 s11, 0x3fb8aa3b
	v_mul_f32_e32 v60, 0x3fb8aa3b, v59
	v_fma_f32 v61, v59, s11, -v60
	v_rndne_f32_e32 v62, v60
	v_fmac_f32_e32 v61, 0x32a5705f, v59
	v_sub_f32_e32 v60, v60, v62
	v_add_f32_e32 v60, v60, v61
	v_exp_f32_e32 v60, v60
	v_cvt_i32_f32_e32 v61, v62
	s_mov_b32 s11, 0xc2ce8ed0
	v_cmp_ngt_f32_e32 vcc, s11, v59
	s_mov_b32 s11, 0x42b17218
	v_ldexp_f32 v60, v60, v61
	v_cndmask_b32_e32 v60, 0, v60, vcc
	v_mov_b32_e32 v61, 0x7f800000
	v_cmp_nlt_f32_e32 vcc, s11, v59
	v_cndmask_b32_e32 v62, v61, v60, vcc
	v_add_f32_e32 v63, 1.0, v62
	v_cvt_f64_f32_e32 v[59:60], v63
	v_add_f32_e32 v64, -1.0, v63
	v_sub_f32_e32 v65, v64, v63
	v_sub_f32_e32 v64, v62, v64
	v_frexp_exp_i32_f64_e32 v59, v[59:60]
	v_add_f32_e32 v60, 1.0, v65
	v_add_f32_e32 v60, v64, v60
	v_frexp_mant_f32_e32 v64, v63
	s_mov_b32 s12, 0x3f2aaaab
	v_cmp_gt_f32_e32 vcc, s12, v64
	s_mov_b32 s12, 0x3f317218
	s_mov_b32 s11, 0x7f800000
	v_subbrev_co_u32_e32 v59, vcc, 0, v59, vcc
	v_sub_u32_e32 v64, 0, v59
	v_ldexp_f32 v63, v63, v64
	v_ldexp_f32 v60, v60, v64
	v_add_f32_e32 v64, -1.0, v63
	v_add_f32_e32 v67, 1.0, v63
	v_add_f32_e32 v65, 1.0, v64
	v_add_f32_e32 v68, -1.0, v67
	v_sub_f32_e32 v65, v63, v65
	v_sub_f32_e32 v63, v63, v68
	v_add_f32_e32 v65, v60, v65
	v_add_f32_e32 v60, v60, v63
	;; [unrolled: 1-line block ×3, first 2 shown]
	v_rcp_f32_e32 v68, v63
	v_add_f32_e32 v66, v64, v65
	v_sub_f32_e32 v64, v64, v66
	v_add_f32_e32 v64, v65, v64
	v_sub_f32_e32 v65, v67, v63
	v_add_f32_e32 v60, v60, v65
	v_mul_f32_e32 v65, v66, v68
	v_mul_f32_e32 v67, v63, v65
	v_fma_f32 v69, v65, v63, -v67
	v_fmac_f32_e32 v69, v65, v60
	v_add_f32_e32 v70, v67, v69
	v_sub_f32_e32 v71, v66, v70
	v_sub_f32_e32 v66, v66, v71
	v_sub_f32_e32 v67, v70, v67
	v_sub_f32_e32 v66, v66, v70
	v_add_f32_e32 v64, v64, v66
	v_sub_f32_e32 v66, v67, v69
	v_add_f32_e32 v64, v66, v64
	v_add_f32_e32 v66, v71, v64
	v_mul_f32_e32 v67, v68, v66
	v_mul_f32_e32 v69, v63, v67
	v_fma_f32 v63, v67, v63, -v69
	v_fmac_f32_e32 v63, v67, v60
	v_sub_f32_e32 v60, v71, v66
	v_add_f32_e32 v60, v64, v60
	v_add_f32_e32 v64, v69, v63
	v_sub_f32_e32 v70, v66, v64
	v_sub_f32_e32 v66, v66, v70
	;; [unrolled: 1-line block ×4, first 2 shown]
	v_add_f32_e32 v60, v60, v64
	v_sub_f32_e32 v63, v69, v63
	v_add_f32_e32 v60, v63, v60
	v_add_f32_e32 v63, v65, v67
	;; [unrolled: 1-line block ×3, first 2 shown]
	v_sub_f32_e32 v64, v63, v65
	v_mul_f32_e32 v60, v68, v60
	v_sub_f32_e32 v64, v67, v64
	v_add_f32_e32 v60, v64, v60
	v_cvt_f32_i32_e32 v59, v59
	v_add_f32_e32 v64, v63, v60
	v_mul_f32_e32 v65, v64, v64
	v_mov_b32_e32 v66, 0x3ecc95a3
	v_fmac_f32_e32 v66, 0x3e9b6dac, v65
	v_mov_b32_e32 v67, 0x3f2aaada
	v_fmac_f32_e32 v67, v65, v66
	v_mul_f32_e32 v66, 0x3f317218, v59
	v_fma_f32 v68, v59, s12, -v66
	v_fmac_f32_e32 v68, 0xb102e308, v59
	v_sub_f32_e32 v59, v64, v63
	v_sub_f32_e32 v59, v60, v59
	v_add_f32_e32 v60, v66, v68
	v_sub_f32_e32 v63, v60, v66
	v_ldexp_f32 v66, v64, 1
	v_mul_f32_e32 v64, v64, v65
	v_mul_f32_e32 v64, v64, v67
	v_add_f32_e32 v65, v66, v64
	v_sub_f32_e32 v66, v65, v66
	v_ldexp_f32 v59, v59, 1
	v_sub_f32_e32 v64, v64, v66
	v_add_f32_e32 v59, v59, v64
	v_add_f32_e32 v64, v65, v59
	v_sub_f32_e32 v65, v64, v65
	v_sub_f32_e32 v59, v59, v65
	v_add_f32_e32 v65, v60, v64
	v_sub_f32_e32 v66, v65, v60
	v_sub_f32_e32 v67, v65, v66
	;; [unrolled: 1-line block ×5, first 2 shown]
	v_add_f32_e32 v60, v64, v60
	v_add_f32_e32 v64, v63, v59
	v_sub_f32_e32 v66, v64, v63
	v_sub_f32_e32 v67, v64, v66
	;; [unrolled: 1-line block ×4, first 2 shown]
	v_add_f32_e32 v60, v64, v60
	v_add_f32_e32 v59, v59, v63
	;; [unrolled: 1-line block ×3, first 2 shown]
	v_sub_f32_e32 v64, v63, v65
	v_sub_f32_e32 v60, v60, v64
	v_add_f32_e32 v59, v59, v60
	v_add_f32_e32 v59, v63, v59
	v_cmp_neq_f32_e32 vcc, s11, v62
	s_mov_b32 s11, 0x33800000
	v_cndmask_b32_e32 v59, v61, v59, vcc
	v_cmp_lt_f32_e64 vcc, |v62|, s11
	v_cndmask_b32_e32 v59, v59, v62, vcc
	v_add_f32_e32 v59, v58, v59
.LBB516_99:
	s_or_b64 exec, exec, s[2:3]
	ds_read_u16 v60, v53 offset:6
	v_bfe_u32 v58, v59, 16, 1
	v_add3_u32 v58, v59, v58, s10
	v_and_b32_e32 v58, 0xffff0000, v58
	v_cmp_o_f32_e32 vcc, v59, v59
	v_cndmask_b32_e32 v58, v57, v58, vcc
	s_waitcnt lgkmcnt(0)
	v_lshlrev_b32_e32 v57, 16, v60
	v_max_f32_e32 v60, v58, v58
	v_max_f32_e32 v61, v57, v57
	v_min_f32_e32 v59, v60, v61
	v_cmp_u_f32_e32 vcc, v58, v58
	v_max_f32_e32 v60, v60, v61
	v_cndmask_b32_e32 v59, v59, v58, vcc
	v_cmp_u_f32_e64 s[2:3], v57, v57
	v_cndmask_b32_e32 v60, v60, v58, vcc
	v_cndmask_b32_e64 v59, v59, v57, s[2:3]
	v_cndmask_b32_e64 v57, v60, v57, s[2:3]
	s_movk_i32 s2, 0x1f8
	v_cmp_neq_f32_e32 vcc, v59, v57
	v_cmp_class_f32_e64 s[2:3], v59, s2
	s_or_b64 s[10:11], vcc, s[2:3]
	s_and_saveexec_b64 s[2:3], s[10:11]
	s_cbranch_execz .LBB516_101
; %bb.100:
	v_sub_f32_e32 v58, v59, v57
	s_mov_b32 s10, 0x3fb8aa3b
	v_mul_f32_e32 v59, 0x3fb8aa3b, v58
	v_fma_f32 v60, v58, s10, -v59
	v_rndne_f32_e32 v61, v59
	v_fmac_f32_e32 v60, 0x32a5705f, v58
	v_sub_f32_e32 v59, v59, v61
	v_add_f32_e32 v59, v59, v60
	v_exp_f32_e32 v59, v59
	v_cvt_i32_f32_e32 v60, v61
	s_mov_b32 s10, 0xc2ce8ed0
	v_cmp_ngt_f32_e32 vcc, s10, v58
	s_mov_b32 s10, 0x42b17218
	v_ldexp_f32 v59, v59, v60
	v_cndmask_b32_e32 v59, 0, v59, vcc
	v_mov_b32_e32 v60, 0x7f800000
	v_cmp_nlt_f32_e32 vcc, s10, v58
	v_cndmask_b32_e32 v61, v60, v59, vcc
	v_add_f32_e32 v62, 1.0, v61
	v_cvt_f64_f32_e32 v[58:59], v62
	v_add_f32_e32 v63, -1.0, v62
	v_sub_f32_e32 v64, v63, v62
	v_sub_f32_e32 v63, v61, v63
	v_frexp_exp_i32_f64_e32 v58, v[58:59]
	v_add_f32_e32 v59, 1.0, v64
	v_add_f32_e32 v59, v63, v59
	v_frexp_mant_f32_e32 v63, v62
	s_mov_b32 s11, 0x3f2aaaab
	v_cmp_gt_f32_e32 vcc, s11, v63
	s_mov_b32 s11, 0x3f317218
	s_mov_b32 s10, 0x7f800000
	v_subbrev_co_u32_e32 v58, vcc, 0, v58, vcc
	v_sub_u32_e32 v63, 0, v58
	v_ldexp_f32 v62, v62, v63
	v_ldexp_f32 v59, v59, v63
	v_add_f32_e32 v63, -1.0, v62
	v_add_f32_e32 v66, 1.0, v62
	v_add_f32_e32 v64, 1.0, v63
	v_add_f32_e32 v67, -1.0, v66
	v_sub_f32_e32 v64, v62, v64
	v_sub_f32_e32 v62, v62, v67
	v_add_f32_e32 v64, v59, v64
	v_add_f32_e32 v59, v59, v62
	;; [unrolled: 1-line block ×3, first 2 shown]
	v_rcp_f32_e32 v67, v62
	v_add_f32_e32 v65, v63, v64
	v_sub_f32_e32 v63, v63, v65
	v_add_f32_e32 v63, v64, v63
	v_sub_f32_e32 v64, v66, v62
	v_add_f32_e32 v59, v59, v64
	v_mul_f32_e32 v64, v65, v67
	v_mul_f32_e32 v66, v62, v64
	v_fma_f32 v68, v64, v62, -v66
	v_fmac_f32_e32 v68, v64, v59
	v_add_f32_e32 v69, v66, v68
	v_sub_f32_e32 v70, v65, v69
	v_sub_f32_e32 v65, v65, v70
	;; [unrolled: 1-line block ×4, first 2 shown]
	v_add_f32_e32 v63, v63, v65
	v_sub_f32_e32 v65, v66, v68
	v_add_f32_e32 v63, v65, v63
	v_add_f32_e32 v65, v70, v63
	v_mul_f32_e32 v66, v67, v65
	v_mul_f32_e32 v68, v62, v66
	v_fma_f32 v62, v66, v62, -v68
	v_fmac_f32_e32 v62, v66, v59
	v_sub_f32_e32 v59, v70, v65
	v_add_f32_e32 v59, v63, v59
	v_add_f32_e32 v63, v68, v62
	v_sub_f32_e32 v69, v65, v63
	v_sub_f32_e32 v65, v65, v69
	;; [unrolled: 1-line block ×4, first 2 shown]
	v_add_f32_e32 v59, v59, v63
	v_sub_f32_e32 v62, v68, v62
	v_add_f32_e32 v59, v62, v59
	v_add_f32_e32 v62, v64, v66
	;; [unrolled: 1-line block ×3, first 2 shown]
	v_sub_f32_e32 v63, v62, v64
	v_mul_f32_e32 v59, v67, v59
	v_sub_f32_e32 v63, v66, v63
	v_add_f32_e32 v59, v63, v59
	v_cvt_f32_i32_e32 v58, v58
	v_add_f32_e32 v63, v62, v59
	v_mul_f32_e32 v64, v63, v63
	v_mov_b32_e32 v65, 0x3ecc95a3
	v_fmac_f32_e32 v65, 0x3e9b6dac, v64
	v_mov_b32_e32 v66, 0x3f2aaada
	v_fmac_f32_e32 v66, v64, v65
	v_mul_f32_e32 v65, 0x3f317218, v58
	v_fma_f32 v67, v58, s11, -v65
	v_fmac_f32_e32 v67, 0xb102e308, v58
	v_sub_f32_e32 v58, v63, v62
	v_sub_f32_e32 v58, v59, v58
	v_add_f32_e32 v59, v65, v67
	v_sub_f32_e32 v62, v59, v65
	v_ldexp_f32 v65, v63, 1
	v_mul_f32_e32 v63, v63, v64
	v_mul_f32_e32 v63, v63, v66
	v_add_f32_e32 v64, v65, v63
	v_sub_f32_e32 v65, v64, v65
	v_ldexp_f32 v58, v58, 1
	v_sub_f32_e32 v63, v63, v65
	v_add_f32_e32 v58, v58, v63
	v_add_f32_e32 v63, v64, v58
	v_sub_f32_e32 v64, v63, v64
	v_sub_f32_e32 v58, v58, v64
	v_add_f32_e32 v64, v59, v63
	v_sub_f32_e32 v65, v64, v59
	v_sub_f32_e32 v66, v64, v65
	;; [unrolled: 1-line block ×5, first 2 shown]
	v_add_f32_e32 v59, v63, v59
	v_add_f32_e32 v63, v62, v58
	v_sub_f32_e32 v65, v63, v62
	v_sub_f32_e32 v66, v63, v65
	;; [unrolled: 1-line block ×4, first 2 shown]
	v_add_f32_e32 v59, v63, v59
	v_add_f32_e32 v58, v58, v62
	;; [unrolled: 1-line block ×3, first 2 shown]
	v_sub_f32_e32 v63, v62, v64
	v_sub_f32_e32 v59, v59, v63
	v_add_f32_e32 v58, v58, v59
	v_add_f32_e32 v58, v62, v58
	v_cmp_neq_f32_e32 vcc, s10, v61
	s_mov_b32 s10, 0x33800000
	v_cndmask_b32_e32 v58, v60, v58, vcc
	v_cmp_lt_f32_e64 vcc, |v61|, s10
	v_cndmask_b32_e32 v58, v58, v61, vcc
	v_add_f32_e32 v58, v57, v58
.LBB516_101:
	s_or_b64 exec, exec, s[2:3]
	v_bfe_u32 v57, v58, 16, 1
	s_movk_i32 s2, 0x7fff
	v_add3_u32 v57, v58, v57, s2
	v_cmp_o_f32_e32 vcc, v58, v58
	v_mov_b32_e32 v58, 0x7fc0
	v_cndmask_b32_sdwa v59, v58, v57, vcc dst_sel:DWORD dst_unused:UNUSED_PAD src0_sel:DWORD src1_sel:WORD_1
	v_mbcnt_lo_u32_b32 v57, -1, 0
	v_mbcnt_hi_u32_b32 v57, -1, v57
	v_and_b32_e32 v58, 15, v57
	v_and_b32_e32 v60, 0xffff, v59
	v_cmp_ne_u32_e32 vcc, 0, v58
	s_nop 0
	v_mov_b32_dpp v61, v60 row_shr:1 row_mask:0xf bank_mask:0xf
	s_and_saveexec_b64 s[2:3], vcc
	s_xor_b64 s[10:11], exec, s[2:3]
	s_cbranch_execz .LBB516_105
; %bb.102:
	v_lshlrev_b32_e32 v61, 16, v61
	v_lshlrev_b32_e32 v59, 16, v60
	v_max_f32_e32 v62, v59, v59
	v_max_f32_e32 v63, v61, v61
	v_min_f32_e32 v60, v63, v62
	v_cmp_u_f32_e64 s[2:3], v61, v61
	v_max_f32_e32 v62, v63, v62
	v_cndmask_b32_e64 v60, v60, v61, s[2:3]
	v_cmp_u_f32_e32 vcc, v59, v59
	v_cndmask_b32_e64 v62, v62, v61, s[2:3]
	v_cndmask_b32_e32 v60, v60, v59, vcc
	v_cndmask_b32_e32 v59, v62, v59, vcc
	s_movk_i32 s2, 0x1f8
	v_cmp_neq_f32_e32 vcc, v60, v59
	v_cmp_class_f32_e64 s[2:3], v60, s2
	s_or_b64 vcc, vcc, s[2:3]
	s_and_saveexec_b64 s[2:3], vcc
	s_cbranch_execz .LBB516_104
; %bb.103:
	v_sub_f32_e32 v60, v60, v59
	s_mov_b32 s33, 0x3fb8aa3b
	v_mul_f32_e32 v61, 0x3fb8aa3b, v60
	v_fma_f32 v62, v60, s33, -v61
	v_rndne_f32_e32 v63, v61
	v_fmac_f32_e32 v62, 0x32a5705f, v60
	v_sub_f32_e32 v61, v61, v63
	v_add_f32_e32 v61, v61, v62
	v_exp_f32_e32 v61, v61
	v_cvt_i32_f32_e32 v62, v63
	s_mov_b32 s33, 0xc2ce8ed0
	v_cmp_ngt_f32_e32 vcc, s33, v60
	s_mov_b32 s33, 0x42b17218
	v_ldexp_f32 v61, v61, v62
	v_cndmask_b32_e32 v61, 0, v61, vcc
	v_mov_b32_e32 v62, 0x7f800000
	v_cmp_nlt_f32_e32 vcc, s33, v60
	v_cndmask_b32_e32 v63, v62, v61, vcc
	v_add_f32_e32 v64, 1.0, v63
	v_cvt_f64_f32_e32 v[60:61], v64
	v_add_f32_e32 v65, -1.0, v64
	v_sub_f32_e32 v66, v65, v64
	v_sub_f32_e32 v65, v63, v65
	v_frexp_exp_i32_f64_e32 v60, v[60:61]
	v_add_f32_e32 v61, 1.0, v66
	v_add_f32_e32 v61, v65, v61
	v_frexp_mant_f32_e32 v65, v64
	s_mov_b32 s12, 0x3f2aaaab
	v_cmp_gt_f32_e32 vcc, s12, v65
	s_mov_b32 s12, 0x3f317218
	s_mov_b32 s33, 0x7f800000
	v_subbrev_co_u32_e32 v60, vcc, 0, v60, vcc
	v_sub_u32_e32 v65, 0, v60
	v_ldexp_f32 v64, v64, v65
	v_ldexp_f32 v61, v61, v65
	v_add_f32_e32 v65, -1.0, v64
	v_add_f32_e32 v68, 1.0, v64
	v_add_f32_e32 v66, 1.0, v65
	v_add_f32_e32 v69, -1.0, v68
	v_sub_f32_e32 v66, v64, v66
	v_sub_f32_e32 v64, v64, v69
	v_add_f32_e32 v66, v61, v66
	v_add_f32_e32 v61, v61, v64
	;; [unrolled: 1-line block ×3, first 2 shown]
	v_rcp_f32_e32 v69, v64
	v_add_f32_e32 v67, v65, v66
	v_sub_f32_e32 v65, v65, v67
	v_add_f32_e32 v65, v66, v65
	v_sub_f32_e32 v66, v68, v64
	v_add_f32_e32 v61, v61, v66
	v_mul_f32_e32 v66, v67, v69
	v_mul_f32_e32 v68, v64, v66
	v_fma_f32 v70, v66, v64, -v68
	v_fmac_f32_e32 v70, v66, v61
	v_add_f32_e32 v71, v68, v70
	v_sub_f32_e32 v72, v67, v71
	v_sub_f32_e32 v67, v67, v72
	;; [unrolled: 1-line block ×4, first 2 shown]
	v_add_f32_e32 v65, v65, v67
	v_sub_f32_e32 v67, v68, v70
	v_add_f32_e32 v65, v67, v65
	v_add_f32_e32 v67, v72, v65
	v_mul_f32_e32 v68, v69, v67
	v_mul_f32_e32 v70, v64, v68
	v_fma_f32 v64, v68, v64, -v70
	v_fmac_f32_e32 v64, v68, v61
	v_sub_f32_e32 v61, v72, v67
	v_add_f32_e32 v61, v65, v61
	v_add_f32_e32 v65, v70, v64
	v_sub_f32_e32 v71, v67, v65
	v_sub_f32_e32 v67, v67, v71
	;; [unrolled: 1-line block ×4, first 2 shown]
	v_add_f32_e32 v61, v61, v65
	v_sub_f32_e32 v64, v70, v64
	v_add_f32_e32 v61, v64, v61
	v_add_f32_e32 v64, v66, v68
	;; [unrolled: 1-line block ×3, first 2 shown]
	v_sub_f32_e32 v65, v64, v66
	v_mul_f32_e32 v61, v69, v61
	v_sub_f32_e32 v65, v68, v65
	v_add_f32_e32 v61, v65, v61
	v_cvt_f32_i32_e32 v60, v60
	v_add_f32_e32 v65, v64, v61
	v_mul_f32_e32 v66, v65, v65
	v_mov_b32_e32 v67, 0x3ecc95a3
	v_fmac_f32_e32 v67, 0x3e9b6dac, v66
	v_mov_b32_e32 v68, 0x3f2aaada
	v_fmac_f32_e32 v68, v66, v67
	v_mul_f32_e32 v67, 0x3f317218, v60
	v_fma_f32 v69, v60, s12, -v67
	v_fmac_f32_e32 v69, 0xb102e308, v60
	v_sub_f32_e32 v60, v65, v64
	v_sub_f32_e32 v60, v61, v60
	v_add_f32_e32 v61, v67, v69
	v_sub_f32_e32 v64, v61, v67
	v_ldexp_f32 v67, v65, 1
	v_mul_f32_e32 v65, v65, v66
	v_mul_f32_e32 v65, v65, v68
	v_add_f32_e32 v66, v67, v65
	v_sub_f32_e32 v67, v66, v67
	v_ldexp_f32 v60, v60, 1
	v_sub_f32_e32 v65, v65, v67
	v_add_f32_e32 v60, v60, v65
	v_add_f32_e32 v65, v66, v60
	v_sub_f32_e32 v66, v65, v66
	v_sub_f32_e32 v60, v60, v66
	v_add_f32_e32 v66, v61, v65
	v_sub_f32_e32 v67, v66, v61
	v_sub_f32_e32 v68, v66, v67
	;; [unrolled: 1-line block ×5, first 2 shown]
	v_add_f32_e32 v61, v65, v61
	v_add_f32_e32 v65, v64, v60
	v_sub_f32_e32 v67, v65, v64
	v_sub_f32_e32 v68, v65, v67
	;; [unrolled: 1-line block ×4, first 2 shown]
	v_add_f32_e32 v61, v65, v61
	v_add_f32_e32 v60, v60, v64
	;; [unrolled: 1-line block ×3, first 2 shown]
	v_sub_f32_e32 v65, v64, v66
	v_sub_f32_e32 v61, v61, v65
	v_add_f32_e32 v60, v60, v61
	v_add_f32_e32 v60, v64, v60
	v_cmp_neq_f32_e32 vcc, s33, v63
	s_mov_b32 s12, 0x33800000
	v_cndmask_b32_e32 v60, v62, v60, vcc
	v_cmp_lt_f32_e64 vcc, |v63|, s12
	v_cndmask_b32_e32 v60, v60, v63, vcc
	v_add_f32_e32 v61, v59, v60
.LBB516_104:
	s_or_b64 exec, exec, s[2:3]
	v_bfe_u32 v59, v61, 16, 1
	s_movk_i32 s2, 0x7fff
	v_add3_u32 v59, v61, v59, s2
	v_cmp_o_f32_e32 vcc, v61, v61
	v_mov_b32_e32 v60, 0x7fc0
	v_cndmask_b32_sdwa v59, v60, v59, vcc dst_sel:DWORD dst_unused:UNUSED_PAD src0_sel:DWORD src1_sel:WORD_1
	v_and_b32_e32 v60, 0xffff, v59
.LBB516_105:
	s_or_b64 exec, exec, s[10:11]
	s_nop 0
	v_mov_b32_dpp v61, v60 row_shr:2 row_mask:0xf bank_mask:0xf
	v_cmp_lt_u32_e32 vcc, 1, v58
	s_and_saveexec_b64 s[10:11], vcc
	s_cbranch_execz .LBB516_109
; %bb.106:
	v_lshlrev_b32_e32 v61, 16, v61
	v_lshlrev_b32_e32 v59, 16, v60
	v_max_f32_e32 v62, v59, v59
	v_max_f32_e32 v63, v61, v61
	v_min_f32_e32 v60, v63, v62
	v_cmp_u_f32_e32 vcc, v61, v61
	v_max_f32_e32 v62, v63, v62
	v_cndmask_b32_e32 v60, v60, v61, vcc
	v_cmp_u_f32_e64 s[2:3], v59, v59
	v_cndmask_b32_e32 v62, v62, v61, vcc
	v_cndmask_b32_e64 v60, v60, v59, s[2:3]
	v_cndmask_b32_e64 v59, v62, v59, s[2:3]
	s_movk_i32 s2, 0x1f8
	v_cmp_neq_f32_e32 vcc, v60, v59
	v_cmp_class_f32_e64 s[2:3], v60, s2
	s_or_b64 vcc, vcc, s[2:3]
	s_and_saveexec_b64 s[2:3], vcc
	s_cbranch_execz .LBB516_108
; %bb.107:
	v_sub_f32_e32 v60, v60, v59
	s_mov_b32 s12, 0x3fb8aa3b
	v_mul_f32_e32 v61, 0x3fb8aa3b, v60
	v_fma_f32 v62, v60, s12, -v61
	v_rndne_f32_e32 v63, v61
	v_fmac_f32_e32 v62, 0x32a5705f, v60
	v_sub_f32_e32 v61, v61, v63
	v_add_f32_e32 v61, v61, v62
	v_exp_f32_e32 v61, v61
	v_cvt_i32_f32_e32 v62, v63
	s_mov_b32 s12, 0xc2ce8ed0
	v_cmp_ngt_f32_e32 vcc, s12, v60
	s_mov_b32 s12, 0x42b17218
	v_ldexp_f32 v61, v61, v62
	v_cndmask_b32_e32 v61, 0, v61, vcc
	v_mov_b32_e32 v62, 0x7f800000
	v_cmp_nlt_f32_e32 vcc, s12, v60
	v_cndmask_b32_e32 v63, v62, v61, vcc
	v_add_f32_e32 v64, 1.0, v63
	v_cvt_f64_f32_e32 v[60:61], v64
	v_add_f32_e32 v65, -1.0, v64
	v_sub_f32_e32 v66, v65, v64
	v_sub_f32_e32 v65, v63, v65
	v_frexp_exp_i32_f64_e32 v60, v[60:61]
	v_add_f32_e32 v61, 1.0, v66
	v_add_f32_e32 v61, v65, v61
	v_frexp_mant_f32_e32 v65, v64
	s_mov_b32 s13, 0x3f2aaaab
	v_cmp_gt_f32_e32 vcc, s13, v65
	s_mov_b32 s13, 0x3f317218
	s_mov_b32 s12, 0x7f800000
	v_subbrev_co_u32_e32 v60, vcc, 0, v60, vcc
	v_sub_u32_e32 v65, 0, v60
	v_ldexp_f32 v64, v64, v65
	v_ldexp_f32 v61, v61, v65
	v_add_f32_e32 v65, -1.0, v64
	v_add_f32_e32 v68, 1.0, v64
	v_add_f32_e32 v66, 1.0, v65
	v_add_f32_e32 v69, -1.0, v68
	v_sub_f32_e32 v66, v64, v66
	v_sub_f32_e32 v64, v64, v69
	v_add_f32_e32 v66, v61, v66
	v_add_f32_e32 v61, v61, v64
	;; [unrolled: 1-line block ×3, first 2 shown]
	v_rcp_f32_e32 v69, v64
	v_add_f32_e32 v67, v65, v66
	v_sub_f32_e32 v65, v65, v67
	v_add_f32_e32 v65, v66, v65
	v_sub_f32_e32 v66, v68, v64
	v_add_f32_e32 v61, v61, v66
	v_mul_f32_e32 v66, v67, v69
	v_mul_f32_e32 v68, v64, v66
	v_fma_f32 v70, v66, v64, -v68
	v_fmac_f32_e32 v70, v66, v61
	v_add_f32_e32 v71, v68, v70
	v_sub_f32_e32 v72, v67, v71
	v_sub_f32_e32 v67, v67, v72
	v_sub_f32_e32 v68, v71, v68
	v_sub_f32_e32 v67, v67, v71
	v_add_f32_e32 v65, v65, v67
	v_sub_f32_e32 v67, v68, v70
	v_add_f32_e32 v65, v67, v65
	v_add_f32_e32 v67, v72, v65
	v_mul_f32_e32 v68, v69, v67
	v_mul_f32_e32 v70, v64, v68
	v_fma_f32 v64, v68, v64, -v70
	v_fmac_f32_e32 v64, v68, v61
	v_sub_f32_e32 v61, v72, v67
	v_add_f32_e32 v61, v65, v61
	v_add_f32_e32 v65, v70, v64
	v_sub_f32_e32 v71, v67, v65
	v_sub_f32_e32 v67, v67, v71
	;; [unrolled: 1-line block ×4, first 2 shown]
	v_add_f32_e32 v61, v61, v65
	v_sub_f32_e32 v64, v70, v64
	v_add_f32_e32 v61, v64, v61
	v_add_f32_e32 v64, v66, v68
	;; [unrolled: 1-line block ×3, first 2 shown]
	v_sub_f32_e32 v65, v64, v66
	v_mul_f32_e32 v61, v69, v61
	v_sub_f32_e32 v65, v68, v65
	v_add_f32_e32 v61, v65, v61
	v_cvt_f32_i32_e32 v60, v60
	v_add_f32_e32 v65, v64, v61
	v_mul_f32_e32 v66, v65, v65
	v_mov_b32_e32 v67, 0x3ecc95a3
	v_fmac_f32_e32 v67, 0x3e9b6dac, v66
	v_mov_b32_e32 v68, 0x3f2aaada
	v_fmac_f32_e32 v68, v66, v67
	v_mul_f32_e32 v67, 0x3f317218, v60
	v_fma_f32 v69, v60, s13, -v67
	v_fmac_f32_e32 v69, 0xb102e308, v60
	v_sub_f32_e32 v60, v65, v64
	v_sub_f32_e32 v60, v61, v60
	v_add_f32_e32 v61, v67, v69
	v_sub_f32_e32 v64, v61, v67
	v_ldexp_f32 v67, v65, 1
	v_mul_f32_e32 v65, v65, v66
	v_mul_f32_e32 v65, v65, v68
	v_add_f32_e32 v66, v67, v65
	v_sub_f32_e32 v67, v66, v67
	v_ldexp_f32 v60, v60, 1
	v_sub_f32_e32 v65, v65, v67
	v_add_f32_e32 v60, v60, v65
	v_add_f32_e32 v65, v66, v60
	v_sub_f32_e32 v66, v65, v66
	v_sub_f32_e32 v60, v60, v66
	v_add_f32_e32 v66, v61, v65
	v_sub_f32_e32 v67, v66, v61
	v_sub_f32_e32 v68, v66, v67
	;; [unrolled: 1-line block ×5, first 2 shown]
	v_add_f32_e32 v61, v65, v61
	v_add_f32_e32 v65, v64, v60
	v_sub_f32_e32 v67, v65, v64
	v_sub_f32_e32 v68, v65, v67
	;; [unrolled: 1-line block ×4, first 2 shown]
	v_add_f32_e32 v61, v65, v61
	v_add_f32_e32 v60, v60, v64
	;; [unrolled: 1-line block ×3, first 2 shown]
	v_sub_f32_e32 v65, v64, v66
	v_sub_f32_e32 v61, v61, v65
	v_add_f32_e32 v60, v60, v61
	v_add_f32_e32 v60, v64, v60
	v_cmp_neq_f32_e32 vcc, s12, v63
	s_mov_b32 s12, 0x33800000
	v_cndmask_b32_e32 v60, v62, v60, vcc
	v_cmp_lt_f32_e64 vcc, |v63|, s12
	v_cndmask_b32_e32 v60, v60, v63, vcc
	v_add_f32_e32 v61, v59, v60
.LBB516_108:
	s_or_b64 exec, exec, s[2:3]
	v_bfe_u32 v59, v61, 16, 1
	s_movk_i32 s2, 0x7fff
	v_add3_u32 v59, v61, v59, s2
	v_cmp_o_f32_e32 vcc, v61, v61
	v_mov_b32_e32 v60, 0x7fc0
	v_cndmask_b32_sdwa v59, v60, v59, vcc dst_sel:DWORD dst_unused:UNUSED_PAD src0_sel:DWORD src1_sel:WORD_1
	v_and_b32_e32 v60, 0xffff, v59
.LBB516_109:
	s_or_b64 exec, exec, s[10:11]
	s_nop 0
	v_mov_b32_dpp v61, v60 row_shr:4 row_mask:0xf bank_mask:0xf
	v_cmp_lt_u32_e32 vcc, 3, v58
	s_and_saveexec_b64 s[10:11], vcc
	s_cbranch_execz .LBB516_113
; %bb.110:
	v_lshlrev_b32_e32 v61, 16, v61
	v_lshlrev_b32_e32 v59, 16, v60
	v_max_f32_e32 v62, v59, v59
	v_max_f32_e32 v63, v61, v61
	v_min_f32_e32 v60, v63, v62
	v_cmp_u_f32_e32 vcc, v61, v61
	v_max_f32_e32 v62, v63, v62
	v_cndmask_b32_e32 v60, v60, v61, vcc
	v_cmp_u_f32_e64 s[2:3], v59, v59
	v_cndmask_b32_e32 v62, v62, v61, vcc
	v_cndmask_b32_e64 v60, v60, v59, s[2:3]
	v_cndmask_b32_e64 v59, v62, v59, s[2:3]
	s_movk_i32 s2, 0x1f8
	v_cmp_neq_f32_e32 vcc, v60, v59
	v_cmp_class_f32_e64 s[2:3], v60, s2
	s_or_b64 vcc, vcc, s[2:3]
	s_and_saveexec_b64 s[2:3], vcc
	s_cbranch_execz .LBB516_112
; %bb.111:
	v_sub_f32_e32 v60, v60, v59
	s_mov_b32 s12, 0x3fb8aa3b
	v_mul_f32_e32 v61, 0x3fb8aa3b, v60
	v_fma_f32 v62, v60, s12, -v61
	v_rndne_f32_e32 v63, v61
	v_fmac_f32_e32 v62, 0x32a5705f, v60
	v_sub_f32_e32 v61, v61, v63
	v_add_f32_e32 v61, v61, v62
	v_exp_f32_e32 v61, v61
	v_cvt_i32_f32_e32 v62, v63
	s_mov_b32 s12, 0xc2ce8ed0
	v_cmp_ngt_f32_e32 vcc, s12, v60
	s_mov_b32 s12, 0x42b17218
	v_ldexp_f32 v61, v61, v62
	v_cndmask_b32_e32 v61, 0, v61, vcc
	v_mov_b32_e32 v62, 0x7f800000
	v_cmp_nlt_f32_e32 vcc, s12, v60
	v_cndmask_b32_e32 v63, v62, v61, vcc
	v_add_f32_e32 v64, 1.0, v63
	v_cvt_f64_f32_e32 v[60:61], v64
	v_add_f32_e32 v65, -1.0, v64
	v_sub_f32_e32 v66, v65, v64
	v_sub_f32_e32 v65, v63, v65
	v_frexp_exp_i32_f64_e32 v60, v[60:61]
	v_add_f32_e32 v61, 1.0, v66
	v_add_f32_e32 v61, v65, v61
	v_frexp_mant_f32_e32 v65, v64
	s_mov_b32 s13, 0x3f2aaaab
	v_cmp_gt_f32_e32 vcc, s13, v65
	s_mov_b32 s13, 0x3f317218
	s_mov_b32 s12, 0x7f800000
	v_subbrev_co_u32_e32 v60, vcc, 0, v60, vcc
	v_sub_u32_e32 v65, 0, v60
	v_ldexp_f32 v64, v64, v65
	v_ldexp_f32 v61, v61, v65
	v_add_f32_e32 v65, -1.0, v64
	v_add_f32_e32 v68, 1.0, v64
	v_add_f32_e32 v66, 1.0, v65
	v_add_f32_e32 v69, -1.0, v68
	v_sub_f32_e32 v66, v64, v66
	v_sub_f32_e32 v64, v64, v69
	v_add_f32_e32 v66, v61, v66
	v_add_f32_e32 v61, v61, v64
	;; [unrolled: 1-line block ×3, first 2 shown]
	v_rcp_f32_e32 v69, v64
	v_add_f32_e32 v67, v65, v66
	v_sub_f32_e32 v65, v65, v67
	v_add_f32_e32 v65, v66, v65
	v_sub_f32_e32 v66, v68, v64
	v_add_f32_e32 v61, v61, v66
	v_mul_f32_e32 v66, v67, v69
	v_mul_f32_e32 v68, v64, v66
	v_fma_f32 v70, v66, v64, -v68
	v_fmac_f32_e32 v70, v66, v61
	v_add_f32_e32 v71, v68, v70
	v_sub_f32_e32 v72, v67, v71
	v_sub_f32_e32 v67, v67, v72
	;; [unrolled: 1-line block ×4, first 2 shown]
	v_add_f32_e32 v65, v65, v67
	v_sub_f32_e32 v67, v68, v70
	v_add_f32_e32 v65, v67, v65
	v_add_f32_e32 v67, v72, v65
	v_mul_f32_e32 v68, v69, v67
	v_mul_f32_e32 v70, v64, v68
	v_fma_f32 v64, v68, v64, -v70
	v_fmac_f32_e32 v64, v68, v61
	v_sub_f32_e32 v61, v72, v67
	v_add_f32_e32 v61, v65, v61
	v_add_f32_e32 v65, v70, v64
	v_sub_f32_e32 v71, v67, v65
	v_sub_f32_e32 v67, v67, v71
	;; [unrolled: 1-line block ×4, first 2 shown]
	v_add_f32_e32 v61, v61, v65
	v_sub_f32_e32 v64, v70, v64
	v_add_f32_e32 v61, v64, v61
	v_add_f32_e32 v64, v66, v68
	;; [unrolled: 1-line block ×3, first 2 shown]
	v_sub_f32_e32 v65, v64, v66
	v_mul_f32_e32 v61, v69, v61
	v_sub_f32_e32 v65, v68, v65
	v_add_f32_e32 v61, v65, v61
	v_cvt_f32_i32_e32 v60, v60
	v_add_f32_e32 v65, v64, v61
	v_mul_f32_e32 v66, v65, v65
	v_mov_b32_e32 v67, 0x3ecc95a3
	v_fmac_f32_e32 v67, 0x3e9b6dac, v66
	v_mov_b32_e32 v68, 0x3f2aaada
	v_fmac_f32_e32 v68, v66, v67
	v_mul_f32_e32 v67, 0x3f317218, v60
	v_fma_f32 v69, v60, s13, -v67
	v_fmac_f32_e32 v69, 0xb102e308, v60
	v_sub_f32_e32 v60, v65, v64
	v_sub_f32_e32 v60, v61, v60
	v_add_f32_e32 v61, v67, v69
	v_sub_f32_e32 v64, v61, v67
	v_ldexp_f32 v67, v65, 1
	v_mul_f32_e32 v65, v65, v66
	v_mul_f32_e32 v65, v65, v68
	v_add_f32_e32 v66, v67, v65
	v_sub_f32_e32 v67, v66, v67
	v_ldexp_f32 v60, v60, 1
	v_sub_f32_e32 v65, v65, v67
	v_add_f32_e32 v60, v60, v65
	v_add_f32_e32 v65, v66, v60
	v_sub_f32_e32 v66, v65, v66
	v_sub_f32_e32 v60, v60, v66
	v_add_f32_e32 v66, v61, v65
	v_sub_f32_e32 v67, v66, v61
	v_sub_f32_e32 v68, v66, v67
	;; [unrolled: 1-line block ×5, first 2 shown]
	v_add_f32_e32 v61, v65, v61
	v_add_f32_e32 v65, v64, v60
	v_sub_f32_e32 v67, v65, v64
	v_sub_f32_e32 v68, v65, v67
	;; [unrolled: 1-line block ×4, first 2 shown]
	v_add_f32_e32 v61, v65, v61
	v_add_f32_e32 v60, v60, v64
	;; [unrolled: 1-line block ×3, first 2 shown]
	v_sub_f32_e32 v65, v64, v66
	v_sub_f32_e32 v61, v61, v65
	v_add_f32_e32 v60, v60, v61
	v_add_f32_e32 v60, v64, v60
	v_cmp_neq_f32_e32 vcc, s12, v63
	s_mov_b32 s12, 0x33800000
	v_cndmask_b32_e32 v60, v62, v60, vcc
	v_cmp_lt_f32_e64 vcc, |v63|, s12
	v_cndmask_b32_e32 v60, v60, v63, vcc
	v_add_f32_e32 v61, v59, v60
.LBB516_112:
	s_or_b64 exec, exec, s[2:3]
	v_bfe_u32 v59, v61, 16, 1
	s_movk_i32 s2, 0x7fff
	v_add3_u32 v59, v61, v59, s2
	v_cmp_o_f32_e32 vcc, v61, v61
	v_mov_b32_e32 v60, 0x7fc0
	v_cndmask_b32_sdwa v59, v60, v59, vcc dst_sel:DWORD dst_unused:UNUSED_PAD src0_sel:DWORD src1_sel:WORD_1
	v_and_b32_e32 v60, 0xffff, v59
.LBB516_113:
	s_or_b64 exec, exec, s[10:11]
	s_nop 0
	v_mov_b32_dpp v61, v60 row_shr:8 row_mask:0xf bank_mask:0xf
	v_cmp_lt_u32_e32 vcc, 7, v58
	s_and_saveexec_b64 s[10:11], vcc
	s_cbranch_execz .LBB516_117
; %bb.114:
	v_lshlrev_b32_e32 v59, 16, v61
	v_lshlrev_b32_e32 v58, 16, v60
	v_max_f32_e32 v61, v58, v58
	v_max_f32_e32 v62, v59, v59
	v_min_f32_e32 v60, v62, v61
	v_cmp_u_f32_e32 vcc, v59, v59
	v_max_f32_e32 v61, v62, v61
	v_cndmask_b32_e32 v60, v60, v59, vcc
	v_cmp_u_f32_e64 s[2:3], v58, v58
	v_cndmask_b32_e32 v61, v61, v59, vcc
	v_cndmask_b32_e64 v60, v60, v58, s[2:3]
	v_cndmask_b32_e64 v58, v61, v58, s[2:3]
	s_movk_i32 s2, 0x1f8
	v_cmp_neq_f32_e32 vcc, v60, v58
	v_cmp_class_f32_e64 s[2:3], v60, s2
	s_or_b64 vcc, vcc, s[2:3]
	s_and_saveexec_b64 s[2:3], vcc
	s_cbranch_execz .LBB516_116
; %bb.115:
	v_sub_f32_e32 v59, v60, v58
	s_mov_b32 s12, 0x3fb8aa3b
	v_mul_f32_e32 v60, 0x3fb8aa3b, v59
	v_fma_f32 v61, v59, s12, -v60
	v_rndne_f32_e32 v62, v60
	v_fmac_f32_e32 v61, 0x32a5705f, v59
	v_sub_f32_e32 v60, v60, v62
	v_add_f32_e32 v60, v60, v61
	v_exp_f32_e32 v60, v60
	v_cvt_i32_f32_e32 v61, v62
	s_mov_b32 s12, 0xc2ce8ed0
	v_cmp_ngt_f32_e32 vcc, s12, v59
	s_mov_b32 s12, 0x42b17218
	v_ldexp_f32 v60, v60, v61
	v_cndmask_b32_e32 v60, 0, v60, vcc
	v_mov_b32_e32 v61, 0x7f800000
	v_cmp_nlt_f32_e32 vcc, s12, v59
	v_cndmask_b32_e32 v62, v61, v60, vcc
	v_add_f32_e32 v63, 1.0, v62
	v_cvt_f64_f32_e32 v[59:60], v63
	v_add_f32_e32 v64, -1.0, v63
	v_sub_f32_e32 v65, v64, v63
	v_sub_f32_e32 v64, v62, v64
	v_frexp_exp_i32_f64_e32 v59, v[59:60]
	v_add_f32_e32 v60, 1.0, v65
	v_add_f32_e32 v60, v64, v60
	v_frexp_mant_f32_e32 v64, v63
	s_mov_b32 s13, 0x3f2aaaab
	v_cmp_gt_f32_e32 vcc, s13, v64
	s_mov_b32 s13, 0x3f317218
	s_mov_b32 s12, 0x7f800000
	v_subbrev_co_u32_e32 v59, vcc, 0, v59, vcc
	v_sub_u32_e32 v64, 0, v59
	v_ldexp_f32 v63, v63, v64
	v_ldexp_f32 v60, v60, v64
	v_add_f32_e32 v64, -1.0, v63
	v_add_f32_e32 v67, 1.0, v63
	v_add_f32_e32 v65, 1.0, v64
	v_add_f32_e32 v68, -1.0, v67
	v_sub_f32_e32 v65, v63, v65
	v_sub_f32_e32 v63, v63, v68
	v_add_f32_e32 v65, v60, v65
	v_add_f32_e32 v60, v60, v63
	;; [unrolled: 1-line block ×3, first 2 shown]
	v_rcp_f32_e32 v68, v63
	v_add_f32_e32 v66, v64, v65
	v_sub_f32_e32 v64, v64, v66
	v_add_f32_e32 v64, v65, v64
	v_sub_f32_e32 v65, v67, v63
	v_add_f32_e32 v60, v60, v65
	v_mul_f32_e32 v65, v66, v68
	v_mul_f32_e32 v67, v63, v65
	v_fma_f32 v69, v65, v63, -v67
	v_fmac_f32_e32 v69, v65, v60
	v_add_f32_e32 v70, v67, v69
	v_sub_f32_e32 v71, v66, v70
	v_sub_f32_e32 v66, v66, v71
	v_sub_f32_e32 v67, v70, v67
	v_sub_f32_e32 v66, v66, v70
	v_add_f32_e32 v64, v64, v66
	v_sub_f32_e32 v66, v67, v69
	v_add_f32_e32 v64, v66, v64
	v_add_f32_e32 v66, v71, v64
	v_mul_f32_e32 v67, v68, v66
	v_mul_f32_e32 v69, v63, v67
	v_fma_f32 v63, v67, v63, -v69
	v_fmac_f32_e32 v63, v67, v60
	v_sub_f32_e32 v60, v71, v66
	v_add_f32_e32 v60, v64, v60
	v_add_f32_e32 v64, v69, v63
	v_sub_f32_e32 v70, v66, v64
	v_sub_f32_e32 v66, v66, v70
	;; [unrolled: 1-line block ×4, first 2 shown]
	v_add_f32_e32 v60, v60, v64
	v_sub_f32_e32 v63, v69, v63
	v_add_f32_e32 v60, v63, v60
	v_add_f32_e32 v63, v65, v67
	;; [unrolled: 1-line block ×3, first 2 shown]
	v_sub_f32_e32 v64, v63, v65
	v_mul_f32_e32 v60, v68, v60
	v_sub_f32_e32 v64, v67, v64
	v_add_f32_e32 v60, v64, v60
	v_cvt_f32_i32_e32 v59, v59
	v_add_f32_e32 v64, v63, v60
	v_mul_f32_e32 v65, v64, v64
	v_mov_b32_e32 v66, 0x3ecc95a3
	v_fmac_f32_e32 v66, 0x3e9b6dac, v65
	v_mov_b32_e32 v67, 0x3f2aaada
	v_fmac_f32_e32 v67, v65, v66
	v_mul_f32_e32 v66, 0x3f317218, v59
	v_fma_f32 v68, v59, s13, -v66
	v_fmac_f32_e32 v68, 0xb102e308, v59
	v_sub_f32_e32 v59, v64, v63
	v_sub_f32_e32 v59, v60, v59
	v_add_f32_e32 v60, v66, v68
	v_sub_f32_e32 v63, v60, v66
	v_ldexp_f32 v66, v64, 1
	v_mul_f32_e32 v64, v64, v65
	v_mul_f32_e32 v64, v64, v67
	v_add_f32_e32 v65, v66, v64
	v_sub_f32_e32 v66, v65, v66
	v_ldexp_f32 v59, v59, 1
	v_sub_f32_e32 v64, v64, v66
	v_add_f32_e32 v59, v59, v64
	v_add_f32_e32 v64, v65, v59
	v_sub_f32_e32 v65, v64, v65
	v_sub_f32_e32 v59, v59, v65
	v_add_f32_e32 v65, v60, v64
	v_sub_f32_e32 v66, v65, v60
	v_sub_f32_e32 v67, v65, v66
	;; [unrolled: 1-line block ×5, first 2 shown]
	v_add_f32_e32 v60, v64, v60
	v_add_f32_e32 v64, v63, v59
	v_sub_f32_e32 v66, v64, v63
	v_sub_f32_e32 v67, v64, v66
	;; [unrolled: 1-line block ×4, first 2 shown]
	v_add_f32_e32 v60, v64, v60
	v_add_f32_e32 v59, v59, v63
	;; [unrolled: 1-line block ×3, first 2 shown]
	v_sub_f32_e32 v64, v63, v65
	v_sub_f32_e32 v60, v60, v64
	v_add_f32_e32 v59, v59, v60
	v_add_f32_e32 v59, v63, v59
	v_cmp_neq_f32_e32 vcc, s12, v62
	s_mov_b32 s12, 0x33800000
	v_cndmask_b32_e32 v59, v61, v59, vcc
	v_cmp_lt_f32_e64 vcc, |v62|, s12
	v_cndmask_b32_e32 v59, v59, v62, vcc
	v_add_f32_e32 v59, v58, v59
.LBB516_116:
	s_or_b64 exec, exec, s[2:3]
	v_bfe_u32 v58, v59, 16, 1
	s_movk_i32 s2, 0x7fff
	v_add3_u32 v58, v59, v58, s2
	v_cmp_o_f32_e32 vcc, v59, v59
	v_mov_b32_e32 v59, 0x7fc0
	v_cndmask_b32_sdwa v59, v59, v58, vcc dst_sel:DWORD dst_unused:UNUSED_PAD src0_sel:DWORD src1_sel:WORD_1
	v_and_b32_e32 v60, 0xffff, v59
.LBB516_117:
	s_or_b64 exec, exec, s[10:11]
	v_and_b32_e32 v61, 16, v57
	v_mov_b32_dpp v58, v60 row_bcast:15 row_mask:0xf bank_mask:0xf
	v_cmp_ne_u32_e32 vcc, 0, v61
	s_and_saveexec_b64 s[10:11], vcc
	s_cbranch_execz .LBB516_121
; %bb.118:
	v_lshlrev_b32_e32 v59, 16, v58
	v_lshlrev_b32_e32 v58, 16, v60
	v_max_f32_e32 v61, v58, v58
	v_max_f32_e32 v62, v59, v59
	v_min_f32_e32 v60, v62, v61
	v_cmp_u_f32_e32 vcc, v59, v59
	v_max_f32_e32 v61, v62, v61
	v_cndmask_b32_e32 v60, v60, v59, vcc
	v_cmp_u_f32_e64 s[2:3], v58, v58
	v_cndmask_b32_e32 v61, v61, v59, vcc
	v_cndmask_b32_e64 v60, v60, v58, s[2:3]
	v_cndmask_b32_e64 v58, v61, v58, s[2:3]
	s_movk_i32 s2, 0x1f8
	v_cmp_neq_f32_e32 vcc, v60, v58
	v_cmp_class_f32_e64 s[2:3], v60, s2
	s_or_b64 vcc, vcc, s[2:3]
	s_and_saveexec_b64 s[2:3], vcc
	s_cbranch_execz .LBB516_120
; %bb.119:
	v_sub_f32_e32 v59, v60, v58
	s_mov_b32 s12, 0x3fb8aa3b
	v_mul_f32_e32 v60, 0x3fb8aa3b, v59
	v_fma_f32 v61, v59, s12, -v60
	v_rndne_f32_e32 v62, v60
	v_fmac_f32_e32 v61, 0x32a5705f, v59
	v_sub_f32_e32 v60, v60, v62
	v_add_f32_e32 v60, v60, v61
	v_exp_f32_e32 v60, v60
	v_cvt_i32_f32_e32 v61, v62
	s_mov_b32 s12, 0xc2ce8ed0
	v_cmp_ngt_f32_e32 vcc, s12, v59
	s_mov_b32 s12, 0x42b17218
	v_ldexp_f32 v60, v60, v61
	v_cndmask_b32_e32 v60, 0, v60, vcc
	v_mov_b32_e32 v61, 0x7f800000
	v_cmp_nlt_f32_e32 vcc, s12, v59
	v_cndmask_b32_e32 v62, v61, v60, vcc
	v_add_f32_e32 v63, 1.0, v62
	v_cvt_f64_f32_e32 v[59:60], v63
	v_add_f32_e32 v64, -1.0, v63
	v_sub_f32_e32 v65, v64, v63
	v_sub_f32_e32 v64, v62, v64
	v_frexp_exp_i32_f64_e32 v59, v[59:60]
	v_add_f32_e32 v60, 1.0, v65
	v_add_f32_e32 v60, v64, v60
	v_frexp_mant_f32_e32 v64, v63
	s_mov_b32 s13, 0x3f2aaaab
	v_cmp_gt_f32_e32 vcc, s13, v64
	s_mov_b32 s13, 0x3f317218
	s_mov_b32 s12, 0x7f800000
	v_subbrev_co_u32_e32 v59, vcc, 0, v59, vcc
	v_sub_u32_e32 v64, 0, v59
	v_ldexp_f32 v63, v63, v64
	v_ldexp_f32 v60, v60, v64
	v_add_f32_e32 v64, -1.0, v63
	v_add_f32_e32 v67, 1.0, v63
	v_add_f32_e32 v65, 1.0, v64
	v_add_f32_e32 v68, -1.0, v67
	v_sub_f32_e32 v65, v63, v65
	v_sub_f32_e32 v63, v63, v68
	v_add_f32_e32 v65, v60, v65
	v_add_f32_e32 v60, v60, v63
	;; [unrolled: 1-line block ×3, first 2 shown]
	v_rcp_f32_e32 v68, v63
	v_add_f32_e32 v66, v64, v65
	v_sub_f32_e32 v64, v64, v66
	v_add_f32_e32 v64, v65, v64
	v_sub_f32_e32 v65, v67, v63
	v_add_f32_e32 v60, v60, v65
	v_mul_f32_e32 v65, v66, v68
	v_mul_f32_e32 v67, v63, v65
	v_fma_f32 v69, v65, v63, -v67
	v_fmac_f32_e32 v69, v65, v60
	v_add_f32_e32 v70, v67, v69
	v_sub_f32_e32 v71, v66, v70
	v_sub_f32_e32 v66, v66, v71
	;; [unrolled: 1-line block ×4, first 2 shown]
	v_add_f32_e32 v64, v64, v66
	v_sub_f32_e32 v66, v67, v69
	v_add_f32_e32 v64, v66, v64
	v_add_f32_e32 v66, v71, v64
	v_mul_f32_e32 v67, v68, v66
	v_mul_f32_e32 v69, v63, v67
	v_fma_f32 v63, v67, v63, -v69
	v_fmac_f32_e32 v63, v67, v60
	v_sub_f32_e32 v60, v71, v66
	v_add_f32_e32 v60, v64, v60
	v_add_f32_e32 v64, v69, v63
	v_sub_f32_e32 v70, v66, v64
	v_sub_f32_e32 v66, v66, v70
	;; [unrolled: 1-line block ×4, first 2 shown]
	v_add_f32_e32 v60, v60, v64
	v_sub_f32_e32 v63, v69, v63
	v_add_f32_e32 v60, v63, v60
	v_add_f32_e32 v63, v65, v67
	;; [unrolled: 1-line block ×3, first 2 shown]
	v_sub_f32_e32 v64, v63, v65
	v_mul_f32_e32 v60, v68, v60
	v_sub_f32_e32 v64, v67, v64
	v_add_f32_e32 v60, v64, v60
	v_cvt_f32_i32_e32 v59, v59
	v_add_f32_e32 v64, v63, v60
	v_mul_f32_e32 v65, v64, v64
	v_mov_b32_e32 v66, 0x3ecc95a3
	v_fmac_f32_e32 v66, 0x3e9b6dac, v65
	v_mov_b32_e32 v67, 0x3f2aaada
	v_fmac_f32_e32 v67, v65, v66
	v_mul_f32_e32 v66, 0x3f317218, v59
	v_fma_f32 v68, v59, s13, -v66
	v_fmac_f32_e32 v68, 0xb102e308, v59
	v_sub_f32_e32 v59, v64, v63
	v_sub_f32_e32 v59, v60, v59
	v_add_f32_e32 v60, v66, v68
	v_sub_f32_e32 v63, v60, v66
	v_ldexp_f32 v66, v64, 1
	v_mul_f32_e32 v64, v64, v65
	v_mul_f32_e32 v64, v64, v67
	v_add_f32_e32 v65, v66, v64
	v_sub_f32_e32 v66, v65, v66
	v_ldexp_f32 v59, v59, 1
	v_sub_f32_e32 v64, v64, v66
	v_add_f32_e32 v59, v59, v64
	v_add_f32_e32 v64, v65, v59
	v_sub_f32_e32 v65, v64, v65
	v_sub_f32_e32 v59, v59, v65
	v_add_f32_e32 v65, v60, v64
	v_sub_f32_e32 v66, v65, v60
	v_sub_f32_e32 v67, v65, v66
	v_sub_f32_e32 v63, v68, v63
	v_sub_f32_e32 v60, v60, v67
	v_sub_f32_e32 v64, v64, v66
	v_add_f32_e32 v60, v64, v60
	v_add_f32_e32 v64, v63, v59
	v_sub_f32_e32 v66, v64, v63
	v_sub_f32_e32 v67, v64, v66
	;; [unrolled: 1-line block ×4, first 2 shown]
	v_add_f32_e32 v60, v64, v60
	v_add_f32_e32 v59, v59, v63
	;; [unrolled: 1-line block ×3, first 2 shown]
	v_sub_f32_e32 v64, v63, v65
	v_sub_f32_e32 v60, v60, v64
	v_add_f32_e32 v59, v59, v60
	v_add_f32_e32 v59, v63, v59
	v_cmp_neq_f32_e32 vcc, s12, v62
	s_mov_b32 s12, 0x33800000
	v_cndmask_b32_e32 v59, v61, v59, vcc
	v_cmp_lt_f32_e64 vcc, |v62|, s12
	v_cndmask_b32_e32 v59, v59, v62, vcc
	v_add_f32_e32 v59, v58, v59
.LBB516_120:
	s_or_b64 exec, exec, s[2:3]
	v_bfe_u32 v58, v59, 16, 1
	s_movk_i32 s2, 0x7fff
	v_add3_u32 v58, v59, v58, s2
	v_cmp_o_f32_e32 vcc, v59, v59
	v_mov_b32_e32 v59, 0x7fc0
	v_cndmask_b32_sdwa v59, v59, v58, vcc dst_sel:DWORD dst_unused:UNUSED_PAD src0_sel:DWORD src1_sel:WORD_1
	v_and_b32_e32 v60, 0xffff, v59
.LBB516_121:
	s_or_b64 exec, exec, s[10:11]
	s_nop 0
	v_mov_b32_dpp v58, v60 row_bcast:31 row_mask:0xf bank_mask:0xf
	v_cmp_lt_u32_e32 vcc, 31, v57
	s_and_saveexec_b64 s[10:11], vcc
	s_cbranch_execz .LBB516_125
; %bb.122:
	v_lshlrev_b32_e32 v59, 16, v58
	v_lshlrev_b32_e32 v58, 16, v60
	v_max_f32_e32 v61, v58, v58
	v_max_f32_e32 v62, v59, v59
	v_min_f32_e32 v60, v62, v61
	v_cmp_u_f32_e32 vcc, v59, v59
	v_max_f32_e32 v61, v62, v61
	v_cndmask_b32_e32 v60, v60, v59, vcc
	v_cmp_u_f32_e64 s[2:3], v58, v58
	v_cndmask_b32_e32 v61, v61, v59, vcc
	v_cndmask_b32_e64 v60, v60, v58, s[2:3]
	v_cndmask_b32_e64 v58, v61, v58, s[2:3]
	s_movk_i32 s2, 0x1f8
	v_cmp_neq_f32_e32 vcc, v60, v58
	v_cmp_class_f32_e64 s[2:3], v60, s2
	s_or_b64 vcc, vcc, s[2:3]
	s_and_saveexec_b64 s[2:3], vcc
	s_cbranch_execz .LBB516_124
; %bb.123:
	v_sub_f32_e32 v59, v60, v58
	s_mov_b32 s12, 0x3fb8aa3b
	v_mul_f32_e32 v60, 0x3fb8aa3b, v59
	v_fma_f32 v61, v59, s12, -v60
	v_rndne_f32_e32 v62, v60
	v_fmac_f32_e32 v61, 0x32a5705f, v59
	v_sub_f32_e32 v60, v60, v62
	v_add_f32_e32 v60, v60, v61
	v_exp_f32_e32 v60, v60
	v_cvt_i32_f32_e32 v61, v62
	s_mov_b32 s12, 0xc2ce8ed0
	v_cmp_ngt_f32_e32 vcc, s12, v59
	s_mov_b32 s12, 0x42b17218
	v_ldexp_f32 v60, v60, v61
	v_cndmask_b32_e32 v60, 0, v60, vcc
	v_mov_b32_e32 v61, 0x7f800000
	v_cmp_nlt_f32_e32 vcc, s12, v59
	v_cndmask_b32_e32 v62, v61, v60, vcc
	v_add_f32_e32 v63, 1.0, v62
	v_cvt_f64_f32_e32 v[59:60], v63
	v_add_f32_e32 v64, -1.0, v63
	v_sub_f32_e32 v65, v64, v63
	v_sub_f32_e32 v64, v62, v64
	v_frexp_exp_i32_f64_e32 v59, v[59:60]
	v_add_f32_e32 v60, 1.0, v65
	v_add_f32_e32 v60, v64, v60
	v_frexp_mant_f32_e32 v64, v63
	s_mov_b32 s13, 0x3f2aaaab
	v_cmp_gt_f32_e32 vcc, s13, v64
	s_mov_b32 s13, 0x3f317218
	s_mov_b32 s12, 0x7f800000
	v_subbrev_co_u32_e32 v59, vcc, 0, v59, vcc
	v_sub_u32_e32 v64, 0, v59
	v_ldexp_f32 v63, v63, v64
	v_ldexp_f32 v60, v60, v64
	v_add_f32_e32 v64, -1.0, v63
	v_add_f32_e32 v67, 1.0, v63
	v_add_f32_e32 v65, 1.0, v64
	v_add_f32_e32 v68, -1.0, v67
	v_sub_f32_e32 v65, v63, v65
	v_sub_f32_e32 v63, v63, v68
	v_add_f32_e32 v65, v60, v65
	v_add_f32_e32 v60, v60, v63
	;; [unrolled: 1-line block ×3, first 2 shown]
	v_rcp_f32_e32 v68, v63
	v_add_f32_e32 v66, v64, v65
	v_sub_f32_e32 v64, v64, v66
	v_add_f32_e32 v64, v65, v64
	v_sub_f32_e32 v65, v67, v63
	v_add_f32_e32 v60, v60, v65
	v_mul_f32_e32 v65, v66, v68
	v_mul_f32_e32 v67, v63, v65
	v_fma_f32 v69, v65, v63, -v67
	v_fmac_f32_e32 v69, v65, v60
	v_add_f32_e32 v70, v67, v69
	v_sub_f32_e32 v71, v66, v70
	v_sub_f32_e32 v66, v66, v71
	;; [unrolled: 1-line block ×4, first 2 shown]
	v_add_f32_e32 v64, v64, v66
	v_sub_f32_e32 v66, v67, v69
	v_add_f32_e32 v64, v66, v64
	v_add_f32_e32 v66, v71, v64
	v_mul_f32_e32 v67, v68, v66
	v_mul_f32_e32 v69, v63, v67
	v_fma_f32 v63, v67, v63, -v69
	v_fmac_f32_e32 v63, v67, v60
	v_sub_f32_e32 v60, v71, v66
	v_add_f32_e32 v60, v64, v60
	v_add_f32_e32 v64, v69, v63
	v_sub_f32_e32 v70, v66, v64
	v_sub_f32_e32 v66, v66, v70
	;; [unrolled: 1-line block ×4, first 2 shown]
	v_add_f32_e32 v60, v60, v64
	v_sub_f32_e32 v63, v69, v63
	v_add_f32_e32 v60, v63, v60
	v_add_f32_e32 v63, v65, v67
	;; [unrolled: 1-line block ×3, first 2 shown]
	v_sub_f32_e32 v64, v63, v65
	v_mul_f32_e32 v60, v68, v60
	v_sub_f32_e32 v64, v67, v64
	v_add_f32_e32 v60, v64, v60
	v_cvt_f32_i32_e32 v59, v59
	v_add_f32_e32 v64, v63, v60
	v_mul_f32_e32 v65, v64, v64
	v_mov_b32_e32 v66, 0x3ecc95a3
	v_fmac_f32_e32 v66, 0x3e9b6dac, v65
	v_mov_b32_e32 v67, 0x3f2aaada
	v_fmac_f32_e32 v67, v65, v66
	v_mul_f32_e32 v66, 0x3f317218, v59
	v_fma_f32 v68, v59, s13, -v66
	v_fmac_f32_e32 v68, 0xb102e308, v59
	v_sub_f32_e32 v59, v64, v63
	v_sub_f32_e32 v59, v60, v59
	v_add_f32_e32 v60, v66, v68
	v_sub_f32_e32 v63, v60, v66
	v_ldexp_f32 v66, v64, 1
	v_mul_f32_e32 v64, v64, v65
	v_mul_f32_e32 v64, v64, v67
	v_add_f32_e32 v65, v66, v64
	v_sub_f32_e32 v66, v65, v66
	v_ldexp_f32 v59, v59, 1
	v_sub_f32_e32 v64, v64, v66
	v_add_f32_e32 v59, v59, v64
	v_add_f32_e32 v64, v65, v59
	v_sub_f32_e32 v65, v64, v65
	v_sub_f32_e32 v59, v59, v65
	v_add_f32_e32 v65, v60, v64
	v_sub_f32_e32 v66, v65, v60
	v_sub_f32_e32 v67, v65, v66
	;; [unrolled: 1-line block ×5, first 2 shown]
	v_add_f32_e32 v60, v64, v60
	v_add_f32_e32 v64, v63, v59
	v_sub_f32_e32 v66, v64, v63
	v_sub_f32_e32 v67, v64, v66
	;; [unrolled: 1-line block ×4, first 2 shown]
	v_add_f32_e32 v60, v64, v60
	v_add_f32_e32 v59, v59, v63
	;; [unrolled: 1-line block ×3, first 2 shown]
	v_sub_f32_e32 v64, v63, v65
	v_sub_f32_e32 v60, v60, v64
	v_add_f32_e32 v59, v59, v60
	v_add_f32_e32 v59, v63, v59
	v_cmp_neq_f32_e32 vcc, s12, v62
	s_mov_b32 s12, 0x33800000
	v_cndmask_b32_e32 v59, v61, v59, vcc
	v_cmp_lt_f32_e64 vcc, |v62|, s12
	v_cndmask_b32_e32 v59, v59, v62, vcc
	v_add_f32_e32 v59, v58, v59
.LBB516_124:
	s_or_b64 exec, exec, s[2:3]
	v_bfe_u32 v58, v59, 16, 1
	s_movk_i32 s2, 0x7fff
	v_add3_u32 v58, v59, v58, s2
	v_cmp_o_f32_e32 vcc, v59, v59
	v_mov_b32_e32 v59, 0x7fc0
	v_cndmask_b32_sdwa v59, v59, v58, vcc dst_sel:DWORD dst_unused:UNUSED_PAD src0_sel:DWORD src1_sel:WORD_1
.LBB516_125:
	s_or_b64 exec, exec, s[10:11]
	v_add_u32_e32 v58, -1, v57
	v_and_b32_e32 v60, 64, v57
	v_cmp_lt_i32_e32 vcc, v58, v60
	v_cndmask_b32_e32 v57, v58, v57, vcc
	v_lshlrev_b32_e32 v57, 2, v57
	v_and_b32_e32 v58, 0xffff, v59
	ds_bpermute_b32 v57, v57, v58
	s_waitcnt lgkmcnt(0)
	v_lshlrev_b32_e32 v57, 16, v57
	v_max_f32_e32 v58, v57, v57
	v_min_f32_e32 v59, v58, v56
	v_max_f32_e32 v58, v58, v56
	v_cmp_u_f32_e32 vcc, v57, v57
	v_cndmask_b32_e32 v56, v59, v57, vcc
	v_cndmask_b32_e32 v58, v58, v57, vcc
	v_cndmask_b32_e64 v56, v56, v55, s[4:5]
	v_cndmask_b32_e64 v55, v58, v55, s[4:5]
	s_movk_i32 s4, 0x1f8
	v_cmp_neq_f32_e32 vcc, v56, v55
	v_cmp_class_f32_e64 s[2:3], v56, s4
	s_or_b64 s[10:11], vcc, s[2:3]
	s_and_saveexec_b64 s[2:3], s[10:11]
	s_cbranch_execz .LBB516_127
; %bb.126:
	v_sub_f32_e32 v56, v56, v55
	s_mov_b32 s5, 0x3fb8aa3b
	v_mul_f32_e32 v57, 0x3fb8aa3b, v56
	v_fma_f32 v58, v56, s5, -v57
	v_rndne_f32_e32 v59, v57
	v_fmac_f32_e32 v58, 0x32a5705f, v56
	v_sub_f32_e32 v57, v57, v59
	v_add_f32_e32 v57, v57, v58
	v_exp_f32_e32 v57, v57
	v_cvt_i32_f32_e32 v58, v59
	s_mov_b32 s5, 0xc2ce8ed0
	v_cmp_ngt_f32_e32 vcc, s5, v56
	s_mov_b32 s5, 0x42b17218
	v_ldexp_f32 v57, v57, v58
	v_cndmask_b32_e32 v57, 0, v57, vcc
	v_mov_b32_e32 v58, 0x7f800000
	v_cmp_nlt_f32_e32 vcc, s5, v56
	v_cndmask_b32_e32 v59, v58, v57, vcc
	v_add_f32_e32 v60, 1.0, v59
	v_cvt_f64_f32_e32 v[56:57], v60
	v_add_f32_e32 v61, -1.0, v60
	v_sub_f32_e32 v62, v61, v60
	v_sub_f32_e32 v61, v59, v61
	v_frexp_exp_i32_f64_e32 v56, v[56:57]
	v_add_f32_e32 v57, 1.0, v62
	v_add_f32_e32 v57, v61, v57
	v_frexp_mant_f32_e32 v61, v60
	s_mov_b32 s10, 0x3f2aaaab
	v_cmp_gt_f32_e32 vcc, s10, v61
	s_mov_b32 s10, 0x3f317218
	s_mov_b32 s5, 0x7f800000
	v_subbrev_co_u32_e32 v56, vcc, 0, v56, vcc
	v_sub_u32_e32 v61, 0, v56
	v_ldexp_f32 v60, v60, v61
	v_ldexp_f32 v57, v57, v61
	v_add_f32_e32 v61, -1.0, v60
	v_add_f32_e32 v64, 1.0, v60
	v_add_f32_e32 v62, 1.0, v61
	v_add_f32_e32 v65, -1.0, v64
	v_sub_f32_e32 v62, v60, v62
	v_sub_f32_e32 v60, v60, v65
	v_add_f32_e32 v62, v57, v62
	v_add_f32_e32 v57, v57, v60
	;; [unrolled: 1-line block ×3, first 2 shown]
	v_rcp_f32_e32 v65, v60
	v_add_f32_e32 v63, v61, v62
	v_sub_f32_e32 v61, v61, v63
	v_add_f32_e32 v61, v62, v61
	v_sub_f32_e32 v62, v64, v60
	v_add_f32_e32 v57, v57, v62
	v_mul_f32_e32 v62, v63, v65
	v_mul_f32_e32 v64, v60, v62
	v_fma_f32 v66, v62, v60, -v64
	v_fmac_f32_e32 v66, v62, v57
	v_add_f32_e32 v67, v64, v66
	v_sub_f32_e32 v68, v63, v67
	v_sub_f32_e32 v63, v63, v68
	;; [unrolled: 1-line block ×4, first 2 shown]
	v_add_f32_e32 v61, v61, v63
	v_sub_f32_e32 v63, v64, v66
	v_add_f32_e32 v61, v63, v61
	v_add_f32_e32 v63, v68, v61
	v_mul_f32_e32 v64, v65, v63
	v_mul_f32_e32 v66, v60, v64
	v_fma_f32 v60, v64, v60, -v66
	v_fmac_f32_e32 v60, v64, v57
	v_sub_f32_e32 v57, v68, v63
	v_add_f32_e32 v57, v61, v57
	v_add_f32_e32 v61, v66, v60
	v_sub_f32_e32 v67, v63, v61
	v_sub_f32_e32 v63, v63, v67
	;; [unrolled: 1-line block ×4, first 2 shown]
	v_add_f32_e32 v57, v57, v61
	v_sub_f32_e32 v60, v66, v60
	v_add_f32_e32 v57, v60, v57
	v_add_f32_e32 v60, v62, v64
	;; [unrolled: 1-line block ×3, first 2 shown]
	v_sub_f32_e32 v61, v60, v62
	v_mul_f32_e32 v57, v65, v57
	v_sub_f32_e32 v61, v64, v61
	v_add_f32_e32 v57, v61, v57
	v_cvt_f32_i32_e32 v56, v56
	v_add_f32_e32 v61, v60, v57
	v_mul_f32_e32 v62, v61, v61
	v_mov_b32_e32 v63, 0x3ecc95a3
	v_fmac_f32_e32 v63, 0x3e9b6dac, v62
	v_mov_b32_e32 v64, 0x3f2aaada
	v_fmac_f32_e32 v64, v62, v63
	v_mul_f32_e32 v63, 0x3f317218, v56
	v_fma_f32 v65, v56, s10, -v63
	v_fmac_f32_e32 v65, 0xb102e308, v56
	v_sub_f32_e32 v56, v61, v60
	v_sub_f32_e32 v56, v57, v56
	v_add_f32_e32 v57, v63, v65
	v_sub_f32_e32 v60, v57, v63
	v_ldexp_f32 v63, v61, 1
	v_mul_f32_e32 v61, v61, v62
	v_mul_f32_e32 v61, v61, v64
	v_add_f32_e32 v62, v63, v61
	v_sub_f32_e32 v63, v62, v63
	v_ldexp_f32 v56, v56, 1
	v_sub_f32_e32 v61, v61, v63
	v_add_f32_e32 v56, v56, v61
	v_add_f32_e32 v61, v62, v56
	v_sub_f32_e32 v62, v61, v62
	v_sub_f32_e32 v56, v56, v62
	v_add_f32_e32 v62, v57, v61
	v_sub_f32_e32 v63, v62, v57
	v_sub_f32_e32 v64, v62, v63
	;; [unrolled: 1-line block ×5, first 2 shown]
	v_add_f32_e32 v57, v61, v57
	v_add_f32_e32 v61, v60, v56
	v_sub_f32_e32 v63, v61, v60
	v_sub_f32_e32 v64, v61, v63
	v_sub_f32_e32 v60, v60, v64
	v_sub_f32_e32 v56, v56, v63
	v_add_f32_e32 v57, v61, v57
	v_add_f32_e32 v56, v56, v60
	;; [unrolled: 1-line block ×3, first 2 shown]
	v_sub_f32_e32 v61, v60, v62
	v_sub_f32_e32 v57, v57, v61
	v_add_f32_e32 v56, v56, v57
	v_add_f32_e32 v56, v60, v56
	v_cmp_neq_f32_e32 vcc, s5, v59
	s_mov_b32 s5, 0x33800000
	v_cndmask_b32_e32 v56, v58, v56, vcc
	v_cmp_lt_f32_e64 vcc, |v59|, s5
	v_cndmask_b32_e32 v56, v56, v59, vcc
	v_add_f32_e32 v57, v55, v56
.LBB516_127:
	s_or_b64 exec, exec, s[2:3]
	v_bfe_u32 v55, v57, 16, 1
	s_movk_i32 s5, 0x7fff
	v_add3_u32 v56, v57, v55, s5
	v_cmp_o_f32_e32 vcc, v57, v57
	v_mov_b32_e32 v55, 0x7fc0
	v_cndmask_b32_sdwa v56, v55, v56, vcc dst_sel:DWORD dst_unused:UNUSED_PAD src0_sel:DWORD src1_sel:WORD_1
	v_cmp_eq_u32_e32 vcc, 0, v0
	v_cndmask_b32_e32 v54, v56, v54, vcc
	; wave barrier
	ds_write_b16 v53, v54
	; wave barrier
	ds_read_u16 v57, v53 offset:2
	v_lshlrev_b32_e32 v56, 16, v54
	v_max_f32_e32 v58, v56, v56
	v_cmp_u_f32_e32 vcc, v56, v56
	s_waitcnt lgkmcnt(0)
	v_lshlrev_b32_e32 v54, 16, v57
	v_max_f32_e32 v59, v54, v54
	v_min_f32_e32 v57, v58, v59
	v_max_f32_e32 v58, v58, v59
	v_cndmask_b32_e32 v57, v57, v56, vcc
	v_cmp_u_f32_e64 s[2:3], v54, v54
	v_cndmask_b32_e32 v58, v58, v56, vcc
	v_cndmask_b32_e64 v57, v57, v54, s[2:3]
	v_cndmask_b32_e64 v54, v58, v54, s[2:3]
	v_cmp_neq_f32_e32 vcc, v57, v54
	v_cmp_class_f32_e64 s[2:3], v57, s4
	s_or_b64 s[10:11], vcc, s[2:3]
	s_and_saveexec_b64 s[2:3], s[10:11]
	s_cbranch_execz .LBB516_129
; %bb.128:
	v_sub_f32_e32 v56, v57, v54
	s_mov_b32 s4, 0x3fb8aa3b
	v_mul_f32_e32 v57, 0x3fb8aa3b, v56
	v_fma_f32 v58, v56, s4, -v57
	v_rndne_f32_e32 v59, v57
	v_fmac_f32_e32 v58, 0x32a5705f, v56
	v_sub_f32_e32 v57, v57, v59
	v_add_f32_e32 v57, v57, v58
	v_exp_f32_e32 v57, v57
	v_cvt_i32_f32_e32 v58, v59
	s_mov_b32 s4, 0xc2ce8ed0
	v_cmp_ngt_f32_e32 vcc, s4, v56
	s_mov_b32 s4, 0x42b17218
	v_ldexp_f32 v57, v57, v58
	v_cndmask_b32_e32 v57, 0, v57, vcc
	v_mov_b32_e32 v58, 0x7f800000
	v_cmp_nlt_f32_e32 vcc, s4, v56
	v_cndmask_b32_e32 v59, v58, v57, vcc
	v_add_f32_e32 v60, 1.0, v59
	v_cvt_f64_f32_e32 v[56:57], v60
	v_add_f32_e32 v61, -1.0, v60
	v_sub_f32_e32 v62, v61, v60
	v_sub_f32_e32 v61, v59, v61
	v_frexp_exp_i32_f64_e32 v56, v[56:57]
	v_add_f32_e32 v57, 1.0, v62
	v_add_f32_e32 v57, v61, v57
	v_frexp_mant_f32_e32 v61, v60
	s_mov_b32 s10, 0x3f2aaaab
	v_cmp_gt_f32_e32 vcc, s10, v61
	s_mov_b32 s10, 0x3f317218
	s_mov_b32 s4, 0x7f800000
	v_subbrev_co_u32_e32 v56, vcc, 0, v56, vcc
	v_sub_u32_e32 v61, 0, v56
	v_ldexp_f32 v60, v60, v61
	v_ldexp_f32 v57, v57, v61
	v_add_f32_e32 v61, -1.0, v60
	v_add_f32_e32 v64, 1.0, v60
	v_add_f32_e32 v62, 1.0, v61
	v_add_f32_e32 v65, -1.0, v64
	v_sub_f32_e32 v62, v60, v62
	v_sub_f32_e32 v60, v60, v65
	v_add_f32_e32 v62, v57, v62
	v_add_f32_e32 v57, v57, v60
	;; [unrolled: 1-line block ×3, first 2 shown]
	v_rcp_f32_e32 v65, v60
	v_add_f32_e32 v63, v61, v62
	v_sub_f32_e32 v61, v61, v63
	v_add_f32_e32 v61, v62, v61
	v_sub_f32_e32 v62, v64, v60
	v_add_f32_e32 v57, v57, v62
	v_mul_f32_e32 v62, v63, v65
	v_mul_f32_e32 v64, v60, v62
	v_fma_f32 v66, v62, v60, -v64
	v_fmac_f32_e32 v66, v62, v57
	v_add_f32_e32 v67, v64, v66
	v_sub_f32_e32 v68, v63, v67
	v_sub_f32_e32 v63, v63, v68
	;; [unrolled: 1-line block ×4, first 2 shown]
	v_add_f32_e32 v61, v61, v63
	v_sub_f32_e32 v63, v64, v66
	v_add_f32_e32 v61, v63, v61
	v_add_f32_e32 v63, v68, v61
	v_mul_f32_e32 v64, v65, v63
	v_mul_f32_e32 v66, v60, v64
	v_fma_f32 v60, v64, v60, -v66
	v_fmac_f32_e32 v60, v64, v57
	v_sub_f32_e32 v57, v68, v63
	v_add_f32_e32 v57, v61, v57
	v_add_f32_e32 v61, v66, v60
	v_sub_f32_e32 v67, v63, v61
	v_sub_f32_e32 v63, v63, v67
	;; [unrolled: 1-line block ×4, first 2 shown]
	v_add_f32_e32 v57, v57, v61
	v_sub_f32_e32 v60, v66, v60
	v_add_f32_e32 v57, v60, v57
	v_add_f32_e32 v60, v62, v64
	;; [unrolled: 1-line block ×3, first 2 shown]
	v_sub_f32_e32 v61, v60, v62
	v_mul_f32_e32 v57, v65, v57
	v_sub_f32_e32 v61, v64, v61
	v_add_f32_e32 v57, v61, v57
	v_cvt_f32_i32_e32 v56, v56
	v_add_f32_e32 v61, v60, v57
	v_mul_f32_e32 v62, v61, v61
	v_mov_b32_e32 v63, 0x3ecc95a3
	v_fmac_f32_e32 v63, 0x3e9b6dac, v62
	v_mov_b32_e32 v64, 0x3f2aaada
	v_fmac_f32_e32 v64, v62, v63
	v_mul_f32_e32 v63, 0x3f317218, v56
	v_fma_f32 v65, v56, s10, -v63
	v_fmac_f32_e32 v65, 0xb102e308, v56
	v_sub_f32_e32 v56, v61, v60
	v_sub_f32_e32 v56, v57, v56
	v_add_f32_e32 v57, v63, v65
	v_sub_f32_e32 v60, v57, v63
	v_ldexp_f32 v63, v61, 1
	v_mul_f32_e32 v61, v61, v62
	v_mul_f32_e32 v61, v61, v64
	v_add_f32_e32 v62, v63, v61
	v_sub_f32_e32 v63, v62, v63
	v_ldexp_f32 v56, v56, 1
	v_sub_f32_e32 v61, v61, v63
	v_add_f32_e32 v56, v56, v61
	v_add_f32_e32 v61, v62, v56
	v_sub_f32_e32 v62, v61, v62
	v_sub_f32_e32 v56, v56, v62
	v_add_f32_e32 v62, v57, v61
	v_sub_f32_e32 v63, v62, v57
	v_sub_f32_e32 v64, v62, v63
	;; [unrolled: 1-line block ×5, first 2 shown]
	v_add_f32_e32 v57, v61, v57
	v_add_f32_e32 v61, v60, v56
	v_sub_f32_e32 v63, v61, v60
	v_sub_f32_e32 v64, v61, v63
	;; [unrolled: 1-line block ×4, first 2 shown]
	v_add_f32_e32 v57, v61, v57
	v_add_f32_e32 v56, v56, v60
	v_add_f32_e32 v60, v62, v57
	v_sub_f32_e32 v61, v60, v62
	v_sub_f32_e32 v57, v57, v61
	v_add_f32_e32 v56, v56, v57
	v_add_f32_e32 v56, v60, v56
	v_cmp_neq_f32_e32 vcc, s4, v59
	s_mov_b32 s4, 0x33800000
	v_cndmask_b32_e32 v56, v58, v56, vcc
	v_cmp_lt_f32_e64 vcc, |v59|, s4
	v_cndmask_b32_e32 v56, v56, v59, vcc
	v_add_f32_e32 v56, v54, v56
.LBB516_129:
	s_or_b64 exec, exec, s[2:3]
	v_bfe_u32 v54, v56, 16, 1
	v_add3_u32 v54, v56, v54, s5
	v_cmp_o_f32_e32 vcc, v56, v56
	ds_read_u16 v56, v53 offset:4
	v_cndmask_b32_sdwa v54, v55, v54, vcc dst_sel:DWORD dst_unused:UNUSED_PAD src0_sel:DWORD src1_sel:WORD_1
	ds_write_b16 v53, v54 offset:2
	v_lshlrev_b32_e32 v55, 16, v54
	v_max_f32_e32 v57, v55, v55
	s_waitcnt lgkmcnt(1)
	v_lshlrev_b32_e32 v54, 16, v56
	v_max_f32_e32 v58, v54, v54
	v_min_f32_e32 v56, v57, v58
	v_cmp_u_f32_e32 vcc, v55, v55
	v_max_f32_e32 v57, v57, v58
	v_cndmask_b32_e32 v56, v56, v55, vcc
	v_cmp_u_f32_e64 s[2:3], v54, v54
	v_cndmask_b32_e32 v57, v57, v55, vcc
	v_cndmask_b32_e64 v56, v56, v54, s[2:3]
	v_cndmask_b32_e64 v54, v57, v54, s[2:3]
	s_movk_i32 s4, 0x1f8
	v_cmp_neq_f32_e32 vcc, v56, v54
	v_cmp_class_f32_e64 s[2:3], v56, s4
	s_or_b64 s[10:11], vcc, s[2:3]
	s_and_saveexec_b64 s[2:3], s[10:11]
	s_cbranch_execz .LBB516_131
; %bb.130:
	v_sub_f32_e32 v55, v56, v54
	s_mov_b32 s5, 0x3fb8aa3b
	v_mul_f32_e32 v56, 0x3fb8aa3b, v55
	v_fma_f32 v57, v55, s5, -v56
	v_rndne_f32_e32 v58, v56
	v_fmac_f32_e32 v57, 0x32a5705f, v55
	v_sub_f32_e32 v56, v56, v58
	v_add_f32_e32 v56, v56, v57
	v_exp_f32_e32 v56, v56
	v_cvt_i32_f32_e32 v57, v58
	s_mov_b32 s5, 0xc2ce8ed0
	v_cmp_ngt_f32_e32 vcc, s5, v55
	s_mov_b32 s5, 0x42b17218
	v_ldexp_f32 v56, v56, v57
	v_cndmask_b32_e32 v56, 0, v56, vcc
	v_mov_b32_e32 v57, 0x7f800000
	v_cmp_nlt_f32_e32 vcc, s5, v55
	v_cndmask_b32_e32 v58, v57, v56, vcc
	v_add_f32_e32 v59, 1.0, v58
	v_cvt_f64_f32_e32 v[55:56], v59
	v_add_f32_e32 v60, -1.0, v59
	v_sub_f32_e32 v61, v60, v59
	v_sub_f32_e32 v60, v58, v60
	v_frexp_exp_i32_f64_e32 v55, v[55:56]
	v_add_f32_e32 v56, 1.0, v61
	v_add_f32_e32 v56, v60, v56
	v_frexp_mant_f32_e32 v60, v59
	s_mov_b32 s10, 0x3f2aaaab
	v_cmp_gt_f32_e32 vcc, s10, v60
	s_mov_b32 s10, 0x3f317218
	s_mov_b32 s5, 0x7f800000
	v_subbrev_co_u32_e32 v55, vcc, 0, v55, vcc
	v_sub_u32_e32 v60, 0, v55
	v_ldexp_f32 v59, v59, v60
	v_ldexp_f32 v56, v56, v60
	v_add_f32_e32 v60, -1.0, v59
	v_add_f32_e32 v63, 1.0, v59
	v_add_f32_e32 v61, 1.0, v60
	v_add_f32_e32 v64, -1.0, v63
	v_sub_f32_e32 v61, v59, v61
	v_sub_f32_e32 v59, v59, v64
	v_add_f32_e32 v61, v56, v61
	v_add_f32_e32 v56, v56, v59
	;; [unrolled: 1-line block ×3, first 2 shown]
	v_rcp_f32_e32 v64, v59
	v_add_f32_e32 v62, v60, v61
	v_sub_f32_e32 v60, v60, v62
	v_add_f32_e32 v60, v61, v60
	v_sub_f32_e32 v61, v63, v59
	v_add_f32_e32 v56, v56, v61
	v_mul_f32_e32 v61, v62, v64
	v_mul_f32_e32 v63, v59, v61
	v_fma_f32 v65, v61, v59, -v63
	v_fmac_f32_e32 v65, v61, v56
	v_add_f32_e32 v66, v63, v65
	v_sub_f32_e32 v67, v62, v66
	v_sub_f32_e32 v62, v62, v67
	;; [unrolled: 1-line block ×4, first 2 shown]
	v_add_f32_e32 v60, v60, v62
	v_sub_f32_e32 v62, v63, v65
	v_add_f32_e32 v60, v62, v60
	v_add_f32_e32 v62, v67, v60
	v_mul_f32_e32 v63, v64, v62
	v_mul_f32_e32 v65, v59, v63
	v_fma_f32 v59, v63, v59, -v65
	v_fmac_f32_e32 v59, v63, v56
	v_sub_f32_e32 v56, v67, v62
	v_add_f32_e32 v56, v60, v56
	v_add_f32_e32 v60, v65, v59
	v_sub_f32_e32 v66, v62, v60
	v_sub_f32_e32 v62, v62, v66
	;; [unrolled: 1-line block ×4, first 2 shown]
	v_add_f32_e32 v56, v56, v60
	v_sub_f32_e32 v59, v65, v59
	v_add_f32_e32 v56, v59, v56
	v_add_f32_e32 v59, v61, v63
	v_add_f32_e32 v56, v66, v56
	v_sub_f32_e32 v60, v59, v61
	v_mul_f32_e32 v56, v64, v56
	v_sub_f32_e32 v60, v63, v60
	v_add_f32_e32 v56, v60, v56
	v_cvt_f32_i32_e32 v55, v55
	v_add_f32_e32 v60, v59, v56
	v_mul_f32_e32 v61, v60, v60
	v_mov_b32_e32 v62, 0x3ecc95a3
	v_fmac_f32_e32 v62, 0x3e9b6dac, v61
	v_mov_b32_e32 v63, 0x3f2aaada
	v_fmac_f32_e32 v63, v61, v62
	v_mul_f32_e32 v62, 0x3f317218, v55
	v_fma_f32 v64, v55, s10, -v62
	v_fmac_f32_e32 v64, 0xb102e308, v55
	v_sub_f32_e32 v55, v60, v59
	v_sub_f32_e32 v55, v56, v55
	v_add_f32_e32 v56, v62, v64
	v_sub_f32_e32 v59, v56, v62
	v_ldexp_f32 v62, v60, 1
	v_mul_f32_e32 v60, v60, v61
	v_mul_f32_e32 v60, v60, v63
	v_add_f32_e32 v61, v62, v60
	v_sub_f32_e32 v62, v61, v62
	v_ldexp_f32 v55, v55, 1
	v_sub_f32_e32 v60, v60, v62
	v_add_f32_e32 v55, v55, v60
	v_add_f32_e32 v60, v61, v55
	v_sub_f32_e32 v61, v60, v61
	v_sub_f32_e32 v55, v55, v61
	v_add_f32_e32 v61, v56, v60
	v_sub_f32_e32 v62, v61, v56
	v_sub_f32_e32 v63, v61, v62
	;; [unrolled: 1-line block ×5, first 2 shown]
	v_add_f32_e32 v56, v60, v56
	v_add_f32_e32 v60, v59, v55
	v_sub_f32_e32 v62, v60, v59
	v_sub_f32_e32 v63, v60, v62
	;; [unrolled: 1-line block ×4, first 2 shown]
	v_add_f32_e32 v56, v60, v56
	v_add_f32_e32 v55, v55, v59
	;; [unrolled: 1-line block ×3, first 2 shown]
	v_sub_f32_e32 v60, v59, v61
	v_sub_f32_e32 v56, v56, v60
	v_add_f32_e32 v55, v55, v56
	v_add_f32_e32 v55, v59, v55
	v_cmp_neq_f32_e32 vcc, s5, v58
	s_mov_b32 s5, 0x33800000
	v_cndmask_b32_e32 v55, v57, v55, vcc
	v_cmp_lt_f32_e64 vcc, |v58|, s5
	v_cndmask_b32_e32 v55, v55, v58, vcc
	v_add_f32_e32 v55, v54, v55
.LBB516_131:
	s_or_b64 exec, exec, s[2:3]
	v_bfe_u32 v54, v55, 16, 1
	s_movk_i32 s5, 0x7fff
	v_add3_u32 v56, v55, v54, s5
	v_cmp_o_f32_e32 vcc, v55, v55
	ds_read_u16 v55, v53 offset:6
	v_mov_b32_e32 v54, 0x7fc0
	v_cndmask_b32_sdwa v56, v54, v56, vcc dst_sel:DWORD dst_unused:UNUSED_PAD src0_sel:DWORD src1_sel:WORD_1
	ds_write_b16 v53, v56 offset:4
	v_lshlrev_b32_e32 v56, 16, v56
	s_waitcnt lgkmcnt(1)
	v_lshlrev_b32_e32 v55, 16, v55
	v_max_f32_e32 v58, v56, v56
	v_max_f32_e32 v59, v55, v55
	v_min_f32_e32 v57, v58, v59
	v_cmp_u_f32_e32 vcc, v56, v56
	v_max_f32_e32 v58, v58, v59
	v_cndmask_b32_e32 v57, v57, v56, vcc
	v_cmp_u_f32_e64 s[2:3], v55, v55
	v_cndmask_b32_e32 v58, v58, v56, vcc
	v_cndmask_b32_e64 v57, v57, v55, s[2:3]
	v_cndmask_b32_e64 v55, v58, v55, s[2:3]
	v_cmp_neq_f32_e32 vcc, v57, v55
	v_cmp_class_f32_e64 s[2:3], v57, s4
	s_or_b64 s[10:11], vcc, s[2:3]
	s_and_saveexec_b64 s[2:3], s[10:11]
	s_cbranch_execz .LBB516_133
; %bb.132:
	v_sub_f32_e32 v56, v57, v55
	s_mov_b32 s4, 0x3fb8aa3b
	v_mul_f32_e32 v57, 0x3fb8aa3b, v56
	v_fma_f32 v58, v56, s4, -v57
	v_rndne_f32_e32 v59, v57
	v_fmac_f32_e32 v58, 0x32a5705f, v56
	v_sub_f32_e32 v57, v57, v59
	v_add_f32_e32 v57, v57, v58
	v_exp_f32_e32 v57, v57
	v_cvt_i32_f32_e32 v58, v59
	s_mov_b32 s4, 0xc2ce8ed0
	v_cmp_ngt_f32_e32 vcc, s4, v56
	s_mov_b32 s4, 0x42b17218
	v_ldexp_f32 v57, v57, v58
	v_cndmask_b32_e32 v57, 0, v57, vcc
	v_mov_b32_e32 v58, 0x7f800000
	v_cmp_nlt_f32_e32 vcc, s4, v56
	v_cndmask_b32_e32 v59, v58, v57, vcc
	v_add_f32_e32 v60, 1.0, v59
	v_cvt_f64_f32_e32 v[56:57], v60
	v_add_f32_e32 v61, -1.0, v60
	v_sub_f32_e32 v62, v61, v60
	v_sub_f32_e32 v61, v59, v61
	v_frexp_exp_i32_f64_e32 v56, v[56:57]
	v_add_f32_e32 v57, 1.0, v62
	v_add_f32_e32 v57, v61, v57
	v_frexp_mant_f32_e32 v61, v60
	s_mov_b32 s10, 0x3f2aaaab
	v_cmp_gt_f32_e32 vcc, s10, v61
	s_mov_b32 s10, 0x3f317218
	s_mov_b32 s4, 0x7f800000
	v_subbrev_co_u32_e32 v56, vcc, 0, v56, vcc
	v_sub_u32_e32 v61, 0, v56
	v_ldexp_f32 v60, v60, v61
	v_ldexp_f32 v57, v57, v61
	v_add_f32_e32 v61, -1.0, v60
	v_add_f32_e32 v64, 1.0, v60
	v_add_f32_e32 v62, 1.0, v61
	v_add_f32_e32 v65, -1.0, v64
	v_sub_f32_e32 v62, v60, v62
	v_sub_f32_e32 v60, v60, v65
	v_add_f32_e32 v62, v57, v62
	v_add_f32_e32 v57, v57, v60
	;; [unrolled: 1-line block ×3, first 2 shown]
	v_rcp_f32_e32 v65, v60
	v_add_f32_e32 v63, v61, v62
	v_sub_f32_e32 v61, v61, v63
	v_add_f32_e32 v61, v62, v61
	v_sub_f32_e32 v62, v64, v60
	v_add_f32_e32 v57, v57, v62
	v_mul_f32_e32 v62, v63, v65
	v_mul_f32_e32 v64, v60, v62
	v_fma_f32 v66, v62, v60, -v64
	v_fmac_f32_e32 v66, v62, v57
	v_add_f32_e32 v67, v64, v66
	v_sub_f32_e32 v68, v63, v67
	v_sub_f32_e32 v63, v63, v68
	;; [unrolled: 1-line block ×4, first 2 shown]
	v_add_f32_e32 v61, v61, v63
	v_sub_f32_e32 v63, v64, v66
	v_add_f32_e32 v61, v63, v61
	v_add_f32_e32 v63, v68, v61
	v_mul_f32_e32 v64, v65, v63
	v_mul_f32_e32 v66, v60, v64
	v_fma_f32 v60, v64, v60, -v66
	v_fmac_f32_e32 v60, v64, v57
	v_sub_f32_e32 v57, v68, v63
	v_add_f32_e32 v57, v61, v57
	v_add_f32_e32 v61, v66, v60
	v_sub_f32_e32 v67, v63, v61
	v_sub_f32_e32 v63, v63, v67
	;; [unrolled: 1-line block ×4, first 2 shown]
	v_add_f32_e32 v57, v57, v61
	v_sub_f32_e32 v60, v66, v60
	v_add_f32_e32 v57, v60, v57
	v_add_f32_e32 v60, v62, v64
	;; [unrolled: 1-line block ×3, first 2 shown]
	v_sub_f32_e32 v61, v60, v62
	v_mul_f32_e32 v57, v65, v57
	v_sub_f32_e32 v61, v64, v61
	v_add_f32_e32 v57, v61, v57
	v_cvt_f32_i32_e32 v56, v56
	v_add_f32_e32 v61, v60, v57
	v_mul_f32_e32 v62, v61, v61
	v_mov_b32_e32 v63, 0x3ecc95a3
	v_fmac_f32_e32 v63, 0x3e9b6dac, v62
	v_mov_b32_e32 v64, 0x3f2aaada
	v_fmac_f32_e32 v64, v62, v63
	v_mul_f32_e32 v63, 0x3f317218, v56
	v_fma_f32 v65, v56, s10, -v63
	v_fmac_f32_e32 v65, 0xb102e308, v56
	v_sub_f32_e32 v56, v61, v60
	v_sub_f32_e32 v56, v57, v56
	v_add_f32_e32 v57, v63, v65
	v_sub_f32_e32 v60, v57, v63
	v_ldexp_f32 v63, v61, 1
	v_mul_f32_e32 v61, v61, v62
	v_mul_f32_e32 v61, v61, v64
	v_add_f32_e32 v62, v63, v61
	v_sub_f32_e32 v63, v62, v63
	v_ldexp_f32 v56, v56, 1
	v_sub_f32_e32 v61, v61, v63
	v_add_f32_e32 v56, v56, v61
	v_add_f32_e32 v61, v62, v56
	v_sub_f32_e32 v62, v61, v62
	v_sub_f32_e32 v56, v56, v62
	v_add_f32_e32 v62, v57, v61
	v_sub_f32_e32 v63, v62, v57
	v_sub_f32_e32 v64, v62, v63
	;; [unrolled: 1-line block ×5, first 2 shown]
	v_add_f32_e32 v57, v61, v57
	v_add_f32_e32 v61, v60, v56
	v_sub_f32_e32 v63, v61, v60
	v_sub_f32_e32 v64, v61, v63
	v_sub_f32_e32 v60, v60, v64
	v_sub_f32_e32 v56, v56, v63
	v_add_f32_e32 v57, v61, v57
	v_add_f32_e32 v56, v56, v60
	v_add_f32_e32 v60, v62, v57
	v_sub_f32_e32 v61, v60, v62
	v_sub_f32_e32 v57, v57, v61
	v_add_f32_e32 v56, v56, v57
	v_add_f32_e32 v56, v60, v56
	v_cmp_neq_f32_e32 vcc, s4, v59
	s_mov_b32 s4, 0x33800000
	v_cndmask_b32_e32 v56, v58, v56, vcc
	v_cmp_lt_f32_e64 vcc, |v59|, s4
	v_cndmask_b32_e32 v56, v56, v59, vcc
	v_add_f32_e32 v56, v55, v56
.LBB516_133:
	s_or_b64 exec, exec, s[2:3]
	v_bfe_u32 v55, v56, 16, 1
	v_add3_u32 v55, v56, v55, s5
	v_cmp_o_f32_e32 vcc, v56, v56
	v_cndmask_b32_sdwa v54, v54, v55, vcc dst_sel:DWORD dst_unused:UNUSED_PAD src0_sel:DWORD src1_sel:WORD_1
	ds_write_b16 v53, v54 offset:6
.LBB516_134:
	s_or_b64 exec, exec, s[8:9]
	v_mul_u32_u24_e32 v53, 46, v0
	v_cmp_ne_u32_e32 vcc, 0, v0
	s_waitcnt lgkmcnt(0)
	s_barrier
	s_and_saveexec_b64 s[2:3], vcc
	s_cbranch_execz .LBB516_138
; %bb.135:
	v_add_u32_e32 v0, -1, v0
	v_lshrrev_b32_e32 v1, 4, v0
	v_and_b32_e32 v1, 0xffffffe, v1
	v_lshl_add_u32 v0, v0, 1, v1
	ds_read_u16 v0, v0
	s_waitcnt lgkmcnt(0)
	v_lshlrev_b32_e32 v1, 16, v0
	v_max_f32_e32 v0, v1, v1
	v_min_f32_e32 v51, v0, v50
	v_max_f32_e32 v0, v0, v50
	v_cmp_u_f32_e32 vcc, v1, v1
	v_cndmask_b32_e32 v50, v51, v1, vcc
	v_cndmask_b32_e32 v0, v0, v1, vcc
	v_cndmask_b32_e64 v50, v50, v49, s[0:1]
	v_cndmask_b32_e64 v0, v0, v49, s[0:1]
	s_movk_i32 s0, 0x1f8
	v_cmp_neq_f32_e32 vcc, v50, v0
	v_cmp_class_f32_e64 s[0:1], v50, s0
	s_or_b64 s[4:5], vcc, s[0:1]
	s_and_saveexec_b64 s[0:1], s[4:5]
	s_cbranch_execz .LBB516_137
; %bb.136:
	v_sub_f32_e32 v1, v50, v0
	s_mov_b32 s4, 0x3fb8aa3b
	v_mul_f32_e32 v49, 0x3fb8aa3b, v1
	v_fma_f32 v50, v1, s4, -v49
	v_rndne_f32_e32 v51, v49
	v_fmac_f32_e32 v50, 0x32a5705f, v1
	v_sub_f32_e32 v49, v49, v51
	v_add_f32_e32 v49, v49, v50
	v_exp_f32_e32 v49, v49
	v_cvt_i32_f32_e32 v50, v51
	s_mov_b32 s4, 0xc2ce8ed0
	v_cmp_ngt_f32_e32 vcc, s4, v1
	s_mov_b32 s4, 0x42b17218
	v_ldexp_f32 v49, v49, v50
	v_cndmask_b32_e32 v49, 0, v49, vcc
	v_mov_b32_e32 v51, 0x7f800000
	v_cmp_nlt_f32_e32 vcc, s4, v1
	v_cndmask_b32_e32 v1, v51, v49, vcc
	v_add_f32_e32 v52, 1.0, v1
	v_cvt_f64_f32_e32 v[49:50], v52
	v_add_f32_e32 v54, -1.0, v52
	v_sub_f32_e32 v55, v54, v52
	v_sub_f32_e32 v54, v1, v54
	v_frexp_exp_i32_f64_e32 v49, v[49:50]
	v_add_f32_e32 v50, 1.0, v55
	v_add_f32_e32 v50, v54, v50
	v_frexp_mant_f32_e32 v54, v52
	s_mov_b32 s5, 0x3f2aaaab
	v_cmp_gt_f32_e32 vcc, s5, v54
	s_mov_b32 s5, 0x3f317218
	s_mov_b32 s4, 0x7f800000
	v_subbrev_co_u32_e32 v49, vcc, 0, v49, vcc
	v_sub_u32_e32 v54, 0, v49
	v_ldexp_f32 v52, v52, v54
	v_ldexp_f32 v50, v50, v54
	v_add_f32_e32 v54, -1.0, v52
	v_add_f32_e32 v57, 1.0, v52
	v_add_f32_e32 v55, 1.0, v54
	v_add_f32_e32 v58, -1.0, v57
	v_sub_f32_e32 v55, v52, v55
	v_sub_f32_e32 v52, v52, v58
	v_add_f32_e32 v55, v50, v55
	v_add_f32_e32 v50, v50, v52
	;; [unrolled: 1-line block ×3, first 2 shown]
	v_rcp_f32_e32 v58, v52
	v_add_f32_e32 v56, v54, v55
	v_sub_f32_e32 v54, v54, v56
	v_add_f32_e32 v54, v55, v54
	v_sub_f32_e32 v55, v57, v52
	v_add_f32_e32 v50, v50, v55
	v_mul_f32_e32 v55, v56, v58
	v_mul_f32_e32 v57, v52, v55
	v_fma_f32 v59, v55, v52, -v57
	v_fmac_f32_e32 v59, v55, v50
	v_add_f32_e32 v60, v57, v59
	v_sub_f32_e32 v61, v56, v60
	v_sub_f32_e32 v56, v56, v61
	;; [unrolled: 1-line block ×4, first 2 shown]
	v_add_f32_e32 v54, v54, v56
	v_sub_f32_e32 v56, v57, v59
	v_add_f32_e32 v54, v56, v54
	v_add_f32_e32 v56, v61, v54
	v_mul_f32_e32 v57, v58, v56
	v_mul_f32_e32 v59, v52, v57
	v_fma_f32 v52, v57, v52, -v59
	v_fmac_f32_e32 v52, v57, v50
	v_sub_f32_e32 v50, v61, v56
	v_add_f32_e32 v50, v54, v50
	v_add_f32_e32 v54, v59, v52
	v_sub_f32_e32 v60, v56, v54
	v_sub_f32_e32 v56, v56, v60
	;; [unrolled: 1-line block ×4, first 2 shown]
	v_add_f32_e32 v50, v50, v54
	v_sub_f32_e32 v52, v59, v52
	v_add_f32_e32 v50, v52, v50
	v_add_f32_e32 v52, v55, v57
	;; [unrolled: 1-line block ×3, first 2 shown]
	v_sub_f32_e32 v54, v52, v55
	v_mul_f32_e32 v50, v58, v50
	v_sub_f32_e32 v54, v57, v54
	v_add_f32_e32 v50, v54, v50
	v_cvt_f32_i32_e32 v49, v49
	v_add_f32_e32 v54, v52, v50
	v_mul_f32_e32 v55, v54, v54
	v_mov_b32_e32 v56, 0x3ecc95a3
	v_fmac_f32_e32 v56, 0x3e9b6dac, v55
	v_mov_b32_e32 v57, 0x3f2aaada
	v_fmac_f32_e32 v57, v55, v56
	v_mul_f32_e32 v56, 0x3f317218, v49
	v_fma_f32 v58, v49, s5, -v56
	v_fmac_f32_e32 v58, 0xb102e308, v49
	v_sub_f32_e32 v49, v54, v52
	v_sub_f32_e32 v49, v50, v49
	v_add_f32_e32 v50, v56, v58
	v_sub_f32_e32 v52, v50, v56
	v_ldexp_f32 v56, v54, 1
	v_mul_f32_e32 v54, v54, v55
	v_mul_f32_e32 v54, v54, v57
	v_add_f32_e32 v55, v56, v54
	v_sub_f32_e32 v56, v55, v56
	v_ldexp_f32 v49, v49, 1
	v_sub_f32_e32 v54, v54, v56
	v_add_f32_e32 v49, v49, v54
	v_add_f32_e32 v54, v55, v49
	v_sub_f32_e32 v55, v54, v55
	v_sub_f32_e32 v49, v49, v55
	v_add_f32_e32 v55, v50, v54
	v_sub_f32_e32 v56, v55, v50
	v_sub_f32_e32 v57, v55, v56
	;; [unrolled: 1-line block ×5, first 2 shown]
	v_add_f32_e32 v50, v54, v50
	v_add_f32_e32 v54, v52, v49
	v_sub_f32_e32 v56, v54, v52
	v_sub_f32_e32 v57, v54, v56
	;; [unrolled: 1-line block ×4, first 2 shown]
	v_add_f32_e32 v50, v54, v50
	v_add_f32_e32 v49, v49, v52
	;; [unrolled: 1-line block ×3, first 2 shown]
	v_sub_f32_e32 v54, v52, v55
	v_sub_f32_e32 v50, v50, v54
	v_add_f32_e32 v49, v49, v50
	v_add_f32_e32 v49, v52, v49
	v_cmp_neq_f32_e32 vcc, s4, v1
	s_mov_b32 s4, 0x33800000
	v_cndmask_b32_e32 v49, v51, v49, vcc
	v_cmp_lt_f32_e64 vcc, |v1|, s4
	v_cndmask_b32_e32 v1, v49, v1, vcc
	v_add_f32_e32 v1, v0, v1
.LBB516_137:
	s_or_b64 exec, exec, s[0:1]
	v_bfe_u32 v0, v1, 16, 1
	s_movk_i32 s0, 0x7fff
	v_add3_u32 v0, v1, v0, s0
	v_cmp_o_f32_e32 vcc, v1, v1
	v_mov_b32_e32 v1, 0x7fc0
	v_cndmask_b32_sdwa v1, v1, v0, vcc dst_sel:DWORD dst_unused:UNUSED_PAD src0_sel:DWORD src1_sel:WORD_1
	v_lshlrev_b32_e32 v49, 16, v1
	v_max_f32_e32 v0, v49, v49
	v_min_f32_e32 v51, v0, v22
	v_max_f32_e32 v52, v0, v22
	;;#ASMSTART
	;;#ASMEND
.LBB516_138:
	s_or_b64 exec, exec, s[2:3]
	v_cmp_u_f32_e32 vcc, v49, v49
	v_cndmask_b32_e32 v0, v51, v49, vcc
	v_cndmask_b32_e64 v22, v0, v14, s[50:51]
	v_cndmask_b32_e32 v0, v52, v49, vcc
	v_cndmask_b32_e64 v0, v0, v14, s[50:51]
	s_movk_i32 s2, 0x1f8
	v_cmp_neq_f32_e32 vcc, v22, v0
	v_cmp_class_f32_e64 s[0:1], v22, s2
	s_or_b64 s[4:5], vcc, s[0:1]
	s_and_saveexec_b64 s[0:1], s[4:5]
	s_cbranch_execz .LBB516_140
; %bb.139:
	v_sub_f32_e32 v14, v22, v0
	s_mov_b32 s3, 0x3fb8aa3b
	v_mul_f32_e32 v22, 0x3fb8aa3b, v14
	v_fma_f32 v49, v14, s3, -v22
	v_rndne_f32_e32 v50, v22
	v_fmac_f32_e32 v49, 0x32a5705f, v14
	v_sub_f32_e32 v22, v22, v50
	v_add_f32_e32 v22, v22, v49
	v_exp_f32_e32 v22, v22
	v_cvt_i32_f32_e32 v49, v50
	s_mov_b32 s3, 0xc2ce8ed0
	v_cmp_ngt_f32_e32 vcc, s3, v14
	s_mov_b32 s3, 0x42b17218
	v_ldexp_f32 v22, v22, v49
	v_cndmask_b32_e32 v22, 0, v22, vcc
	v_mov_b32_e32 v51, 0x7f800000
	v_cmp_nlt_f32_e32 vcc, s3, v14
	v_cndmask_b32_e32 v14, v51, v22, vcc
	v_add_f32_e32 v22, 1.0, v14
	v_cvt_f64_f32_e32 v[49:50], v22
	v_add_f32_e32 v52, -1.0, v22
	v_sub_f32_e32 v54, v52, v22
	v_sub_f32_e32 v52, v14, v52
	v_frexp_exp_i32_f64_e32 v49, v[49:50]
	v_add_f32_e32 v50, 1.0, v54
	v_add_f32_e32 v50, v52, v50
	v_frexp_mant_f32_e32 v52, v22
	s_mov_b32 s4, 0x3f2aaaab
	v_cmp_gt_f32_e32 vcc, s4, v52
	s_mov_b32 s4, 0x3f317218
	s_mov_b32 s3, 0x7f800000
	v_subbrev_co_u32_e32 v49, vcc, 0, v49, vcc
	v_sub_u32_e32 v52, 0, v49
	v_ldexp_f32 v22, v22, v52
	v_ldexp_f32 v50, v50, v52
	v_add_f32_e32 v52, -1.0, v22
	v_add_f32_e32 v56, 1.0, v22
	v_add_f32_e32 v54, 1.0, v52
	v_add_f32_e32 v57, -1.0, v56
	v_sub_f32_e32 v54, v22, v54
	v_sub_f32_e32 v22, v22, v57
	v_add_f32_e32 v22, v50, v22
	v_add_f32_e32 v54, v50, v54
	;; [unrolled: 1-line block ×3, first 2 shown]
	v_rcp_f32_e32 v57, v50
	v_add_f32_e32 v55, v52, v54
	v_sub_f32_e32 v52, v52, v55
	v_add_f32_e32 v52, v54, v52
	v_sub_f32_e32 v54, v56, v50
	v_add_f32_e32 v22, v22, v54
	v_mul_f32_e32 v54, v55, v57
	v_mul_f32_e32 v56, v50, v54
	v_fma_f32 v58, v54, v50, -v56
	v_fmac_f32_e32 v58, v54, v22
	v_add_f32_e32 v59, v56, v58
	v_sub_f32_e32 v60, v55, v59
	v_sub_f32_e32 v55, v55, v60
	;; [unrolled: 1-line block ×4, first 2 shown]
	v_add_f32_e32 v52, v52, v55
	v_sub_f32_e32 v55, v56, v58
	v_add_f32_e32 v52, v55, v52
	v_add_f32_e32 v55, v60, v52
	v_mul_f32_e32 v56, v57, v55
	v_mul_f32_e32 v58, v50, v56
	v_fma_f32 v50, v56, v50, -v58
	v_fmac_f32_e32 v50, v56, v22
	v_sub_f32_e32 v22, v60, v55
	v_add_f32_e32 v22, v52, v22
	v_add_f32_e32 v52, v58, v50
	v_sub_f32_e32 v59, v55, v52
	v_sub_f32_e32 v55, v55, v59
	;; [unrolled: 1-line block ×4, first 2 shown]
	v_add_f32_e32 v22, v22, v52
	v_sub_f32_e32 v50, v58, v50
	v_add_f32_e32 v22, v50, v22
	v_add_f32_e32 v50, v54, v56
	;; [unrolled: 1-line block ×3, first 2 shown]
	v_sub_f32_e32 v52, v50, v54
	v_mul_f32_e32 v22, v57, v22
	v_sub_f32_e32 v52, v56, v52
	v_add_f32_e32 v22, v52, v22
	v_cvt_f32_i32_e32 v49, v49
	v_add_f32_e32 v52, v50, v22
	v_mul_f32_e32 v54, v52, v52
	v_mov_b32_e32 v55, 0x3ecc95a3
	v_fmac_f32_e32 v55, 0x3e9b6dac, v54
	v_mov_b32_e32 v56, 0x3f2aaada
	v_fmac_f32_e32 v56, v54, v55
	v_mul_f32_e32 v55, 0x3f317218, v49
	v_fma_f32 v57, v49, s4, -v55
	v_fmac_f32_e32 v57, 0xb102e308, v49
	v_sub_f32_e32 v49, v52, v50
	v_sub_f32_e32 v22, v22, v49
	v_add_f32_e32 v49, v55, v57
	v_sub_f32_e32 v50, v49, v55
	v_ldexp_f32 v55, v52, 1
	v_mul_f32_e32 v52, v52, v54
	v_mul_f32_e32 v52, v52, v56
	v_add_f32_e32 v54, v55, v52
	v_sub_f32_e32 v55, v54, v55
	v_ldexp_f32 v22, v22, 1
	v_sub_f32_e32 v52, v52, v55
	v_add_f32_e32 v22, v22, v52
	v_add_f32_e32 v52, v54, v22
	v_sub_f32_e32 v54, v52, v54
	v_sub_f32_e32 v22, v22, v54
	v_add_f32_e32 v54, v49, v52
	v_sub_f32_e32 v55, v54, v49
	v_sub_f32_e32 v56, v54, v55
	;; [unrolled: 1-line block ×5, first 2 shown]
	v_add_f32_e32 v49, v52, v49
	v_add_f32_e32 v52, v50, v22
	v_sub_f32_e32 v55, v52, v50
	v_sub_f32_e32 v56, v52, v55
	;; [unrolled: 1-line block ×4, first 2 shown]
	v_add_f32_e32 v49, v52, v49
	v_add_f32_e32 v22, v22, v50
	;; [unrolled: 1-line block ×3, first 2 shown]
	v_sub_f32_e32 v52, v50, v54
	v_sub_f32_e32 v49, v49, v52
	v_add_f32_e32 v22, v22, v49
	v_add_f32_e32 v22, v50, v22
	v_cmp_neq_f32_e32 vcc, s3, v14
	s_mov_b32 s3, 0x33800000
	v_cndmask_b32_e32 v22, v51, v22, vcc
	v_cmp_lt_f32_e64 vcc, |v14|, s3
	v_cndmask_b32_e32 v14, v22, v14, vcc
	v_add_f32_e32 v49, v0, v14
.LBB516_140:
	s_or_b64 exec, exec, s[0:1]
	v_bfe_u32 v0, v49, 16, 1
	s_movk_i32 s3, 0x7fff
	v_add3_u32 v0, v49, v0, s3
	v_cmp_o_f32_e32 vcc, v49, v49
	v_mov_b32_e32 v14, 0x7fc0
	v_cndmask_b32_sdwa v0, v14, v0, vcc dst_sel:DWORD dst_unused:UNUSED_PAD src0_sel:DWORD src1_sel:WORD_1
	v_lshlrev_b32_e32 v22, 16, v0
	v_max_f32_e32 v50, v22, v22
	v_min_f32_e32 v49, v50, v16
	v_cmp_u_f32_e32 vcc, v22, v22
	v_max_f32_e32 v16, v50, v16
	v_cndmask_b32_e32 v49, v49, v22, vcc
	v_cndmask_b32_e32 v16, v16, v22, vcc
	v_cndmask_b32_e64 v49, v49, v15, s[52:53]
	v_cndmask_b32_e64 v15, v16, v15, s[52:53]
	v_cmp_neq_f32_e32 vcc, v49, v15
	v_cmp_class_f32_e64 s[0:1], v49, s2
	s_or_b64 s[4:5], vcc, s[0:1]
	s_and_saveexec_b64 s[0:1], s[4:5]
	s_cbranch_execz .LBB516_142
; %bb.141:
	v_sub_f32_e32 v16, v49, v15
	s_mov_b32 s2, 0x3fb8aa3b
	v_mul_f32_e32 v22, 0x3fb8aa3b, v16
	v_fma_f32 v49, v16, s2, -v22
	v_rndne_f32_e32 v50, v22
	v_fmac_f32_e32 v49, 0x32a5705f, v16
	v_sub_f32_e32 v22, v22, v50
	v_add_f32_e32 v22, v22, v49
	v_exp_f32_e32 v22, v22
	v_cvt_i32_f32_e32 v49, v50
	s_mov_b32 s2, 0xc2ce8ed0
	v_cmp_ngt_f32_e32 vcc, s2, v16
	s_mov_b32 s2, 0x42b17218
	v_ldexp_f32 v22, v22, v49
	v_cndmask_b32_e32 v22, 0, v22, vcc
	v_mov_b32_e32 v51, 0x7f800000
	v_cmp_nlt_f32_e32 vcc, s2, v16
	v_cndmask_b32_e32 v16, v51, v22, vcc
	v_add_f32_e32 v22, 1.0, v16
	v_cvt_f64_f32_e32 v[49:50], v22
	v_add_f32_e32 v52, -1.0, v22
	v_sub_f32_e32 v54, v52, v22
	v_sub_f32_e32 v52, v16, v52
	v_frexp_exp_i32_f64_e32 v49, v[49:50]
	v_add_f32_e32 v50, 1.0, v54
	v_add_f32_e32 v50, v52, v50
	v_frexp_mant_f32_e32 v52, v22
	s_mov_b32 s4, 0x3f2aaaab
	v_cmp_gt_f32_e32 vcc, s4, v52
	s_mov_b32 s4, 0x3f317218
	s_mov_b32 s2, 0x7f800000
	v_subbrev_co_u32_e32 v49, vcc, 0, v49, vcc
	v_sub_u32_e32 v52, 0, v49
	v_ldexp_f32 v22, v22, v52
	v_ldexp_f32 v50, v50, v52
	v_add_f32_e32 v52, -1.0, v22
	v_add_f32_e32 v56, 1.0, v22
	v_add_f32_e32 v54, 1.0, v52
	v_add_f32_e32 v57, -1.0, v56
	v_sub_f32_e32 v54, v22, v54
	v_sub_f32_e32 v22, v22, v57
	v_add_f32_e32 v22, v50, v22
	v_add_f32_e32 v54, v50, v54
	;; [unrolled: 1-line block ×3, first 2 shown]
	v_rcp_f32_e32 v57, v50
	v_add_f32_e32 v55, v52, v54
	v_sub_f32_e32 v52, v52, v55
	v_add_f32_e32 v52, v54, v52
	v_sub_f32_e32 v54, v56, v50
	v_add_f32_e32 v22, v22, v54
	v_mul_f32_e32 v54, v55, v57
	v_mul_f32_e32 v56, v50, v54
	v_fma_f32 v58, v54, v50, -v56
	v_fmac_f32_e32 v58, v54, v22
	v_add_f32_e32 v59, v56, v58
	v_sub_f32_e32 v60, v55, v59
	v_sub_f32_e32 v55, v55, v60
	;; [unrolled: 1-line block ×4, first 2 shown]
	v_add_f32_e32 v52, v52, v55
	v_sub_f32_e32 v55, v56, v58
	v_add_f32_e32 v52, v55, v52
	v_add_f32_e32 v55, v60, v52
	v_mul_f32_e32 v56, v57, v55
	v_mul_f32_e32 v58, v50, v56
	v_fma_f32 v50, v56, v50, -v58
	v_fmac_f32_e32 v50, v56, v22
	v_sub_f32_e32 v22, v60, v55
	v_add_f32_e32 v22, v52, v22
	v_add_f32_e32 v52, v58, v50
	v_sub_f32_e32 v59, v55, v52
	v_sub_f32_e32 v55, v55, v59
	;; [unrolled: 1-line block ×4, first 2 shown]
	v_add_f32_e32 v22, v22, v52
	v_sub_f32_e32 v50, v58, v50
	v_add_f32_e32 v22, v50, v22
	v_add_f32_e32 v50, v54, v56
	;; [unrolled: 1-line block ×3, first 2 shown]
	v_sub_f32_e32 v52, v50, v54
	v_mul_f32_e32 v22, v57, v22
	v_sub_f32_e32 v52, v56, v52
	v_add_f32_e32 v22, v52, v22
	v_cvt_f32_i32_e32 v49, v49
	v_add_f32_e32 v52, v50, v22
	v_mul_f32_e32 v54, v52, v52
	v_mov_b32_e32 v55, 0x3ecc95a3
	v_fmac_f32_e32 v55, 0x3e9b6dac, v54
	v_mov_b32_e32 v56, 0x3f2aaada
	v_fmac_f32_e32 v56, v54, v55
	v_mul_f32_e32 v55, 0x3f317218, v49
	v_fma_f32 v57, v49, s4, -v55
	v_fmac_f32_e32 v57, 0xb102e308, v49
	v_sub_f32_e32 v49, v52, v50
	v_sub_f32_e32 v22, v22, v49
	v_add_f32_e32 v49, v55, v57
	v_sub_f32_e32 v50, v49, v55
	v_ldexp_f32 v55, v52, 1
	v_mul_f32_e32 v52, v52, v54
	v_mul_f32_e32 v52, v52, v56
	v_add_f32_e32 v54, v55, v52
	v_sub_f32_e32 v55, v54, v55
	v_ldexp_f32 v22, v22, 1
	v_sub_f32_e32 v52, v52, v55
	v_add_f32_e32 v22, v22, v52
	v_add_f32_e32 v52, v54, v22
	v_sub_f32_e32 v54, v52, v54
	v_sub_f32_e32 v22, v22, v54
	v_add_f32_e32 v54, v49, v52
	v_sub_f32_e32 v55, v54, v49
	v_sub_f32_e32 v56, v54, v55
	;; [unrolled: 1-line block ×5, first 2 shown]
	v_add_f32_e32 v49, v52, v49
	v_add_f32_e32 v52, v50, v22
	v_sub_f32_e32 v55, v52, v50
	v_sub_f32_e32 v56, v52, v55
	;; [unrolled: 1-line block ×4, first 2 shown]
	v_add_f32_e32 v49, v52, v49
	v_add_f32_e32 v22, v22, v50
	;; [unrolled: 1-line block ×3, first 2 shown]
	v_sub_f32_e32 v52, v50, v54
	v_sub_f32_e32 v49, v49, v52
	v_add_f32_e32 v22, v22, v49
	v_add_f32_e32 v22, v50, v22
	v_cmp_neq_f32_e32 vcc, s2, v16
	s_mov_b32 s2, 0x33800000
	v_cndmask_b32_e32 v22, v51, v22, vcc
	v_cmp_lt_f32_e64 vcc, |v16|, s2
	v_cndmask_b32_e32 v16, v22, v16, vcc
	v_add_f32_e32 v22, v15, v16
.LBB516_142:
	s_or_b64 exec, exec, s[0:1]
	v_bfe_u32 v15, v22, 16, 1
	v_add3_u32 v15, v22, v15, s3
	v_cmp_o_f32_e32 vcc, v22, v22
	v_cndmask_b32_sdwa v14, v14, v15, vcc dst_sel:DWORD dst_unused:UNUSED_PAD src0_sel:DWORD src1_sel:WORD_1
	v_lshlrev_b32_e32 v15, 16, v14
	v_max_f32_e32 v22, v15, v15
	v_min_f32_e32 v16, v22, v18
	v_cmp_u_f32_e32 vcc, v15, v15
	v_max_f32_e32 v18, v22, v18
	v_cndmask_b32_e32 v16, v16, v15, vcc
	v_cndmask_b32_e32 v18, v18, v15, vcc
	v_cndmask_b32_e64 v16, v16, v2, s[54:55]
	v_cndmask_b32_e64 v2, v18, v2, s[54:55]
	s_movk_i32 s2, 0x1f8
	v_cmp_neq_f32_e32 vcc, v16, v2
	v_cmp_class_f32_e64 s[0:1], v16, s2
	s_or_b64 s[4:5], vcc, s[0:1]
	s_and_saveexec_b64 s[0:1], s[4:5]
	s_cbranch_execz .LBB516_144
; %bb.143:
	v_sub_f32_e32 v15, v16, v2
	s_mov_b32 s3, 0x3fb8aa3b
	v_mul_f32_e32 v16, 0x3fb8aa3b, v15
	v_fma_f32 v18, v15, s3, -v16
	v_rndne_f32_e32 v22, v16
	v_fmac_f32_e32 v18, 0x32a5705f, v15
	v_sub_f32_e32 v16, v16, v22
	v_add_f32_e32 v16, v16, v18
	v_exp_f32_e32 v16, v16
	v_cvt_i32_f32_e32 v18, v22
	s_mov_b32 s3, 0xc2ce8ed0
	v_cmp_ngt_f32_e32 vcc, s3, v15
	s_mov_b32 s3, 0x42b17218
	v_ldexp_f32 v16, v16, v18
	v_cndmask_b32_e32 v16, 0, v16, vcc
	v_mov_b32_e32 v18, 0x7f800000
	v_cmp_nlt_f32_e32 vcc, s3, v15
	v_cndmask_b32_e32 v22, v18, v16, vcc
	v_add_f32_e32 v49, 1.0, v22
	v_cvt_f64_f32_e32 v[15:16], v49
	v_add_f32_e32 v50, -1.0, v49
	v_sub_f32_e32 v51, v50, v49
	v_sub_f32_e32 v50, v22, v50
	v_frexp_exp_i32_f64_e32 v15, v[15:16]
	v_add_f32_e32 v16, 1.0, v51
	v_add_f32_e32 v16, v50, v16
	v_frexp_mant_f32_e32 v50, v49
	s_mov_b32 s4, 0x3f2aaaab
	v_cmp_gt_f32_e32 vcc, s4, v50
	s_mov_b32 s4, 0x3f317218
	s_mov_b32 s3, 0x7f800000
	v_subbrev_co_u32_e32 v15, vcc, 0, v15, vcc
	v_sub_u32_e32 v50, 0, v15
	v_ldexp_f32 v49, v49, v50
	v_ldexp_f32 v16, v16, v50
	v_add_f32_e32 v50, -1.0, v49
	v_add_f32_e32 v54, 1.0, v49
	v_add_f32_e32 v51, 1.0, v50
	v_add_f32_e32 v55, -1.0, v54
	v_sub_f32_e32 v51, v49, v51
	v_sub_f32_e32 v49, v49, v55
	v_add_f32_e32 v51, v16, v51
	v_add_f32_e32 v16, v16, v49
	;; [unrolled: 1-line block ×3, first 2 shown]
	v_rcp_f32_e32 v55, v49
	v_add_f32_e32 v52, v50, v51
	v_sub_f32_e32 v50, v50, v52
	v_add_f32_e32 v50, v51, v50
	v_sub_f32_e32 v51, v54, v49
	v_add_f32_e32 v16, v16, v51
	v_mul_f32_e32 v51, v52, v55
	v_mul_f32_e32 v54, v49, v51
	v_fma_f32 v56, v51, v49, -v54
	v_fmac_f32_e32 v56, v51, v16
	v_add_f32_e32 v57, v54, v56
	v_sub_f32_e32 v58, v52, v57
	v_sub_f32_e32 v52, v52, v58
	;; [unrolled: 1-line block ×4, first 2 shown]
	v_add_f32_e32 v50, v50, v52
	v_sub_f32_e32 v52, v54, v56
	v_add_f32_e32 v50, v52, v50
	v_add_f32_e32 v52, v58, v50
	v_mul_f32_e32 v54, v55, v52
	v_mul_f32_e32 v56, v49, v54
	v_fma_f32 v49, v54, v49, -v56
	v_fmac_f32_e32 v49, v54, v16
	v_sub_f32_e32 v16, v58, v52
	v_add_f32_e32 v16, v50, v16
	v_add_f32_e32 v50, v56, v49
	v_sub_f32_e32 v57, v52, v50
	v_sub_f32_e32 v52, v52, v57
	;; [unrolled: 1-line block ×4, first 2 shown]
	v_add_f32_e32 v16, v16, v50
	v_sub_f32_e32 v49, v56, v49
	v_add_f32_e32 v16, v49, v16
	v_add_f32_e32 v49, v51, v54
	v_add_f32_e32 v16, v57, v16
	v_sub_f32_e32 v50, v49, v51
	v_mul_f32_e32 v16, v55, v16
	v_sub_f32_e32 v50, v54, v50
	v_add_f32_e32 v16, v50, v16
	v_cvt_f32_i32_e32 v15, v15
	v_add_f32_e32 v50, v49, v16
	v_mul_f32_e32 v51, v50, v50
	v_mov_b32_e32 v52, 0x3ecc95a3
	v_fmac_f32_e32 v52, 0x3e9b6dac, v51
	v_mov_b32_e32 v54, 0x3f2aaada
	v_fmac_f32_e32 v54, v51, v52
	v_mul_f32_e32 v52, 0x3f317218, v15
	v_fma_f32 v55, v15, s4, -v52
	v_fmac_f32_e32 v55, 0xb102e308, v15
	v_sub_f32_e32 v15, v50, v49
	v_sub_f32_e32 v15, v16, v15
	v_add_f32_e32 v16, v52, v55
	v_sub_f32_e32 v49, v16, v52
	v_ldexp_f32 v52, v50, 1
	v_mul_f32_e32 v50, v50, v51
	v_mul_f32_e32 v50, v50, v54
	v_add_f32_e32 v51, v52, v50
	v_sub_f32_e32 v52, v51, v52
	v_ldexp_f32 v15, v15, 1
	v_sub_f32_e32 v50, v50, v52
	v_add_f32_e32 v15, v15, v50
	v_add_f32_e32 v50, v51, v15
	v_sub_f32_e32 v51, v50, v51
	v_sub_f32_e32 v15, v15, v51
	v_add_f32_e32 v51, v16, v50
	v_sub_f32_e32 v52, v51, v16
	v_sub_f32_e32 v54, v51, v52
	;; [unrolled: 1-line block ×5, first 2 shown]
	v_add_f32_e32 v16, v50, v16
	v_add_f32_e32 v50, v49, v15
	v_sub_f32_e32 v52, v50, v49
	v_sub_f32_e32 v54, v50, v52
	;; [unrolled: 1-line block ×4, first 2 shown]
	v_add_f32_e32 v16, v50, v16
	v_add_f32_e32 v15, v15, v49
	;; [unrolled: 1-line block ×3, first 2 shown]
	v_sub_f32_e32 v50, v49, v51
	v_sub_f32_e32 v16, v16, v50
	v_add_f32_e32 v15, v15, v16
	v_add_f32_e32 v15, v49, v15
	v_cmp_neq_f32_e32 vcc, s3, v22
	s_mov_b32 s3, 0x33800000
	v_cndmask_b32_e32 v15, v18, v15, vcc
	v_cmp_lt_f32_e64 vcc, |v22|, s3
	v_cndmask_b32_e32 v15, v15, v22, vcc
	v_add_f32_e32 v15, v2, v15
.LBB516_144:
	s_or_b64 exec, exec, s[0:1]
	v_bfe_u32 v2, v15, 16, 1
	s_movk_i32 s3, 0x7fff
	v_add3_u32 v2, v15, v2, s3
	v_cmp_o_f32_e32 vcc, v15, v15
	v_mov_b32_e32 v15, 0x7fc0
	v_cndmask_b32_sdwa v2, v15, v2, vcc dst_sel:DWORD dst_unused:UNUSED_PAD src0_sel:DWORD src1_sel:WORD_1
	v_lshlrev_b32_e32 v18, 16, v2
	v_max_f32_e32 v16, v18, v18
	v_min_f32_e32 v22, v16, v19
	v_cmp_u_f32_e32 vcc, v18, v18
	v_max_f32_e32 v16, v16, v19
	v_cndmask_b32_e32 v22, v22, v18, vcc
	v_cndmask_b32_e32 v16, v16, v18, vcc
	v_cndmask_b32_e64 v22, v22, v17, s[56:57]
	v_cndmask_b32_e64 v16, v16, v17, s[56:57]
	v_cmp_neq_f32_e32 vcc, v22, v16
	v_cmp_class_f32_e64 s[0:1], v22, s2
	s_or_b64 s[4:5], vcc, s[0:1]
	s_and_saveexec_b64 s[0:1], s[4:5]
	s_cbranch_execz .LBB516_146
; %bb.145:
	v_sub_f32_e32 v17, v22, v16
	s_mov_b32 s2, 0x3fb8aa3b
	v_mul_f32_e32 v18, 0x3fb8aa3b, v17
	v_fma_f32 v19, v17, s2, -v18
	v_rndne_f32_e32 v22, v18
	v_fmac_f32_e32 v19, 0x32a5705f, v17
	v_sub_f32_e32 v18, v18, v22
	v_add_f32_e32 v18, v18, v19
	v_exp_f32_e32 v18, v18
	v_cvt_i32_f32_e32 v19, v22
	s_mov_b32 s2, 0xc2ce8ed0
	v_cmp_ngt_f32_e32 vcc, s2, v17
	s_mov_b32 s2, 0x42b17218
	v_ldexp_f32 v18, v18, v19
	v_cndmask_b32_e32 v18, 0, v18, vcc
	v_mov_b32_e32 v19, 0x7f800000
	v_cmp_nlt_f32_e32 vcc, s2, v17
	v_cndmask_b32_e32 v22, v19, v18, vcc
	v_add_f32_e32 v49, 1.0, v22
	v_cvt_f64_f32_e32 v[17:18], v49
	v_add_f32_e32 v50, -1.0, v49
	v_sub_f32_e32 v51, v50, v49
	v_sub_f32_e32 v50, v22, v50
	v_frexp_exp_i32_f64_e32 v17, v[17:18]
	v_add_f32_e32 v18, 1.0, v51
	v_add_f32_e32 v18, v50, v18
	v_frexp_mant_f32_e32 v50, v49
	s_mov_b32 s4, 0x3f2aaaab
	v_cmp_gt_f32_e32 vcc, s4, v50
	s_mov_b32 s4, 0x3f317218
	s_mov_b32 s2, 0x7f800000
	v_subbrev_co_u32_e32 v17, vcc, 0, v17, vcc
	v_sub_u32_e32 v50, 0, v17
	v_ldexp_f32 v49, v49, v50
	v_ldexp_f32 v18, v18, v50
	v_add_f32_e32 v50, -1.0, v49
	v_add_f32_e32 v54, 1.0, v49
	v_add_f32_e32 v51, 1.0, v50
	v_add_f32_e32 v55, -1.0, v54
	v_sub_f32_e32 v51, v49, v51
	v_sub_f32_e32 v49, v49, v55
	v_add_f32_e32 v51, v18, v51
	v_add_f32_e32 v18, v18, v49
	;; [unrolled: 1-line block ×3, first 2 shown]
	v_rcp_f32_e32 v55, v49
	v_add_f32_e32 v52, v50, v51
	v_sub_f32_e32 v50, v50, v52
	v_add_f32_e32 v50, v51, v50
	v_sub_f32_e32 v51, v54, v49
	v_add_f32_e32 v18, v18, v51
	v_mul_f32_e32 v51, v52, v55
	v_mul_f32_e32 v54, v49, v51
	v_fma_f32 v56, v51, v49, -v54
	v_fmac_f32_e32 v56, v51, v18
	v_add_f32_e32 v57, v54, v56
	v_sub_f32_e32 v58, v52, v57
	v_sub_f32_e32 v52, v52, v58
	;; [unrolled: 1-line block ×4, first 2 shown]
	v_add_f32_e32 v50, v50, v52
	v_sub_f32_e32 v52, v54, v56
	v_add_f32_e32 v50, v52, v50
	v_add_f32_e32 v52, v58, v50
	v_mul_f32_e32 v54, v55, v52
	v_mul_f32_e32 v56, v49, v54
	v_fma_f32 v49, v54, v49, -v56
	v_fmac_f32_e32 v49, v54, v18
	v_sub_f32_e32 v18, v58, v52
	v_add_f32_e32 v18, v50, v18
	v_add_f32_e32 v50, v56, v49
	v_sub_f32_e32 v57, v52, v50
	v_sub_f32_e32 v52, v52, v57
	;; [unrolled: 1-line block ×4, first 2 shown]
	v_add_f32_e32 v18, v18, v50
	v_sub_f32_e32 v49, v56, v49
	v_add_f32_e32 v18, v49, v18
	v_add_f32_e32 v49, v51, v54
	;; [unrolled: 1-line block ×3, first 2 shown]
	v_sub_f32_e32 v50, v49, v51
	v_mul_f32_e32 v18, v55, v18
	v_sub_f32_e32 v50, v54, v50
	v_add_f32_e32 v18, v50, v18
	v_cvt_f32_i32_e32 v17, v17
	v_add_f32_e32 v50, v49, v18
	v_mul_f32_e32 v51, v50, v50
	v_mov_b32_e32 v52, 0x3ecc95a3
	v_fmac_f32_e32 v52, 0x3e9b6dac, v51
	v_mov_b32_e32 v54, 0x3f2aaada
	v_fmac_f32_e32 v54, v51, v52
	v_mul_f32_e32 v52, 0x3f317218, v17
	v_fma_f32 v55, v17, s4, -v52
	v_fmac_f32_e32 v55, 0xb102e308, v17
	v_sub_f32_e32 v17, v50, v49
	v_sub_f32_e32 v17, v18, v17
	v_add_f32_e32 v18, v52, v55
	v_sub_f32_e32 v49, v18, v52
	v_ldexp_f32 v52, v50, 1
	v_mul_f32_e32 v50, v50, v51
	v_mul_f32_e32 v50, v50, v54
	v_add_f32_e32 v51, v52, v50
	v_sub_f32_e32 v52, v51, v52
	v_ldexp_f32 v17, v17, 1
	v_sub_f32_e32 v50, v50, v52
	v_add_f32_e32 v17, v17, v50
	v_add_f32_e32 v50, v51, v17
	v_sub_f32_e32 v51, v50, v51
	v_sub_f32_e32 v17, v17, v51
	v_add_f32_e32 v51, v18, v50
	v_sub_f32_e32 v52, v51, v18
	v_sub_f32_e32 v54, v51, v52
	;; [unrolled: 1-line block ×5, first 2 shown]
	v_add_f32_e32 v18, v50, v18
	v_add_f32_e32 v50, v49, v17
	v_sub_f32_e32 v52, v50, v49
	v_sub_f32_e32 v54, v50, v52
	;; [unrolled: 1-line block ×4, first 2 shown]
	v_add_f32_e32 v18, v50, v18
	v_add_f32_e32 v17, v17, v49
	;; [unrolled: 1-line block ×3, first 2 shown]
	v_sub_f32_e32 v50, v49, v51
	v_sub_f32_e32 v18, v18, v50
	v_add_f32_e32 v17, v17, v18
	v_add_f32_e32 v17, v49, v17
	v_cmp_neq_f32_e32 vcc, s2, v22
	s_mov_b32 s2, 0x33800000
	v_cndmask_b32_e32 v17, v19, v17, vcc
	v_cmp_lt_f32_e64 vcc, |v22|, s2
	v_cndmask_b32_e32 v17, v17, v22, vcc
	v_add_f32_e32 v18, v16, v17
.LBB516_146:
	s_or_b64 exec, exec, s[0:1]
	v_bfe_u32 v16, v18, 16, 1
	v_add3_u32 v16, v18, v16, s3
	v_cmp_o_f32_e32 vcc, v18, v18
	v_cndmask_b32_sdwa v15, v15, v16, vcc dst_sel:DWORD dst_unused:UNUSED_PAD src0_sel:DWORD src1_sel:WORD_1
	v_lshlrev_b32_e32 v16, 16, v15
	v_max_f32_e32 v18, v16, v16
	v_min_f32_e32 v17, v18, v21
	v_cmp_u_f32_e32 vcc, v16, v16
	v_max_f32_e32 v18, v18, v21
	v_cndmask_b32_e32 v17, v17, v16, vcc
	v_cndmask_b32_e32 v18, v18, v16, vcc
	v_cndmask_b32_e64 v17, v17, v3, s[58:59]
	v_cndmask_b32_e64 v3, v18, v3, s[58:59]
	s_movk_i32 s2, 0x1f8
	v_cmp_neq_f32_e32 vcc, v17, v3
	v_cmp_class_f32_e64 s[0:1], v17, s2
	s_or_b64 s[4:5], vcc, s[0:1]
	s_and_saveexec_b64 s[0:1], s[4:5]
	s_cbranch_execz .LBB516_148
; %bb.147:
	v_sub_f32_e32 v16, v17, v3
	s_mov_b32 s3, 0x3fb8aa3b
	v_mul_f32_e32 v17, 0x3fb8aa3b, v16
	v_fma_f32 v18, v16, s3, -v17
	v_rndne_f32_e32 v19, v17
	v_fmac_f32_e32 v18, 0x32a5705f, v16
	v_sub_f32_e32 v17, v17, v19
	v_add_f32_e32 v17, v17, v18
	v_exp_f32_e32 v17, v17
	v_cvt_i32_f32_e32 v18, v19
	s_mov_b32 s3, 0xc2ce8ed0
	v_cmp_ngt_f32_e32 vcc, s3, v16
	s_mov_b32 s3, 0x42b17218
	v_ldexp_f32 v17, v17, v18
	v_cndmask_b32_e32 v17, 0, v17, vcc
	v_mov_b32_e32 v18, 0x7f800000
	v_cmp_nlt_f32_e32 vcc, s3, v16
	v_cndmask_b32_e32 v19, v18, v17, vcc
	v_add_f32_e32 v21, 1.0, v19
	v_cvt_f64_f32_e32 v[16:17], v21
	v_add_f32_e32 v22, -1.0, v21
	v_sub_f32_e32 v49, v22, v21
	v_sub_f32_e32 v22, v19, v22
	v_frexp_exp_i32_f64_e32 v16, v[16:17]
	v_add_f32_e32 v17, 1.0, v49
	v_add_f32_e32 v17, v22, v17
	v_frexp_mant_f32_e32 v22, v21
	s_mov_b32 s4, 0x3f2aaaab
	v_cmp_gt_f32_e32 vcc, s4, v22
	s_mov_b32 s4, 0x3f317218
	s_mov_b32 s3, 0x7f800000
	v_subbrev_co_u32_e32 v16, vcc, 0, v16, vcc
	v_sub_u32_e32 v22, 0, v16
	v_ldexp_f32 v21, v21, v22
	v_ldexp_f32 v17, v17, v22
	v_add_f32_e32 v22, -1.0, v21
	v_add_f32_e32 v51, 1.0, v21
	v_add_f32_e32 v49, 1.0, v22
	v_add_f32_e32 v52, -1.0, v51
	v_sub_f32_e32 v49, v21, v49
	v_sub_f32_e32 v21, v21, v52
	v_add_f32_e32 v49, v17, v49
	v_add_f32_e32 v17, v17, v21
	;; [unrolled: 1-line block ×3, first 2 shown]
	v_rcp_f32_e32 v52, v21
	v_add_f32_e32 v50, v22, v49
	v_sub_f32_e32 v22, v22, v50
	v_add_f32_e32 v22, v49, v22
	v_sub_f32_e32 v49, v51, v21
	v_add_f32_e32 v17, v17, v49
	v_mul_f32_e32 v49, v50, v52
	v_mul_f32_e32 v51, v21, v49
	v_fma_f32 v54, v49, v21, -v51
	v_fmac_f32_e32 v54, v49, v17
	v_add_f32_e32 v55, v51, v54
	v_sub_f32_e32 v56, v50, v55
	v_sub_f32_e32 v50, v50, v56
	;; [unrolled: 1-line block ×4, first 2 shown]
	v_add_f32_e32 v22, v22, v50
	v_sub_f32_e32 v50, v51, v54
	v_add_f32_e32 v22, v50, v22
	v_add_f32_e32 v50, v56, v22
	v_mul_f32_e32 v51, v52, v50
	v_mul_f32_e32 v54, v21, v51
	v_fma_f32 v21, v51, v21, -v54
	v_fmac_f32_e32 v21, v51, v17
	v_sub_f32_e32 v17, v56, v50
	v_add_f32_e32 v17, v22, v17
	v_add_f32_e32 v22, v54, v21
	v_sub_f32_e32 v55, v50, v22
	v_sub_f32_e32 v50, v50, v55
	;; [unrolled: 1-line block ×4, first 2 shown]
	v_add_f32_e32 v17, v17, v22
	v_sub_f32_e32 v21, v54, v21
	v_add_f32_e32 v17, v21, v17
	v_add_f32_e32 v21, v49, v51
	;; [unrolled: 1-line block ×3, first 2 shown]
	v_sub_f32_e32 v22, v21, v49
	v_mul_f32_e32 v17, v52, v17
	v_sub_f32_e32 v22, v51, v22
	v_add_f32_e32 v17, v22, v17
	v_cvt_f32_i32_e32 v16, v16
	v_add_f32_e32 v22, v21, v17
	v_mul_f32_e32 v49, v22, v22
	v_mov_b32_e32 v50, 0x3ecc95a3
	v_fmac_f32_e32 v50, 0x3e9b6dac, v49
	v_mov_b32_e32 v51, 0x3f2aaada
	v_fmac_f32_e32 v51, v49, v50
	v_mul_f32_e32 v50, 0x3f317218, v16
	v_fma_f32 v52, v16, s4, -v50
	v_fmac_f32_e32 v52, 0xb102e308, v16
	v_sub_f32_e32 v16, v22, v21
	v_sub_f32_e32 v16, v17, v16
	v_add_f32_e32 v17, v50, v52
	v_sub_f32_e32 v21, v17, v50
	v_ldexp_f32 v50, v22, 1
	v_mul_f32_e32 v22, v22, v49
	v_mul_f32_e32 v22, v22, v51
	v_add_f32_e32 v49, v50, v22
	v_sub_f32_e32 v50, v49, v50
	v_ldexp_f32 v16, v16, 1
	v_sub_f32_e32 v22, v22, v50
	v_add_f32_e32 v16, v16, v22
	v_add_f32_e32 v22, v49, v16
	v_sub_f32_e32 v49, v22, v49
	v_sub_f32_e32 v16, v16, v49
	v_add_f32_e32 v49, v17, v22
	v_sub_f32_e32 v50, v49, v17
	v_sub_f32_e32 v51, v49, v50
	;; [unrolled: 1-line block ×5, first 2 shown]
	v_add_f32_e32 v17, v22, v17
	v_add_f32_e32 v22, v21, v16
	v_sub_f32_e32 v50, v22, v21
	v_sub_f32_e32 v51, v22, v50
	;; [unrolled: 1-line block ×4, first 2 shown]
	v_add_f32_e32 v17, v22, v17
	v_add_f32_e32 v16, v16, v21
	;; [unrolled: 1-line block ×3, first 2 shown]
	v_sub_f32_e32 v22, v21, v49
	v_sub_f32_e32 v17, v17, v22
	v_add_f32_e32 v16, v16, v17
	v_add_f32_e32 v16, v21, v16
	v_cmp_neq_f32_e32 vcc, s3, v19
	s_mov_b32 s3, 0x33800000
	v_cndmask_b32_e32 v16, v18, v16, vcc
	v_cmp_lt_f32_e64 vcc, |v19|, s3
	v_cndmask_b32_e32 v16, v16, v19, vcc
	v_add_f32_e32 v16, v3, v16
.LBB516_148:
	s_or_b64 exec, exec, s[0:1]
	v_bfe_u32 v3, v16, 16, 1
	s_movk_i32 s3, 0x7fff
	v_add3_u32 v3, v16, v3, s3
	v_cmp_o_f32_e32 vcc, v16, v16
	v_mov_b32_e32 v16, 0x7fc0
	v_cndmask_b32_sdwa v3, v16, v3, vcc dst_sel:DWORD dst_unused:UNUSED_PAD src0_sel:DWORD src1_sel:WORD_1
	v_lshlrev_b32_e32 v18, 16, v3
	v_max_f32_e32 v17, v18, v18
	v_min_f32_e32 v19, v17, v23
	v_cmp_u_f32_e32 vcc, v18, v18
	v_max_f32_e32 v17, v17, v23
	v_cndmask_b32_e32 v19, v19, v18, vcc
	v_cndmask_b32_e32 v17, v17, v18, vcc
	v_cndmask_b32_e64 v19, v19, v20, s[60:61]
	v_cndmask_b32_e64 v17, v17, v20, s[60:61]
	v_cmp_neq_f32_e32 vcc, v19, v17
	v_cmp_class_f32_e64 s[0:1], v19, s2
	s_or_b64 s[4:5], vcc, s[0:1]
	s_and_saveexec_b64 s[0:1], s[4:5]
	s_cbranch_execz .LBB516_150
; %bb.149:
	v_sub_f32_e32 v18, v19, v17
	s_mov_b32 s2, 0x3fb8aa3b
	v_mul_f32_e32 v19, 0x3fb8aa3b, v18
	v_fma_f32 v20, v18, s2, -v19
	v_rndne_f32_e32 v21, v19
	v_fmac_f32_e32 v20, 0x32a5705f, v18
	v_sub_f32_e32 v19, v19, v21
	v_add_f32_e32 v19, v19, v20
	v_exp_f32_e32 v19, v19
	v_cvt_i32_f32_e32 v20, v21
	s_mov_b32 s2, 0xc2ce8ed0
	v_cmp_ngt_f32_e32 vcc, s2, v18
	s_mov_b32 s2, 0x42b17218
	v_ldexp_f32 v19, v19, v20
	v_cndmask_b32_e32 v19, 0, v19, vcc
	v_mov_b32_e32 v20, 0x7f800000
	v_cmp_nlt_f32_e32 vcc, s2, v18
	v_cndmask_b32_e32 v21, v20, v19, vcc
	v_add_f32_e32 v22, 1.0, v21
	v_cvt_f64_f32_e32 v[18:19], v22
	v_add_f32_e32 v23, -1.0, v22
	v_sub_f32_e32 v49, v23, v22
	v_sub_f32_e32 v23, v21, v23
	v_frexp_exp_i32_f64_e32 v18, v[18:19]
	v_add_f32_e32 v19, 1.0, v49
	v_add_f32_e32 v19, v23, v19
	v_frexp_mant_f32_e32 v23, v22
	s_mov_b32 s4, 0x3f2aaaab
	v_cmp_gt_f32_e32 vcc, s4, v23
	s_mov_b32 s4, 0x3f317218
	s_mov_b32 s2, 0x7f800000
	v_subbrev_co_u32_e32 v18, vcc, 0, v18, vcc
	v_sub_u32_e32 v23, 0, v18
	v_ldexp_f32 v22, v22, v23
	v_ldexp_f32 v19, v19, v23
	v_add_f32_e32 v23, -1.0, v22
	v_add_f32_e32 v51, 1.0, v22
	v_add_f32_e32 v49, 1.0, v23
	v_add_f32_e32 v52, -1.0, v51
	v_sub_f32_e32 v49, v22, v49
	v_sub_f32_e32 v22, v22, v52
	v_add_f32_e32 v49, v19, v49
	v_add_f32_e32 v19, v19, v22
	;; [unrolled: 1-line block ×3, first 2 shown]
	v_rcp_f32_e32 v52, v22
	v_add_f32_e32 v50, v23, v49
	v_sub_f32_e32 v23, v23, v50
	v_add_f32_e32 v23, v49, v23
	v_sub_f32_e32 v49, v51, v22
	v_add_f32_e32 v19, v19, v49
	v_mul_f32_e32 v49, v50, v52
	v_mul_f32_e32 v51, v22, v49
	v_fma_f32 v54, v49, v22, -v51
	v_fmac_f32_e32 v54, v49, v19
	v_add_f32_e32 v55, v51, v54
	v_sub_f32_e32 v56, v50, v55
	v_sub_f32_e32 v50, v50, v56
	;; [unrolled: 1-line block ×4, first 2 shown]
	v_add_f32_e32 v23, v23, v50
	v_sub_f32_e32 v50, v51, v54
	v_add_f32_e32 v23, v50, v23
	v_add_f32_e32 v50, v56, v23
	v_mul_f32_e32 v51, v52, v50
	v_mul_f32_e32 v54, v22, v51
	v_fma_f32 v22, v51, v22, -v54
	v_fmac_f32_e32 v22, v51, v19
	v_sub_f32_e32 v19, v56, v50
	v_add_f32_e32 v19, v23, v19
	v_add_f32_e32 v23, v54, v22
	v_sub_f32_e32 v55, v50, v23
	v_sub_f32_e32 v50, v50, v55
	;; [unrolled: 1-line block ×4, first 2 shown]
	v_add_f32_e32 v19, v19, v23
	v_sub_f32_e32 v22, v54, v22
	v_add_f32_e32 v19, v22, v19
	v_add_f32_e32 v22, v49, v51
	;; [unrolled: 1-line block ×3, first 2 shown]
	v_sub_f32_e32 v23, v22, v49
	v_mul_f32_e32 v19, v52, v19
	v_sub_f32_e32 v23, v51, v23
	v_add_f32_e32 v19, v23, v19
	v_cvt_f32_i32_e32 v18, v18
	v_add_f32_e32 v23, v22, v19
	v_mul_f32_e32 v49, v23, v23
	v_mov_b32_e32 v50, 0x3ecc95a3
	v_fmac_f32_e32 v50, 0x3e9b6dac, v49
	v_mov_b32_e32 v51, 0x3f2aaada
	v_fmac_f32_e32 v51, v49, v50
	v_mul_f32_e32 v50, 0x3f317218, v18
	v_fma_f32 v52, v18, s4, -v50
	v_fmac_f32_e32 v52, 0xb102e308, v18
	v_sub_f32_e32 v18, v23, v22
	v_sub_f32_e32 v18, v19, v18
	v_add_f32_e32 v19, v50, v52
	v_sub_f32_e32 v22, v19, v50
	v_ldexp_f32 v50, v23, 1
	v_mul_f32_e32 v23, v23, v49
	v_mul_f32_e32 v23, v23, v51
	v_add_f32_e32 v49, v50, v23
	v_sub_f32_e32 v50, v49, v50
	v_ldexp_f32 v18, v18, 1
	v_sub_f32_e32 v23, v23, v50
	v_add_f32_e32 v18, v18, v23
	v_add_f32_e32 v23, v49, v18
	v_sub_f32_e32 v49, v23, v49
	v_sub_f32_e32 v18, v18, v49
	v_add_f32_e32 v49, v19, v23
	v_sub_f32_e32 v50, v49, v19
	v_sub_f32_e32 v51, v49, v50
	;; [unrolled: 1-line block ×5, first 2 shown]
	v_add_f32_e32 v19, v23, v19
	v_add_f32_e32 v23, v22, v18
	v_sub_f32_e32 v50, v23, v22
	v_sub_f32_e32 v51, v23, v50
	;; [unrolled: 1-line block ×4, first 2 shown]
	v_add_f32_e32 v19, v23, v19
	v_add_f32_e32 v18, v18, v22
	;; [unrolled: 1-line block ×3, first 2 shown]
	v_sub_f32_e32 v23, v22, v49
	v_sub_f32_e32 v19, v19, v23
	v_add_f32_e32 v18, v18, v19
	v_add_f32_e32 v18, v22, v18
	v_cmp_neq_f32_e32 vcc, s2, v21
	s_mov_b32 s2, 0x33800000
	v_cndmask_b32_e32 v18, v20, v18, vcc
	v_cmp_lt_f32_e64 vcc, |v21|, s2
	v_cndmask_b32_e32 v18, v18, v21, vcc
	v_add_f32_e32 v18, v17, v18
.LBB516_150:
	s_or_b64 exec, exec, s[0:1]
	v_bfe_u32 v17, v18, 16, 1
	v_add3_u32 v17, v18, v17, s3
	v_cmp_o_f32_e32 vcc, v18, v18
	v_cndmask_b32_sdwa v16, v16, v17, vcc dst_sel:DWORD dst_unused:UNUSED_PAD src0_sel:DWORD src1_sel:WORD_1
	v_lshlrev_b32_e32 v17, 16, v16
	v_max_f32_e32 v19, v17, v17
	v_min_f32_e32 v18, v19, v25
	v_cmp_u_f32_e32 vcc, v17, v17
	v_max_f32_e32 v19, v19, v25
	v_cndmask_b32_e32 v18, v18, v17, vcc
	v_cndmask_b32_e32 v19, v19, v17, vcc
	v_cndmask_b32_e64 v18, v18, v4, s[62:63]
	v_cndmask_b32_e64 v4, v19, v4, s[62:63]
	s_movk_i32 s2, 0x1f8
	v_cmp_neq_f32_e32 vcc, v18, v4
	v_cmp_class_f32_e64 s[0:1], v18, s2
	s_or_b64 s[4:5], vcc, s[0:1]
	s_and_saveexec_b64 s[0:1], s[4:5]
	s_cbranch_execz .LBB516_152
; %bb.151:
	v_sub_f32_e32 v17, v18, v4
	s_mov_b32 s3, 0x3fb8aa3b
	v_mul_f32_e32 v18, 0x3fb8aa3b, v17
	v_fma_f32 v19, v17, s3, -v18
	v_rndne_f32_e32 v20, v18
	v_fmac_f32_e32 v19, 0x32a5705f, v17
	v_sub_f32_e32 v18, v18, v20
	v_add_f32_e32 v18, v18, v19
	v_exp_f32_e32 v18, v18
	v_cvt_i32_f32_e32 v19, v20
	s_mov_b32 s3, 0xc2ce8ed0
	v_cmp_ngt_f32_e32 vcc, s3, v17
	s_mov_b32 s3, 0x42b17218
	v_ldexp_f32 v18, v18, v19
	v_cndmask_b32_e32 v18, 0, v18, vcc
	v_mov_b32_e32 v19, 0x7f800000
	v_cmp_nlt_f32_e32 vcc, s3, v17
	v_cndmask_b32_e32 v20, v19, v18, vcc
	v_add_f32_e32 v21, 1.0, v20
	v_cvt_f64_f32_e32 v[17:18], v21
	v_add_f32_e32 v22, -1.0, v21
	v_sub_f32_e32 v23, v22, v21
	v_sub_f32_e32 v22, v20, v22
	v_frexp_exp_i32_f64_e32 v17, v[17:18]
	v_add_f32_e32 v18, 1.0, v23
	v_add_f32_e32 v18, v22, v18
	v_frexp_mant_f32_e32 v22, v21
	s_mov_b32 s4, 0x3f2aaaab
	v_cmp_gt_f32_e32 vcc, s4, v22
	s_mov_b32 s4, 0x3f317218
	s_mov_b32 s3, 0x7f800000
	v_subbrev_co_u32_e32 v17, vcc, 0, v17, vcc
	v_sub_u32_e32 v22, 0, v17
	v_ldexp_f32 v21, v21, v22
	v_ldexp_f32 v18, v18, v22
	v_add_f32_e32 v22, -1.0, v21
	v_add_f32_e32 v49, 1.0, v21
	v_add_f32_e32 v23, 1.0, v22
	v_add_f32_e32 v50, -1.0, v49
	v_sub_f32_e32 v23, v21, v23
	v_sub_f32_e32 v21, v21, v50
	v_add_f32_e32 v23, v18, v23
	v_add_f32_e32 v18, v18, v21
	;; [unrolled: 1-line block ×3, first 2 shown]
	v_rcp_f32_e32 v50, v21
	v_add_f32_e32 v25, v22, v23
	v_sub_f32_e32 v22, v22, v25
	v_add_f32_e32 v22, v23, v22
	v_sub_f32_e32 v23, v49, v21
	v_add_f32_e32 v18, v18, v23
	v_mul_f32_e32 v23, v25, v50
	v_mul_f32_e32 v49, v21, v23
	v_fma_f32 v51, v23, v21, -v49
	v_fmac_f32_e32 v51, v23, v18
	v_add_f32_e32 v52, v49, v51
	v_sub_f32_e32 v54, v25, v52
	v_sub_f32_e32 v25, v25, v54
	;; [unrolled: 1-line block ×4, first 2 shown]
	v_add_f32_e32 v22, v22, v25
	v_sub_f32_e32 v25, v49, v51
	v_add_f32_e32 v22, v25, v22
	v_add_f32_e32 v25, v54, v22
	v_mul_f32_e32 v49, v50, v25
	v_mul_f32_e32 v51, v21, v49
	v_fma_f32 v21, v49, v21, -v51
	v_fmac_f32_e32 v21, v49, v18
	v_sub_f32_e32 v18, v54, v25
	v_add_f32_e32 v18, v22, v18
	v_add_f32_e32 v22, v51, v21
	v_sub_f32_e32 v52, v25, v22
	v_sub_f32_e32 v25, v25, v52
	;; [unrolled: 1-line block ×4, first 2 shown]
	v_add_f32_e32 v18, v18, v22
	v_sub_f32_e32 v21, v51, v21
	v_add_f32_e32 v18, v21, v18
	v_add_f32_e32 v21, v23, v49
	;; [unrolled: 1-line block ×3, first 2 shown]
	v_sub_f32_e32 v22, v21, v23
	v_mul_f32_e32 v18, v50, v18
	v_sub_f32_e32 v22, v49, v22
	v_add_f32_e32 v18, v22, v18
	v_cvt_f32_i32_e32 v17, v17
	v_add_f32_e32 v22, v21, v18
	v_mul_f32_e32 v23, v22, v22
	v_mov_b32_e32 v25, 0x3ecc95a3
	v_fmac_f32_e32 v25, 0x3e9b6dac, v23
	v_mov_b32_e32 v49, 0x3f2aaada
	v_fmac_f32_e32 v49, v23, v25
	v_mul_f32_e32 v25, 0x3f317218, v17
	v_fma_f32 v50, v17, s4, -v25
	v_fmac_f32_e32 v50, 0xb102e308, v17
	v_sub_f32_e32 v17, v22, v21
	v_sub_f32_e32 v17, v18, v17
	v_add_f32_e32 v18, v25, v50
	v_sub_f32_e32 v21, v18, v25
	v_ldexp_f32 v25, v22, 1
	v_mul_f32_e32 v22, v22, v23
	v_mul_f32_e32 v22, v22, v49
	v_add_f32_e32 v23, v25, v22
	v_sub_f32_e32 v25, v23, v25
	v_ldexp_f32 v17, v17, 1
	v_sub_f32_e32 v22, v22, v25
	v_add_f32_e32 v17, v17, v22
	v_add_f32_e32 v22, v23, v17
	v_sub_f32_e32 v23, v22, v23
	v_sub_f32_e32 v17, v17, v23
	v_add_f32_e32 v23, v18, v22
	v_sub_f32_e32 v25, v23, v18
	v_sub_f32_e32 v49, v23, v25
	;; [unrolled: 1-line block ×5, first 2 shown]
	v_add_f32_e32 v18, v22, v18
	v_add_f32_e32 v22, v21, v17
	v_sub_f32_e32 v25, v22, v21
	v_sub_f32_e32 v49, v22, v25
	;; [unrolled: 1-line block ×4, first 2 shown]
	v_add_f32_e32 v18, v22, v18
	v_add_f32_e32 v17, v17, v21
	;; [unrolled: 1-line block ×3, first 2 shown]
	v_sub_f32_e32 v22, v21, v23
	v_sub_f32_e32 v18, v18, v22
	v_add_f32_e32 v17, v17, v18
	v_add_f32_e32 v17, v21, v17
	v_cmp_neq_f32_e32 vcc, s3, v20
	s_mov_b32 s3, 0x33800000
	v_cndmask_b32_e32 v17, v19, v17, vcc
	v_cmp_lt_f32_e64 vcc, |v20|, s3
	v_cndmask_b32_e32 v17, v17, v20, vcc
	v_add_f32_e32 v17, v4, v17
.LBB516_152:
	s_or_b64 exec, exec, s[0:1]
	v_bfe_u32 v4, v17, 16, 1
	s_movk_i32 s3, 0x7fff
	v_add3_u32 v4, v17, v4, s3
	v_cmp_o_f32_e32 vcc, v17, v17
	v_mov_b32_e32 v17, 0x7fc0
	v_cndmask_b32_sdwa v4, v17, v4, vcc dst_sel:DWORD dst_unused:UNUSED_PAD src0_sel:DWORD src1_sel:WORD_1
	v_lshlrev_b32_e32 v19, 16, v4
	v_max_f32_e32 v18, v19, v19
	v_min_f32_e32 v20, v18, v26
	v_cmp_u_f32_e32 vcc, v19, v19
	v_max_f32_e32 v18, v18, v26
	v_cndmask_b32_e32 v20, v20, v19, vcc
	v_cndmask_b32_e32 v18, v18, v19, vcc
	v_cndmask_b32_e64 v20, v20, v24, s[64:65]
	v_cndmask_b32_e64 v18, v18, v24, s[64:65]
	v_cmp_neq_f32_e32 vcc, v20, v18
	v_cmp_class_f32_e64 s[0:1], v20, s2
	s_or_b64 s[4:5], vcc, s[0:1]
	s_and_saveexec_b64 s[0:1], s[4:5]
	s_cbranch_execz .LBB516_154
; %bb.153:
	v_sub_f32_e32 v19, v20, v18
	s_mov_b32 s2, 0x3fb8aa3b
	v_mul_f32_e32 v20, 0x3fb8aa3b, v19
	v_fma_f32 v21, v19, s2, -v20
	v_rndne_f32_e32 v22, v20
	v_fmac_f32_e32 v21, 0x32a5705f, v19
	v_sub_f32_e32 v20, v20, v22
	v_add_f32_e32 v20, v20, v21
	v_exp_f32_e32 v20, v20
	v_cvt_i32_f32_e32 v21, v22
	s_mov_b32 s2, 0xc2ce8ed0
	v_cmp_ngt_f32_e32 vcc, s2, v19
	s_mov_b32 s2, 0x42b17218
	v_ldexp_f32 v20, v20, v21
	v_cndmask_b32_e32 v20, 0, v20, vcc
	v_mov_b32_e32 v21, 0x7f800000
	v_cmp_nlt_f32_e32 vcc, s2, v19
	v_cndmask_b32_e32 v22, v21, v20, vcc
	v_add_f32_e32 v23, 1.0, v22
	v_cvt_f64_f32_e32 v[19:20], v23
	v_add_f32_e32 v24, -1.0, v23
	v_sub_f32_e32 v25, v24, v23
	v_sub_f32_e32 v24, v22, v24
	v_frexp_exp_i32_f64_e32 v19, v[19:20]
	v_add_f32_e32 v20, 1.0, v25
	v_add_f32_e32 v20, v24, v20
	v_frexp_mant_f32_e32 v24, v23
	s_mov_b32 s4, 0x3f2aaaab
	v_cmp_gt_f32_e32 vcc, s4, v24
	s_mov_b32 s4, 0x3f317218
	s_mov_b32 s2, 0x7f800000
	v_subbrev_co_u32_e32 v19, vcc, 0, v19, vcc
	v_sub_u32_e32 v24, 0, v19
	v_ldexp_f32 v23, v23, v24
	v_ldexp_f32 v20, v20, v24
	v_add_f32_e32 v24, -1.0, v23
	v_add_f32_e32 v49, 1.0, v23
	v_add_f32_e32 v25, 1.0, v24
	v_add_f32_e32 v50, -1.0, v49
	v_sub_f32_e32 v25, v23, v25
	v_sub_f32_e32 v23, v23, v50
	v_add_f32_e32 v25, v20, v25
	v_add_f32_e32 v20, v20, v23
	;; [unrolled: 1-line block ×3, first 2 shown]
	v_rcp_f32_e32 v50, v23
	v_add_f32_e32 v26, v24, v25
	v_sub_f32_e32 v24, v24, v26
	v_add_f32_e32 v24, v25, v24
	v_sub_f32_e32 v25, v49, v23
	v_add_f32_e32 v20, v20, v25
	v_mul_f32_e32 v25, v26, v50
	v_mul_f32_e32 v49, v23, v25
	v_fma_f32 v51, v25, v23, -v49
	v_fmac_f32_e32 v51, v25, v20
	v_add_f32_e32 v52, v49, v51
	v_sub_f32_e32 v54, v26, v52
	v_sub_f32_e32 v26, v26, v54
	v_sub_f32_e32 v49, v52, v49
	v_sub_f32_e32 v26, v26, v52
	v_add_f32_e32 v24, v24, v26
	v_sub_f32_e32 v26, v49, v51
	v_add_f32_e32 v24, v26, v24
	v_add_f32_e32 v26, v54, v24
	v_mul_f32_e32 v49, v50, v26
	v_mul_f32_e32 v51, v23, v49
	v_fma_f32 v23, v49, v23, -v51
	v_fmac_f32_e32 v23, v49, v20
	v_sub_f32_e32 v20, v54, v26
	v_add_f32_e32 v20, v24, v20
	v_add_f32_e32 v24, v51, v23
	v_sub_f32_e32 v52, v26, v24
	v_sub_f32_e32 v26, v26, v52
	;; [unrolled: 1-line block ×4, first 2 shown]
	v_add_f32_e32 v20, v20, v24
	v_sub_f32_e32 v23, v51, v23
	v_add_f32_e32 v20, v23, v20
	v_add_f32_e32 v23, v25, v49
	;; [unrolled: 1-line block ×3, first 2 shown]
	v_sub_f32_e32 v24, v23, v25
	v_mul_f32_e32 v20, v50, v20
	v_sub_f32_e32 v24, v49, v24
	v_add_f32_e32 v20, v24, v20
	v_cvt_f32_i32_e32 v19, v19
	v_add_f32_e32 v24, v23, v20
	v_mul_f32_e32 v25, v24, v24
	v_mov_b32_e32 v26, 0x3ecc95a3
	v_fmac_f32_e32 v26, 0x3e9b6dac, v25
	v_mov_b32_e32 v49, 0x3f2aaada
	v_fmac_f32_e32 v49, v25, v26
	v_mul_f32_e32 v26, 0x3f317218, v19
	v_fma_f32 v50, v19, s4, -v26
	v_fmac_f32_e32 v50, 0xb102e308, v19
	v_sub_f32_e32 v19, v24, v23
	v_sub_f32_e32 v19, v20, v19
	v_add_f32_e32 v20, v26, v50
	v_sub_f32_e32 v23, v20, v26
	v_ldexp_f32 v26, v24, 1
	v_mul_f32_e32 v24, v24, v25
	v_mul_f32_e32 v24, v24, v49
	v_add_f32_e32 v25, v26, v24
	v_sub_f32_e32 v26, v25, v26
	v_ldexp_f32 v19, v19, 1
	v_sub_f32_e32 v24, v24, v26
	v_add_f32_e32 v19, v19, v24
	v_add_f32_e32 v24, v25, v19
	v_sub_f32_e32 v25, v24, v25
	v_sub_f32_e32 v19, v19, v25
	v_add_f32_e32 v25, v20, v24
	v_sub_f32_e32 v26, v25, v20
	v_sub_f32_e32 v49, v25, v26
	;; [unrolled: 1-line block ×5, first 2 shown]
	v_add_f32_e32 v20, v24, v20
	v_add_f32_e32 v24, v23, v19
	v_sub_f32_e32 v26, v24, v23
	v_sub_f32_e32 v49, v24, v26
	;; [unrolled: 1-line block ×4, first 2 shown]
	v_add_f32_e32 v20, v24, v20
	v_add_f32_e32 v19, v19, v23
	;; [unrolled: 1-line block ×3, first 2 shown]
	v_sub_f32_e32 v24, v23, v25
	v_sub_f32_e32 v20, v20, v24
	v_add_f32_e32 v19, v19, v20
	v_add_f32_e32 v19, v23, v19
	v_cmp_neq_f32_e32 vcc, s2, v22
	s_mov_b32 s2, 0x33800000
	v_cndmask_b32_e32 v19, v21, v19, vcc
	v_cmp_lt_f32_e64 vcc, |v22|, s2
	v_cndmask_b32_e32 v19, v19, v22, vcc
	v_add_f32_e32 v19, v18, v19
.LBB516_154:
	s_or_b64 exec, exec, s[0:1]
	v_bfe_u32 v18, v19, 16, 1
	v_add3_u32 v18, v19, v18, s3
	v_cmp_o_f32_e32 vcc, v19, v19
	v_cndmask_b32_sdwa v17, v17, v18, vcc dst_sel:DWORD dst_unused:UNUSED_PAD src0_sel:DWORD src1_sel:WORD_1
	v_lshlrev_b32_e32 v18, 16, v17
	v_max_f32_e32 v20, v18, v18
	v_min_f32_e32 v19, v20, v28
	v_cmp_u_f32_e32 vcc, v18, v18
	v_max_f32_e32 v20, v20, v28
	v_cndmask_b32_e32 v19, v19, v18, vcc
	v_cndmask_b32_e32 v20, v20, v18, vcc
	v_cndmask_b32_e64 v19, v19, v9, s[66:67]
	v_cndmask_b32_e64 v9, v20, v9, s[66:67]
	s_movk_i32 s2, 0x1f8
	v_cmp_neq_f32_e32 vcc, v19, v9
	v_cmp_class_f32_e64 s[0:1], v19, s2
	s_or_b64 s[4:5], vcc, s[0:1]
	s_and_saveexec_b64 s[0:1], s[4:5]
	s_cbranch_execz .LBB516_156
; %bb.155:
	v_sub_f32_e32 v18, v19, v9
	s_mov_b32 s3, 0x3fb8aa3b
	v_mul_f32_e32 v19, 0x3fb8aa3b, v18
	v_fma_f32 v20, v18, s3, -v19
	v_rndne_f32_e32 v21, v19
	v_fmac_f32_e32 v20, 0x32a5705f, v18
	v_sub_f32_e32 v19, v19, v21
	v_add_f32_e32 v19, v19, v20
	v_exp_f32_e32 v19, v19
	v_cvt_i32_f32_e32 v20, v21
	s_mov_b32 s3, 0xc2ce8ed0
	v_cmp_ngt_f32_e32 vcc, s3, v18
	s_mov_b32 s3, 0x42b17218
	v_ldexp_f32 v19, v19, v20
	v_cndmask_b32_e32 v19, 0, v19, vcc
	v_mov_b32_e32 v20, 0x7f800000
	v_cmp_nlt_f32_e32 vcc, s3, v18
	v_cndmask_b32_e32 v21, v20, v19, vcc
	v_add_f32_e32 v22, 1.0, v21
	v_cvt_f64_f32_e32 v[18:19], v22
	v_add_f32_e32 v23, -1.0, v22
	v_sub_f32_e32 v24, v23, v22
	v_sub_f32_e32 v23, v21, v23
	v_frexp_exp_i32_f64_e32 v18, v[18:19]
	v_add_f32_e32 v19, 1.0, v24
	v_add_f32_e32 v19, v23, v19
	v_frexp_mant_f32_e32 v23, v22
	s_mov_b32 s4, 0x3f2aaaab
	v_cmp_gt_f32_e32 vcc, s4, v23
	s_mov_b32 s4, 0x3f317218
	s_mov_b32 s3, 0x7f800000
	v_subbrev_co_u32_e32 v18, vcc, 0, v18, vcc
	v_sub_u32_e32 v23, 0, v18
	v_ldexp_f32 v22, v22, v23
	v_ldexp_f32 v19, v19, v23
	v_add_f32_e32 v23, -1.0, v22
	v_add_f32_e32 v26, 1.0, v22
	v_add_f32_e32 v24, 1.0, v23
	v_add_f32_e32 v28, -1.0, v26
	v_sub_f32_e32 v24, v22, v24
	v_sub_f32_e32 v22, v22, v28
	v_add_f32_e32 v24, v19, v24
	v_add_f32_e32 v19, v19, v22
	;; [unrolled: 1-line block ×3, first 2 shown]
	v_rcp_f32_e32 v28, v22
	v_add_f32_e32 v25, v23, v24
	v_sub_f32_e32 v23, v23, v25
	v_add_f32_e32 v23, v24, v23
	v_sub_f32_e32 v24, v26, v22
	v_add_f32_e32 v19, v19, v24
	v_mul_f32_e32 v24, v25, v28
	v_mul_f32_e32 v26, v22, v24
	v_fma_f32 v49, v24, v22, -v26
	v_fmac_f32_e32 v49, v24, v19
	v_add_f32_e32 v50, v26, v49
	v_sub_f32_e32 v51, v25, v50
	v_sub_f32_e32 v25, v25, v51
	;; [unrolled: 1-line block ×4, first 2 shown]
	v_add_f32_e32 v23, v23, v25
	v_sub_f32_e32 v25, v26, v49
	v_add_f32_e32 v23, v25, v23
	v_add_f32_e32 v25, v51, v23
	v_mul_f32_e32 v26, v28, v25
	v_mul_f32_e32 v49, v22, v26
	v_fma_f32 v22, v26, v22, -v49
	v_fmac_f32_e32 v22, v26, v19
	v_sub_f32_e32 v19, v51, v25
	v_add_f32_e32 v19, v23, v19
	v_add_f32_e32 v23, v49, v22
	v_sub_f32_e32 v50, v25, v23
	v_sub_f32_e32 v25, v25, v50
	;; [unrolled: 1-line block ×4, first 2 shown]
	v_add_f32_e32 v19, v19, v23
	v_sub_f32_e32 v22, v49, v22
	v_add_f32_e32 v19, v22, v19
	v_add_f32_e32 v22, v24, v26
	;; [unrolled: 1-line block ×3, first 2 shown]
	v_sub_f32_e32 v23, v22, v24
	v_mul_f32_e32 v19, v28, v19
	v_sub_f32_e32 v23, v26, v23
	v_add_f32_e32 v19, v23, v19
	v_cvt_f32_i32_e32 v18, v18
	v_add_f32_e32 v23, v22, v19
	v_mul_f32_e32 v24, v23, v23
	v_mov_b32_e32 v25, 0x3ecc95a3
	v_fmac_f32_e32 v25, 0x3e9b6dac, v24
	v_mov_b32_e32 v26, 0x3f2aaada
	v_fmac_f32_e32 v26, v24, v25
	v_mul_f32_e32 v25, 0x3f317218, v18
	v_fma_f32 v28, v18, s4, -v25
	v_fmac_f32_e32 v28, 0xb102e308, v18
	v_sub_f32_e32 v18, v23, v22
	v_sub_f32_e32 v18, v19, v18
	v_add_f32_e32 v19, v25, v28
	v_sub_f32_e32 v22, v19, v25
	v_ldexp_f32 v25, v23, 1
	v_mul_f32_e32 v23, v23, v24
	v_mul_f32_e32 v23, v23, v26
	v_add_f32_e32 v24, v25, v23
	v_sub_f32_e32 v25, v24, v25
	v_ldexp_f32 v18, v18, 1
	v_sub_f32_e32 v23, v23, v25
	v_add_f32_e32 v18, v18, v23
	v_add_f32_e32 v23, v24, v18
	v_sub_f32_e32 v24, v23, v24
	v_sub_f32_e32 v18, v18, v24
	v_add_f32_e32 v24, v19, v23
	v_sub_f32_e32 v25, v24, v19
	v_sub_f32_e32 v26, v24, v25
	v_sub_f32_e32 v22, v28, v22
	v_sub_f32_e32 v19, v19, v26
	v_sub_f32_e32 v23, v23, v25
	v_add_f32_e32 v19, v23, v19
	v_add_f32_e32 v23, v22, v18
	v_sub_f32_e32 v25, v23, v22
	v_sub_f32_e32 v26, v23, v25
	;; [unrolled: 1-line block ×4, first 2 shown]
	v_add_f32_e32 v19, v23, v19
	v_add_f32_e32 v18, v18, v22
	v_add_f32_e32 v22, v24, v19
	v_sub_f32_e32 v23, v22, v24
	v_sub_f32_e32 v19, v19, v23
	v_add_f32_e32 v18, v18, v19
	v_add_f32_e32 v18, v22, v18
	v_cmp_neq_f32_e32 vcc, s3, v21
	s_mov_b32 s3, 0x33800000
	v_cndmask_b32_e32 v18, v20, v18, vcc
	v_cmp_lt_f32_e64 vcc, |v21|, s3
	v_cndmask_b32_e32 v18, v18, v21, vcc
	v_add_f32_e32 v18, v9, v18
.LBB516_156:
	s_or_b64 exec, exec, s[0:1]
	v_bfe_u32 v9, v18, 16, 1
	s_movk_i32 s3, 0x7fff
	v_add3_u32 v9, v18, v9, s3
	v_cmp_o_f32_e32 vcc, v18, v18
	v_mov_b32_e32 v18, 0x7fc0
	v_cndmask_b32_sdwa v9, v18, v9, vcc dst_sel:DWORD dst_unused:UNUSED_PAD src0_sel:DWORD src1_sel:WORD_1
	v_lshlrev_b32_e32 v20, 16, v9
	v_max_f32_e32 v19, v20, v20
	v_min_f32_e32 v21, v19, v29
	v_cmp_u_f32_e32 vcc, v20, v20
	v_max_f32_e32 v19, v19, v29
	v_cndmask_b32_e32 v21, v21, v20, vcc
	v_cndmask_b32_e32 v19, v19, v20, vcc
	v_cndmask_b32_e64 v21, v21, v27, s[68:69]
	v_cndmask_b32_e64 v19, v19, v27, s[68:69]
	v_cmp_neq_f32_e32 vcc, v21, v19
	v_cmp_class_f32_e64 s[0:1], v21, s2
	s_or_b64 s[4:5], vcc, s[0:1]
	s_and_saveexec_b64 s[0:1], s[4:5]
	s_cbranch_execz .LBB516_158
; %bb.157:
	v_sub_f32_e32 v20, v21, v19
	s_mov_b32 s2, 0x3fb8aa3b
	v_mul_f32_e32 v21, 0x3fb8aa3b, v20
	v_fma_f32 v22, v20, s2, -v21
	v_rndne_f32_e32 v23, v21
	v_fmac_f32_e32 v22, 0x32a5705f, v20
	v_sub_f32_e32 v21, v21, v23
	v_add_f32_e32 v21, v21, v22
	v_exp_f32_e32 v21, v21
	v_cvt_i32_f32_e32 v22, v23
	s_mov_b32 s2, 0xc2ce8ed0
	v_cmp_ngt_f32_e32 vcc, s2, v20
	s_mov_b32 s2, 0x42b17218
	v_ldexp_f32 v21, v21, v22
	v_cndmask_b32_e32 v21, 0, v21, vcc
	v_mov_b32_e32 v22, 0x7f800000
	v_cmp_nlt_f32_e32 vcc, s2, v20
	v_cndmask_b32_e32 v23, v22, v21, vcc
	v_add_f32_e32 v24, 1.0, v23
	v_cvt_f64_f32_e32 v[20:21], v24
	v_add_f32_e32 v25, -1.0, v24
	v_sub_f32_e32 v26, v25, v24
	v_sub_f32_e32 v25, v23, v25
	v_frexp_exp_i32_f64_e32 v20, v[20:21]
	v_add_f32_e32 v21, 1.0, v26
	v_add_f32_e32 v21, v25, v21
	v_frexp_mant_f32_e32 v25, v24
	s_mov_b32 s4, 0x3f2aaaab
	v_cmp_gt_f32_e32 vcc, s4, v25
	s_mov_b32 s4, 0x3f317218
	s_mov_b32 s2, 0x7f800000
	v_subbrev_co_u32_e32 v20, vcc, 0, v20, vcc
	v_sub_u32_e32 v25, 0, v20
	v_ldexp_f32 v24, v24, v25
	v_ldexp_f32 v21, v21, v25
	v_add_f32_e32 v25, -1.0, v24
	v_add_f32_e32 v28, 1.0, v24
	v_add_f32_e32 v26, 1.0, v25
	v_add_f32_e32 v29, -1.0, v28
	v_sub_f32_e32 v26, v24, v26
	v_sub_f32_e32 v24, v24, v29
	v_add_f32_e32 v26, v21, v26
	v_add_f32_e32 v21, v21, v24
	;; [unrolled: 1-line block ×3, first 2 shown]
	v_rcp_f32_e32 v29, v24
	v_add_f32_e32 v27, v25, v26
	v_sub_f32_e32 v25, v25, v27
	v_add_f32_e32 v25, v26, v25
	v_sub_f32_e32 v26, v28, v24
	v_add_f32_e32 v21, v21, v26
	v_mul_f32_e32 v26, v27, v29
	v_mul_f32_e32 v28, v24, v26
	v_fma_f32 v49, v26, v24, -v28
	v_fmac_f32_e32 v49, v26, v21
	v_add_f32_e32 v50, v28, v49
	v_sub_f32_e32 v51, v27, v50
	v_sub_f32_e32 v27, v27, v51
	;; [unrolled: 1-line block ×4, first 2 shown]
	v_add_f32_e32 v25, v25, v27
	v_sub_f32_e32 v27, v28, v49
	v_add_f32_e32 v25, v27, v25
	v_add_f32_e32 v27, v51, v25
	v_mul_f32_e32 v28, v29, v27
	v_mul_f32_e32 v49, v24, v28
	v_fma_f32 v24, v28, v24, -v49
	v_fmac_f32_e32 v24, v28, v21
	v_sub_f32_e32 v21, v51, v27
	v_add_f32_e32 v21, v25, v21
	v_add_f32_e32 v25, v49, v24
	v_sub_f32_e32 v50, v27, v25
	v_sub_f32_e32 v27, v27, v50
	;; [unrolled: 1-line block ×4, first 2 shown]
	v_add_f32_e32 v21, v21, v25
	v_sub_f32_e32 v24, v49, v24
	v_add_f32_e32 v21, v24, v21
	v_add_f32_e32 v24, v26, v28
	;; [unrolled: 1-line block ×3, first 2 shown]
	v_sub_f32_e32 v25, v24, v26
	v_mul_f32_e32 v21, v29, v21
	v_sub_f32_e32 v25, v28, v25
	v_add_f32_e32 v21, v25, v21
	v_cvt_f32_i32_e32 v20, v20
	v_add_f32_e32 v25, v24, v21
	v_mul_f32_e32 v26, v25, v25
	v_mov_b32_e32 v27, 0x3ecc95a3
	v_fmac_f32_e32 v27, 0x3e9b6dac, v26
	v_mov_b32_e32 v28, 0x3f2aaada
	v_fmac_f32_e32 v28, v26, v27
	v_mul_f32_e32 v27, 0x3f317218, v20
	v_fma_f32 v29, v20, s4, -v27
	v_fmac_f32_e32 v29, 0xb102e308, v20
	v_sub_f32_e32 v20, v25, v24
	v_sub_f32_e32 v20, v21, v20
	v_add_f32_e32 v21, v27, v29
	v_sub_f32_e32 v24, v21, v27
	v_ldexp_f32 v27, v25, 1
	v_mul_f32_e32 v25, v25, v26
	v_mul_f32_e32 v25, v25, v28
	v_add_f32_e32 v26, v27, v25
	v_sub_f32_e32 v27, v26, v27
	v_ldexp_f32 v20, v20, 1
	v_sub_f32_e32 v25, v25, v27
	v_add_f32_e32 v20, v20, v25
	v_add_f32_e32 v25, v26, v20
	v_sub_f32_e32 v26, v25, v26
	v_sub_f32_e32 v20, v20, v26
	v_add_f32_e32 v26, v21, v25
	v_sub_f32_e32 v27, v26, v21
	v_sub_f32_e32 v28, v26, v27
	;; [unrolled: 1-line block ×5, first 2 shown]
	v_add_f32_e32 v21, v25, v21
	v_add_f32_e32 v25, v24, v20
	v_sub_f32_e32 v27, v25, v24
	v_sub_f32_e32 v28, v25, v27
	;; [unrolled: 1-line block ×4, first 2 shown]
	v_add_f32_e32 v21, v25, v21
	v_add_f32_e32 v20, v20, v24
	;; [unrolled: 1-line block ×3, first 2 shown]
	v_sub_f32_e32 v25, v24, v26
	v_sub_f32_e32 v21, v21, v25
	v_add_f32_e32 v20, v20, v21
	v_add_f32_e32 v20, v24, v20
	v_cmp_neq_f32_e32 vcc, s2, v23
	s_mov_b32 s2, 0x33800000
	v_cndmask_b32_e32 v20, v22, v20, vcc
	v_cmp_lt_f32_e64 vcc, |v23|, s2
	v_cndmask_b32_e32 v20, v20, v23, vcc
	v_add_f32_e32 v20, v19, v20
.LBB516_158:
	s_or_b64 exec, exec, s[0:1]
	v_bfe_u32 v19, v20, 16, 1
	v_add3_u32 v19, v20, v19, s3
	v_cmp_o_f32_e32 vcc, v20, v20
	v_cndmask_b32_sdwa v18, v18, v19, vcc dst_sel:DWORD dst_unused:UNUSED_PAD src0_sel:DWORD src1_sel:WORD_1
	v_lshlrev_b32_e32 v19, 16, v18
	v_max_f32_e32 v21, v19, v19
	v_min_f32_e32 v20, v21, v31
	v_cmp_u_f32_e32 vcc, v19, v19
	v_max_f32_e32 v21, v21, v31
	v_cndmask_b32_e32 v20, v20, v19, vcc
	v_cndmask_b32_e32 v21, v21, v19, vcc
	v_cndmask_b32_e64 v20, v20, v10, s[70:71]
	v_cndmask_b32_e64 v10, v21, v10, s[70:71]
	s_movk_i32 s2, 0x1f8
	v_cmp_neq_f32_e32 vcc, v20, v10
	v_cmp_class_f32_e64 s[0:1], v20, s2
	s_or_b64 s[4:5], vcc, s[0:1]
	s_and_saveexec_b64 s[0:1], s[4:5]
	s_cbranch_execz .LBB516_160
; %bb.159:
	v_sub_f32_e32 v19, v20, v10
	s_mov_b32 s3, 0x3fb8aa3b
	v_mul_f32_e32 v20, 0x3fb8aa3b, v19
	v_fma_f32 v21, v19, s3, -v20
	v_rndne_f32_e32 v22, v20
	v_fmac_f32_e32 v21, 0x32a5705f, v19
	v_sub_f32_e32 v20, v20, v22
	v_add_f32_e32 v20, v20, v21
	v_exp_f32_e32 v20, v20
	v_cvt_i32_f32_e32 v21, v22
	s_mov_b32 s3, 0xc2ce8ed0
	v_cmp_ngt_f32_e32 vcc, s3, v19
	s_mov_b32 s3, 0x42b17218
	v_ldexp_f32 v20, v20, v21
	v_cndmask_b32_e32 v20, 0, v20, vcc
	v_mov_b32_e32 v21, 0x7f800000
	v_cmp_nlt_f32_e32 vcc, s3, v19
	v_cndmask_b32_e32 v22, v21, v20, vcc
	v_add_f32_e32 v23, 1.0, v22
	v_cvt_f64_f32_e32 v[19:20], v23
	v_add_f32_e32 v24, -1.0, v23
	v_sub_f32_e32 v25, v24, v23
	v_sub_f32_e32 v24, v22, v24
	v_frexp_exp_i32_f64_e32 v19, v[19:20]
	v_add_f32_e32 v20, 1.0, v25
	v_add_f32_e32 v20, v24, v20
	v_frexp_mant_f32_e32 v24, v23
	s_mov_b32 s4, 0x3f2aaaab
	v_cmp_gt_f32_e32 vcc, s4, v24
	s_mov_b32 s4, 0x3f317218
	s_mov_b32 s3, 0x7f800000
	v_subbrev_co_u32_e32 v19, vcc, 0, v19, vcc
	v_sub_u32_e32 v24, 0, v19
	v_ldexp_f32 v23, v23, v24
	v_ldexp_f32 v20, v20, v24
	v_add_f32_e32 v24, -1.0, v23
	v_add_f32_e32 v27, 1.0, v23
	v_add_f32_e32 v25, 1.0, v24
	v_add_f32_e32 v28, -1.0, v27
	v_sub_f32_e32 v25, v23, v25
	v_sub_f32_e32 v23, v23, v28
	v_add_f32_e32 v25, v20, v25
	v_add_f32_e32 v20, v20, v23
	;; [unrolled: 1-line block ×3, first 2 shown]
	v_rcp_f32_e32 v28, v23
	v_add_f32_e32 v26, v24, v25
	v_sub_f32_e32 v24, v24, v26
	v_add_f32_e32 v24, v25, v24
	v_sub_f32_e32 v25, v27, v23
	v_add_f32_e32 v20, v20, v25
	v_mul_f32_e32 v25, v26, v28
	v_mul_f32_e32 v27, v23, v25
	v_fma_f32 v29, v25, v23, -v27
	v_fmac_f32_e32 v29, v25, v20
	v_add_f32_e32 v31, v27, v29
	v_sub_f32_e32 v49, v26, v31
	v_sub_f32_e32 v26, v26, v49
	;; [unrolled: 1-line block ×4, first 2 shown]
	v_add_f32_e32 v24, v24, v26
	v_sub_f32_e32 v26, v27, v29
	v_add_f32_e32 v24, v26, v24
	v_add_f32_e32 v26, v49, v24
	v_mul_f32_e32 v27, v28, v26
	v_mul_f32_e32 v29, v23, v27
	v_fma_f32 v23, v27, v23, -v29
	v_fmac_f32_e32 v23, v27, v20
	v_sub_f32_e32 v20, v49, v26
	v_add_f32_e32 v20, v24, v20
	v_add_f32_e32 v24, v29, v23
	v_sub_f32_e32 v31, v26, v24
	v_sub_f32_e32 v26, v26, v31
	;; [unrolled: 1-line block ×4, first 2 shown]
	v_add_f32_e32 v20, v20, v24
	v_sub_f32_e32 v23, v29, v23
	v_add_f32_e32 v20, v23, v20
	v_add_f32_e32 v23, v25, v27
	;; [unrolled: 1-line block ×3, first 2 shown]
	v_sub_f32_e32 v24, v23, v25
	v_mul_f32_e32 v20, v28, v20
	v_sub_f32_e32 v24, v27, v24
	v_add_f32_e32 v20, v24, v20
	v_cvt_f32_i32_e32 v19, v19
	v_add_f32_e32 v24, v23, v20
	v_mul_f32_e32 v25, v24, v24
	v_mov_b32_e32 v26, 0x3ecc95a3
	v_fmac_f32_e32 v26, 0x3e9b6dac, v25
	v_mov_b32_e32 v27, 0x3f2aaada
	v_fmac_f32_e32 v27, v25, v26
	v_mul_f32_e32 v26, 0x3f317218, v19
	v_fma_f32 v28, v19, s4, -v26
	v_fmac_f32_e32 v28, 0xb102e308, v19
	v_sub_f32_e32 v19, v24, v23
	v_sub_f32_e32 v19, v20, v19
	v_add_f32_e32 v20, v26, v28
	v_sub_f32_e32 v23, v20, v26
	v_ldexp_f32 v26, v24, 1
	v_mul_f32_e32 v24, v24, v25
	v_mul_f32_e32 v24, v24, v27
	v_add_f32_e32 v25, v26, v24
	v_sub_f32_e32 v26, v25, v26
	v_ldexp_f32 v19, v19, 1
	v_sub_f32_e32 v24, v24, v26
	v_add_f32_e32 v19, v19, v24
	v_add_f32_e32 v24, v25, v19
	v_sub_f32_e32 v25, v24, v25
	v_sub_f32_e32 v19, v19, v25
	v_add_f32_e32 v25, v20, v24
	v_sub_f32_e32 v26, v25, v20
	v_sub_f32_e32 v27, v25, v26
	;; [unrolled: 1-line block ×5, first 2 shown]
	v_add_f32_e32 v20, v24, v20
	v_add_f32_e32 v24, v23, v19
	v_sub_f32_e32 v26, v24, v23
	v_sub_f32_e32 v27, v24, v26
	;; [unrolled: 1-line block ×4, first 2 shown]
	v_add_f32_e32 v20, v24, v20
	v_add_f32_e32 v19, v19, v23
	;; [unrolled: 1-line block ×3, first 2 shown]
	v_sub_f32_e32 v24, v23, v25
	v_sub_f32_e32 v20, v20, v24
	v_add_f32_e32 v19, v19, v20
	v_add_f32_e32 v19, v23, v19
	v_cmp_neq_f32_e32 vcc, s3, v22
	s_mov_b32 s3, 0x33800000
	v_cndmask_b32_e32 v19, v21, v19, vcc
	v_cmp_lt_f32_e64 vcc, |v22|, s3
	v_cndmask_b32_e32 v19, v19, v22, vcc
	v_add_f32_e32 v19, v10, v19
.LBB516_160:
	s_or_b64 exec, exec, s[0:1]
	v_bfe_u32 v10, v19, 16, 1
	s_movk_i32 s3, 0x7fff
	v_add3_u32 v10, v19, v10, s3
	v_cmp_o_f32_e32 vcc, v19, v19
	v_mov_b32_e32 v19, 0x7fc0
	v_cndmask_b32_sdwa v10, v19, v10, vcc dst_sel:DWORD dst_unused:UNUSED_PAD src0_sel:DWORD src1_sel:WORD_1
	v_lshlrev_b32_e32 v21, 16, v10
	v_max_f32_e32 v20, v21, v21
	v_min_f32_e32 v22, v20, v32
	v_cmp_u_f32_e32 vcc, v21, v21
	v_max_f32_e32 v20, v20, v32
	v_cndmask_b32_e32 v22, v22, v21, vcc
	v_cndmask_b32_e32 v20, v20, v21, vcc
	v_cndmask_b32_e64 v22, v22, v30, s[72:73]
	v_cndmask_b32_e64 v20, v20, v30, s[72:73]
	v_cmp_neq_f32_e32 vcc, v22, v20
	v_cmp_class_f32_e64 s[0:1], v22, s2
	s_or_b64 s[4:5], vcc, s[0:1]
	s_and_saveexec_b64 s[0:1], s[4:5]
	s_cbranch_execz .LBB516_162
; %bb.161:
	v_sub_f32_e32 v21, v22, v20
	s_mov_b32 s2, 0x3fb8aa3b
	v_mul_f32_e32 v22, 0x3fb8aa3b, v21
	v_fma_f32 v23, v21, s2, -v22
	v_rndne_f32_e32 v24, v22
	v_fmac_f32_e32 v23, 0x32a5705f, v21
	v_sub_f32_e32 v22, v22, v24
	v_add_f32_e32 v22, v22, v23
	v_exp_f32_e32 v22, v22
	v_cvt_i32_f32_e32 v23, v24
	s_mov_b32 s2, 0xc2ce8ed0
	v_cmp_ngt_f32_e32 vcc, s2, v21
	s_mov_b32 s2, 0x42b17218
	v_ldexp_f32 v22, v22, v23
	v_cndmask_b32_e32 v22, 0, v22, vcc
	v_mov_b32_e32 v23, 0x7f800000
	v_cmp_nlt_f32_e32 vcc, s2, v21
	v_cndmask_b32_e32 v24, v23, v22, vcc
	v_add_f32_e32 v25, 1.0, v24
	v_cvt_f64_f32_e32 v[21:22], v25
	v_add_f32_e32 v26, -1.0, v25
	v_sub_f32_e32 v27, v26, v25
	v_sub_f32_e32 v26, v24, v26
	v_frexp_exp_i32_f64_e32 v21, v[21:22]
	v_add_f32_e32 v22, 1.0, v27
	v_add_f32_e32 v22, v26, v22
	v_frexp_mant_f32_e32 v26, v25
	s_mov_b32 s4, 0x3f2aaaab
	v_cmp_gt_f32_e32 vcc, s4, v26
	s_mov_b32 s4, 0x3f317218
	s_mov_b32 s2, 0x7f800000
	v_subbrev_co_u32_e32 v21, vcc, 0, v21, vcc
	v_sub_u32_e32 v26, 0, v21
	v_ldexp_f32 v25, v25, v26
	v_ldexp_f32 v22, v22, v26
	v_add_f32_e32 v26, -1.0, v25
	v_add_f32_e32 v29, 1.0, v25
	v_add_f32_e32 v27, 1.0, v26
	v_add_f32_e32 v30, -1.0, v29
	v_sub_f32_e32 v27, v25, v27
	v_sub_f32_e32 v25, v25, v30
	v_add_f32_e32 v27, v22, v27
	v_add_f32_e32 v22, v22, v25
	;; [unrolled: 1-line block ×3, first 2 shown]
	v_rcp_f32_e32 v30, v25
	v_add_f32_e32 v28, v26, v27
	v_sub_f32_e32 v26, v26, v28
	v_add_f32_e32 v26, v27, v26
	v_sub_f32_e32 v27, v29, v25
	v_add_f32_e32 v22, v22, v27
	v_mul_f32_e32 v27, v28, v30
	v_mul_f32_e32 v29, v25, v27
	v_fma_f32 v31, v27, v25, -v29
	v_fmac_f32_e32 v31, v27, v22
	v_add_f32_e32 v32, v29, v31
	v_sub_f32_e32 v49, v28, v32
	v_sub_f32_e32 v28, v28, v49
	;; [unrolled: 1-line block ×4, first 2 shown]
	v_add_f32_e32 v26, v26, v28
	v_sub_f32_e32 v28, v29, v31
	v_add_f32_e32 v26, v28, v26
	v_add_f32_e32 v28, v49, v26
	v_mul_f32_e32 v29, v30, v28
	v_mul_f32_e32 v31, v25, v29
	v_fma_f32 v25, v29, v25, -v31
	v_fmac_f32_e32 v25, v29, v22
	v_sub_f32_e32 v22, v49, v28
	v_add_f32_e32 v22, v26, v22
	v_add_f32_e32 v26, v31, v25
	v_sub_f32_e32 v32, v28, v26
	v_sub_f32_e32 v28, v28, v32
	;; [unrolled: 1-line block ×4, first 2 shown]
	v_add_f32_e32 v22, v22, v26
	v_sub_f32_e32 v25, v31, v25
	v_add_f32_e32 v22, v25, v22
	v_add_f32_e32 v25, v27, v29
	;; [unrolled: 1-line block ×3, first 2 shown]
	v_sub_f32_e32 v26, v25, v27
	v_mul_f32_e32 v22, v30, v22
	v_sub_f32_e32 v26, v29, v26
	v_add_f32_e32 v22, v26, v22
	v_cvt_f32_i32_e32 v21, v21
	v_add_f32_e32 v26, v25, v22
	v_mul_f32_e32 v27, v26, v26
	v_mov_b32_e32 v28, 0x3ecc95a3
	v_fmac_f32_e32 v28, 0x3e9b6dac, v27
	v_mov_b32_e32 v29, 0x3f2aaada
	v_fmac_f32_e32 v29, v27, v28
	v_mul_f32_e32 v28, 0x3f317218, v21
	v_fma_f32 v30, v21, s4, -v28
	v_fmac_f32_e32 v30, 0xb102e308, v21
	v_sub_f32_e32 v21, v26, v25
	v_sub_f32_e32 v21, v22, v21
	v_add_f32_e32 v22, v28, v30
	v_sub_f32_e32 v25, v22, v28
	v_ldexp_f32 v28, v26, 1
	v_mul_f32_e32 v26, v26, v27
	v_mul_f32_e32 v26, v26, v29
	v_add_f32_e32 v27, v28, v26
	v_sub_f32_e32 v28, v27, v28
	v_ldexp_f32 v21, v21, 1
	v_sub_f32_e32 v26, v26, v28
	v_add_f32_e32 v21, v21, v26
	v_add_f32_e32 v26, v27, v21
	v_sub_f32_e32 v27, v26, v27
	v_sub_f32_e32 v21, v21, v27
	v_add_f32_e32 v27, v22, v26
	v_sub_f32_e32 v28, v27, v22
	v_sub_f32_e32 v29, v27, v28
	;; [unrolled: 1-line block ×5, first 2 shown]
	v_add_f32_e32 v22, v26, v22
	v_add_f32_e32 v26, v25, v21
	v_sub_f32_e32 v28, v26, v25
	v_sub_f32_e32 v29, v26, v28
	;; [unrolled: 1-line block ×4, first 2 shown]
	v_add_f32_e32 v22, v26, v22
	v_add_f32_e32 v21, v21, v25
	;; [unrolled: 1-line block ×3, first 2 shown]
	v_sub_f32_e32 v26, v25, v27
	v_sub_f32_e32 v22, v22, v26
	v_add_f32_e32 v21, v21, v22
	v_add_f32_e32 v21, v25, v21
	v_cmp_neq_f32_e32 vcc, s2, v24
	s_mov_b32 s2, 0x33800000
	v_cndmask_b32_e32 v21, v23, v21, vcc
	v_cmp_lt_f32_e64 vcc, |v24|, s2
	v_cndmask_b32_e32 v21, v21, v24, vcc
	v_add_f32_e32 v21, v20, v21
.LBB516_162:
	s_or_b64 exec, exec, s[0:1]
	v_bfe_u32 v20, v21, 16, 1
	v_add3_u32 v20, v21, v20, s3
	v_cmp_o_f32_e32 vcc, v21, v21
	v_cndmask_b32_sdwa v19, v19, v20, vcc dst_sel:DWORD dst_unused:UNUSED_PAD src0_sel:DWORD src1_sel:WORD_1
	v_lshlrev_b32_e32 v20, 16, v19
	v_max_f32_e32 v22, v20, v20
	v_min_f32_e32 v21, v22, v34
	v_cmp_u_f32_e32 vcc, v20, v20
	v_max_f32_e32 v22, v22, v34
	v_cndmask_b32_e32 v21, v21, v20, vcc
	v_cndmask_b32_e32 v22, v22, v20, vcc
	v_cndmask_b32_e64 v21, v21, v11, s[74:75]
	v_cndmask_b32_e64 v11, v22, v11, s[74:75]
	s_movk_i32 s2, 0x1f8
	v_cmp_neq_f32_e32 vcc, v21, v11
	v_cmp_class_f32_e64 s[0:1], v21, s2
	s_or_b64 s[4:5], vcc, s[0:1]
	s_and_saveexec_b64 s[0:1], s[4:5]
	s_cbranch_execz .LBB516_164
; %bb.163:
	v_sub_f32_e32 v20, v21, v11
	s_mov_b32 s3, 0x3fb8aa3b
	v_mul_f32_e32 v21, 0x3fb8aa3b, v20
	v_fma_f32 v22, v20, s3, -v21
	v_rndne_f32_e32 v23, v21
	v_fmac_f32_e32 v22, 0x32a5705f, v20
	v_sub_f32_e32 v21, v21, v23
	v_add_f32_e32 v21, v21, v22
	v_exp_f32_e32 v21, v21
	v_cvt_i32_f32_e32 v22, v23
	s_mov_b32 s3, 0xc2ce8ed0
	v_cmp_ngt_f32_e32 vcc, s3, v20
	s_mov_b32 s3, 0x42b17218
	v_ldexp_f32 v21, v21, v22
	v_cndmask_b32_e32 v21, 0, v21, vcc
	v_mov_b32_e32 v22, 0x7f800000
	v_cmp_nlt_f32_e32 vcc, s3, v20
	v_cndmask_b32_e32 v23, v22, v21, vcc
	v_add_f32_e32 v24, 1.0, v23
	v_cvt_f64_f32_e32 v[20:21], v24
	v_add_f32_e32 v25, -1.0, v24
	v_sub_f32_e32 v26, v25, v24
	v_sub_f32_e32 v25, v23, v25
	v_frexp_exp_i32_f64_e32 v20, v[20:21]
	v_add_f32_e32 v21, 1.0, v26
	v_add_f32_e32 v21, v25, v21
	v_frexp_mant_f32_e32 v25, v24
	s_mov_b32 s4, 0x3f2aaaab
	v_cmp_gt_f32_e32 vcc, s4, v25
	s_mov_b32 s4, 0x3f317218
	s_mov_b32 s3, 0x7f800000
	v_subbrev_co_u32_e32 v20, vcc, 0, v20, vcc
	v_sub_u32_e32 v25, 0, v20
	v_ldexp_f32 v24, v24, v25
	v_ldexp_f32 v21, v21, v25
	v_add_f32_e32 v25, -1.0, v24
	v_add_f32_e32 v28, 1.0, v24
	v_add_f32_e32 v26, 1.0, v25
	v_add_f32_e32 v29, -1.0, v28
	v_sub_f32_e32 v26, v24, v26
	v_sub_f32_e32 v24, v24, v29
	v_add_f32_e32 v26, v21, v26
	v_add_f32_e32 v21, v21, v24
	;; [unrolled: 1-line block ×3, first 2 shown]
	v_rcp_f32_e32 v29, v24
	v_add_f32_e32 v27, v25, v26
	v_sub_f32_e32 v25, v25, v27
	v_add_f32_e32 v25, v26, v25
	v_sub_f32_e32 v26, v28, v24
	v_add_f32_e32 v21, v21, v26
	v_mul_f32_e32 v26, v27, v29
	v_mul_f32_e32 v28, v24, v26
	v_fma_f32 v30, v26, v24, -v28
	v_fmac_f32_e32 v30, v26, v21
	v_add_f32_e32 v31, v28, v30
	v_sub_f32_e32 v32, v27, v31
	v_sub_f32_e32 v27, v27, v32
	;; [unrolled: 1-line block ×4, first 2 shown]
	v_add_f32_e32 v25, v25, v27
	v_sub_f32_e32 v27, v28, v30
	v_add_f32_e32 v25, v27, v25
	v_add_f32_e32 v27, v32, v25
	v_mul_f32_e32 v28, v29, v27
	v_mul_f32_e32 v30, v24, v28
	v_fma_f32 v24, v28, v24, -v30
	v_fmac_f32_e32 v24, v28, v21
	v_sub_f32_e32 v21, v32, v27
	v_add_f32_e32 v21, v25, v21
	v_add_f32_e32 v25, v30, v24
	v_sub_f32_e32 v31, v27, v25
	v_sub_f32_e32 v27, v27, v31
	v_sub_f32_e32 v30, v25, v30
	v_sub_f32_e32 v25, v27, v25
	v_add_f32_e32 v21, v21, v25
	v_sub_f32_e32 v24, v30, v24
	v_add_f32_e32 v21, v24, v21
	v_add_f32_e32 v24, v26, v28
	;; [unrolled: 1-line block ×3, first 2 shown]
	v_sub_f32_e32 v25, v24, v26
	v_mul_f32_e32 v21, v29, v21
	v_sub_f32_e32 v25, v28, v25
	v_add_f32_e32 v21, v25, v21
	v_cvt_f32_i32_e32 v20, v20
	v_add_f32_e32 v25, v24, v21
	v_mul_f32_e32 v26, v25, v25
	v_mov_b32_e32 v27, 0x3ecc95a3
	v_fmac_f32_e32 v27, 0x3e9b6dac, v26
	v_mov_b32_e32 v28, 0x3f2aaada
	v_fmac_f32_e32 v28, v26, v27
	v_mul_f32_e32 v27, 0x3f317218, v20
	v_fma_f32 v29, v20, s4, -v27
	v_fmac_f32_e32 v29, 0xb102e308, v20
	v_sub_f32_e32 v20, v25, v24
	v_sub_f32_e32 v20, v21, v20
	v_add_f32_e32 v21, v27, v29
	v_sub_f32_e32 v24, v21, v27
	v_ldexp_f32 v27, v25, 1
	v_mul_f32_e32 v25, v25, v26
	v_mul_f32_e32 v25, v25, v28
	v_add_f32_e32 v26, v27, v25
	v_sub_f32_e32 v27, v26, v27
	v_ldexp_f32 v20, v20, 1
	v_sub_f32_e32 v25, v25, v27
	v_add_f32_e32 v20, v20, v25
	v_add_f32_e32 v25, v26, v20
	v_sub_f32_e32 v26, v25, v26
	v_sub_f32_e32 v20, v20, v26
	v_add_f32_e32 v26, v21, v25
	v_sub_f32_e32 v27, v26, v21
	v_sub_f32_e32 v28, v26, v27
	;; [unrolled: 1-line block ×5, first 2 shown]
	v_add_f32_e32 v21, v25, v21
	v_add_f32_e32 v25, v24, v20
	v_sub_f32_e32 v27, v25, v24
	v_sub_f32_e32 v28, v25, v27
	v_sub_f32_e32 v24, v24, v28
	v_sub_f32_e32 v20, v20, v27
	v_add_f32_e32 v21, v25, v21
	v_add_f32_e32 v20, v20, v24
	;; [unrolled: 1-line block ×3, first 2 shown]
	v_sub_f32_e32 v25, v24, v26
	v_sub_f32_e32 v21, v21, v25
	v_add_f32_e32 v20, v20, v21
	v_add_f32_e32 v20, v24, v20
	v_cmp_neq_f32_e32 vcc, s3, v23
	s_mov_b32 s3, 0x33800000
	v_cndmask_b32_e32 v20, v22, v20, vcc
	v_cmp_lt_f32_e64 vcc, |v23|, s3
	v_cndmask_b32_e32 v20, v20, v23, vcc
	v_add_f32_e32 v20, v11, v20
.LBB516_164:
	s_or_b64 exec, exec, s[0:1]
	v_bfe_u32 v11, v20, 16, 1
	s_movk_i32 s3, 0x7fff
	v_add3_u32 v11, v20, v11, s3
	v_cmp_o_f32_e32 vcc, v20, v20
	v_mov_b32_e32 v20, 0x7fc0
	v_cndmask_b32_sdwa v11, v20, v11, vcc dst_sel:DWORD dst_unused:UNUSED_PAD src0_sel:DWORD src1_sel:WORD_1
	v_lshlrev_b32_e32 v22, 16, v11
	v_max_f32_e32 v21, v22, v22
	v_min_f32_e32 v23, v21, v35
	v_cmp_u_f32_e32 vcc, v22, v22
	v_max_f32_e32 v21, v21, v35
	v_cndmask_b32_e32 v23, v23, v22, vcc
	v_cndmask_b32_e32 v21, v21, v22, vcc
	v_cndmask_b32_e64 v23, v23, v33, s[76:77]
	v_cndmask_b32_e64 v21, v21, v33, s[76:77]
	v_cmp_neq_f32_e32 vcc, v23, v21
	v_cmp_class_f32_e64 s[0:1], v23, s2
	s_or_b64 s[4:5], vcc, s[0:1]
	s_and_saveexec_b64 s[0:1], s[4:5]
	s_cbranch_execz .LBB516_166
; %bb.165:
	v_sub_f32_e32 v22, v23, v21
	s_mov_b32 s2, 0x3fb8aa3b
	v_mul_f32_e32 v23, 0x3fb8aa3b, v22
	v_fma_f32 v24, v22, s2, -v23
	v_rndne_f32_e32 v25, v23
	v_fmac_f32_e32 v24, 0x32a5705f, v22
	v_sub_f32_e32 v23, v23, v25
	v_add_f32_e32 v23, v23, v24
	v_exp_f32_e32 v23, v23
	v_cvt_i32_f32_e32 v24, v25
	s_mov_b32 s2, 0xc2ce8ed0
	v_cmp_ngt_f32_e32 vcc, s2, v22
	s_mov_b32 s2, 0x42b17218
	v_ldexp_f32 v23, v23, v24
	v_cndmask_b32_e32 v23, 0, v23, vcc
	v_mov_b32_e32 v24, 0x7f800000
	v_cmp_nlt_f32_e32 vcc, s2, v22
	v_cndmask_b32_e32 v25, v24, v23, vcc
	v_add_f32_e32 v26, 1.0, v25
	v_cvt_f64_f32_e32 v[22:23], v26
	v_add_f32_e32 v27, -1.0, v26
	v_sub_f32_e32 v28, v27, v26
	v_sub_f32_e32 v27, v25, v27
	v_frexp_exp_i32_f64_e32 v22, v[22:23]
	v_add_f32_e32 v23, 1.0, v28
	v_add_f32_e32 v23, v27, v23
	v_frexp_mant_f32_e32 v27, v26
	s_mov_b32 s4, 0x3f2aaaab
	v_cmp_gt_f32_e32 vcc, s4, v27
	s_mov_b32 s4, 0x3f317218
	s_mov_b32 s2, 0x7f800000
	v_subbrev_co_u32_e32 v22, vcc, 0, v22, vcc
	v_sub_u32_e32 v27, 0, v22
	v_ldexp_f32 v26, v26, v27
	v_ldexp_f32 v23, v23, v27
	v_add_f32_e32 v27, -1.0, v26
	v_add_f32_e32 v30, 1.0, v26
	v_add_f32_e32 v28, 1.0, v27
	v_add_f32_e32 v31, -1.0, v30
	v_sub_f32_e32 v28, v26, v28
	v_sub_f32_e32 v26, v26, v31
	v_add_f32_e32 v28, v23, v28
	v_add_f32_e32 v23, v23, v26
	;; [unrolled: 1-line block ×3, first 2 shown]
	v_rcp_f32_e32 v31, v26
	v_add_f32_e32 v29, v27, v28
	v_sub_f32_e32 v27, v27, v29
	v_add_f32_e32 v27, v28, v27
	v_sub_f32_e32 v28, v30, v26
	v_add_f32_e32 v23, v23, v28
	v_mul_f32_e32 v28, v29, v31
	v_mul_f32_e32 v30, v26, v28
	v_fma_f32 v32, v28, v26, -v30
	v_fmac_f32_e32 v32, v28, v23
	v_add_f32_e32 v33, v30, v32
	v_sub_f32_e32 v34, v29, v33
	v_sub_f32_e32 v29, v29, v34
	;; [unrolled: 1-line block ×4, first 2 shown]
	v_add_f32_e32 v27, v27, v29
	v_sub_f32_e32 v29, v30, v32
	v_add_f32_e32 v27, v29, v27
	v_add_f32_e32 v29, v34, v27
	v_mul_f32_e32 v30, v31, v29
	v_mul_f32_e32 v32, v26, v30
	v_fma_f32 v26, v30, v26, -v32
	v_fmac_f32_e32 v26, v30, v23
	v_sub_f32_e32 v23, v34, v29
	v_add_f32_e32 v23, v27, v23
	v_add_f32_e32 v27, v32, v26
	v_sub_f32_e32 v33, v29, v27
	v_sub_f32_e32 v29, v29, v33
	;; [unrolled: 1-line block ×4, first 2 shown]
	v_add_f32_e32 v23, v23, v27
	v_sub_f32_e32 v26, v32, v26
	v_add_f32_e32 v23, v26, v23
	v_add_f32_e32 v26, v28, v30
	;; [unrolled: 1-line block ×3, first 2 shown]
	v_sub_f32_e32 v27, v26, v28
	v_mul_f32_e32 v23, v31, v23
	v_sub_f32_e32 v27, v30, v27
	v_add_f32_e32 v23, v27, v23
	v_cvt_f32_i32_e32 v22, v22
	v_add_f32_e32 v27, v26, v23
	v_mul_f32_e32 v28, v27, v27
	v_mov_b32_e32 v29, 0x3ecc95a3
	v_fmac_f32_e32 v29, 0x3e9b6dac, v28
	v_mov_b32_e32 v30, 0x3f2aaada
	v_fmac_f32_e32 v30, v28, v29
	v_mul_f32_e32 v29, 0x3f317218, v22
	v_fma_f32 v31, v22, s4, -v29
	v_fmac_f32_e32 v31, 0xb102e308, v22
	v_sub_f32_e32 v22, v27, v26
	v_sub_f32_e32 v22, v23, v22
	v_add_f32_e32 v23, v29, v31
	v_sub_f32_e32 v26, v23, v29
	v_ldexp_f32 v29, v27, 1
	v_mul_f32_e32 v27, v27, v28
	v_mul_f32_e32 v27, v27, v30
	v_add_f32_e32 v28, v29, v27
	v_sub_f32_e32 v29, v28, v29
	v_ldexp_f32 v22, v22, 1
	v_sub_f32_e32 v27, v27, v29
	v_add_f32_e32 v22, v22, v27
	v_add_f32_e32 v27, v28, v22
	v_sub_f32_e32 v28, v27, v28
	v_sub_f32_e32 v22, v22, v28
	v_add_f32_e32 v28, v23, v27
	v_sub_f32_e32 v29, v28, v23
	v_sub_f32_e32 v30, v28, v29
	;; [unrolled: 1-line block ×5, first 2 shown]
	v_add_f32_e32 v23, v27, v23
	v_add_f32_e32 v27, v26, v22
	v_sub_f32_e32 v29, v27, v26
	v_sub_f32_e32 v30, v27, v29
	;; [unrolled: 1-line block ×4, first 2 shown]
	v_add_f32_e32 v23, v27, v23
	v_add_f32_e32 v22, v22, v26
	;; [unrolled: 1-line block ×3, first 2 shown]
	v_sub_f32_e32 v27, v26, v28
	v_sub_f32_e32 v23, v23, v27
	v_add_f32_e32 v22, v22, v23
	v_add_f32_e32 v22, v26, v22
	v_cmp_neq_f32_e32 vcc, s2, v25
	s_mov_b32 s2, 0x33800000
	v_cndmask_b32_e32 v22, v24, v22, vcc
	v_cmp_lt_f32_e64 vcc, |v25|, s2
	v_cndmask_b32_e32 v22, v22, v25, vcc
	v_add_f32_e32 v22, v21, v22
.LBB516_166:
	s_or_b64 exec, exec, s[0:1]
	v_bfe_u32 v21, v22, 16, 1
	v_add3_u32 v21, v22, v21, s3
	v_cmp_o_f32_e32 vcc, v22, v22
	v_cndmask_b32_sdwa v20, v20, v21, vcc dst_sel:DWORD dst_unused:UNUSED_PAD src0_sel:DWORD src1_sel:WORD_1
	v_lshlrev_b32_e32 v21, 16, v20
	v_max_f32_e32 v23, v21, v21
	v_min_f32_e32 v22, v23, v37
	v_cmp_u_f32_e32 vcc, v21, v21
	v_max_f32_e32 v23, v23, v37
	v_cndmask_b32_e32 v22, v22, v21, vcc
	v_cndmask_b32_e32 v23, v23, v21, vcc
	v_cndmask_b32_e64 v22, v22, v12, s[78:79]
	v_cndmask_b32_e64 v12, v23, v12, s[78:79]
	s_movk_i32 s2, 0x1f8
	v_cmp_neq_f32_e32 vcc, v22, v12
	v_cmp_class_f32_e64 s[0:1], v22, s2
	s_or_b64 s[4:5], vcc, s[0:1]
	s_and_saveexec_b64 s[0:1], s[4:5]
	s_cbranch_execz .LBB516_168
; %bb.167:
	v_sub_f32_e32 v21, v22, v12
	s_mov_b32 s3, 0x3fb8aa3b
	v_mul_f32_e32 v22, 0x3fb8aa3b, v21
	v_fma_f32 v23, v21, s3, -v22
	v_rndne_f32_e32 v24, v22
	v_fmac_f32_e32 v23, 0x32a5705f, v21
	v_sub_f32_e32 v22, v22, v24
	v_add_f32_e32 v22, v22, v23
	v_exp_f32_e32 v22, v22
	v_cvt_i32_f32_e32 v23, v24
	s_mov_b32 s3, 0xc2ce8ed0
	v_cmp_ngt_f32_e32 vcc, s3, v21
	s_mov_b32 s3, 0x42b17218
	v_ldexp_f32 v22, v22, v23
	v_cndmask_b32_e32 v22, 0, v22, vcc
	v_mov_b32_e32 v23, 0x7f800000
	v_cmp_nlt_f32_e32 vcc, s3, v21
	v_cndmask_b32_e32 v24, v23, v22, vcc
	v_add_f32_e32 v25, 1.0, v24
	v_cvt_f64_f32_e32 v[21:22], v25
	v_add_f32_e32 v26, -1.0, v25
	v_sub_f32_e32 v27, v26, v25
	v_sub_f32_e32 v26, v24, v26
	v_frexp_exp_i32_f64_e32 v21, v[21:22]
	v_add_f32_e32 v22, 1.0, v27
	v_add_f32_e32 v22, v26, v22
	v_frexp_mant_f32_e32 v26, v25
	s_mov_b32 s4, 0x3f2aaaab
	v_cmp_gt_f32_e32 vcc, s4, v26
	s_mov_b32 s4, 0x3f317218
	s_mov_b32 s3, 0x7f800000
	v_subbrev_co_u32_e32 v21, vcc, 0, v21, vcc
	v_sub_u32_e32 v26, 0, v21
	v_ldexp_f32 v25, v25, v26
	v_ldexp_f32 v22, v22, v26
	v_add_f32_e32 v26, -1.0, v25
	v_add_f32_e32 v29, 1.0, v25
	v_add_f32_e32 v27, 1.0, v26
	v_add_f32_e32 v30, -1.0, v29
	v_sub_f32_e32 v27, v25, v27
	v_sub_f32_e32 v25, v25, v30
	v_add_f32_e32 v27, v22, v27
	v_add_f32_e32 v22, v22, v25
	;; [unrolled: 1-line block ×3, first 2 shown]
	v_rcp_f32_e32 v30, v25
	v_add_f32_e32 v28, v26, v27
	v_sub_f32_e32 v26, v26, v28
	v_add_f32_e32 v26, v27, v26
	v_sub_f32_e32 v27, v29, v25
	v_add_f32_e32 v22, v22, v27
	v_mul_f32_e32 v27, v28, v30
	v_mul_f32_e32 v29, v25, v27
	v_fma_f32 v31, v27, v25, -v29
	v_fmac_f32_e32 v31, v27, v22
	v_add_f32_e32 v32, v29, v31
	v_sub_f32_e32 v33, v28, v32
	v_sub_f32_e32 v28, v28, v33
	;; [unrolled: 1-line block ×4, first 2 shown]
	v_add_f32_e32 v26, v26, v28
	v_sub_f32_e32 v28, v29, v31
	v_add_f32_e32 v26, v28, v26
	v_add_f32_e32 v28, v33, v26
	v_mul_f32_e32 v29, v30, v28
	v_mul_f32_e32 v31, v25, v29
	v_fma_f32 v25, v29, v25, -v31
	v_fmac_f32_e32 v25, v29, v22
	v_sub_f32_e32 v22, v33, v28
	v_add_f32_e32 v22, v26, v22
	v_add_f32_e32 v26, v31, v25
	v_sub_f32_e32 v32, v28, v26
	v_sub_f32_e32 v28, v28, v32
	v_sub_f32_e32 v31, v26, v31
	v_sub_f32_e32 v26, v28, v26
	v_add_f32_e32 v22, v22, v26
	v_sub_f32_e32 v25, v31, v25
	v_add_f32_e32 v22, v25, v22
	v_add_f32_e32 v25, v27, v29
	;; [unrolled: 1-line block ×3, first 2 shown]
	v_sub_f32_e32 v26, v25, v27
	v_mul_f32_e32 v22, v30, v22
	v_sub_f32_e32 v26, v29, v26
	v_add_f32_e32 v22, v26, v22
	v_cvt_f32_i32_e32 v21, v21
	v_add_f32_e32 v26, v25, v22
	v_mul_f32_e32 v27, v26, v26
	v_mov_b32_e32 v28, 0x3ecc95a3
	v_fmac_f32_e32 v28, 0x3e9b6dac, v27
	v_mov_b32_e32 v29, 0x3f2aaada
	v_fmac_f32_e32 v29, v27, v28
	v_mul_f32_e32 v28, 0x3f317218, v21
	v_fma_f32 v30, v21, s4, -v28
	v_fmac_f32_e32 v30, 0xb102e308, v21
	v_sub_f32_e32 v21, v26, v25
	v_sub_f32_e32 v21, v22, v21
	v_add_f32_e32 v22, v28, v30
	v_sub_f32_e32 v25, v22, v28
	v_ldexp_f32 v28, v26, 1
	v_mul_f32_e32 v26, v26, v27
	v_mul_f32_e32 v26, v26, v29
	v_add_f32_e32 v27, v28, v26
	v_sub_f32_e32 v28, v27, v28
	v_ldexp_f32 v21, v21, 1
	v_sub_f32_e32 v26, v26, v28
	v_add_f32_e32 v21, v21, v26
	v_add_f32_e32 v26, v27, v21
	v_sub_f32_e32 v27, v26, v27
	v_sub_f32_e32 v21, v21, v27
	v_add_f32_e32 v27, v22, v26
	v_sub_f32_e32 v28, v27, v22
	v_sub_f32_e32 v29, v27, v28
	;; [unrolled: 1-line block ×5, first 2 shown]
	v_add_f32_e32 v22, v26, v22
	v_add_f32_e32 v26, v25, v21
	v_sub_f32_e32 v28, v26, v25
	v_sub_f32_e32 v29, v26, v28
	;; [unrolled: 1-line block ×4, first 2 shown]
	v_add_f32_e32 v22, v26, v22
	v_add_f32_e32 v21, v21, v25
	;; [unrolled: 1-line block ×3, first 2 shown]
	v_sub_f32_e32 v26, v25, v27
	v_sub_f32_e32 v22, v22, v26
	v_add_f32_e32 v21, v21, v22
	v_add_f32_e32 v21, v25, v21
	v_cmp_neq_f32_e32 vcc, s3, v24
	s_mov_b32 s3, 0x33800000
	v_cndmask_b32_e32 v21, v23, v21, vcc
	v_cmp_lt_f32_e64 vcc, |v24|, s3
	v_cndmask_b32_e32 v21, v21, v24, vcc
	v_add_f32_e32 v21, v12, v21
.LBB516_168:
	s_or_b64 exec, exec, s[0:1]
	v_bfe_u32 v12, v21, 16, 1
	s_movk_i32 s3, 0x7fff
	v_add3_u32 v12, v21, v12, s3
	v_cmp_o_f32_e32 vcc, v21, v21
	v_mov_b32_e32 v21, 0x7fc0
	v_cndmask_b32_sdwa v12, v21, v12, vcc dst_sel:DWORD dst_unused:UNUSED_PAD src0_sel:DWORD src1_sel:WORD_1
	v_lshlrev_b32_e32 v23, 16, v12
	v_max_f32_e32 v22, v23, v23
	v_min_f32_e32 v24, v22, v38
	v_cmp_u_f32_e32 vcc, v23, v23
	v_max_f32_e32 v22, v22, v38
	v_cndmask_b32_e32 v24, v24, v23, vcc
	v_cndmask_b32_e32 v22, v22, v23, vcc
	v_cndmask_b32_e64 v24, v24, v36, s[80:81]
	v_cndmask_b32_e64 v22, v22, v36, s[80:81]
	v_cmp_neq_f32_e32 vcc, v24, v22
	v_cmp_class_f32_e64 s[0:1], v24, s2
	s_or_b64 s[4:5], vcc, s[0:1]
	s_and_saveexec_b64 s[0:1], s[4:5]
	s_cbranch_execz .LBB516_170
; %bb.169:
	v_sub_f32_e32 v23, v24, v22
	s_mov_b32 s2, 0x3fb8aa3b
	v_mul_f32_e32 v24, 0x3fb8aa3b, v23
	v_fma_f32 v25, v23, s2, -v24
	v_rndne_f32_e32 v26, v24
	v_fmac_f32_e32 v25, 0x32a5705f, v23
	v_sub_f32_e32 v24, v24, v26
	v_add_f32_e32 v24, v24, v25
	v_exp_f32_e32 v24, v24
	v_cvt_i32_f32_e32 v25, v26
	s_mov_b32 s2, 0xc2ce8ed0
	v_cmp_ngt_f32_e32 vcc, s2, v23
	s_mov_b32 s2, 0x42b17218
	v_ldexp_f32 v24, v24, v25
	v_cndmask_b32_e32 v24, 0, v24, vcc
	v_mov_b32_e32 v25, 0x7f800000
	v_cmp_nlt_f32_e32 vcc, s2, v23
	v_cndmask_b32_e32 v26, v25, v24, vcc
	v_add_f32_e32 v27, 1.0, v26
	v_cvt_f64_f32_e32 v[23:24], v27
	v_add_f32_e32 v28, -1.0, v27
	v_sub_f32_e32 v29, v28, v27
	v_sub_f32_e32 v28, v26, v28
	v_frexp_exp_i32_f64_e32 v23, v[23:24]
	v_add_f32_e32 v24, 1.0, v29
	v_add_f32_e32 v24, v28, v24
	v_frexp_mant_f32_e32 v28, v27
	s_mov_b32 s4, 0x3f2aaaab
	v_cmp_gt_f32_e32 vcc, s4, v28
	s_mov_b32 s4, 0x3f317218
	s_mov_b32 s2, 0x7f800000
	v_subbrev_co_u32_e32 v23, vcc, 0, v23, vcc
	v_sub_u32_e32 v28, 0, v23
	v_ldexp_f32 v27, v27, v28
	v_ldexp_f32 v24, v24, v28
	v_add_f32_e32 v28, -1.0, v27
	v_add_f32_e32 v31, 1.0, v27
	v_add_f32_e32 v29, 1.0, v28
	v_add_f32_e32 v32, -1.0, v31
	v_sub_f32_e32 v29, v27, v29
	v_sub_f32_e32 v27, v27, v32
	v_add_f32_e32 v29, v24, v29
	v_add_f32_e32 v24, v24, v27
	;; [unrolled: 1-line block ×3, first 2 shown]
	v_rcp_f32_e32 v32, v27
	v_add_f32_e32 v30, v28, v29
	v_sub_f32_e32 v28, v28, v30
	v_add_f32_e32 v28, v29, v28
	v_sub_f32_e32 v29, v31, v27
	v_add_f32_e32 v24, v24, v29
	v_mul_f32_e32 v29, v30, v32
	v_mul_f32_e32 v31, v27, v29
	v_fma_f32 v33, v29, v27, -v31
	v_fmac_f32_e32 v33, v29, v24
	v_add_f32_e32 v34, v31, v33
	v_sub_f32_e32 v35, v30, v34
	v_sub_f32_e32 v30, v30, v35
	;; [unrolled: 1-line block ×4, first 2 shown]
	v_add_f32_e32 v28, v28, v30
	v_sub_f32_e32 v30, v31, v33
	v_add_f32_e32 v28, v30, v28
	v_add_f32_e32 v30, v35, v28
	v_mul_f32_e32 v31, v32, v30
	v_mul_f32_e32 v33, v27, v31
	v_fma_f32 v27, v31, v27, -v33
	v_fmac_f32_e32 v27, v31, v24
	v_sub_f32_e32 v24, v35, v30
	v_add_f32_e32 v24, v28, v24
	v_add_f32_e32 v28, v33, v27
	v_sub_f32_e32 v34, v30, v28
	v_sub_f32_e32 v30, v30, v34
	;; [unrolled: 1-line block ×4, first 2 shown]
	v_add_f32_e32 v24, v24, v28
	v_sub_f32_e32 v27, v33, v27
	v_add_f32_e32 v24, v27, v24
	v_add_f32_e32 v27, v29, v31
	;; [unrolled: 1-line block ×3, first 2 shown]
	v_sub_f32_e32 v28, v27, v29
	v_mul_f32_e32 v24, v32, v24
	v_sub_f32_e32 v28, v31, v28
	v_add_f32_e32 v24, v28, v24
	v_cvt_f32_i32_e32 v23, v23
	v_add_f32_e32 v28, v27, v24
	v_mul_f32_e32 v29, v28, v28
	v_mov_b32_e32 v30, 0x3ecc95a3
	v_fmac_f32_e32 v30, 0x3e9b6dac, v29
	v_mov_b32_e32 v31, 0x3f2aaada
	v_fmac_f32_e32 v31, v29, v30
	v_mul_f32_e32 v30, 0x3f317218, v23
	v_fma_f32 v32, v23, s4, -v30
	v_fmac_f32_e32 v32, 0xb102e308, v23
	v_sub_f32_e32 v23, v28, v27
	v_sub_f32_e32 v23, v24, v23
	v_add_f32_e32 v24, v30, v32
	v_sub_f32_e32 v27, v24, v30
	v_ldexp_f32 v30, v28, 1
	v_mul_f32_e32 v28, v28, v29
	v_mul_f32_e32 v28, v28, v31
	v_add_f32_e32 v29, v30, v28
	v_sub_f32_e32 v30, v29, v30
	v_ldexp_f32 v23, v23, 1
	v_sub_f32_e32 v28, v28, v30
	v_add_f32_e32 v23, v23, v28
	v_add_f32_e32 v28, v29, v23
	v_sub_f32_e32 v29, v28, v29
	v_sub_f32_e32 v23, v23, v29
	v_add_f32_e32 v29, v24, v28
	v_sub_f32_e32 v30, v29, v24
	v_sub_f32_e32 v31, v29, v30
	;; [unrolled: 1-line block ×5, first 2 shown]
	v_add_f32_e32 v24, v28, v24
	v_add_f32_e32 v28, v27, v23
	v_sub_f32_e32 v30, v28, v27
	v_sub_f32_e32 v31, v28, v30
	v_sub_f32_e32 v27, v27, v31
	v_sub_f32_e32 v23, v23, v30
	v_add_f32_e32 v24, v28, v24
	v_add_f32_e32 v23, v23, v27
	;; [unrolled: 1-line block ×3, first 2 shown]
	v_sub_f32_e32 v28, v27, v29
	v_sub_f32_e32 v24, v24, v28
	v_add_f32_e32 v23, v23, v24
	v_add_f32_e32 v23, v27, v23
	v_cmp_neq_f32_e32 vcc, s2, v26
	s_mov_b32 s2, 0x33800000
	v_cndmask_b32_e32 v23, v25, v23, vcc
	v_cmp_lt_f32_e64 vcc, |v26|, s2
	v_cndmask_b32_e32 v23, v23, v26, vcc
	v_add_f32_e32 v23, v22, v23
.LBB516_170:
	s_or_b64 exec, exec, s[0:1]
	v_bfe_u32 v22, v23, 16, 1
	v_add3_u32 v22, v23, v22, s3
	v_cmp_o_f32_e32 vcc, v23, v23
	v_cndmask_b32_sdwa v21, v21, v22, vcc dst_sel:DWORD dst_unused:UNUSED_PAD src0_sel:DWORD src1_sel:WORD_1
	v_lshlrev_b32_e32 v22, 16, v21
	v_max_f32_e32 v24, v22, v22
	v_min_f32_e32 v23, v24, v40
	v_cmp_u_f32_e32 vcc, v22, v22
	v_max_f32_e32 v24, v24, v40
	v_cndmask_b32_e32 v23, v23, v22, vcc
	v_cndmask_b32_e32 v24, v24, v22, vcc
	v_cndmask_b32_e64 v23, v23, v5, s[82:83]
	v_cndmask_b32_e64 v5, v24, v5, s[82:83]
	s_movk_i32 s2, 0x1f8
	v_cmp_neq_f32_e32 vcc, v23, v5
	v_cmp_class_f32_e64 s[0:1], v23, s2
	s_or_b64 s[4:5], vcc, s[0:1]
	s_and_saveexec_b64 s[0:1], s[4:5]
	s_cbranch_execz .LBB516_172
; %bb.171:
	v_sub_f32_e32 v22, v23, v5
	s_mov_b32 s3, 0x3fb8aa3b
	v_mul_f32_e32 v23, 0x3fb8aa3b, v22
	v_fma_f32 v24, v22, s3, -v23
	v_rndne_f32_e32 v25, v23
	v_fmac_f32_e32 v24, 0x32a5705f, v22
	v_sub_f32_e32 v23, v23, v25
	v_add_f32_e32 v23, v23, v24
	v_exp_f32_e32 v23, v23
	v_cvt_i32_f32_e32 v24, v25
	s_mov_b32 s3, 0xc2ce8ed0
	v_cmp_ngt_f32_e32 vcc, s3, v22
	s_mov_b32 s3, 0x42b17218
	v_ldexp_f32 v23, v23, v24
	v_cndmask_b32_e32 v23, 0, v23, vcc
	v_mov_b32_e32 v24, 0x7f800000
	v_cmp_nlt_f32_e32 vcc, s3, v22
	v_cndmask_b32_e32 v25, v24, v23, vcc
	v_add_f32_e32 v26, 1.0, v25
	v_cvt_f64_f32_e32 v[22:23], v26
	v_add_f32_e32 v27, -1.0, v26
	v_sub_f32_e32 v28, v27, v26
	v_sub_f32_e32 v27, v25, v27
	v_frexp_exp_i32_f64_e32 v22, v[22:23]
	v_add_f32_e32 v23, 1.0, v28
	v_add_f32_e32 v23, v27, v23
	v_frexp_mant_f32_e32 v27, v26
	s_mov_b32 s4, 0x3f2aaaab
	v_cmp_gt_f32_e32 vcc, s4, v27
	s_mov_b32 s4, 0x3f317218
	s_mov_b32 s3, 0x7f800000
	v_subbrev_co_u32_e32 v22, vcc, 0, v22, vcc
	v_sub_u32_e32 v27, 0, v22
	v_ldexp_f32 v26, v26, v27
	v_ldexp_f32 v23, v23, v27
	v_add_f32_e32 v27, -1.0, v26
	v_add_f32_e32 v30, 1.0, v26
	v_add_f32_e32 v28, 1.0, v27
	v_add_f32_e32 v31, -1.0, v30
	v_sub_f32_e32 v28, v26, v28
	v_sub_f32_e32 v26, v26, v31
	v_add_f32_e32 v28, v23, v28
	v_add_f32_e32 v23, v23, v26
	;; [unrolled: 1-line block ×3, first 2 shown]
	v_rcp_f32_e32 v31, v26
	v_add_f32_e32 v29, v27, v28
	v_sub_f32_e32 v27, v27, v29
	v_add_f32_e32 v27, v28, v27
	v_sub_f32_e32 v28, v30, v26
	v_add_f32_e32 v23, v23, v28
	v_mul_f32_e32 v28, v29, v31
	v_mul_f32_e32 v30, v26, v28
	v_fma_f32 v32, v28, v26, -v30
	v_fmac_f32_e32 v32, v28, v23
	v_add_f32_e32 v33, v30, v32
	v_sub_f32_e32 v34, v29, v33
	v_sub_f32_e32 v29, v29, v34
	;; [unrolled: 1-line block ×4, first 2 shown]
	v_add_f32_e32 v27, v27, v29
	v_sub_f32_e32 v29, v30, v32
	v_add_f32_e32 v27, v29, v27
	v_add_f32_e32 v29, v34, v27
	v_mul_f32_e32 v30, v31, v29
	v_mul_f32_e32 v32, v26, v30
	v_fma_f32 v26, v30, v26, -v32
	v_fmac_f32_e32 v26, v30, v23
	v_sub_f32_e32 v23, v34, v29
	v_add_f32_e32 v23, v27, v23
	v_add_f32_e32 v27, v32, v26
	v_sub_f32_e32 v33, v29, v27
	v_sub_f32_e32 v29, v29, v33
	;; [unrolled: 1-line block ×4, first 2 shown]
	v_add_f32_e32 v23, v23, v27
	v_sub_f32_e32 v26, v32, v26
	v_add_f32_e32 v23, v26, v23
	v_add_f32_e32 v26, v28, v30
	;; [unrolled: 1-line block ×3, first 2 shown]
	v_sub_f32_e32 v27, v26, v28
	v_mul_f32_e32 v23, v31, v23
	v_sub_f32_e32 v27, v30, v27
	v_add_f32_e32 v23, v27, v23
	v_cvt_f32_i32_e32 v22, v22
	v_add_f32_e32 v27, v26, v23
	v_mul_f32_e32 v28, v27, v27
	v_mov_b32_e32 v29, 0x3ecc95a3
	v_fmac_f32_e32 v29, 0x3e9b6dac, v28
	v_mov_b32_e32 v30, 0x3f2aaada
	v_fmac_f32_e32 v30, v28, v29
	v_mul_f32_e32 v29, 0x3f317218, v22
	v_fma_f32 v31, v22, s4, -v29
	v_fmac_f32_e32 v31, 0xb102e308, v22
	v_sub_f32_e32 v22, v27, v26
	v_sub_f32_e32 v22, v23, v22
	v_add_f32_e32 v23, v29, v31
	v_sub_f32_e32 v26, v23, v29
	v_ldexp_f32 v29, v27, 1
	v_mul_f32_e32 v27, v27, v28
	v_mul_f32_e32 v27, v27, v30
	v_add_f32_e32 v28, v29, v27
	v_sub_f32_e32 v29, v28, v29
	v_ldexp_f32 v22, v22, 1
	v_sub_f32_e32 v27, v27, v29
	v_add_f32_e32 v22, v22, v27
	v_add_f32_e32 v27, v28, v22
	v_sub_f32_e32 v28, v27, v28
	v_sub_f32_e32 v22, v22, v28
	v_add_f32_e32 v28, v23, v27
	v_sub_f32_e32 v29, v28, v23
	v_sub_f32_e32 v30, v28, v29
	;; [unrolled: 1-line block ×5, first 2 shown]
	v_add_f32_e32 v23, v27, v23
	v_add_f32_e32 v27, v26, v22
	v_sub_f32_e32 v29, v27, v26
	v_sub_f32_e32 v30, v27, v29
	;; [unrolled: 1-line block ×4, first 2 shown]
	v_add_f32_e32 v23, v27, v23
	v_add_f32_e32 v22, v22, v26
	;; [unrolled: 1-line block ×3, first 2 shown]
	v_sub_f32_e32 v27, v26, v28
	v_sub_f32_e32 v23, v23, v27
	v_add_f32_e32 v22, v22, v23
	v_add_f32_e32 v22, v26, v22
	v_cmp_neq_f32_e32 vcc, s3, v25
	s_mov_b32 s3, 0x33800000
	v_cndmask_b32_e32 v22, v24, v22, vcc
	v_cmp_lt_f32_e64 vcc, |v25|, s3
	v_cndmask_b32_e32 v22, v22, v25, vcc
	v_add_f32_e32 v22, v5, v22
.LBB516_172:
	s_or_b64 exec, exec, s[0:1]
	v_bfe_u32 v5, v22, 16, 1
	s_movk_i32 s3, 0x7fff
	v_add3_u32 v5, v22, v5, s3
	v_cmp_o_f32_e32 vcc, v22, v22
	v_mov_b32_e32 v22, 0x7fc0
	v_cndmask_b32_sdwa v5, v22, v5, vcc dst_sel:DWORD dst_unused:UNUSED_PAD src0_sel:DWORD src1_sel:WORD_1
	v_lshlrev_b32_e32 v24, 16, v5
	v_max_f32_e32 v23, v24, v24
	v_min_f32_e32 v25, v23, v41
	v_cmp_u_f32_e32 vcc, v24, v24
	v_max_f32_e32 v23, v23, v41
	v_cndmask_b32_e32 v25, v25, v24, vcc
	v_cndmask_b32_e32 v23, v23, v24, vcc
	v_cndmask_b32_e64 v25, v25, v39, s[84:85]
	v_cndmask_b32_e64 v23, v23, v39, s[84:85]
	v_cmp_neq_f32_e32 vcc, v25, v23
	v_cmp_class_f32_e64 s[0:1], v25, s2
	s_or_b64 s[4:5], vcc, s[0:1]
	s_and_saveexec_b64 s[0:1], s[4:5]
	s_cbranch_execz .LBB516_174
; %bb.173:
	v_sub_f32_e32 v24, v25, v23
	s_mov_b32 s2, 0x3fb8aa3b
	v_mul_f32_e32 v25, 0x3fb8aa3b, v24
	v_fma_f32 v26, v24, s2, -v25
	v_rndne_f32_e32 v27, v25
	v_fmac_f32_e32 v26, 0x32a5705f, v24
	v_sub_f32_e32 v25, v25, v27
	v_add_f32_e32 v25, v25, v26
	v_exp_f32_e32 v25, v25
	v_cvt_i32_f32_e32 v26, v27
	s_mov_b32 s2, 0xc2ce8ed0
	v_cmp_ngt_f32_e32 vcc, s2, v24
	s_mov_b32 s2, 0x42b17218
	v_ldexp_f32 v25, v25, v26
	v_cndmask_b32_e32 v25, 0, v25, vcc
	v_mov_b32_e32 v26, 0x7f800000
	v_cmp_nlt_f32_e32 vcc, s2, v24
	v_cndmask_b32_e32 v27, v26, v25, vcc
	v_add_f32_e32 v28, 1.0, v27
	v_cvt_f64_f32_e32 v[24:25], v28
	v_add_f32_e32 v29, -1.0, v28
	v_sub_f32_e32 v30, v29, v28
	v_sub_f32_e32 v29, v27, v29
	v_frexp_exp_i32_f64_e32 v24, v[24:25]
	v_add_f32_e32 v25, 1.0, v30
	v_add_f32_e32 v25, v29, v25
	v_frexp_mant_f32_e32 v29, v28
	s_mov_b32 s4, 0x3f2aaaab
	v_cmp_gt_f32_e32 vcc, s4, v29
	s_mov_b32 s4, 0x3f317218
	s_mov_b32 s2, 0x7f800000
	v_subbrev_co_u32_e32 v24, vcc, 0, v24, vcc
	v_sub_u32_e32 v29, 0, v24
	v_ldexp_f32 v28, v28, v29
	v_ldexp_f32 v25, v25, v29
	v_add_f32_e32 v29, -1.0, v28
	v_add_f32_e32 v32, 1.0, v28
	v_add_f32_e32 v30, 1.0, v29
	v_add_f32_e32 v33, -1.0, v32
	v_sub_f32_e32 v30, v28, v30
	v_sub_f32_e32 v28, v28, v33
	v_add_f32_e32 v30, v25, v30
	v_add_f32_e32 v25, v25, v28
	;; [unrolled: 1-line block ×3, first 2 shown]
	v_rcp_f32_e32 v33, v28
	v_add_f32_e32 v31, v29, v30
	v_sub_f32_e32 v29, v29, v31
	v_add_f32_e32 v29, v30, v29
	v_sub_f32_e32 v30, v32, v28
	v_add_f32_e32 v25, v25, v30
	v_mul_f32_e32 v30, v31, v33
	v_mul_f32_e32 v32, v28, v30
	v_fma_f32 v34, v30, v28, -v32
	v_fmac_f32_e32 v34, v30, v25
	v_add_f32_e32 v35, v32, v34
	v_sub_f32_e32 v36, v31, v35
	v_sub_f32_e32 v31, v31, v36
	v_sub_f32_e32 v32, v35, v32
	v_sub_f32_e32 v31, v31, v35
	v_add_f32_e32 v29, v29, v31
	v_sub_f32_e32 v31, v32, v34
	v_add_f32_e32 v29, v31, v29
	v_add_f32_e32 v31, v36, v29
	v_mul_f32_e32 v32, v33, v31
	v_mul_f32_e32 v34, v28, v32
	v_fma_f32 v28, v32, v28, -v34
	v_fmac_f32_e32 v28, v32, v25
	v_sub_f32_e32 v25, v36, v31
	v_add_f32_e32 v25, v29, v25
	v_add_f32_e32 v29, v34, v28
	v_sub_f32_e32 v35, v31, v29
	v_sub_f32_e32 v31, v31, v35
	;; [unrolled: 1-line block ×4, first 2 shown]
	v_add_f32_e32 v25, v25, v29
	v_sub_f32_e32 v28, v34, v28
	v_add_f32_e32 v25, v28, v25
	v_add_f32_e32 v28, v30, v32
	;; [unrolled: 1-line block ×3, first 2 shown]
	v_sub_f32_e32 v29, v28, v30
	v_mul_f32_e32 v25, v33, v25
	v_sub_f32_e32 v29, v32, v29
	v_add_f32_e32 v25, v29, v25
	v_cvt_f32_i32_e32 v24, v24
	v_add_f32_e32 v29, v28, v25
	v_mul_f32_e32 v30, v29, v29
	v_mov_b32_e32 v31, 0x3ecc95a3
	v_fmac_f32_e32 v31, 0x3e9b6dac, v30
	v_mov_b32_e32 v32, 0x3f2aaada
	v_fmac_f32_e32 v32, v30, v31
	v_mul_f32_e32 v31, 0x3f317218, v24
	v_fma_f32 v33, v24, s4, -v31
	v_fmac_f32_e32 v33, 0xb102e308, v24
	v_sub_f32_e32 v24, v29, v28
	v_sub_f32_e32 v24, v25, v24
	v_add_f32_e32 v25, v31, v33
	v_sub_f32_e32 v28, v25, v31
	v_ldexp_f32 v31, v29, 1
	v_mul_f32_e32 v29, v29, v30
	v_mul_f32_e32 v29, v29, v32
	v_add_f32_e32 v30, v31, v29
	v_sub_f32_e32 v31, v30, v31
	v_ldexp_f32 v24, v24, 1
	v_sub_f32_e32 v29, v29, v31
	v_add_f32_e32 v24, v24, v29
	v_add_f32_e32 v29, v30, v24
	v_sub_f32_e32 v30, v29, v30
	v_sub_f32_e32 v24, v24, v30
	v_add_f32_e32 v30, v25, v29
	v_sub_f32_e32 v31, v30, v25
	v_sub_f32_e32 v32, v30, v31
	;; [unrolled: 1-line block ×5, first 2 shown]
	v_add_f32_e32 v25, v29, v25
	v_add_f32_e32 v29, v28, v24
	v_sub_f32_e32 v31, v29, v28
	v_sub_f32_e32 v32, v29, v31
	;; [unrolled: 1-line block ×4, first 2 shown]
	v_add_f32_e32 v25, v29, v25
	v_add_f32_e32 v24, v24, v28
	;; [unrolled: 1-line block ×3, first 2 shown]
	v_sub_f32_e32 v29, v28, v30
	v_sub_f32_e32 v25, v25, v29
	v_add_f32_e32 v24, v24, v25
	v_add_f32_e32 v24, v28, v24
	v_cmp_neq_f32_e32 vcc, s2, v27
	s_mov_b32 s2, 0x33800000
	v_cndmask_b32_e32 v24, v26, v24, vcc
	v_cmp_lt_f32_e64 vcc, |v27|, s2
	v_cndmask_b32_e32 v24, v24, v27, vcc
	v_add_f32_e32 v24, v23, v24
.LBB516_174:
	s_or_b64 exec, exec, s[0:1]
	v_bfe_u32 v23, v24, 16, 1
	v_add3_u32 v23, v24, v23, s3
	v_cmp_o_f32_e32 vcc, v24, v24
	v_cndmask_b32_sdwa v22, v22, v23, vcc dst_sel:DWORD dst_unused:UNUSED_PAD src0_sel:DWORD src1_sel:WORD_1
	v_lshlrev_b32_e32 v23, 16, v22
	v_max_f32_e32 v25, v23, v23
	v_min_f32_e32 v24, v25, v43
	v_cmp_u_f32_e32 vcc, v23, v23
	v_max_f32_e32 v25, v25, v43
	v_cndmask_b32_e32 v24, v24, v23, vcc
	v_cndmask_b32_e32 v25, v25, v23, vcc
	v_cndmask_b32_e64 v24, v24, v6, s[86:87]
	v_cndmask_b32_e64 v6, v25, v6, s[86:87]
	s_movk_i32 s2, 0x1f8
	v_cmp_neq_f32_e32 vcc, v24, v6
	v_cmp_class_f32_e64 s[0:1], v24, s2
	s_or_b64 s[4:5], vcc, s[0:1]
	s_and_saveexec_b64 s[0:1], s[4:5]
	s_cbranch_execz .LBB516_176
; %bb.175:
	v_sub_f32_e32 v23, v24, v6
	s_mov_b32 s3, 0x3fb8aa3b
	v_mul_f32_e32 v24, 0x3fb8aa3b, v23
	v_fma_f32 v25, v23, s3, -v24
	v_rndne_f32_e32 v26, v24
	v_fmac_f32_e32 v25, 0x32a5705f, v23
	v_sub_f32_e32 v24, v24, v26
	v_add_f32_e32 v24, v24, v25
	v_exp_f32_e32 v24, v24
	v_cvt_i32_f32_e32 v25, v26
	s_mov_b32 s3, 0xc2ce8ed0
	v_cmp_ngt_f32_e32 vcc, s3, v23
	s_mov_b32 s3, 0x42b17218
	v_ldexp_f32 v24, v24, v25
	v_cndmask_b32_e32 v24, 0, v24, vcc
	v_mov_b32_e32 v25, 0x7f800000
	v_cmp_nlt_f32_e32 vcc, s3, v23
	v_cndmask_b32_e32 v26, v25, v24, vcc
	v_add_f32_e32 v27, 1.0, v26
	v_cvt_f64_f32_e32 v[23:24], v27
	v_add_f32_e32 v28, -1.0, v27
	v_sub_f32_e32 v29, v28, v27
	v_sub_f32_e32 v28, v26, v28
	v_frexp_exp_i32_f64_e32 v23, v[23:24]
	v_add_f32_e32 v24, 1.0, v29
	v_add_f32_e32 v24, v28, v24
	v_frexp_mant_f32_e32 v28, v27
	s_mov_b32 s4, 0x3f2aaaab
	v_cmp_gt_f32_e32 vcc, s4, v28
	s_mov_b32 s4, 0x3f317218
	s_mov_b32 s3, 0x7f800000
	v_subbrev_co_u32_e32 v23, vcc, 0, v23, vcc
	v_sub_u32_e32 v28, 0, v23
	v_ldexp_f32 v27, v27, v28
	v_ldexp_f32 v24, v24, v28
	v_add_f32_e32 v28, -1.0, v27
	v_add_f32_e32 v31, 1.0, v27
	v_add_f32_e32 v29, 1.0, v28
	v_add_f32_e32 v32, -1.0, v31
	v_sub_f32_e32 v29, v27, v29
	v_sub_f32_e32 v27, v27, v32
	v_add_f32_e32 v29, v24, v29
	v_add_f32_e32 v24, v24, v27
	;; [unrolled: 1-line block ×3, first 2 shown]
	v_rcp_f32_e32 v32, v27
	v_add_f32_e32 v30, v28, v29
	v_sub_f32_e32 v28, v28, v30
	v_add_f32_e32 v28, v29, v28
	v_sub_f32_e32 v29, v31, v27
	v_add_f32_e32 v24, v24, v29
	v_mul_f32_e32 v29, v30, v32
	v_mul_f32_e32 v31, v27, v29
	v_fma_f32 v33, v29, v27, -v31
	v_fmac_f32_e32 v33, v29, v24
	v_add_f32_e32 v34, v31, v33
	v_sub_f32_e32 v35, v30, v34
	v_sub_f32_e32 v30, v30, v35
	;; [unrolled: 1-line block ×4, first 2 shown]
	v_add_f32_e32 v28, v28, v30
	v_sub_f32_e32 v30, v31, v33
	v_add_f32_e32 v28, v30, v28
	v_add_f32_e32 v30, v35, v28
	v_mul_f32_e32 v31, v32, v30
	v_mul_f32_e32 v33, v27, v31
	v_fma_f32 v27, v31, v27, -v33
	v_fmac_f32_e32 v27, v31, v24
	v_sub_f32_e32 v24, v35, v30
	v_add_f32_e32 v24, v28, v24
	v_add_f32_e32 v28, v33, v27
	v_sub_f32_e32 v34, v30, v28
	v_sub_f32_e32 v30, v30, v34
	;; [unrolled: 1-line block ×4, first 2 shown]
	v_add_f32_e32 v24, v24, v28
	v_sub_f32_e32 v27, v33, v27
	v_add_f32_e32 v24, v27, v24
	v_add_f32_e32 v27, v29, v31
	;; [unrolled: 1-line block ×3, first 2 shown]
	v_sub_f32_e32 v28, v27, v29
	v_mul_f32_e32 v24, v32, v24
	v_sub_f32_e32 v28, v31, v28
	v_add_f32_e32 v24, v28, v24
	v_cvt_f32_i32_e32 v23, v23
	v_add_f32_e32 v28, v27, v24
	v_mul_f32_e32 v29, v28, v28
	v_mov_b32_e32 v30, 0x3ecc95a3
	v_fmac_f32_e32 v30, 0x3e9b6dac, v29
	v_mov_b32_e32 v31, 0x3f2aaada
	v_fmac_f32_e32 v31, v29, v30
	v_mul_f32_e32 v30, 0x3f317218, v23
	v_fma_f32 v32, v23, s4, -v30
	v_fmac_f32_e32 v32, 0xb102e308, v23
	v_sub_f32_e32 v23, v28, v27
	v_sub_f32_e32 v23, v24, v23
	v_add_f32_e32 v24, v30, v32
	v_sub_f32_e32 v27, v24, v30
	v_ldexp_f32 v30, v28, 1
	v_mul_f32_e32 v28, v28, v29
	v_mul_f32_e32 v28, v28, v31
	v_add_f32_e32 v29, v30, v28
	v_sub_f32_e32 v30, v29, v30
	v_ldexp_f32 v23, v23, 1
	v_sub_f32_e32 v28, v28, v30
	v_add_f32_e32 v23, v23, v28
	v_add_f32_e32 v28, v29, v23
	v_sub_f32_e32 v29, v28, v29
	v_sub_f32_e32 v23, v23, v29
	v_add_f32_e32 v29, v24, v28
	v_sub_f32_e32 v30, v29, v24
	v_sub_f32_e32 v31, v29, v30
	;; [unrolled: 1-line block ×5, first 2 shown]
	v_add_f32_e32 v24, v28, v24
	v_add_f32_e32 v28, v27, v23
	v_sub_f32_e32 v30, v28, v27
	v_sub_f32_e32 v31, v28, v30
	;; [unrolled: 1-line block ×4, first 2 shown]
	v_add_f32_e32 v24, v28, v24
	v_add_f32_e32 v23, v23, v27
	;; [unrolled: 1-line block ×3, first 2 shown]
	v_sub_f32_e32 v28, v27, v29
	v_sub_f32_e32 v24, v24, v28
	v_add_f32_e32 v23, v23, v24
	v_add_f32_e32 v23, v27, v23
	v_cmp_neq_f32_e32 vcc, s3, v26
	s_mov_b32 s3, 0x33800000
	v_cndmask_b32_e32 v23, v25, v23, vcc
	v_cmp_lt_f32_e64 vcc, |v26|, s3
	v_cndmask_b32_e32 v23, v23, v26, vcc
	v_add_f32_e32 v23, v6, v23
.LBB516_176:
	s_or_b64 exec, exec, s[0:1]
	v_bfe_u32 v6, v23, 16, 1
	s_movk_i32 s3, 0x7fff
	v_add3_u32 v6, v23, v6, s3
	v_cmp_o_f32_e32 vcc, v23, v23
	v_mov_b32_e32 v23, 0x7fc0
	v_cndmask_b32_sdwa v6, v23, v6, vcc dst_sel:DWORD dst_unused:UNUSED_PAD src0_sel:DWORD src1_sel:WORD_1
	v_lshlrev_b32_e32 v25, 16, v6
	v_max_f32_e32 v24, v25, v25
	v_min_f32_e32 v26, v24, v44
	v_cmp_u_f32_e32 vcc, v25, v25
	v_max_f32_e32 v24, v24, v44
	v_cndmask_b32_e32 v26, v26, v25, vcc
	v_cndmask_b32_e32 v24, v24, v25, vcc
	v_cndmask_b32_e64 v26, v26, v42, s[88:89]
	v_cndmask_b32_e64 v24, v24, v42, s[88:89]
	v_cmp_neq_f32_e32 vcc, v26, v24
	v_cmp_class_f32_e64 s[0:1], v26, s2
	s_or_b64 s[4:5], vcc, s[0:1]
	s_and_saveexec_b64 s[0:1], s[4:5]
	s_cbranch_execz .LBB516_178
; %bb.177:
	v_sub_f32_e32 v25, v26, v24
	s_mov_b32 s2, 0x3fb8aa3b
	v_mul_f32_e32 v26, 0x3fb8aa3b, v25
	v_fma_f32 v27, v25, s2, -v26
	v_rndne_f32_e32 v28, v26
	v_fmac_f32_e32 v27, 0x32a5705f, v25
	v_sub_f32_e32 v26, v26, v28
	v_add_f32_e32 v26, v26, v27
	v_exp_f32_e32 v26, v26
	v_cvt_i32_f32_e32 v27, v28
	s_mov_b32 s2, 0xc2ce8ed0
	v_cmp_ngt_f32_e32 vcc, s2, v25
	s_mov_b32 s2, 0x42b17218
	v_ldexp_f32 v26, v26, v27
	v_cndmask_b32_e32 v26, 0, v26, vcc
	v_mov_b32_e32 v27, 0x7f800000
	v_cmp_nlt_f32_e32 vcc, s2, v25
	v_cndmask_b32_e32 v28, v27, v26, vcc
	v_add_f32_e32 v29, 1.0, v28
	v_cvt_f64_f32_e32 v[25:26], v29
	v_add_f32_e32 v30, -1.0, v29
	v_sub_f32_e32 v31, v30, v29
	v_sub_f32_e32 v30, v28, v30
	v_frexp_exp_i32_f64_e32 v25, v[25:26]
	v_add_f32_e32 v26, 1.0, v31
	v_add_f32_e32 v26, v30, v26
	v_frexp_mant_f32_e32 v30, v29
	s_mov_b32 s4, 0x3f2aaaab
	v_cmp_gt_f32_e32 vcc, s4, v30
	s_mov_b32 s4, 0x3f317218
	s_mov_b32 s2, 0x7f800000
	v_subbrev_co_u32_e32 v25, vcc, 0, v25, vcc
	v_sub_u32_e32 v30, 0, v25
	v_ldexp_f32 v29, v29, v30
	v_ldexp_f32 v26, v26, v30
	v_add_f32_e32 v30, -1.0, v29
	v_add_f32_e32 v33, 1.0, v29
	v_add_f32_e32 v31, 1.0, v30
	v_add_f32_e32 v34, -1.0, v33
	v_sub_f32_e32 v31, v29, v31
	v_sub_f32_e32 v29, v29, v34
	v_add_f32_e32 v31, v26, v31
	v_add_f32_e32 v26, v26, v29
	;; [unrolled: 1-line block ×3, first 2 shown]
	v_rcp_f32_e32 v34, v29
	v_add_f32_e32 v32, v30, v31
	v_sub_f32_e32 v30, v30, v32
	v_add_f32_e32 v30, v31, v30
	v_sub_f32_e32 v31, v33, v29
	v_add_f32_e32 v26, v26, v31
	v_mul_f32_e32 v31, v32, v34
	v_mul_f32_e32 v33, v29, v31
	v_fma_f32 v35, v31, v29, -v33
	v_fmac_f32_e32 v35, v31, v26
	v_add_f32_e32 v36, v33, v35
	v_sub_f32_e32 v37, v32, v36
	v_sub_f32_e32 v32, v32, v37
	;; [unrolled: 1-line block ×4, first 2 shown]
	v_add_f32_e32 v30, v30, v32
	v_sub_f32_e32 v32, v33, v35
	v_add_f32_e32 v30, v32, v30
	v_add_f32_e32 v32, v37, v30
	v_mul_f32_e32 v33, v34, v32
	v_mul_f32_e32 v35, v29, v33
	v_fma_f32 v29, v33, v29, -v35
	v_fmac_f32_e32 v29, v33, v26
	v_sub_f32_e32 v26, v37, v32
	v_add_f32_e32 v26, v30, v26
	v_add_f32_e32 v30, v35, v29
	v_sub_f32_e32 v36, v32, v30
	v_sub_f32_e32 v32, v32, v36
	;; [unrolled: 1-line block ×4, first 2 shown]
	v_add_f32_e32 v26, v26, v30
	v_sub_f32_e32 v29, v35, v29
	v_add_f32_e32 v26, v29, v26
	v_add_f32_e32 v29, v31, v33
	;; [unrolled: 1-line block ×3, first 2 shown]
	v_sub_f32_e32 v30, v29, v31
	v_mul_f32_e32 v26, v34, v26
	v_sub_f32_e32 v30, v33, v30
	v_add_f32_e32 v26, v30, v26
	v_cvt_f32_i32_e32 v25, v25
	v_add_f32_e32 v30, v29, v26
	v_mul_f32_e32 v31, v30, v30
	v_mov_b32_e32 v32, 0x3ecc95a3
	v_fmac_f32_e32 v32, 0x3e9b6dac, v31
	v_mov_b32_e32 v33, 0x3f2aaada
	v_fmac_f32_e32 v33, v31, v32
	v_mul_f32_e32 v32, 0x3f317218, v25
	v_fma_f32 v34, v25, s4, -v32
	v_fmac_f32_e32 v34, 0xb102e308, v25
	v_sub_f32_e32 v25, v30, v29
	v_sub_f32_e32 v25, v26, v25
	v_add_f32_e32 v26, v32, v34
	v_sub_f32_e32 v29, v26, v32
	v_ldexp_f32 v32, v30, 1
	v_mul_f32_e32 v30, v30, v31
	v_mul_f32_e32 v30, v30, v33
	v_add_f32_e32 v31, v32, v30
	v_sub_f32_e32 v32, v31, v32
	v_ldexp_f32 v25, v25, 1
	v_sub_f32_e32 v30, v30, v32
	v_add_f32_e32 v25, v25, v30
	v_add_f32_e32 v30, v31, v25
	v_sub_f32_e32 v31, v30, v31
	v_sub_f32_e32 v25, v25, v31
	v_add_f32_e32 v31, v26, v30
	v_sub_f32_e32 v32, v31, v26
	v_sub_f32_e32 v33, v31, v32
	;; [unrolled: 1-line block ×5, first 2 shown]
	v_add_f32_e32 v26, v30, v26
	v_add_f32_e32 v30, v29, v25
	v_sub_f32_e32 v32, v30, v29
	v_sub_f32_e32 v33, v30, v32
	;; [unrolled: 1-line block ×4, first 2 shown]
	v_add_f32_e32 v26, v30, v26
	v_add_f32_e32 v25, v25, v29
	;; [unrolled: 1-line block ×3, first 2 shown]
	v_sub_f32_e32 v30, v29, v31
	v_sub_f32_e32 v26, v26, v30
	v_add_f32_e32 v25, v25, v26
	v_add_f32_e32 v25, v29, v25
	v_cmp_neq_f32_e32 vcc, s2, v28
	s_mov_b32 s2, 0x33800000
	v_cndmask_b32_e32 v25, v27, v25, vcc
	v_cmp_lt_f32_e64 vcc, |v28|, s2
	v_cndmask_b32_e32 v25, v25, v28, vcc
	v_add_f32_e32 v25, v24, v25
.LBB516_178:
	s_or_b64 exec, exec, s[0:1]
	v_bfe_u32 v24, v25, 16, 1
	v_add3_u32 v24, v25, v24, s3
	v_cmp_o_f32_e32 vcc, v25, v25
	v_cndmask_b32_sdwa v23, v23, v24, vcc dst_sel:DWORD dst_unused:UNUSED_PAD src0_sel:DWORD src1_sel:WORD_1
	v_lshlrev_b32_e32 v24, 16, v23
	v_max_f32_e32 v26, v24, v24
	v_min_f32_e32 v25, v26, v46
	v_cmp_u_f32_e32 vcc, v24, v24
	v_max_f32_e32 v26, v26, v46
	v_cndmask_b32_e32 v25, v25, v24, vcc
	v_cndmask_b32_e32 v26, v26, v24, vcc
	v_cndmask_b32_e64 v25, v25, v7, s[90:91]
	v_cndmask_b32_e64 v7, v26, v7, s[90:91]
	s_movk_i32 s2, 0x1f8
	v_cmp_neq_f32_e32 vcc, v25, v7
	v_cmp_class_f32_e64 s[0:1], v25, s2
	s_or_b64 s[4:5], vcc, s[0:1]
	s_and_saveexec_b64 s[0:1], s[4:5]
	s_cbranch_execz .LBB516_180
; %bb.179:
	v_sub_f32_e32 v24, v25, v7
	s_mov_b32 s3, 0x3fb8aa3b
	v_mul_f32_e32 v25, 0x3fb8aa3b, v24
	v_fma_f32 v26, v24, s3, -v25
	v_rndne_f32_e32 v27, v25
	v_fmac_f32_e32 v26, 0x32a5705f, v24
	v_sub_f32_e32 v25, v25, v27
	v_add_f32_e32 v25, v25, v26
	v_exp_f32_e32 v25, v25
	v_cvt_i32_f32_e32 v26, v27
	s_mov_b32 s3, 0xc2ce8ed0
	v_cmp_ngt_f32_e32 vcc, s3, v24
	s_mov_b32 s3, 0x42b17218
	v_ldexp_f32 v25, v25, v26
	v_cndmask_b32_e32 v25, 0, v25, vcc
	v_mov_b32_e32 v26, 0x7f800000
	v_cmp_nlt_f32_e32 vcc, s3, v24
	v_cndmask_b32_e32 v27, v26, v25, vcc
	v_add_f32_e32 v28, 1.0, v27
	v_cvt_f64_f32_e32 v[24:25], v28
	v_add_f32_e32 v29, -1.0, v28
	v_sub_f32_e32 v30, v29, v28
	v_sub_f32_e32 v29, v27, v29
	v_frexp_exp_i32_f64_e32 v24, v[24:25]
	v_add_f32_e32 v25, 1.0, v30
	v_add_f32_e32 v25, v29, v25
	v_frexp_mant_f32_e32 v29, v28
	s_mov_b32 s4, 0x3f2aaaab
	v_cmp_gt_f32_e32 vcc, s4, v29
	s_mov_b32 s4, 0x3f317218
	s_mov_b32 s3, 0x7f800000
	v_subbrev_co_u32_e32 v24, vcc, 0, v24, vcc
	v_sub_u32_e32 v29, 0, v24
	v_ldexp_f32 v28, v28, v29
	v_ldexp_f32 v25, v25, v29
	v_add_f32_e32 v29, -1.0, v28
	v_add_f32_e32 v32, 1.0, v28
	v_add_f32_e32 v30, 1.0, v29
	v_add_f32_e32 v33, -1.0, v32
	v_sub_f32_e32 v30, v28, v30
	v_sub_f32_e32 v28, v28, v33
	v_add_f32_e32 v30, v25, v30
	v_add_f32_e32 v25, v25, v28
	;; [unrolled: 1-line block ×3, first 2 shown]
	v_rcp_f32_e32 v33, v28
	v_add_f32_e32 v31, v29, v30
	v_sub_f32_e32 v29, v29, v31
	v_add_f32_e32 v29, v30, v29
	v_sub_f32_e32 v30, v32, v28
	v_add_f32_e32 v25, v25, v30
	v_mul_f32_e32 v30, v31, v33
	v_mul_f32_e32 v32, v28, v30
	v_fma_f32 v34, v30, v28, -v32
	v_fmac_f32_e32 v34, v30, v25
	v_add_f32_e32 v35, v32, v34
	v_sub_f32_e32 v36, v31, v35
	v_sub_f32_e32 v31, v31, v36
	;; [unrolled: 1-line block ×4, first 2 shown]
	v_add_f32_e32 v29, v29, v31
	v_sub_f32_e32 v31, v32, v34
	v_add_f32_e32 v29, v31, v29
	v_add_f32_e32 v31, v36, v29
	v_mul_f32_e32 v32, v33, v31
	v_mul_f32_e32 v34, v28, v32
	v_fma_f32 v28, v32, v28, -v34
	v_fmac_f32_e32 v28, v32, v25
	v_sub_f32_e32 v25, v36, v31
	v_add_f32_e32 v25, v29, v25
	v_add_f32_e32 v29, v34, v28
	v_sub_f32_e32 v35, v31, v29
	v_sub_f32_e32 v31, v31, v35
	;; [unrolled: 1-line block ×4, first 2 shown]
	v_add_f32_e32 v25, v25, v29
	v_sub_f32_e32 v28, v34, v28
	v_add_f32_e32 v25, v28, v25
	v_add_f32_e32 v28, v30, v32
	;; [unrolled: 1-line block ×3, first 2 shown]
	v_sub_f32_e32 v29, v28, v30
	v_mul_f32_e32 v25, v33, v25
	v_sub_f32_e32 v29, v32, v29
	v_add_f32_e32 v25, v29, v25
	v_cvt_f32_i32_e32 v24, v24
	v_add_f32_e32 v29, v28, v25
	v_mul_f32_e32 v30, v29, v29
	v_mov_b32_e32 v31, 0x3ecc95a3
	v_fmac_f32_e32 v31, 0x3e9b6dac, v30
	v_mov_b32_e32 v32, 0x3f2aaada
	v_fmac_f32_e32 v32, v30, v31
	v_mul_f32_e32 v31, 0x3f317218, v24
	v_fma_f32 v33, v24, s4, -v31
	v_fmac_f32_e32 v33, 0xb102e308, v24
	v_sub_f32_e32 v24, v29, v28
	v_sub_f32_e32 v24, v25, v24
	v_add_f32_e32 v25, v31, v33
	v_sub_f32_e32 v28, v25, v31
	v_ldexp_f32 v31, v29, 1
	v_mul_f32_e32 v29, v29, v30
	v_mul_f32_e32 v29, v29, v32
	v_add_f32_e32 v30, v31, v29
	v_sub_f32_e32 v31, v30, v31
	v_ldexp_f32 v24, v24, 1
	v_sub_f32_e32 v29, v29, v31
	v_add_f32_e32 v24, v24, v29
	v_add_f32_e32 v29, v30, v24
	v_sub_f32_e32 v30, v29, v30
	v_sub_f32_e32 v24, v24, v30
	v_add_f32_e32 v30, v25, v29
	v_sub_f32_e32 v31, v30, v25
	v_sub_f32_e32 v32, v30, v31
	;; [unrolled: 1-line block ×5, first 2 shown]
	v_add_f32_e32 v25, v29, v25
	v_add_f32_e32 v29, v28, v24
	v_sub_f32_e32 v31, v29, v28
	v_sub_f32_e32 v32, v29, v31
	;; [unrolled: 1-line block ×4, first 2 shown]
	v_add_f32_e32 v25, v29, v25
	v_add_f32_e32 v24, v24, v28
	;; [unrolled: 1-line block ×3, first 2 shown]
	v_sub_f32_e32 v29, v28, v30
	v_sub_f32_e32 v25, v25, v29
	v_add_f32_e32 v24, v24, v25
	v_add_f32_e32 v24, v28, v24
	v_cmp_neq_f32_e32 vcc, s3, v27
	s_mov_b32 s3, 0x33800000
	v_cndmask_b32_e32 v24, v26, v24, vcc
	v_cmp_lt_f32_e64 vcc, |v27|, s3
	v_cndmask_b32_e32 v24, v24, v27, vcc
	v_add_f32_e32 v24, v7, v24
.LBB516_180:
	s_or_b64 exec, exec, s[0:1]
	v_bfe_u32 v7, v24, 16, 1
	s_movk_i32 s3, 0x7fff
	v_add3_u32 v7, v24, v7, s3
	v_cmp_o_f32_e32 vcc, v24, v24
	v_mov_b32_e32 v24, 0x7fc0
	v_cndmask_b32_sdwa v7, v24, v7, vcc dst_sel:DWORD dst_unused:UNUSED_PAD src0_sel:DWORD src1_sel:WORD_1
	v_lshlrev_b32_e32 v26, 16, v7
	v_max_f32_e32 v25, v26, v26
	v_min_f32_e32 v27, v25, v47
	v_cmp_u_f32_e32 vcc, v26, v26
	v_max_f32_e32 v25, v25, v47
	v_cndmask_b32_e32 v27, v27, v26, vcc
	v_cndmask_b32_e32 v25, v25, v26, vcc
	v_cndmask_b32_e64 v27, v27, v45, s[92:93]
	v_cndmask_b32_e64 v25, v25, v45, s[92:93]
	v_cmp_neq_f32_e32 vcc, v27, v25
	v_cmp_class_f32_e64 s[0:1], v27, s2
	s_or_b64 s[4:5], vcc, s[0:1]
	s_and_saveexec_b64 s[0:1], s[4:5]
	s_cbranch_execz .LBB516_182
; %bb.181:
	v_sub_f32_e32 v26, v27, v25
	s_mov_b32 s2, 0x3fb8aa3b
	v_mul_f32_e32 v27, 0x3fb8aa3b, v26
	v_fma_f32 v28, v26, s2, -v27
	v_rndne_f32_e32 v29, v27
	v_fmac_f32_e32 v28, 0x32a5705f, v26
	v_sub_f32_e32 v27, v27, v29
	v_add_f32_e32 v27, v27, v28
	v_exp_f32_e32 v27, v27
	v_cvt_i32_f32_e32 v28, v29
	s_mov_b32 s2, 0xc2ce8ed0
	v_cmp_ngt_f32_e32 vcc, s2, v26
	s_mov_b32 s2, 0x42b17218
	v_ldexp_f32 v27, v27, v28
	v_cndmask_b32_e32 v27, 0, v27, vcc
	v_mov_b32_e32 v28, 0x7f800000
	v_cmp_nlt_f32_e32 vcc, s2, v26
	v_cndmask_b32_e32 v29, v28, v27, vcc
	v_add_f32_e32 v30, 1.0, v29
	v_cvt_f64_f32_e32 v[26:27], v30
	v_add_f32_e32 v31, -1.0, v30
	v_sub_f32_e32 v32, v31, v30
	v_sub_f32_e32 v31, v29, v31
	v_frexp_exp_i32_f64_e32 v26, v[26:27]
	v_add_f32_e32 v27, 1.0, v32
	v_add_f32_e32 v27, v31, v27
	v_frexp_mant_f32_e32 v31, v30
	s_mov_b32 s4, 0x3f2aaaab
	v_cmp_gt_f32_e32 vcc, s4, v31
	s_mov_b32 s4, 0x3f317218
	s_mov_b32 s2, 0x7f800000
	v_subbrev_co_u32_e32 v26, vcc, 0, v26, vcc
	v_sub_u32_e32 v31, 0, v26
	v_ldexp_f32 v30, v30, v31
	v_ldexp_f32 v27, v27, v31
	v_add_f32_e32 v31, -1.0, v30
	v_add_f32_e32 v34, 1.0, v30
	v_add_f32_e32 v32, 1.0, v31
	v_add_f32_e32 v35, -1.0, v34
	v_sub_f32_e32 v32, v30, v32
	v_sub_f32_e32 v30, v30, v35
	v_add_f32_e32 v32, v27, v32
	v_add_f32_e32 v27, v27, v30
	;; [unrolled: 1-line block ×3, first 2 shown]
	v_rcp_f32_e32 v35, v30
	v_add_f32_e32 v33, v31, v32
	v_sub_f32_e32 v31, v31, v33
	v_add_f32_e32 v31, v32, v31
	v_sub_f32_e32 v32, v34, v30
	v_add_f32_e32 v27, v27, v32
	v_mul_f32_e32 v32, v33, v35
	v_mul_f32_e32 v34, v30, v32
	v_fma_f32 v36, v32, v30, -v34
	v_fmac_f32_e32 v36, v32, v27
	v_add_f32_e32 v37, v34, v36
	v_sub_f32_e32 v38, v33, v37
	v_sub_f32_e32 v33, v33, v38
	;; [unrolled: 1-line block ×4, first 2 shown]
	v_add_f32_e32 v31, v31, v33
	v_sub_f32_e32 v33, v34, v36
	v_add_f32_e32 v31, v33, v31
	v_add_f32_e32 v33, v38, v31
	v_mul_f32_e32 v34, v35, v33
	v_mul_f32_e32 v36, v30, v34
	v_fma_f32 v30, v34, v30, -v36
	v_fmac_f32_e32 v30, v34, v27
	v_sub_f32_e32 v27, v38, v33
	v_add_f32_e32 v27, v31, v27
	v_add_f32_e32 v31, v36, v30
	v_sub_f32_e32 v37, v33, v31
	v_sub_f32_e32 v33, v33, v37
	v_sub_f32_e32 v36, v31, v36
	v_sub_f32_e32 v31, v33, v31
	v_add_f32_e32 v27, v27, v31
	v_sub_f32_e32 v30, v36, v30
	v_add_f32_e32 v27, v30, v27
	v_add_f32_e32 v30, v32, v34
	;; [unrolled: 1-line block ×3, first 2 shown]
	v_sub_f32_e32 v31, v30, v32
	v_mul_f32_e32 v27, v35, v27
	v_sub_f32_e32 v31, v34, v31
	v_add_f32_e32 v27, v31, v27
	v_cvt_f32_i32_e32 v26, v26
	v_add_f32_e32 v31, v30, v27
	v_mul_f32_e32 v32, v31, v31
	v_mov_b32_e32 v33, 0x3ecc95a3
	v_fmac_f32_e32 v33, 0x3e9b6dac, v32
	v_mov_b32_e32 v34, 0x3f2aaada
	v_fmac_f32_e32 v34, v32, v33
	v_mul_f32_e32 v33, 0x3f317218, v26
	v_fma_f32 v35, v26, s4, -v33
	v_fmac_f32_e32 v35, 0xb102e308, v26
	v_sub_f32_e32 v26, v31, v30
	v_sub_f32_e32 v26, v27, v26
	v_add_f32_e32 v27, v33, v35
	v_sub_f32_e32 v30, v27, v33
	v_ldexp_f32 v33, v31, 1
	v_mul_f32_e32 v31, v31, v32
	v_mul_f32_e32 v31, v31, v34
	v_add_f32_e32 v32, v33, v31
	v_sub_f32_e32 v33, v32, v33
	v_ldexp_f32 v26, v26, 1
	v_sub_f32_e32 v31, v31, v33
	v_add_f32_e32 v26, v26, v31
	v_add_f32_e32 v31, v32, v26
	v_sub_f32_e32 v32, v31, v32
	v_sub_f32_e32 v26, v26, v32
	v_add_f32_e32 v32, v27, v31
	v_sub_f32_e32 v33, v32, v27
	v_sub_f32_e32 v34, v32, v33
	;; [unrolled: 1-line block ×5, first 2 shown]
	v_add_f32_e32 v27, v31, v27
	v_add_f32_e32 v31, v30, v26
	v_sub_f32_e32 v33, v31, v30
	v_sub_f32_e32 v34, v31, v33
	;; [unrolled: 1-line block ×4, first 2 shown]
	v_add_f32_e32 v27, v31, v27
	v_add_f32_e32 v26, v26, v30
	;; [unrolled: 1-line block ×3, first 2 shown]
	v_sub_f32_e32 v31, v30, v32
	v_sub_f32_e32 v27, v27, v31
	v_add_f32_e32 v26, v26, v27
	v_add_f32_e32 v26, v30, v26
	v_cmp_neq_f32_e32 vcc, s2, v29
	s_mov_b32 s2, 0x33800000
	v_cndmask_b32_e32 v26, v28, v26, vcc
	v_cmp_lt_f32_e64 vcc, |v29|, s2
	v_cndmask_b32_e32 v26, v26, v29, vcc
	v_add_f32_e32 v26, v25, v26
.LBB516_182:
	s_or_b64 exec, exec, s[0:1]
	v_bfe_u32 v25, v26, 16, 1
	v_add3_u32 v25, v26, v25, s3
	v_cmp_o_f32_e32 vcc, v26, v26
	v_cndmask_b32_sdwa v24, v24, v25, vcc dst_sel:DWORD dst_unused:UNUSED_PAD src0_sel:DWORD src1_sel:WORD_1
	v_lshlrev_b32_e32 v25, 16, v24
	v_max_f32_e32 v27, v25, v25
	v_min_f32_e32 v26, v27, v48
	v_cmp_u_f32_e32 vcc, v25, v25
	v_max_f32_e32 v27, v27, v48
	v_cndmask_b32_e32 v26, v26, v25, vcc
	v_cndmask_b32_e32 v27, v27, v25, vcc
	v_cndmask_b32_e64 v26, v26, v8, s[94:95]
	v_cndmask_b32_e64 v8, v27, v8, s[94:95]
	s_movk_i32 s0, 0x1f8
	v_cmp_neq_f32_e32 vcc, v26, v8
	v_cmp_class_f32_e64 s[0:1], v26, s0
	s_or_b64 s[2:3], vcc, s[0:1]
	s_and_saveexec_b64 s[0:1], s[2:3]
	s_cbranch_execz .LBB516_184
; %bb.183:
	v_sub_f32_e32 v25, v26, v8
	s_mov_b32 s2, 0x3fb8aa3b
	v_mul_f32_e32 v26, 0x3fb8aa3b, v25
	v_fma_f32 v27, v25, s2, -v26
	v_rndne_f32_e32 v28, v26
	v_fmac_f32_e32 v27, 0x32a5705f, v25
	v_sub_f32_e32 v26, v26, v28
	v_add_f32_e32 v26, v26, v27
	v_exp_f32_e32 v26, v26
	v_cvt_i32_f32_e32 v27, v28
	s_mov_b32 s2, 0xc2ce8ed0
	v_cmp_ngt_f32_e32 vcc, s2, v25
	s_mov_b32 s2, 0x42b17218
	v_ldexp_f32 v26, v26, v27
	v_cndmask_b32_e32 v26, 0, v26, vcc
	v_mov_b32_e32 v27, 0x7f800000
	v_cmp_nlt_f32_e32 vcc, s2, v25
	v_cndmask_b32_e32 v28, v27, v26, vcc
	v_add_f32_e32 v29, 1.0, v28
	v_cvt_f64_f32_e32 v[25:26], v29
	v_add_f32_e32 v30, -1.0, v29
	v_sub_f32_e32 v31, v30, v29
	v_sub_f32_e32 v30, v28, v30
	v_frexp_exp_i32_f64_e32 v25, v[25:26]
	v_add_f32_e32 v26, 1.0, v31
	v_add_f32_e32 v26, v30, v26
	v_frexp_mant_f32_e32 v30, v29
	s_mov_b32 s3, 0x3f2aaaab
	v_cmp_gt_f32_e32 vcc, s3, v30
	s_mov_b32 s3, 0x3f317218
	s_mov_b32 s2, 0x7f800000
	v_subbrev_co_u32_e32 v25, vcc, 0, v25, vcc
	v_sub_u32_e32 v30, 0, v25
	v_ldexp_f32 v29, v29, v30
	v_ldexp_f32 v26, v26, v30
	v_add_f32_e32 v30, -1.0, v29
	v_add_f32_e32 v33, 1.0, v29
	v_add_f32_e32 v31, 1.0, v30
	v_add_f32_e32 v34, -1.0, v33
	v_sub_f32_e32 v31, v29, v31
	v_sub_f32_e32 v29, v29, v34
	v_add_f32_e32 v31, v26, v31
	v_add_f32_e32 v26, v26, v29
	;; [unrolled: 1-line block ×3, first 2 shown]
	v_rcp_f32_e32 v34, v29
	v_add_f32_e32 v32, v30, v31
	v_sub_f32_e32 v30, v30, v32
	v_add_f32_e32 v30, v31, v30
	v_sub_f32_e32 v31, v33, v29
	v_add_f32_e32 v26, v26, v31
	v_mul_f32_e32 v31, v32, v34
	v_mul_f32_e32 v33, v29, v31
	v_fma_f32 v35, v31, v29, -v33
	v_fmac_f32_e32 v35, v31, v26
	v_add_f32_e32 v36, v33, v35
	v_sub_f32_e32 v37, v32, v36
	v_sub_f32_e32 v32, v32, v37
	;; [unrolled: 1-line block ×4, first 2 shown]
	v_add_f32_e32 v30, v30, v32
	v_sub_f32_e32 v32, v33, v35
	v_add_f32_e32 v30, v32, v30
	v_add_f32_e32 v32, v37, v30
	v_mul_f32_e32 v33, v34, v32
	v_mul_f32_e32 v35, v29, v33
	v_fma_f32 v29, v33, v29, -v35
	v_fmac_f32_e32 v29, v33, v26
	v_sub_f32_e32 v26, v37, v32
	v_add_f32_e32 v26, v30, v26
	v_add_f32_e32 v30, v35, v29
	v_sub_f32_e32 v36, v32, v30
	v_sub_f32_e32 v32, v32, v36
	v_sub_f32_e32 v35, v30, v35
	v_sub_f32_e32 v30, v32, v30
	v_add_f32_e32 v26, v26, v30
	v_sub_f32_e32 v29, v35, v29
	v_add_f32_e32 v26, v29, v26
	v_add_f32_e32 v29, v31, v33
	;; [unrolled: 1-line block ×3, first 2 shown]
	v_sub_f32_e32 v30, v29, v31
	v_mul_f32_e32 v26, v34, v26
	v_sub_f32_e32 v30, v33, v30
	v_add_f32_e32 v26, v30, v26
	v_cvt_f32_i32_e32 v25, v25
	v_add_f32_e32 v30, v29, v26
	v_mul_f32_e32 v31, v30, v30
	v_mov_b32_e32 v32, 0x3ecc95a3
	v_fmac_f32_e32 v32, 0x3e9b6dac, v31
	v_mov_b32_e32 v33, 0x3f2aaada
	v_fmac_f32_e32 v33, v31, v32
	v_mul_f32_e32 v32, 0x3f317218, v25
	v_fma_f32 v34, v25, s3, -v32
	v_fmac_f32_e32 v34, 0xb102e308, v25
	v_sub_f32_e32 v25, v30, v29
	v_sub_f32_e32 v25, v26, v25
	v_add_f32_e32 v26, v32, v34
	v_sub_f32_e32 v29, v26, v32
	v_ldexp_f32 v32, v30, 1
	v_mul_f32_e32 v30, v30, v31
	v_mul_f32_e32 v30, v30, v33
	v_add_f32_e32 v31, v32, v30
	v_sub_f32_e32 v32, v31, v32
	v_ldexp_f32 v25, v25, 1
	v_sub_f32_e32 v30, v30, v32
	v_add_f32_e32 v25, v25, v30
	v_add_f32_e32 v30, v31, v25
	v_sub_f32_e32 v31, v30, v31
	v_sub_f32_e32 v25, v25, v31
	v_add_f32_e32 v31, v26, v30
	v_sub_f32_e32 v32, v31, v26
	v_sub_f32_e32 v33, v31, v32
	;; [unrolled: 1-line block ×5, first 2 shown]
	v_add_f32_e32 v26, v30, v26
	v_add_f32_e32 v30, v29, v25
	v_sub_f32_e32 v32, v30, v29
	v_sub_f32_e32 v33, v30, v32
	;; [unrolled: 1-line block ×4, first 2 shown]
	v_add_f32_e32 v26, v30, v26
	v_add_f32_e32 v25, v25, v29
	;; [unrolled: 1-line block ×3, first 2 shown]
	v_sub_f32_e32 v30, v29, v31
	v_sub_f32_e32 v26, v26, v30
	v_add_f32_e32 v25, v25, v26
	v_add_f32_e32 v25, v29, v25
	v_cmp_neq_f32_e32 vcc, s2, v28
	s_mov_b32 s2, 0x33800000
	v_cndmask_b32_e32 v25, v27, v25, vcc
	v_cmp_lt_f32_e64 vcc, |v28|, s2
	v_cndmask_b32_e32 v25, v25, v28, vcc
	v_add_f32_e32 v25, v8, v25
.LBB516_184:
	s_or_b64 exec, exec, s[0:1]
	v_bfe_u32 v8, v25, 16, 1
	s_movk_i32 s0, 0x7fff
	v_add3_u32 v8, v25, v8, s0
	v_cmp_o_f32_e32 vcc, v25, v25
	v_mov_b32_e32 v25, 0x7fc0
	s_mov_b32 s0, 0x5040100
	v_cndmask_b32_sdwa v8, v25, v8, vcc dst_sel:DWORD dst_unused:UNUSED_PAD src0_sel:DWORD src1_sel:WORD_1
	v_add_u32_e32 v25, v13, v53
	v_perm_b32 v4, v4, v16, s0
	v_perm_b32 v3, v3, v15, s0
	;; [unrolled: 1-line block ×4, first 2 shown]
	s_barrier
	ds_write_b128 v25, v[1:4]
	v_perm_b32 v3, v12, v20, s0
	v_perm_b32 v2, v11, v19, s0
	;; [unrolled: 1-line block ×4, first 2 shown]
	ds_write_b128 v25, v[0:3] offset:16
	v_perm_b32 v2, v7, v23, s0
	v_perm_b32 v1, v6, v22, s0
	;; [unrolled: 1-line block ×4, first 2 shown]
	ds_write_b128 v25, v[0:3] offset:32
	s_waitcnt lgkmcnt(0)
	s_barrier
	ds_read_u16 v25, v13 offset:512
	ds_read_u16 v24, v13 offset:1024
	;; [unrolled: 1-line block ×23, first 2 shown]
	v_mov_b32_e32 v1, s7
	v_add_co_u32_e32 v0, vcc, s6, v13
	v_addc_co_u32_e32 v1, vcc, 0, v1, vcc
	s_mov_b64 s[0:1], exec
	v_readlane_b32 s2, v73, 0
	v_readlane_b32 s3, v73, 1
	s_and_b64 s[2:3], s[0:1], s[2:3]
	s_mov_b64 exec, s[2:3]
	s_cbranch_execz .LBB516_186
; %bb.185:
	ds_read_u16 v13, v13
	s_waitcnt lgkmcnt(0)
	global_store_short v[0:1], v13, off
.LBB516_186:
	s_or_b64 exec, exec, s[0:1]
	s_mov_b64 s[0:1], exec
	v_readlane_b32 s2, v73, 2
	v_readlane_b32 s3, v73, 3
	s_and_b64 s[2:3], s[0:1], s[2:3]
	s_mov_b64 exec, s[2:3]
	s_cbranch_execz .LBB516_188
; %bb.187:
	s_waitcnt lgkmcnt(14)
	global_store_short v[0:1], v25, off offset:512
.LBB516_188:
	s_or_b64 exec, exec, s[0:1]
	s_mov_b64 s[0:1], exec
	v_readlane_b32 s2, v73, 4
	v_readlane_b32 s3, v73, 5
	s_and_b64 s[2:3], s[0:1], s[2:3]
	s_mov_b64 exec, s[2:3]
	s_cbranch_execz .LBB516_190
; %bb.189:
	s_waitcnt lgkmcnt(14)
	global_store_short v[0:1], v24, off offset:1024
.LBB516_190:
	;; [unrolled: 11-line block ×5, first 2 shown]
	s_or_b64 exec, exec, s[0:1]
	s_mov_b64 s[0:1], exec
	v_readlane_b32 s2, v73, 12
	v_readlane_b32 s3, v73, 13
	s_and_b64 s[2:3], s[0:1], s[2:3]
	s_mov_b64 exec, s[2:3]
	s_cbranch_execnz .LBB516_215
; %bb.197:
	s_or_b64 exec, exec, s[0:1]
	s_and_saveexec_b64 s[0:1], s[14:15]
	s_cbranch_execnz .LBB516_216
.LBB516_198:
	s_or_b64 exec, exec, s[0:1]
	s_and_saveexec_b64 s[0:1], s[16:17]
	s_cbranch_execnz .LBB516_217
.LBB516_199:
	s_or_b64 exec, exec, s[0:1]
	s_and_saveexec_b64 s[0:1], s[18:19]
	s_cbranch_execnz .LBB516_218
.LBB516_200:
	s_or_b64 exec, exec, s[0:1]
	s_and_saveexec_b64 s[0:1], s[20:21]
	s_cbranch_execnz .LBB516_219
.LBB516_201:
	s_or_b64 exec, exec, s[0:1]
	s_and_saveexec_b64 s[0:1], s[22:23]
	s_cbranch_execnz .LBB516_220
.LBB516_202:
	s_or_b64 exec, exec, s[0:1]
	s_and_saveexec_b64 s[0:1], s[24:25]
	s_cbranch_execnz .LBB516_221
.LBB516_203:
	s_or_b64 exec, exec, s[0:1]
	s_and_saveexec_b64 s[0:1], s[26:27]
	s_cbranch_execnz .LBB516_222
.LBB516_204:
	s_or_b64 exec, exec, s[0:1]
	s_and_saveexec_b64 s[0:1], s[28:29]
	s_cbranch_execnz .LBB516_223
.LBB516_205:
	s_or_b64 exec, exec, s[0:1]
	s_and_saveexec_b64 s[0:1], s[30:31]
	s_cbranch_execnz .LBB516_224
.LBB516_206:
	s_or_b64 exec, exec, s[0:1]
	s_and_saveexec_b64 s[0:1], s[34:35]
	s_cbranch_execnz .LBB516_225
.LBB516_207:
	s_or_b64 exec, exec, s[0:1]
	s_and_saveexec_b64 s[0:1], s[36:37]
	s_cbranch_execnz .LBB516_226
.LBB516_208:
	s_or_b64 exec, exec, s[0:1]
	s_and_saveexec_b64 s[0:1], s[38:39]
	s_cbranch_execnz .LBB516_227
.LBB516_209:
	s_or_b64 exec, exec, s[0:1]
	s_and_saveexec_b64 s[0:1], s[40:41]
	s_cbranch_execnz .LBB516_228
.LBB516_210:
	s_or_b64 exec, exec, s[0:1]
	s_and_saveexec_b64 s[0:1], s[42:43]
	s_cbranch_execnz .LBB516_229
.LBB516_211:
	s_or_b64 exec, exec, s[0:1]
	s_and_saveexec_b64 s[0:1], s[44:45]
	s_cbranch_execnz .LBB516_230
.LBB516_212:
	s_or_b64 exec, exec, s[0:1]
	s_and_saveexec_b64 s[0:1], s[46:47]
	s_cbranch_execnz .LBB516_231
.LBB516_213:
	s_or_b64 exec, exec, s[0:1]
	s_and_saveexec_b64 s[0:1], s[48:49]
	s_cbranch_execnz .LBB516_232
.LBB516_214:
	s_endpgm
.LBB516_215:
	s_waitcnt lgkmcnt(14)
	global_store_short v[0:1], v20, off offset:3072
	s_or_b64 exec, exec, s[0:1]
	s_and_saveexec_b64 s[0:1], s[14:15]
	s_cbranch_execz .LBB516_198
.LBB516_216:
	s_waitcnt lgkmcnt(14)
	global_store_short v[0:1], v19, off offset:3584
	s_or_b64 exec, exec, s[0:1]
	s_and_saveexec_b64 s[0:1], s[16:17]
	s_cbranch_execz .LBB516_199
.LBB516_217:
	s_waitcnt lgkmcnt(14)
	v_add_co_u32_e32 v19, vcc, 0x1000, v0
	v_addc_co_u32_e32 v20, vcc, 0, v1, vcc
	global_store_short v[19:20], v18, off
	s_or_b64 exec, exec, s[0:1]
	s_and_saveexec_b64 s[0:1], s[18:19]
	s_cbranch_execz .LBB516_200
.LBB516_218:
	s_waitcnt lgkmcnt(14)
	v_add_co_u32_e32 v18, vcc, 0x1000, v0
	v_addc_co_u32_e32 v19, vcc, 0, v1, vcc
	global_store_short v[18:19], v17, off offset:512
	s_or_b64 exec, exec, s[0:1]
	s_and_saveexec_b64 s[0:1], s[20:21]
	s_cbranch_execz .LBB516_201
.LBB516_219:
	s_waitcnt lgkmcnt(14)
	v_add_co_u32_e32 v17, vcc, 0x1000, v0
	v_addc_co_u32_e32 v18, vcc, 0, v1, vcc
	s_waitcnt lgkmcnt(13)
	global_store_short v[17:18], v16, off offset:1024
	s_or_b64 exec, exec, s[0:1]
	s_and_saveexec_b64 s[0:1], s[22:23]
	s_cbranch_execz .LBB516_202
.LBB516_220:
	s_waitcnt lgkmcnt(13)
	v_add_co_u32_e32 v16, vcc, 0x1000, v0
	v_addc_co_u32_e32 v17, vcc, 0, v1, vcc
	s_waitcnt lgkmcnt(12)
	global_store_short v[16:17], v15, off offset:1536
	s_or_b64 exec, exec, s[0:1]
	s_and_saveexec_b64 s[0:1], s[24:25]
	s_cbranch_execz .LBB516_203
.LBB516_221:
	s_waitcnt lgkmcnt(12)
	v_add_co_u32_e32 v15, vcc, 0x1000, v0
	v_addc_co_u32_e32 v16, vcc, 0, v1, vcc
	s_waitcnt lgkmcnt(11)
	global_store_short v[15:16], v14, off offset:2048
	s_or_b64 exec, exec, s[0:1]
	s_and_saveexec_b64 s[0:1], s[26:27]
	s_cbranch_execz .LBB516_204
.LBB516_222:
	v_add_co_u32_e32 v13, vcc, 0x1000, v0
	s_waitcnt lgkmcnt(11)
	v_addc_co_u32_e32 v14, vcc, 0, v1, vcc
	s_waitcnt lgkmcnt(10)
	global_store_short v[13:14], v12, off offset:2560
	s_or_b64 exec, exec, s[0:1]
	s_and_saveexec_b64 s[0:1], s[28:29]
	s_cbranch_execz .LBB516_205
.LBB516_223:
	s_waitcnt lgkmcnt(10)
	v_add_co_u32_e32 v12, vcc, 0x1000, v0
	v_addc_co_u32_e32 v13, vcc, 0, v1, vcc
	s_waitcnt lgkmcnt(9)
	global_store_short v[12:13], v11, off offset:3072
	s_or_b64 exec, exec, s[0:1]
	s_and_saveexec_b64 s[0:1], s[30:31]
	s_cbranch_execz .LBB516_206
.LBB516_224:
	s_waitcnt lgkmcnt(9)
	v_add_co_u32_e32 v11, vcc, 0x1000, v0
	v_addc_co_u32_e32 v12, vcc, 0, v1, vcc
	s_waitcnt lgkmcnt(8)
	global_store_short v[11:12], v10, off offset:3584
	s_or_b64 exec, exec, s[0:1]
	s_and_saveexec_b64 s[0:1], s[34:35]
	s_cbranch_execz .LBB516_207
.LBB516_225:
	s_waitcnt lgkmcnt(8)
	v_add_co_u32_e32 v10, vcc, 0x2000, v0
	v_addc_co_u32_e32 v11, vcc, 0, v1, vcc
	s_waitcnt lgkmcnt(7)
	global_store_short v[10:11], v9, off
	s_or_b64 exec, exec, s[0:1]
	s_and_saveexec_b64 s[0:1], s[36:37]
	s_cbranch_execz .LBB516_208
.LBB516_226:
	s_waitcnt lgkmcnt(7)
	v_add_co_u32_e32 v9, vcc, 0x2000, v0
	v_addc_co_u32_e32 v10, vcc, 0, v1, vcc
	s_waitcnt lgkmcnt(6)
	global_store_short v[9:10], v8, off offset:512
	s_or_b64 exec, exec, s[0:1]
	s_and_saveexec_b64 s[0:1], s[38:39]
	s_cbranch_execz .LBB516_209
.LBB516_227:
	s_waitcnt lgkmcnt(6)
	v_add_co_u32_e32 v8, vcc, 0x2000, v0
	v_addc_co_u32_e32 v9, vcc, 0, v1, vcc
	s_waitcnt lgkmcnt(5)
	global_store_short v[8:9], v7, off offset:1024
	s_or_b64 exec, exec, s[0:1]
	s_and_saveexec_b64 s[0:1], s[40:41]
	s_cbranch_execz .LBB516_210
.LBB516_228:
	s_waitcnt lgkmcnt(5)
	v_add_co_u32_e32 v7, vcc, 0x2000, v0
	v_addc_co_u32_e32 v8, vcc, 0, v1, vcc
	s_waitcnt lgkmcnt(4)
	global_store_short v[7:8], v6, off offset:1536
	s_or_b64 exec, exec, s[0:1]
	s_and_saveexec_b64 s[0:1], s[42:43]
	s_cbranch_execz .LBB516_211
.LBB516_229:
	s_waitcnt lgkmcnt(4)
	v_add_co_u32_e32 v6, vcc, 0x2000, v0
	v_addc_co_u32_e32 v7, vcc, 0, v1, vcc
	s_waitcnt lgkmcnt(3)
	global_store_short v[6:7], v5, off offset:2048
	s_or_b64 exec, exec, s[0:1]
	s_and_saveexec_b64 s[0:1], s[44:45]
	s_cbranch_execz .LBB516_212
.LBB516_230:
	s_waitcnt lgkmcnt(3)
	v_add_co_u32_e32 v5, vcc, 0x2000, v0
	v_addc_co_u32_e32 v6, vcc, 0, v1, vcc
	s_waitcnt lgkmcnt(2)
	global_store_short v[5:6], v4, off offset:2560
	s_or_b64 exec, exec, s[0:1]
	s_and_saveexec_b64 s[0:1], s[46:47]
	s_cbranch_execz .LBB516_213
.LBB516_231:
	s_waitcnt lgkmcnt(2)
	v_add_co_u32_e32 v4, vcc, 0x2000, v0
	v_addc_co_u32_e32 v5, vcc, 0, v1, vcc
	s_waitcnt lgkmcnt(1)
	global_store_short v[4:5], v3, off offset:3072
	s_or_b64 exec, exec, s[0:1]
	s_and_saveexec_b64 s[0:1], s[48:49]
	s_cbranch_execz .LBB516_214
.LBB516_232:
	v_add_co_u32_e32 v0, vcc, 0x2000, v0
	v_addc_co_u32_e32 v1, vcc, 0, v1, vcc
	s_waitcnt lgkmcnt(0)
	global_store_short v[0:1], v2, off offset:3584
	s_endpgm
	.section	.rodata,"a",@progbits
	.p2align	6, 0x0
	.amdhsa_kernel _ZN7rocprim17ROCPRIM_400000_NS6detail17trampoline_kernelINS0_14default_configENS1_20scan_config_selectorIN3c108BFloat16EEEZZNS1_9scan_implILNS1_25lookback_scan_determinismE0ELb0ELb0ES3_PKS6_PS6_S6_ZZZN2at6native31launch_logcumsumexp_cuda_kernelERKNSD_10TensorBaseESH_lENKUlvE_clEvENKUlvE4_clEvEUlS6_S6_E_S6_EEDaPvRmT3_T4_T5_mT6_P12ihipStream_tbENKUlT_T0_E_clISt17integral_constantIbLb0EESX_IbLb1EEEEDaST_SU_EUlST_E0_NS1_11comp_targetILNS1_3genE2ELNS1_11target_archE906ELNS1_3gpuE6ELNS1_3repE0EEENS1_30default_config_static_selectorELNS0_4arch9wavefront6targetE1EEEvT1_
		.amdhsa_group_segment_fixed_size 12288
		.amdhsa_private_segment_fixed_size 0
		.amdhsa_kernarg_size 32
		.amdhsa_user_sgpr_count 6
		.amdhsa_user_sgpr_private_segment_buffer 1
		.amdhsa_user_sgpr_dispatch_ptr 0
		.amdhsa_user_sgpr_queue_ptr 0
		.amdhsa_user_sgpr_kernarg_segment_ptr 1
		.amdhsa_user_sgpr_dispatch_id 0
		.amdhsa_user_sgpr_flat_scratch_init 0
		.amdhsa_user_sgpr_private_segment_size 0
		.amdhsa_uses_dynamic_stack 0
		.amdhsa_system_sgpr_private_segment_wavefront_offset 0
		.amdhsa_system_sgpr_workgroup_id_x 1
		.amdhsa_system_sgpr_workgroup_id_y 0
		.amdhsa_system_sgpr_workgroup_id_z 0
		.amdhsa_system_sgpr_workgroup_info 0
		.amdhsa_system_vgpr_workitem_id 0
		.amdhsa_next_free_vgpr 74
		.amdhsa_next_free_sgpr 98
		.amdhsa_reserve_vcc 1
		.amdhsa_reserve_flat_scratch 0
		.amdhsa_float_round_mode_32 0
		.amdhsa_float_round_mode_16_64 0
		.amdhsa_float_denorm_mode_32 3
		.amdhsa_float_denorm_mode_16_64 3
		.amdhsa_dx10_clamp 1
		.amdhsa_ieee_mode 1
		.amdhsa_fp16_overflow 0
		.amdhsa_exception_fp_ieee_invalid_op 0
		.amdhsa_exception_fp_denorm_src 0
		.amdhsa_exception_fp_ieee_div_zero 0
		.amdhsa_exception_fp_ieee_overflow 0
		.amdhsa_exception_fp_ieee_underflow 0
		.amdhsa_exception_fp_ieee_inexact 0
		.amdhsa_exception_int_div_zero 0
	.end_amdhsa_kernel
	.section	.text._ZN7rocprim17ROCPRIM_400000_NS6detail17trampoline_kernelINS0_14default_configENS1_20scan_config_selectorIN3c108BFloat16EEEZZNS1_9scan_implILNS1_25lookback_scan_determinismE0ELb0ELb0ES3_PKS6_PS6_S6_ZZZN2at6native31launch_logcumsumexp_cuda_kernelERKNSD_10TensorBaseESH_lENKUlvE_clEvENKUlvE4_clEvEUlS6_S6_E_S6_EEDaPvRmT3_T4_T5_mT6_P12ihipStream_tbENKUlT_T0_E_clISt17integral_constantIbLb0EESX_IbLb1EEEEDaST_SU_EUlST_E0_NS1_11comp_targetILNS1_3genE2ELNS1_11target_archE906ELNS1_3gpuE6ELNS1_3repE0EEENS1_30default_config_static_selectorELNS0_4arch9wavefront6targetE1EEEvT1_,"axG",@progbits,_ZN7rocprim17ROCPRIM_400000_NS6detail17trampoline_kernelINS0_14default_configENS1_20scan_config_selectorIN3c108BFloat16EEEZZNS1_9scan_implILNS1_25lookback_scan_determinismE0ELb0ELb0ES3_PKS6_PS6_S6_ZZZN2at6native31launch_logcumsumexp_cuda_kernelERKNSD_10TensorBaseESH_lENKUlvE_clEvENKUlvE4_clEvEUlS6_S6_E_S6_EEDaPvRmT3_T4_T5_mT6_P12ihipStream_tbENKUlT_T0_E_clISt17integral_constantIbLb0EESX_IbLb1EEEEDaST_SU_EUlST_E0_NS1_11comp_targetILNS1_3genE2ELNS1_11target_archE906ELNS1_3gpuE6ELNS1_3repE0EEENS1_30default_config_static_selectorELNS0_4arch9wavefront6targetE1EEEvT1_,comdat
.Lfunc_end516:
	.size	_ZN7rocprim17ROCPRIM_400000_NS6detail17trampoline_kernelINS0_14default_configENS1_20scan_config_selectorIN3c108BFloat16EEEZZNS1_9scan_implILNS1_25lookback_scan_determinismE0ELb0ELb0ES3_PKS6_PS6_S6_ZZZN2at6native31launch_logcumsumexp_cuda_kernelERKNSD_10TensorBaseESH_lENKUlvE_clEvENKUlvE4_clEvEUlS6_S6_E_S6_EEDaPvRmT3_T4_T5_mT6_P12ihipStream_tbENKUlT_T0_E_clISt17integral_constantIbLb0EESX_IbLb1EEEEDaST_SU_EUlST_E0_NS1_11comp_targetILNS1_3genE2ELNS1_11target_archE906ELNS1_3gpuE6ELNS1_3repE0EEENS1_30default_config_static_selectorELNS0_4arch9wavefront6targetE1EEEvT1_, .Lfunc_end516-_ZN7rocprim17ROCPRIM_400000_NS6detail17trampoline_kernelINS0_14default_configENS1_20scan_config_selectorIN3c108BFloat16EEEZZNS1_9scan_implILNS1_25lookback_scan_determinismE0ELb0ELb0ES3_PKS6_PS6_S6_ZZZN2at6native31launch_logcumsumexp_cuda_kernelERKNSD_10TensorBaseESH_lENKUlvE_clEvENKUlvE4_clEvEUlS6_S6_E_S6_EEDaPvRmT3_T4_T5_mT6_P12ihipStream_tbENKUlT_T0_E_clISt17integral_constantIbLb0EESX_IbLb1EEEEDaST_SU_EUlST_E0_NS1_11comp_targetILNS1_3genE2ELNS1_11target_archE906ELNS1_3gpuE6ELNS1_3repE0EEENS1_30default_config_static_selectorELNS0_4arch9wavefront6targetE1EEEvT1_
                                        ; -- End function
	.set _ZN7rocprim17ROCPRIM_400000_NS6detail17trampoline_kernelINS0_14default_configENS1_20scan_config_selectorIN3c108BFloat16EEEZZNS1_9scan_implILNS1_25lookback_scan_determinismE0ELb0ELb0ES3_PKS6_PS6_S6_ZZZN2at6native31launch_logcumsumexp_cuda_kernelERKNSD_10TensorBaseESH_lENKUlvE_clEvENKUlvE4_clEvEUlS6_S6_E_S6_EEDaPvRmT3_T4_T5_mT6_P12ihipStream_tbENKUlT_T0_E_clISt17integral_constantIbLb0EESX_IbLb1EEEEDaST_SU_EUlST_E0_NS1_11comp_targetILNS1_3genE2ELNS1_11target_archE906ELNS1_3gpuE6ELNS1_3repE0EEENS1_30default_config_static_selectorELNS0_4arch9wavefront6targetE1EEEvT1_.num_vgpr, 74
	.set _ZN7rocprim17ROCPRIM_400000_NS6detail17trampoline_kernelINS0_14default_configENS1_20scan_config_selectorIN3c108BFloat16EEEZZNS1_9scan_implILNS1_25lookback_scan_determinismE0ELb0ELb0ES3_PKS6_PS6_S6_ZZZN2at6native31launch_logcumsumexp_cuda_kernelERKNSD_10TensorBaseESH_lENKUlvE_clEvENKUlvE4_clEvEUlS6_S6_E_S6_EEDaPvRmT3_T4_T5_mT6_P12ihipStream_tbENKUlT_T0_E_clISt17integral_constantIbLb0EESX_IbLb1EEEEDaST_SU_EUlST_E0_NS1_11comp_targetILNS1_3genE2ELNS1_11target_archE906ELNS1_3gpuE6ELNS1_3repE0EEENS1_30default_config_static_selectorELNS0_4arch9wavefront6targetE1EEEvT1_.num_agpr, 0
	.set _ZN7rocprim17ROCPRIM_400000_NS6detail17trampoline_kernelINS0_14default_configENS1_20scan_config_selectorIN3c108BFloat16EEEZZNS1_9scan_implILNS1_25lookback_scan_determinismE0ELb0ELb0ES3_PKS6_PS6_S6_ZZZN2at6native31launch_logcumsumexp_cuda_kernelERKNSD_10TensorBaseESH_lENKUlvE_clEvENKUlvE4_clEvEUlS6_S6_E_S6_EEDaPvRmT3_T4_T5_mT6_P12ihipStream_tbENKUlT_T0_E_clISt17integral_constantIbLb0EESX_IbLb1EEEEDaST_SU_EUlST_E0_NS1_11comp_targetILNS1_3genE2ELNS1_11target_archE906ELNS1_3gpuE6ELNS1_3repE0EEENS1_30default_config_static_selectorELNS0_4arch9wavefront6targetE1EEEvT1_.numbered_sgpr, 96
	.set _ZN7rocprim17ROCPRIM_400000_NS6detail17trampoline_kernelINS0_14default_configENS1_20scan_config_selectorIN3c108BFloat16EEEZZNS1_9scan_implILNS1_25lookback_scan_determinismE0ELb0ELb0ES3_PKS6_PS6_S6_ZZZN2at6native31launch_logcumsumexp_cuda_kernelERKNSD_10TensorBaseESH_lENKUlvE_clEvENKUlvE4_clEvEUlS6_S6_E_S6_EEDaPvRmT3_T4_T5_mT6_P12ihipStream_tbENKUlT_T0_E_clISt17integral_constantIbLb0EESX_IbLb1EEEEDaST_SU_EUlST_E0_NS1_11comp_targetILNS1_3genE2ELNS1_11target_archE906ELNS1_3gpuE6ELNS1_3repE0EEENS1_30default_config_static_selectorELNS0_4arch9wavefront6targetE1EEEvT1_.num_named_barrier, 0
	.set _ZN7rocprim17ROCPRIM_400000_NS6detail17trampoline_kernelINS0_14default_configENS1_20scan_config_selectorIN3c108BFloat16EEEZZNS1_9scan_implILNS1_25lookback_scan_determinismE0ELb0ELb0ES3_PKS6_PS6_S6_ZZZN2at6native31launch_logcumsumexp_cuda_kernelERKNSD_10TensorBaseESH_lENKUlvE_clEvENKUlvE4_clEvEUlS6_S6_E_S6_EEDaPvRmT3_T4_T5_mT6_P12ihipStream_tbENKUlT_T0_E_clISt17integral_constantIbLb0EESX_IbLb1EEEEDaST_SU_EUlST_E0_NS1_11comp_targetILNS1_3genE2ELNS1_11target_archE906ELNS1_3gpuE6ELNS1_3repE0EEENS1_30default_config_static_selectorELNS0_4arch9wavefront6targetE1EEEvT1_.private_seg_size, 0
	.set _ZN7rocprim17ROCPRIM_400000_NS6detail17trampoline_kernelINS0_14default_configENS1_20scan_config_selectorIN3c108BFloat16EEEZZNS1_9scan_implILNS1_25lookback_scan_determinismE0ELb0ELb0ES3_PKS6_PS6_S6_ZZZN2at6native31launch_logcumsumexp_cuda_kernelERKNSD_10TensorBaseESH_lENKUlvE_clEvENKUlvE4_clEvEUlS6_S6_E_S6_EEDaPvRmT3_T4_T5_mT6_P12ihipStream_tbENKUlT_T0_E_clISt17integral_constantIbLb0EESX_IbLb1EEEEDaST_SU_EUlST_E0_NS1_11comp_targetILNS1_3genE2ELNS1_11target_archE906ELNS1_3gpuE6ELNS1_3repE0EEENS1_30default_config_static_selectorELNS0_4arch9wavefront6targetE1EEEvT1_.uses_vcc, 1
	.set _ZN7rocprim17ROCPRIM_400000_NS6detail17trampoline_kernelINS0_14default_configENS1_20scan_config_selectorIN3c108BFloat16EEEZZNS1_9scan_implILNS1_25lookback_scan_determinismE0ELb0ELb0ES3_PKS6_PS6_S6_ZZZN2at6native31launch_logcumsumexp_cuda_kernelERKNSD_10TensorBaseESH_lENKUlvE_clEvENKUlvE4_clEvEUlS6_S6_E_S6_EEDaPvRmT3_T4_T5_mT6_P12ihipStream_tbENKUlT_T0_E_clISt17integral_constantIbLb0EESX_IbLb1EEEEDaST_SU_EUlST_E0_NS1_11comp_targetILNS1_3genE2ELNS1_11target_archE906ELNS1_3gpuE6ELNS1_3repE0EEENS1_30default_config_static_selectorELNS0_4arch9wavefront6targetE1EEEvT1_.uses_flat_scratch, 0
	.set _ZN7rocprim17ROCPRIM_400000_NS6detail17trampoline_kernelINS0_14default_configENS1_20scan_config_selectorIN3c108BFloat16EEEZZNS1_9scan_implILNS1_25lookback_scan_determinismE0ELb0ELb0ES3_PKS6_PS6_S6_ZZZN2at6native31launch_logcumsumexp_cuda_kernelERKNSD_10TensorBaseESH_lENKUlvE_clEvENKUlvE4_clEvEUlS6_S6_E_S6_EEDaPvRmT3_T4_T5_mT6_P12ihipStream_tbENKUlT_T0_E_clISt17integral_constantIbLb0EESX_IbLb1EEEEDaST_SU_EUlST_E0_NS1_11comp_targetILNS1_3genE2ELNS1_11target_archE906ELNS1_3gpuE6ELNS1_3repE0EEENS1_30default_config_static_selectorELNS0_4arch9wavefront6targetE1EEEvT1_.has_dyn_sized_stack, 0
	.set _ZN7rocprim17ROCPRIM_400000_NS6detail17trampoline_kernelINS0_14default_configENS1_20scan_config_selectorIN3c108BFloat16EEEZZNS1_9scan_implILNS1_25lookback_scan_determinismE0ELb0ELb0ES3_PKS6_PS6_S6_ZZZN2at6native31launch_logcumsumexp_cuda_kernelERKNSD_10TensorBaseESH_lENKUlvE_clEvENKUlvE4_clEvEUlS6_S6_E_S6_EEDaPvRmT3_T4_T5_mT6_P12ihipStream_tbENKUlT_T0_E_clISt17integral_constantIbLb0EESX_IbLb1EEEEDaST_SU_EUlST_E0_NS1_11comp_targetILNS1_3genE2ELNS1_11target_archE906ELNS1_3gpuE6ELNS1_3repE0EEENS1_30default_config_static_selectorELNS0_4arch9wavefront6targetE1EEEvT1_.has_recursion, 0
	.set _ZN7rocprim17ROCPRIM_400000_NS6detail17trampoline_kernelINS0_14default_configENS1_20scan_config_selectorIN3c108BFloat16EEEZZNS1_9scan_implILNS1_25lookback_scan_determinismE0ELb0ELb0ES3_PKS6_PS6_S6_ZZZN2at6native31launch_logcumsumexp_cuda_kernelERKNSD_10TensorBaseESH_lENKUlvE_clEvENKUlvE4_clEvEUlS6_S6_E_S6_EEDaPvRmT3_T4_T5_mT6_P12ihipStream_tbENKUlT_T0_E_clISt17integral_constantIbLb0EESX_IbLb1EEEEDaST_SU_EUlST_E0_NS1_11comp_targetILNS1_3genE2ELNS1_11target_archE906ELNS1_3gpuE6ELNS1_3repE0EEENS1_30default_config_static_selectorELNS0_4arch9wavefront6targetE1EEEvT1_.has_indirect_call, 0
	.section	.AMDGPU.csdata,"",@progbits
; Kernel info:
; codeLenInByte = 48648
; TotalNumSgprs: 100
; NumVgprs: 74
; ScratchSize: 0
; MemoryBound: 0
; FloatMode: 240
; IeeeMode: 1
; LDSByteSize: 12288 bytes/workgroup (compile time only)
; SGPRBlocks: 12
; VGPRBlocks: 18
; NumSGPRsForWavesPerEU: 102
; NumVGPRsForWavesPerEU: 74
; Occupancy: 3
; WaveLimiterHint : 0
; COMPUTE_PGM_RSRC2:SCRATCH_EN: 0
; COMPUTE_PGM_RSRC2:USER_SGPR: 6
; COMPUTE_PGM_RSRC2:TRAP_HANDLER: 0
; COMPUTE_PGM_RSRC2:TGID_X_EN: 1
; COMPUTE_PGM_RSRC2:TGID_Y_EN: 0
; COMPUTE_PGM_RSRC2:TGID_Z_EN: 0
; COMPUTE_PGM_RSRC2:TIDIG_COMP_CNT: 0
	.section	.text._ZN7rocprim17ROCPRIM_400000_NS6detail17trampoline_kernelINS0_14default_configENS1_20scan_config_selectorIN3c108BFloat16EEEZZNS1_9scan_implILNS1_25lookback_scan_determinismE0ELb0ELb0ES3_PKS6_PS6_S6_ZZZN2at6native31launch_logcumsumexp_cuda_kernelERKNSD_10TensorBaseESH_lENKUlvE_clEvENKUlvE4_clEvEUlS6_S6_E_S6_EEDaPvRmT3_T4_T5_mT6_P12ihipStream_tbENKUlT_T0_E_clISt17integral_constantIbLb0EESX_IbLb1EEEEDaST_SU_EUlST_E0_NS1_11comp_targetILNS1_3genE10ELNS1_11target_archE1201ELNS1_3gpuE5ELNS1_3repE0EEENS1_30default_config_static_selectorELNS0_4arch9wavefront6targetE1EEEvT1_,"axG",@progbits,_ZN7rocprim17ROCPRIM_400000_NS6detail17trampoline_kernelINS0_14default_configENS1_20scan_config_selectorIN3c108BFloat16EEEZZNS1_9scan_implILNS1_25lookback_scan_determinismE0ELb0ELb0ES3_PKS6_PS6_S6_ZZZN2at6native31launch_logcumsumexp_cuda_kernelERKNSD_10TensorBaseESH_lENKUlvE_clEvENKUlvE4_clEvEUlS6_S6_E_S6_EEDaPvRmT3_T4_T5_mT6_P12ihipStream_tbENKUlT_T0_E_clISt17integral_constantIbLb0EESX_IbLb1EEEEDaST_SU_EUlST_E0_NS1_11comp_targetILNS1_3genE10ELNS1_11target_archE1201ELNS1_3gpuE5ELNS1_3repE0EEENS1_30default_config_static_selectorELNS0_4arch9wavefront6targetE1EEEvT1_,comdat
	.globl	_ZN7rocprim17ROCPRIM_400000_NS6detail17trampoline_kernelINS0_14default_configENS1_20scan_config_selectorIN3c108BFloat16EEEZZNS1_9scan_implILNS1_25lookback_scan_determinismE0ELb0ELb0ES3_PKS6_PS6_S6_ZZZN2at6native31launch_logcumsumexp_cuda_kernelERKNSD_10TensorBaseESH_lENKUlvE_clEvENKUlvE4_clEvEUlS6_S6_E_S6_EEDaPvRmT3_T4_T5_mT6_P12ihipStream_tbENKUlT_T0_E_clISt17integral_constantIbLb0EESX_IbLb1EEEEDaST_SU_EUlST_E0_NS1_11comp_targetILNS1_3genE10ELNS1_11target_archE1201ELNS1_3gpuE5ELNS1_3repE0EEENS1_30default_config_static_selectorELNS0_4arch9wavefront6targetE1EEEvT1_ ; -- Begin function _ZN7rocprim17ROCPRIM_400000_NS6detail17trampoline_kernelINS0_14default_configENS1_20scan_config_selectorIN3c108BFloat16EEEZZNS1_9scan_implILNS1_25lookback_scan_determinismE0ELb0ELb0ES3_PKS6_PS6_S6_ZZZN2at6native31launch_logcumsumexp_cuda_kernelERKNSD_10TensorBaseESH_lENKUlvE_clEvENKUlvE4_clEvEUlS6_S6_E_S6_EEDaPvRmT3_T4_T5_mT6_P12ihipStream_tbENKUlT_T0_E_clISt17integral_constantIbLb0EESX_IbLb1EEEEDaST_SU_EUlST_E0_NS1_11comp_targetILNS1_3genE10ELNS1_11target_archE1201ELNS1_3gpuE5ELNS1_3repE0EEENS1_30default_config_static_selectorELNS0_4arch9wavefront6targetE1EEEvT1_
	.p2align	8
	.type	_ZN7rocprim17ROCPRIM_400000_NS6detail17trampoline_kernelINS0_14default_configENS1_20scan_config_selectorIN3c108BFloat16EEEZZNS1_9scan_implILNS1_25lookback_scan_determinismE0ELb0ELb0ES3_PKS6_PS6_S6_ZZZN2at6native31launch_logcumsumexp_cuda_kernelERKNSD_10TensorBaseESH_lENKUlvE_clEvENKUlvE4_clEvEUlS6_S6_E_S6_EEDaPvRmT3_T4_T5_mT6_P12ihipStream_tbENKUlT_T0_E_clISt17integral_constantIbLb0EESX_IbLb1EEEEDaST_SU_EUlST_E0_NS1_11comp_targetILNS1_3genE10ELNS1_11target_archE1201ELNS1_3gpuE5ELNS1_3repE0EEENS1_30default_config_static_selectorELNS0_4arch9wavefront6targetE1EEEvT1_,@function
_ZN7rocprim17ROCPRIM_400000_NS6detail17trampoline_kernelINS0_14default_configENS1_20scan_config_selectorIN3c108BFloat16EEEZZNS1_9scan_implILNS1_25lookback_scan_determinismE0ELb0ELb0ES3_PKS6_PS6_S6_ZZZN2at6native31launch_logcumsumexp_cuda_kernelERKNSD_10TensorBaseESH_lENKUlvE_clEvENKUlvE4_clEvEUlS6_S6_E_S6_EEDaPvRmT3_T4_T5_mT6_P12ihipStream_tbENKUlT_T0_E_clISt17integral_constantIbLb0EESX_IbLb1EEEEDaST_SU_EUlST_E0_NS1_11comp_targetILNS1_3genE10ELNS1_11target_archE1201ELNS1_3gpuE5ELNS1_3repE0EEENS1_30default_config_static_selectorELNS0_4arch9wavefront6targetE1EEEvT1_: ; @_ZN7rocprim17ROCPRIM_400000_NS6detail17trampoline_kernelINS0_14default_configENS1_20scan_config_selectorIN3c108BFloat16EEEZZNS1_9scan_implILNS1_25lookback_scan_determinismE0ELb0ELb0ES3_PKS6_PS6_S6_ZZZN2at6native31launch_logcumsumexp_cuda_kernelERKNSD_10TensorBaseESH_lENKUlvE_clEvENKUlvE4_clEvEUlS6_S6_E_S6_EEDaPvRmT3_T4_T5_mT6_P12ihipStream_tbENKUlT_T0_E_clISt17integral_constantIbLb0EESX_IbLb1EEEEDaST_SU_EUlST_E0_NS1_11comp_targetILNS1_3genE10ELNS1_11target_archE1201ELNS1_3gpuE5ELNS1_3repE0EEENS1_30default_config_static_selectorELNS0_4arch9wavefront6targetE1EEEvT1_
; %bb.0:
	.section	.rodata,"a",@progbits
	.p2align	6, 0x0
	.amdhsa_kernel _ZN7rocprim17ROCPRIM_400000_NS6detail17trampoline_kernelINS0_14default_configENS1_20scan_config_selectorIN3c108BFloat16EEEZZNS1_9scan_implILNS1_25lookback_scan_determinismE0ELb0ELb0ES3_PKS6_PS6_S6_ZZZN2at6native31launch_logcumsumexp_cuda_kernelERKNSD_10TensorBaseESH_lENKUlvE_clEvENKUlvE4_clEvEUlS6_S6_E_S6_EEDaPvRmT3_T4_T5_mT6_P12ihipStream_tbENKUlT_T0_E_clISt17integral_constantIbLb0EESX_IbLb1EEEEDaST_SU_EUlST_E0_NS1_11comp_targetILNS1_3genE10ELNS1_11target_archE1201ELNS1_3gpuE5ELNS1_3repE0EEENS1_30default_config_static_selectorELNS0_4arch9wavefront6targetE1EEEvT1_
		.amdhsa_group_segment_fixed_size 0
		.amdhsa_private_segment_fixed_size 0
		.amdhsa_kernarg_size 32
		.amdhsa_user_sgpr_count 6
		.amdhsa_user_sgpr_private_segment_buffer 1
		.amdhsa_user_sgpr_dispatch_ptr 0
		.amdhsa_user_sgpr_queue_ptr 0
		.amdhsa_user_sgpr_kernarg_segment_ptr 1
		.amdhsa_user_sgpr_dispatch_id 0
		.amdhsa_user_sgpr_flat_scratch_init 0
		.amdhsa_user_sgpr_private_segment_size 0
		.amdhsa_uses_dynamic_stack 0
		.amdhsa_system_sgpr_private_segment_wavefront_offset 0
		.amdhsa_system_sgpr_workgroup_id_x 1
		.amdhsa_system_sgpr_workgroup_id_y 0
		.amdhsa_system_sgpr_workgroup_id_z 0
		.amdhsa_system_sgpr_workgroup_info 0
		.amdhsa_system_vgpr_workitem_id 0
		.amdhsa_next_free_vgpr 1
		.amdhsa_next_free_sgpr 0
		.amdhsa_reserve_vcc 0
		.amdhsa_reserve_flat_scratch 0
		.amdhsa_float_round_mode_32 0
		.amdhsa_float_round_mode_16_64 0
		.amdhsa_float_denorm_mode_32 3
		.amdhsa_float_denorm_mode_16_64 3
		.amdhsa_dx10_clamp 1
		.amdhsa_ieee_mode 1
		.amdhsa_fp16_overflow 0
		.amdhsa_exception_fp_ieee_invalid_op 0
		.amdhsa_exception_fp_denorm_src 0
		.amdhsa_exception_fp_ieee_div_zero 0
		.amdhsa_exception_fp_ieee_overflow 0
		.amdhsa_exception_fp_ieee_underflow 0
		.amdhsa_exception_fp_ieee_inexact 0
		.amdhsa_exception_int_div_zero 0
	.end_amdhsa_kernel
	.section	.text._ZN7rocprim17ROCPRIM_400000_NS6detail17trampoline_kernelINS0_14default_configENS1_20scan_config_selectorIN3c108BFloat16EEEZZNS1_9scan_implILNS1_25lookback_scan_determinismE0ELb0ELb0ES3_PKS6_PS6_S6_ZZZN2at6native31launch_logcumsumexp_cuda_kernelERKNSD_10TensorBaseESH_lENKUlvE_clEvENKUlvE4_clEvEUlS6_S6_E_S6_EEDaPvRmT3_T4_T5_mT6_P12ihipStream_tbENKUlT_T0_E_clISt17integral_constantIbLb0EESX_IbLb1EEEEDaST_SU_EUlST_E0_NS1_11comp_targetILNS1_3genE10ELNS1_11target_archE1201ELNS1_3gpuE5ELNS1_3repE0EEENS1_30default_config_static_selectorELNS0_4arch9wavefront6targetE1EEEvT1_,"axG",@progbits,_ZN7rocprim17ROCPRIM_400000_NS6detail17trampoline_kernelINS0_14default_configENS1_20scan_config_selectorIN3c108BFloat16EEEZZNS1_9scan_implILNS1_25lookback_scan_determinismE0ELb0ELb0ES3_PKS6_PS6_S6_ZZZN2at6native31launch_logcumsumexp_cuda_kernelERKNSD_10TensorBaseESH_lENKUlvE_clEvENKUlvE4_clEvEUlS6_S6_E_S6_EEDaPvRmT3_T4_T5_mT6_P12ihipStream_tbENKUlT_T0_E_clISt17integral_constantIbLb0EESX_IbLb1EEEEDaST_SU_EUlST_E0_NS1_11comp_targetILNS1_3genE10ELNS1_11target_archE1201ELNS1_3gpuE5ELNS1_3repE0EEENS1_30default_config_static_selectorELNS0_4arch9wavefront6targetE1EEEvT1_,comdat
.Lfunc_end517:
	.size	_ZN7rocprim17ROCPRIM_400000_NS6detail17trampoline_kernelINS0_14default_configENS1_20scan_config_selectorIN3c108BFloat16EEEZZNS1_9scan_implILNS1_25lookback_scan_determinismE0ELb0ELb0ES3_PKS6_PS6_S6_ZZZN2at6native31launch_logcumsumexp_cuda_kernelERKNSD_10TensorBaseESH_lENKUlvE_clEvENKUlvE4_clEvEUlS6_S6_E_S6_EEDaPvRmT3_T4_T5_mT6_P12ihipStream_tbENKUlT_T0_E_clISt17integral_constantIbLb0EESX_IbLb1EEEEDaST_SU_EUlST_E0_NS1_11comp_targetILNS1_3genE10ELNS1_11target_archE1201ELNS1_3gpuE5ELNS1_3repE0EEENS1_30default_config_static_selectorELNS0_4arch9wavefront6targetE1EEEvT1_, .Lfunc_end517-_ZN7rocprim17ROCPRIM_400000_NS6detail17trampoline_kernelINS0_14default_configENS1_20scan_config_selectorIN3c108BFloat16EEEZZNS1_9scan_implILNS1_25lookback_scan_determinismE0ELb0ELb0ES3_PKS6_PS6_S6_ZZZN2at6native31launch_logcumsumexp_cuda_kernelERKNSD_10TensorBaseESH_lENKUlvE_clEvENKUlvE4_clEvEUlS6_S6_E_S6_EEDaPvRmT3_T4_T5_mT6_P12ihipStream_tbENKUlT_T0_E_clISt17integral_constantIbLb0EESX_IbLb1EEEEDaST_SU_EUlST_E0_NS1_11comp_targetILNS1_3genE10ELNS1_11target_archE1201ELNS1_3gpuE5ELNS1_3repE0EEENS1_30default_config_static_selectorELNS0_4arch9wavefront6targetE1EEEvT1_
                                        ; -- End function
	.set _ZN7rocprim17ROCPRIM_400000_NS6detail17trampoline_kernelINS0_14default_configENS1_20scan_config_selectorIN3c108BFloat16EEEZZNS1_9scan_implILNS1_25lookback_scan_determinismE0ELb0ELb0ES3_PKS6_PS6_S6_ZZZN2at6native31launch_logcumsumexp_cuda_kernelERKNSD_10TensorBaseESH_lENKUlvE_clEvENKUlvE4_clEvEUlS6_S6_E_S6_EEDaPvRmT3_T4_T5_mT6_P12ihipStream_tbENKUlT_T0_E_clISt17integral_constantIbLb0EESX_IbLb1EEEEDaST_SU_EUlST_E0_NS1_11comp_targetILNS1_3genE10ELNS1_11target_archE1201ELNS1_3gpuE5ELNS1_3repE0EEENS1_30default_config_static_selectorELNS0_4arch9wavefront6targetE1EEEvT1_.num_vgpr, 0
	.set _ZN7rocprim17ROCPRIM_400000_NS6detail17trampoline_kernelINS0_14default_configENS1_20scan_config_selectorIN3c108BFloat16EEEZZNS1_9scan_implILNS1_25lookback_scan_determinismE0ELb0ELb0ES3_PKS6_PS6_S6_ZZZN2at6native31launch_logcumsumexp_cuda_kernelERKNSD_10TensorBaseESH_lENKUlvE_clEvENKUlvE4_clEvEUlS6_S6_E_S6_EEDaPvRmT3_T4_T5_mT6_P12ihipStream_tbENKUlT_T0_E_clISt17integral_constantIbLb0EESX_IbLb1EEEEDaST_SU_EUlST_E0_NS1_11comp_targetILNS1_3genE10ELNS1_11target_archE1201ELNS1_3gpuE5ELNS1_3repE0EEENS1_30default_config_static_selectorELNS0_4arch9wavefront6targetE1EEEvT1_.num_agpr, 0
	.set _ZN7rocprim17ROCPRIM_400000_NS6detail17trampoline_kernelINS0_14default_configENS1_20scan_config_selectorIN3c108BFloat16EEEZZNS1_9scan_implILNS1_25lookback_scan_determinismE0ELb0ELb0ES3_PKS6_PS6_S6_ZZZN2at6native31launch_logcumsumexp_cuda_kernelERKNSD_10TensorBaseESH_lENKUlvE_clEvENKUlvE4_clEvEUlS6_S6_E_S6_EEDaPvRmT3_T4_T5_mT6_P12ihipStream_tbENKUlT_T0_E_clISt17integral_constantIbLb0EESX_IbLb1EEEEDaST_SU_EUlST_E0_NS1_11comp_targetILNS1_3genE10ELNS1_11target_archE1201ELNS1_3gpuE5ELNS1_3repE0EEENS1_30default_config_static_selectorELNS0_4arch9wavefront6targetE1EEEvT1_.numbered_sgpr, 0
	.set _ZN7rocprim17ROCPRIM_400000_NS6detail17trampoline_kernelINS0_14default_configENS1_20scan_config_selectorIN3c108BFloat16EEEZZNS1_9scan_implILNS1_25lookback_scan_determinismE0ELb0ELb0ES3_PKS6_PS6_S6_ZZZN2at6native31launch_logcumsumexp_cuda_kernelERKNSD_10TensorBaseESH_lENKUlvE_clEvENKUlvE4_clEvEUlS6_S6_E_S6_EEDaPvRmT3_T4_T5_mT6_P12ihipStream_tbENKUlT_T0_E_clISt17integral_constantIbLb0EESX_IbLb1EEEEDaST_SU_EUlST_E0_NS1_11comp_targetILNS1_3genE10ELNS1_11target_archE1201ELNS1_3gpuE5ELNS1_3repE0EEENS1_30default_config_static_selectorELNS0_4arch9wavefront6targetE1EEEvT1_.num_named_barrier, 0
	.set _ZN7rocprim17ROCPRIM_400000_NS6detail17trampoline_kernelINS0_14default_configENS1_20scan_config_selectorIN3c108BFloat16EEEZZNS1_9scan_implILNS1_25lookback_scan_determinismE0ELb0ELb0ES3_PKS6_PS6_S6_ZZZN2at6native31launch_logcumsumexp_cuda_kernelERKNSD_10TensorBaseESH_lENKUlvE_clEvENKUlvE4_clEvEUlS6_S6_E_S6_EEDaPvRmT3_T4_T5_mT6_P12ihipStream_tbENKUlT_T0_E_clISt17integral_constantIbLb0EESX_IbLb1EEEEDaST_SU_EUlST_E0_NS1_11comp_targetILNS1_3genE10ELNS1_11target_archE1201ELNS1_3gpuE5ELNS1_3repE0EEENS1_30default_config_static_selectorELNS0_4arch9wavefront6targetE1EEEvT1_.private_seg_size, 0
	.set _ZN7rocprim17ROCPRIM_400000_NS6detail17trampoline_kernelINS0_14default_configENS1_20scan_config_selectorIN3c108BFloat16EEEZZNS1_9scan_implILNS1_25lookback_scan_determinismE0ELb0ELb0ES3_PKS6_PS6_S6_ZZZN2at6native31launch_logcumsumexp_cuda_kernelERKNSD_10TensorBaseESH_lENKUlvE_clEvENKUlvE4_clEvEUlS6_S6_E_S6_EEDaPvRmT3_T4_T5_mT6_P12ihipStream_tbENKUlT_T0_E_clISt17integral_constantIbLb0EESX_IbLb1EEEEDaST_SU_EUlST_E0_NS1_11comp_targetILNS1_3genE10ELNS1_11target_archE1201ELNS1_3gpuE5ELNS1_3repE0EEENS1_30default_config_static_selectorELNS0_4arch9wavefront6targetE1EEEvT1_.uses_vcc, 0
	.set _ZN7rocprim17ROCPRIM_400000_NS6detail17trampoline_kernelINS0_14default_configENS1_20scan_config_selectorIN3c108BFloat16EEEZZNS1_9scan_implILNS1_25lookback_scan_determinismE0ELb0ELb0ES3_PKS6_PS6_S6_ZZZN2at6native31launch_logcumsumexp_cuda_kernelERKNSD_10TensorBaseESH_lENKUlvE_clEvENKUlvE4_clEvEUlS6_S6_E_S6_EEDaPvRmT3_T4_T5_mT6_P12ihipStream_tbENKUlT_T0_E_clISt17integral_constantIbLb0EESX_IbLb1EEEEDaST_SU_EUlST_E0_NS1_11comp_targetILNS1_3genE10ELNS1_11target_archE1201ELNS1_3gpuE5ELNS1_3repE0EEENS1_30default_config_static_selectorELNS0_4arch9wavefront6targetE1EEEvT1_.uses_flat_scratch, 0
	.set _ZN7rocprim17ROCPRIM_400000_NS6detail17trampoline_kernelINS0_14default_configENS1_20scan_config_selectorIN3c108BFloat16EEEZZNS1_9scan_implILNS1_25lookback_scan_determinismE0ELb0ELb0ES3_PKS6_PS6_S6_ZZZN2at6native31launch_logcumsumexp_cuda_kernelERKNSD_10TensorBaseESH_lENKUlvE_clEvENKUlvE4_clEvEUlS6_S6_E_S6_EEDaPvRmT3_T4_T5_mT6_P12ihipStream_tbENKUlT_T0_E_clISt17integral_constantIbLb0EESX_IbLb1EEEEDaST_SU_EUlST_E0_NS1_11comp_targetILNS1_3genE10ELNS1_11target_archE1201ELNS1_3gpuE5ELNS1_3repE0EEENS1_30default_config_static_selectorELNS0_4arch9wavefront6targetE1EEEvT1_.has_dyn_sized_stack, 0
	.set _ZN7rocprim17ROCPRIM_400000_NS6detail17trampoline_kernelINS0_14default_configENS1_20scan_config_selectorIN3c108BFloat16EEEZZNS1_9scan_implILNS1_25lookback_scan_determinismE0ELb0ELb0ES3_PKS6_PS6_S6_ZZZN2at6native31launch_logcumsumexp_cuda_kernelERKNSD_10TensorBaseESH_lENKUlvE_clEvENKUlvE4_clEvEUlS6_S6_E_S6_EEDaPvRmT3_T4_T5_mT6_P12ihipStream_tbENKUlT_T0_E_clISt17integral_constantIbLb0EESX_IbLb1EEEEDaST_SU_EUlST_E0_NS1_11comp_targetILNS1_3genE10ELNS1_11target_archE1201ELNS1_3gpuE5ELNS1_3repE0EEENS1_30default_config_static_selectorELNS0_4arch9wavefront6targetE1EEEvT1_.has_recursion, 0
	.set _ZN7rocprim17ROCPRIM_400000_NS6detail17trampoline_kernelINS0_14default_configENS1_20scan_config_selectorIN3c108BFloat16EEEZZNS1_9scan_implILNS1_25lookback_scan_determinismE0ELb0ELb0ES3_PKS6_PS6_S6_ZZZN2at6native31launch_logcumsumexp_cuda_kernelERKNSD_10TensorBaseESH_lENKUlvE_clEvENKUlvE4_clEvEUlS6_S6_E_S6_EEDaPvRmT3_T4_T5_mT6_P12ihipStream_tbENKUlT_T0_E_clISt17integral_constantIbLb0EESX_IbLb1EEEEDaST_SU_EUlST_E0_NS1_11comp_targetILNS1_3genE10ELNS1_11target_archE1201ELNS1_3gpuE5ELNS1_3repE0EEENS1_30default_config_static_selectorELNS0_4arch9wavefront6targetE1EEEvT1_.has_indirect_call, 0
	.section	.AMDGPU.csdata,"",@progbits
; Kernel info:
; codeLenInByte = 0
; TotalNumSgprs: 4
; NumVgprs: 0
; ScratchSize: 0
; MemoryBound: 0
; FloatMode: 240
; IeeeMode: 1
; LDSByteSize: 0 bytes/workgroup (compile time only)
; SGPRBlocks: 0
; VGPRBlocks: 0
; NumSGPRsForWavesPerEU: 4
; NumVGPRsForWavesPerEU: 1
; Occupancy: 10
; WaveLimiterHint : 0
; COMPUTE_PGM_RSRC2:SCRATCH_EN: 0
; COMPUTE_PGM_RSRC2:USER_SGPR: 6
; COMPUTE_PGM_RSRC2:TRAP_HANDLER: 0
; COMPUTE_PGM_RSRC2:TGID_X_EN: 1
; COMPUTE_PGM_RSRC2:TGID_Y_EN: 0
; COMPUTE_PGM_RSRC2:TGID_Z_EN: 0
; COMPUTE_PGM_RSRC2:TIDIG_COMP_CNT: 0
	.section	.text._ZN7rocprim17ROCPRIM_400000_NS6detail17trampoline_kernelINS0_14default_configENS1_20scan_config_selectorIN3c108BFloat16EEEZZNS1_9scan_implILNS1_25lookback_scan_determinismE0ELb0ELb0ES3_PKS6_PS6_S6_ZZZN2at6native31launch_logcumsumexp_cuda_kernelERKNSD_10TensorBaseESH_lENKUlvE_clEvENKUlvE4_clEvEUlS6_S6_E_S6_EEDaPvRmT3_T4_T5_mT6_P12ihipStream_tbENKUlT_T0_E_clISt17integral_constantIbLb0EESX_IbLb1EEEEDaST_SU_EUlST_E0_NS1_11comp_targetILNS1_3genE10ELNS1_11target_archE1200ELNS1_3gpuE4ELNS1_3repE0EEENS1_30default_config_static_selectorELNS0_4arch9wavefront6targetE1EEEvT1_,"axG",@progbits,_ZN7rocprim17ROCPRIM_400000_NS6detail17trampoline_kernelINS0_14default_configENS1_20scan_config_selectorIN3c108BFloat16EEEZZNS1_9scan_implILNS1_25lookback_scan_determinismE0ELb0ELb0ES3_PKS6_PS6_S6_ZZZN2at6native31launch_logcumsumexp_cuda_kernelERKNSD_10TensorBaseESH_lENKUlvE_clEvENKUlvE4_clEvEUlS6_S6_E_S6_EEDaPvRmT3_T4_T5_mT6_P12ihipStream_tbENKUlT_T0_E_clISt17integral_constantIbLb0EESX_IbLb1EEEEDaST_SU_EUlST_E0_NS1_11comp_targetILNS1_3genE10ELNS1_11target_archE1200ELNS1_3gpuE4ELNS1_3repE0EEENS1_30default_config_static_selectorELNS0_4arch9wavefront6targetE1EEEvT1_,comdat
	.globl	_ZN7rocprim17ROCPRIM_400000_NS6detail17trampoline_kernelINS0_14default_configENS1_20scan_config_selectorIN3c108BFloat16EEEZZNS1_9scan_implILNS1_25lookback_scan_determinismE0ELb0ELb0ES3_PKS6_PS6_S6_ZZZN2at6native31launch_logcumsumexp_cuda_kernelERKNSD_10TensorBaseESH_lENKUlvE_clEvENKUlvE4_clEvEUlS6_S6_E_S6_EEDaPvRmT3_T4_T5_mT6_P12ihipStream_tbENKUlT_T0_E_clISt17integral_constantIbLb0EESX_IbLb1EEEEDaST_SU_EUlST_E0_NS1_11comp_targetILNS1_3genE10ELNS1_11target_archE1200ELNS1_3gpuE4ELNS1_3repE0EEENS1_30default_config_static_selectorELNS0_4arch9wavefront6targetE1EEEvT1_ ; -- Begin function _ZN7rocprim17ROCPRIM_400000_NS6detail17trampoline_kernelINS0_14default_configENS1_20scan_config_selectorIN3c108BFloat16EEEZZNS1_9scan_implILNS1_25lookback_scan_determinismE0ELb0ELb0ES3_PKS6_PS6_S6_ZZZN2at6native31launch_logcumsumexp_cuda_kernelERKNSD_10TensorBaseESH_lENKUlvE_clEvENKUlvE4_clEvEUlS6_S6_E_S6_EEDaPvRmT3_T4_T5_mT6_P12ihipStream_tbENKUlT_T0_E_clISt17integral_constantIbLb0EESX_IbLb1EEEEDaST_SU_EUlST_E0_NS1_11comp_targetILNS1_3genE10ELNS1_11target_archE1200ELNS1_3gpuE4ELNS1_3repE0EEENS1_30default_config_static_selectorELNS0_4arch9wavefront6targetE1EEEvT1_
	.p2align	8
	.type	_ZN7rocprim17ROCPRIM_400000_NS6detail17trampoline_kernelINS0_14default_configENS1_20scan_config_selectorIN3c108BFloat16EEEZZNS1_9scan_implILNS1_25lookback_scan_determinismE0ELb0ELb0ES3_PKS6_PS6_S6_ZZZN2at6native31launch_logcumsumexp_cuda_kernelERKNSD_10TensorBaseESH_lENKUlvE_clEvENKUlvE4_clEvEUlS6_S6_E_S6_EEDaPvRmT3_T4_T5_mT6_P12ihipStream_tbENKUlT_T0_E_clISt17integral_constantIbLb0EESX_IbLb1EEEEDaST_SU_EUlST_E0_NS1_11comp_targetILNS1_3genE10ELNS1_11target_archE1200ELNS1_3gpuE4ELNS1_3repE0EEENS1_30default_config_static_selectorELNS0_4arch9wavefront6targetE1EEEvT1_,@function
_ZN7rocprim17ROCPRIM_400000_NS6detail17trampoline_kernelINS0_14default_configENS1_20scan_config_selectorIN3c108BFloat16EEEZZNS1_9scan_implILNS1_25lookback_scan_determinismE0ELb0ELb0ES3_PKS6_PS6_S6_ZZZN2at6native31launch_logcumsumexp_cuda_kernelERKNSD_10TensorBaseESH_lENKUlvE_clEvENKUlvE4_clEvEUlS6_S6_E_S6_EEDaPvRmT3_T4_T5_mT6_P12ihipStream_tbENKUlT_T0_E_clISt17integral_constantIbLb0EESX_IbLb1EEEEDaST_SU_EUlST_E0_NS1_11comp_targetILNS1_3genE10ELNS1_11target_archE1200ELNS1_3gpuE4ELNS1_3repE0EEENS1_30default_config_static_selectorELNS0_4arch9wavefront6targetE1EEEvT1_: ; @_ZN7rocprim17ROCPRIM_400000_NS6detail17trampoline_kernelINS0_14default_configENS1_20scan_config_selectorIN3c108BFloat16EEEZZNS1_9scan_implILNS1_25lookback_scan_determinismE0ELb0ELb0ES3_PKS6_PS6_S6_ZZZN2at6native31launch_logcumsumexp_cuda_kernelERKNSD_10TensorBaseESH_lENKUlvE_clEvENKUlvE4_clEvEUlS6_S6_E_S6_EEDaPvRmT3_T4_T5_mT6_P12ihipStream_tbENKUlT_T0_E_clISt17integral_constantIbLb0EESX_IbLb1EEEEDaST_SU_EUlST_E0_NS1_11comp_targetILNS1_3genE10ELNS1_11target_archE1200ELNS1_3gpuE4ELNS1_3repE0EEENS1_30default_config_static_selectorELNS0_4arch9wavefront6targetE1EEEvT1_
; %bb.0:
	.section	.rodata,"a",@progbits
	.p2align	6, 0x0
	.amdhsa_kernel _ZN7rocprim17ROCPRIM_400000_NS6detail17trampoline_kernelINS0_14default_configENS1_20scan_config_selectorIN3c108BFloat16EEEZZNS1_9scan_implILNS1_25lookback_scan_determinismE0ELb0ELb0ES3_PKS6_PS6_S6_ZZZN2at6native31launch_logcumsumexp_cuda_kernelERKNSD_10TensorBaseESH_lENKUlvE_clEvENKUlvE4_clEvEUlS6_S6_E_S6_EEDaPvRmT3_T4_T5_mT6_P12ihipStream_tbENKUlT_T0_E_clISt17integral_constantIbLb0EESX_IbLb1EEEEDaST_SU_EUlST_E0_NS1_11comp_targetILNS1_3genE10ELNS1_11target_archE1200ELNS1_3gpuE4ELNS1_3repE0EEENS1_30default_config_static_selectorELNS0_4arch9wavefront6targetE1EEEvT1_
		.amdhsa_group_segment_fixed_size 0
		.amdhsa_private_segment_fixed_size 0
		.amdhsa_kernarg_size 32
		.amdhsa_user_sgpr_count 6
		.amdhsa_user_sgpr_private_segment_buffer 1
		.amdhsa_user_sgpr_dispatch_ptr 0
		.amdhsa_user_sgpr_queue_ptr 0
		.amdhsa_user_sgpr_kernarg_segment_ptr 1
		.amdhsa_user_sgpr_dispatch_id 0
		.amdhsa_user_sgpr_flat_scratch_init 0
		.amdhsa_user_sgpr_private_segment_size 0
		.amdhsa_uses_dynamic_stack 0
		.amdhsa_system_sgpr_private_segment_wavefront_offset 0
		.amdhsa_system_sgpr_workgroup_id_x 1
		.amdhsa_system_sgpr_workgroup_id_y 0
		.amdhsa_system_sgpr_workgroup_id_z 0
		.amdhsa_system_sgpr_workgroup_info 0
		.amdhsa_system_vgpr_workitem_id 0
		.amdhsa_next_free_vgpr 1
		.amdhsa_next_free_sgpr 0
		.amdhsa_reserve_vcc 0
		.amdhsa_reserve_flat_scratch 0
		.amdhsa_float_round_mode_32 0
		.amdhsa_float_round_mode_16_64 0
		.amdhsa_float_denorm_mode_32 3
		.amdhsa_float_denorm_mode_16_64 3
		.amdhsa_dx10_clamp 1
		.amdhsa_ieee_mode 1
		.amdhsa_fp16_overflow 0
		.amdhsa_exception_fp_ieee_invalid_op 0
		.amdhsa_exception_fp_denorm_src 0
		.amdhsa_exception_fp_ieee_div_zero 0
		.amdhsa_exception_fp_ieee_overflow 0
		.amdhsa_exception_fp_ieee_underflow 0
		.amdhsa_exception_fp_ieee_inexact 0
		.amdhsa_exception_int_div_zero 0
	.end_amdhsa_kernel
	.section	.text._ZN7rocprim17ROCPRIM_400000_NS6detail17trampoline_kernelINS0_14default_configENS1_20scan_config_selectorIN3c108BFloat16EEEZZNS1_9scan_implILNS1_25lookback_scan_determinismE0ELb0ELb0ES3_PKS6_PS6_S6_ZZZN2at6native31launch_logcumsumexp_cuda_kernelERKNSD_10TensorBaseESH_lENKUlvE_clEvENKUlvE4_clEvEUlS6_S6_E_S6_EEDaPvRmT3_T4_T5_mT6_P12ihipStream_tbENKUlT_T0_E_clISt17integral_constantIbLb0EESX_IbLb1EEEEDaST_SU_EUlST_E0_NS1_11comp_targetILNS1_3genE10ELNS1_11target_archE1200ELNS1_3gpuE4ELNS1_3repE0EEENS1_30default_config_static_selectorELNS0_4arch9wavefront6targetE1EEEvT1_,"axG",@progbits,_ZN7rocprim17ROCPRIM_400000_NS6detail17trampoline_kernelINS0_14default_configENS1_20scan_config_selectorIN3c108BFloat16EEEZZNS1_9scan_implILNS1_25lookback_scan_determinismE0ELb0ELb0ES3_PKS6_PS6_S6_ZZZN2at6native31launch_logcumsumexp_cuda_kernelERKNSD_10TensorBaseESH_lENKUlvE_clEvENKUlvE4_clEvEUlS6_S6_E_S6_EEDaPvRmT3_T4_T5_mT6_P12ihipStream_tbENKUlT_T0_E_clISt17integral_constantIbLb0EESX_IbLb1EEEEDaST_SU_EUlST_E0_NS1_11comp_targetILNS1_3genE10ELNS1_11target_archE1200ELNS1_3gpuE4ELNS1_3repE0EEENS1_30default_config_static_selectorELNS0_4arch9wavefront6targetE1EEEvT1_,comdat
.Lfunc_end518:
	.size	_ZN7rocprim17ROCPRIM_400000_NS6detail17trampoline_kernelINS0_14default_configENS1_20scan_config_selectorIN3c108BFloat16EEEZZNS1_9scan_implILNS1_25lookback_scan_determinismE0ELb0ELb0ES3_PKS6_PS6_S6_ZZZN2at6native31launch_logcumsumexp_cuda_kernelERKNSD_10TensorBaseESH_lENKUlvE_clEvENKUlvE4_clEvEUlS6_S6_E_S6_EEDaPvRmT3_T4_T5_mT6_P12ihipStream_tbENKUlT_T0_E_clISt17integral_constantIbLb0EESX_IbLb1EEEEDaST_SU_EUlST_E0_NS1_11comp_targetILNS1_3genE10ELNS1_11target_archE1200ELNS1_3gpuE4ELNS1_3repE0EEENS1_30default_config_static_selectorELNS0_4arch9wavefront6targetE1EEEvT1_, .Lfunc_end518-_ZN7rocprim17ROCPRIM_400000_NS6detail17trampoline_kernelINS0_14default_configENS1_20scan_config_selectorIN3c108BFloat16EEEZZNS1_9scan_implILNS1_25lookback_scan_determinismE0ELb0ELb0ES3_PKS6_PS6_S6_ZZZN2at6native31launch_logcumsumexp_cuda_kernelERKNSD_10TensorBaseESH_lENKUlvE_clEvENKUlvE4_clEvEUlS6_S6_E_S6_EEDaPvRmT3_T4_T5_mT6_P12ihipStream_tbENKUlT_T0_E_clISt17integral_constantIbLb0EESX_IbLb1EEEEDaST_SU_EUlST_E0_NS1_11comp_targetILNS1_3genE10ELNS1_11target_archE1200ELNS1_3gpuE4ELNS1_3repE0EEENS1_30default_config_static_selectorELNS0_4arch9wavefront6targetE1EEEvT1_
                                        ; -- End function
	.set _ZN7rocprim17ROCPRIM_400000_NS6detail17trampoline_kernelINS0_14default_configENS1_20scan_config_selectorIN3c108BFloat16EEEZZNS1_9scan_implILNS1_25lookback_scan_determinismE0ELb0ELb0ES3_PKS6_PS6_S6_ZZZN2at6native31launch_logcumsumexp_cuda_kernelERKNSD_10TensorBaseESH_lENKUlvE_clEvENKUlvE4_clEvEUlS6_S6_E_S6_EEDaPvRmT3_T4_T5_mT6_P12ihipStream_tbENKUlT_T0_E_clISt17integral_constantIbLb0EESX_IbLb1EEEEDaST_SU_EUlST_E0_NS1_11comp_targetILNS1_3genE10ELNS1_11target_archE1200ELNS1_3gpuE4ELNS1_3repE0EEENS1_30default_config_static_selectorELNS0_4arch9wavefront6targetE1EEEvT1_.num_vgpr, 0
	.set _ZN7rocprim17ROCPRIM_400000_NS6detail17trampoline_kernelINS0_14default_configENS1_20scan_config_selectorIN3c108BFloat16EEEZZNS1_9scan_implILNS1_25lookback_scan_determinismE0ELb0ELb0ES3_PKS6_PS6_S6_ZZZN2at6native31launch_logcumsumexp_cuda_kernelERKNSD_10TensorBaseESH_lENKUlvE_clEvENKUlvE4_clEvEUlS6_S6_E_S6_EEDaPvRmT3_T4_T5_mT6_P12ihipStream_tbENKUlT_T0_E_clISt17integral_constantIbLb0EESX_IbLb1EEEEDaST_SU_EUlST_E0_NS1_11comp_targetILNS1_3genE10ELNS1_11target_archE1200ELNS1_3gpuE4ELNS1_3repE0EEENS1_30default_config_static_selectorELNS0_4arch9wavefront6targetE1EEEvT1_.num_agpr, 0
	.set _ZN7rocprim17ROCPRIM_400000_NS6detail17trampoline_kernelINS0_14default_configENS1_20scan_config_selectorIN3c108BFloat16EEEZZNS1_9scan_implILNS1_25lookback_scan_determinismE0ELb0ELb0ES3_PKS6_PS6_S6_ZZZN2at6native31launch_logcumsumexp_cuda_kernelERKNSD_10TensorBaseESH_lENKUlvE_clEvENKUlvE4_clEvEUlS6_S6_E_S6_EEDaPvRmT3_T4_T5_mT6_P12ihipStream_tbENKUlT_T0_E_clISt17integral_constantIbLb0EESX_IbLb1EEEEDaST_SU_EUlST_E0_NS1_11comp_targetILNS1_3genE10ELNS1_11target_archE1200ELNS1_3gpuE4ELNS1_3repE0EEENS1_30default_config_static_selectorELNS0_4arch9wavefront6targetE1EEEvT1_.numbered_sgpr, 0
	.set _ZN7rocprim17ROCPRIM_400000_NS6detail17trampoline_kernelINS0_14default_configENS1_20scan_config_selectorIN3c108BFloat16EEEZZNS1_9scan_implILNS1_25lookback_scan_determinismE0ELb0ELb0ES3_PKS6_PS6_S6_ZZZN2at6native31launch_logcumsumexp_cuda_kernelERKNSD_10TensorBaseESH_lENKUlvE_clEvENKUlvE4_clEvEUlS6_S6_E_S6_EEDaPvRmT3_T4_T5_mT6_P12ihipStream_tbENKUlT_T0_E_clISt17integral_constantIbLb0EESX_IbLb1EEEEDaST_SU_EUlST_E0_NS1_11comp_targetILNS1_3genE10ELNS1_11target_archE1200ELNS1_3gpuE4ELNS1_3repE0EEENS1_30default_config_static_selectorELNS0_4arch9wavefront6targetE1EEEvT1_.num_named_barrier, 0
	.set _ZN7rocprim17ROCPRIM_400000_NS6detail17trampoline_kernelINS0_14default_configENS1_20scan_config_selectorIN3c108BFloat16EEEZZNS1_9scan_implILNS1_25lookback_scan_determinismE0ELb0ELb0ES3_PKS6_PS6_S6_ZZZN2at6native31launch_logcumsumexp_cuda_kernelERKNSD_10TensorBaseESH_lENKUlvE_clEvENKUlvE4_clEvEUlS6_S6_E_S6_EEDaPvRmT3_T4_T5_mT6_P12ihipStream_tbENKUlT_T0_E_clISt17integral_constantIbLb0EESX_IbLb1EEEEDaST_SU_EUlST_E0_NS1_11comp_targetILNS1_3genE10ELNS1_11target_archE1200ELNS1_3gpuE4ELNS1_3repE0EEENS1_30default_config_static_selectorELNS0_4arch9wavefront6targetE1EEEvT1_.private_seg_size, 0
	.set _ZN7rocprim17ROCPRIM_400000_NS6detail17trampoline_kernelINS0_14default_configENS1_20scan_config_selectorIN3c108BFloat16EEEZZNS1_9scan_implILNS1_25lookback_scan_determinismE0ELb0ELb0ES3_PKS6_PS6_S6_ZZZN2at6native31launch_logcumsumexp_cuda_kernelERKNSD_10TensorBaseESH_lENKUlvE_clEvENKUlvE4_clEvEUlS6_S6_E_S6_EEDaPvRmT3_T4_T5_mT6_P12ihipStream_tbENKUlT_T0_E_clISt17integral_constantIbLb0EESX_IbLb1EEEEDaST_SU_EUlST_E0_NS1_11comp_targetILNS1_3genE10ELNS1_11target_archE1200ELNS1_3gpuE4ELNS1_3repE0EEENS1_30default_config_static_selectorELNS0_4arch9wavefront6targetE1EEEvT1_.uses_vcc, 0
	.set _ZN7rocprim17ROCPRIM_400000_NS6detail17trampoline_kernelINS0_14default_configENS1_20scan_config_selectorIN3c108BFloat16EEEZZNS1_9scan_implILNS1_25lookback_scan_determinismE0ELb0ELb0ES3_PKS6_PS6_S6_ZZZN2at6native31launch_logcumsumexp_cuda_kernelERKNSD_10TensorBaseESH_lENKUlvE_clEvENKUlvE4_clEvEUlS6_S6_E_S6_EEDaPvRmT3_T4_T5_mT6_P12ihipStream_tbENKUlT_T0_E_clISt17integral_constantIbLb0EESX_IbLb1EEEEDaST_SU_EUlST_E0_NS1_11comp_targetILNS1_3genE10ELNS1_11target_archE1200ELNS1_3gpuE4ELNS1_3repE0EEENS1_30default_config_static_selectorELNS0_4arch9wavefront6targetE1EEEvT1_.uses_flat_scratch, 0
	.set _ZN7rocprim17ROCPRIM_400000_NS6detail17trampoline_kernelINS0_14default_configENS1_20scan_config_selectorIN3c108BFloat16EEEZZNS1_9scan_implILNS1_25lookback_scan_determinismE0ELb0ELb0ES3_PKS6_PS6_S6_ZZZN2at6native31launch_logcumsumexp_cuda_kernelERKNSD_10TensorBaseESH_lENKUlvE_clEvENKUlvE4_clEvEUlS6_S6_E_S6_EEDaPvRmT3_T4_T5_mT6_P12ihipStream_tbENKUlT_T0_E_clISt17integral_constantIbLb0EESX_IbLb1EEEEDaST_SU_EUlST_E0_NS1_11comp_targetILNS1_3genE10ELNS1_11target_archE1200ELNS1_3gpuE4ELNS1_3repE0EEENS1_30default_config_static_selectorELNS0_4arch9wavefront6targetE1EEEvT1_.has_dyn_sized_stack, 0
	.set _ZN7rocprim17ROCPRIM_400000_NS6detail17trampoline_kernelINS0_14default_configENS1_20scan_config_selectorIN3c108BFloat16EEEZZNS1_9scan_implILNS1_25lookback_scan_determinismE0ELb0ELb0ES3_PKS6_PS6_S6_ZZZN2at6native31launch_logcumsumexp_cuda_kernelERKNSD_10TensorBaseESH_lENKUlvE_clEvENKUlvE4_clEvEUlS6_S6_E_S6_EEDaPvRmT3_T4_T5_mT6_P12ihipStream_tbENKUlT_T0_E_clISt17integral_constantIbLb0EESX_IbLb1EEEEDaST_SU_EUlST_E0_NS1_11comp_targetILNS1_3genE10ELNS1_11target_archE1200ELNS1_3gpuE4ELNS1_3repE0EEENS1_30default_config_static_selectorELNS0_4arch9wavefront6targetE1EEEvT1_.has_recursion, 0
	.set _ZN7rocprim17ROCPRIM_400000_NS6detail17trampoline_kernelINS0_14default_configENS1_20scan_config_selectorIN3c108BFloat16EEEZZNS1_9scan_implILNS1_25lookback_scan_determinismE0ELb0ELb0ES3_PKS6_PS6_S6_ZZZN2at6native31launch_logcumsumexp_cuda_kernelERKNSD_10TensorBaseESH_lENKUlvE_clEvENKUlvE4_clEvEUlS6_S6_E_S6_EEDaPvRmT3_T4_T5_mT6_P12ihipStream_tbENKUlT_T0_E_clISt17integral_constantIbLb0EESX_IbLb1EEEEDaST_SU_EUlST_E0_NS1_11comp_targetILNS1_3genE10ELNS1_11target_archE1200ELNS1_3gpuE4ELNS1_3repE0EEENS1_30default_config_static_selectorELNS0_4arch9wavefront6targetE1EEEvT1_.has_indirect_call, 0
	.section	.AMDGPU.csdata,"",@progbits
; Kernel info:
; codeLenInByte = 0
; TotalNumSgprs: 4
; NumVgprs: 0
; ScratchSize: 0
; MemoryBound: 0
; FloatMode: 240
; IeeeMode: 1
; LDSByteSize: 0 bytes/workgroup (compile time only)
; SGPRBlocks: 0
; VGPRBlocks: 0
; NumSGPRsForWavesPerEU: 4
; NumVGPRsForWavesPerEU: 1
; Occupancy: 10
; WaveLimiterHint : 0
; COMPUTE_PGM_RSRC2:SCRATCH_EN: 0
; COMPUTE_PGM_RSRC2:USER_SGPR: 6
; COMPUTE_PGM_RSRC2:TRAP_HANDLER: 0
; COMPUTE_PGM_RSRC2:TGID_X_EN: 1
; COMPUTE_PGM_RSRC2:TGID_Y_EN: 0
; COMPUTE_PGM_RSRC2:TGID_Z_EN: 0
; COMPUTE_PGM_RSRC2:TIDIG_COMP_CNT: 0
	.section	.text._ZN7rocprim17ROCPRIM_400000_NS6detail17trampoline_kernelINS0_14default_configENS1_20scan_config_selectorIN3c108BFloat16EEEZZNS1_9scan_implILNS1_25lookback_scan_determinismE0ELb0ELb0ES3_PKS6_PS6_S6_ZZZN2at6native31launch_logcumsumexp_cuda_kernelERKNSD_10TensorBaseESH_lENKUlvE_clEvENKUlvE4_clEvEUlS6_S6_E_S6_EEDaPvRmT3_T4_T5_mT6_P12ihipStream_tbENKUlT_T0_E_clISt17integral_constantIbLb0EESX_IbLb1EEEEDaST_SU_EUlST_E0_NS1_11comp_targetILNS1_3genE9ELNS1_11target_archE1100ELNS1_3gpuE3ELNS1_3repE0EEENS1_30default_config_static_selectorELNS0_4arch9wavefront6targetE1EEEvT1_,"axG",@progbits,_ZN7rocprim17ROCPRIM_400000_NS6detail17trampoline_kernelINS0_14default_configENS1_20scan_config_selectorIN3c108BFloat16EEEZZNS1_9scan_implILNS1_25lookback_scan_determinismE0ELb0ELb0ES3_PKS6_PS6_S6_ZZZN2at6native31launch_logcumsumexp_cuda_kernelERKNSD_10TensorBaseESH_lENKUlvE_clEvENKUlvE4_clEvEUlS6_S6_E_S6_EEDaPvRmT3_T4_T5_mT6_P12ihipStream_tbENKUlT_T0_E_clISt17integral_constantIbLb0EESX_IbLb1EEEEDaST_SU_EUlST_E0_NS1_11comp_targetILNS1_3genE9ELNS1_11target_archE1100ELNS1_3gpuE3ELNS1_3repE0EEENS1_30default_config_static_selectorELNS0_4arch9wavefront6targetE1EEEvT1_,comdat
	.globl	_ZN7rocprim17ROCPRIM_400000_NS6detail17trampoline_kernelINS0_14default_configENS1_20scan_config_selectorIN3c108BFloat16EEEZZNS1_9scan_implILNS1_25lookback_scan_determinismE0ELb0ELb0ES3_PKS6_PS6_S6_ZZZN2at6native31launch_logcumsumexp_cuda_kernelERKNSD_10TensorBaseESH_lENKUlvE_clEvENKUlvE4_clEvEUlS6_S6_E_S6_EEDaPvRmT3_T4_T5_mT6_P12ihipStream_tbENKUlT_T0_E_clISt17integral_constantIbLb0EESX_IbLb1EEEEDaST_SU_EUlST_E0_NS1_11comp_targetILNS1_3genE9ELNS1_11target_archE1100ELNS1_3gpuE3ELNS1_3repE0EEENS1_30default_config_static_selectorELNS0_4arch9wavefront6targetE1EEEvT1_ ; -- Begin function _ZN7rocprim17ROCPRIM_400000_NS6detail17trampoline_kernelINS0_14default_configENS1_20scan_config_selectorIN3c108BFloat16EEEZZNS1_9scan_implILNS1_25lookback_scan_determinismE0ELb0ELb0ES3_PKS6_PS6_S6_ZZZN2at6native31launch_logcumsumexp_cuda_kernelERKNSD_10TensorBaseESH_lENKUlvE_clEvENKUlvE4_clEvEUlS6_S6_E_S6_EEDaPvRmT3_T4_T5_mT6_P12ihipStream_tbENKUlT_T0_E_clISt17integral_constantIbLb0EESX_IbLb1EEEEDaST_SU_EUlST_E0_NS1_11comp_targetILNS1_3genE9ELNS1_11target_archE1100ELNS1_3gpuE3ELNS1_3repE0EEENS1_30default_config_static_selectorELNS0_4arch9wavefront6targetE1EEEvT1_
	.p2align	8
	.type	_ZN7rocprim17ROCPRIM_400000_NS6detail17trampoline_kernelINS0_14default_configENS1_20scan_config_selectorIN3c108BFloat16EEEZZNS1_9scan_implILNS1_25lookback_scan_determinismE0ELb0ELb0ES3_PKS6_PS6_S6_ZZZN2at6native31launch_logcumsumexp_cuda_kernelERKNSD_10TensorBaseESH_lENKUlvE_clEvENKUlvE4_clEvEUlS6_S6_E_S6_EEDaPvRmT3_T4_T5_mT6_P12ihipStream_tbENKUlT_T0_E_clISt17integral_constantIbLb0EESX_IbLb1EEEEDaST_SU_EUlST_E0_NS1_11comp_targetILNS1_3genE9ELNS1_11target_archE1100ELNS1_3gpuE3ELNS1_3repE0EEENS1_30default_config_static_selectorELNS0_4arch9wavefront6targetE1EEEvT1_,@function
_ZN7rocprim17ROCPRIM_400000_NS6detail17trampoline_kernelINS0_14default_configENS1_20scan_config_selectorIN3c108BFloat16EEEZZNS1_9scan_implILNS1_25lookback_scan_determinismE0ELb0ELb0ES3_PKS6_PS6_S6_ZZZN2at6native31launch_logcumsumexp_cuda_kernelERKNSD_10TensorBaseESH_lENKUlvE_clEvENKUlvE4_clEvEUlS6_S6_E_S6_EEDaPvRmT3_T4_T5_mT6_P12ihipStream_tbENKUlT_T0_E_clISt17integral_constantIbLb0EESX_IbLb1EEEEDaST_SU_EUlST_E0_NS1_11comp_targetILNS1_3genE9ELNS1_11target_archE1100ELNS1_3gpuE3ELNS1_3repE0EEENS1_30default_config_static_selectorELNS0_4arch9wavefront6targetE1EEEvT1_: ; @_ZN7rocprim17ROCPRIM_400000_NS6detail17trampoline_kernelINS0_14default_configENS1_20scan_config_selectorIN3c108BFloat16EEEZZNS1_9scan_implILNS1_25lookback_scan_determinismE0ELb0ELb0ES3_PKS6_PS6_S6_ZZZN2at6native31launch_logcumsumexp_cuda_kernelERKNSD_10TensorBaseESH_lENKUlvE_clEvENKUlvE4_clEvEUlS6_S6_E_S6_EEDaPvRmT3_T4_T5_mT6_P12ihipStream_tbENKUlT_T0_E_clISt17integral_constantIbLb0EESX_IbLb1EEEEDaST_SU_EUlST_E0_NS1_11comp_targetILNS1_3genE9ELNS1_11target_archE1100ELNS1_3gpuE3ELNS1_3repE0EEENS1_30default_config_static_selectorELNS0_4arch9wavefront6targetE1EEEvT1_
; %bb.0:
	.section	.rodata,"a",@progbits
	.p2align	6, 0x0
	.amdhsa_kernel _ZN7rocprim17ROCPRIM_400000_NS6detail17trampoline_kernelINS0_14default_configENS1_20scan_config_selectorIN3c108BFloat16EEEZZNS1_9scan_implILNS1_25lookback_scan_determinismE0ELb0ELb0ES3_PKS6_PS6_S6_ZZZN2at6native31launch_logcumsumexp_cuda_kernelERKNSD_10TensorBaseESH_lENKUlvE_clEvENKUlvE4_clEvEUlS6_S6_E_S6_EEDaPvRmT3_T4_T5_mT6_P12ihipStream_tbENKUlT_T0_E_clISt17integral_constantIbLb0EESX_IbLb1EEEEDaST_SU_EUlST_E0_NS1_11comp_targetILNS1_3genE9ELNS1_11target_archE1100ELNS1_3gpuE3ELNS1_3repE0EEENS1_30default_config_static_selectorELNS0_4arch9wavefront6targetE1EEEvT1_
		.amdhsa_group_segment_fixed_size 0
		.amdhsa_private_segment_fixed_size 0
		.amdhsa_kernarg_size 32
		.amdhsa_user_sgpr_count 6
		.amdhsa_user_sgpr_private_segment_buffer 1
		.amdhsa_user_sgpr_dispatch_ptr 0
		.amdhsa_user_sgpr_queue_ptr 0
		.amdhsa_user_sgpr_kernarg_segment_ptr 1
		.amdhsa_user_sgpr_dispatch_id 0
		.amdhsa_user_sgpr_flat_scratch_init 0
		.amdhsa_user_sgpr_private_segment_size 0
		.amdhsa_uses_dynamic_stack 0
		.amdhsa_system_sgpr_private_segment_wavefront_offset 0
		.amdhsa_system_sgpr_workgroup_id_x 1
		.amdhsa_system_sgpr_workgroup_id_y 0
		.amdhsa_system_sgpr_workgroup_id_z 0
		.amdhsa_system_sgpr_workgroup_info 0
		.amdhsa_system_vgpr_workitem_id 0
		.amdhsa_next_free_vgpr 1
		.amdhsa_next_free_sgpr 0
		.amdhsa_reserve_vcc 0
		.amdhsa_reserve_flat_scratch 0
		.amdhsa_float_round_mode_32 0
		.amdhsa_float_round_mode_16_64 0
		.amdhsa_float_denorm_mode_32 3
		.amdhsa_float_denorm_mode_16_64 3
		.amdhsa_dx10_clamp 1
		.amdhsa_ieee_mode 1
		.amdhsa_fp16_overflow 0
		.amdhsa_exception_fp_ieee_invalid_op 0
		.amdhsa_exception_fp_denorm_src 0
		.amdhsa_exception_fp_ieee_div_zero 0
		.amdhsa_exception_fp_ieee_overflow 0
		.amdhsa_exception_fp_ieee_underflow 0
		.amdhsa_exception_fp_ieee_inexact 0
		.amdhsa_exception_int_div_zero 0
	.end_amdhsa_kernel
	.section	.text._ZN7rocprim17ROCPRIM_400000_NS6detail17trampoline_kernelINS0_14default_configENS1_20scan_config_selectorIN3c108BFloat16EEEZZNS1_9scan_implILNS1_25lookback_scan_determinismE0ELb0ELb0ES3_PKS6_PS6_S6_ZZZN2at6native31launch_logcumsumexp_cuda_kernelERKNSD_10TensorBaseESH_lENKUlvE_clEvENKUlvE4_clEvEUlS6_S6_E_S6_EEDaPvRmT3_T4_T5_mT6_P12ihipStream_tbENKUlT_T0_E_clISt17integral_constantIbLb0EESX_IbLb1EEEEDaST_SU_EUlST_E0_NS1_11comp_targetILNS1_3genE9ELNS1_11target_archE1100ELNS1_3gpuE3ELNS1_3repE0EEENS1_30default_config_static_selectorELNS0_4arch9wavefront6targetE1EEEvT1_,"axG",@progbits,_ZN7rocprim17ROCPRIM_400000_NS6detail17trampoline_kernelINS0_14default_configENS1_20scan_config_selectorIN3c108BFloat16EEEZZNS1_9scan_implILNS1_25lookback_scan_determinismE0ELb0ELb0ES3_PKS6_PS6_S6_ZZZN2at6native31launch_logcumsumexp_cuda_kernelERKNSD_10TensorBaseESH_lENKUlvE_clEvENKUlvE4_clEvEUlS6_S6_E_S6_EEDaPvRmT3_T4_T5_mT6_P12ihipStream_tbENKUlT_T0_E_clISt17integral_constantIbLb0EESX_IbLb1EEEEDaST_SU_EUlST_E0_NS1_11comp_targetILNS1_3genE9ELNS1_11target_archE1100ELNS1_3gpuE3ELNS1_3repE0EEENS1_30default_config_static_selectorELNS0_4arch9wavefront6targetE1EEEvT1_,comdat
.Lfunc_end519:
	.size	_ZN7rocprim17ROCPRIM_400000_NS6detail17trampoline_kernelINS0_14default_configENS1_20scan_config_selectorIN3c108BFloat16EEEZZNS1_9scan_implILNS1_25lookback_scan_determinismE0ELb0ELb0ES3_PKS6_PS6_S6_ZZZN2at6native31launch_logcumsumexp_cuda_kernelERKNSD_10TensorBaseESH_lENKUlvE_clEvENKUlvE4_clEvEUlS6_S6_E_S6_EEDaPvRmT3_T4_T5_mT6_P12ihipStream_tbENKUlT_T0_E_clISt17integral_constantIbLb0EESX_IbLb1EEEEDaST_SU_EUlST_E0_NS1_11comp_targetILNS1_3genE9ELNS1_11target_archE1100ELNS1_3gpuE3ELNS1_3repE0EEENS1_30default_config_static_selectorELNS0_4arch9wavefront6targetE1EEEvT1_, .Lfunc_end519-_ZN7rocprim17ROCPRIM_400000_NS6detail17trampoline_kernelINS0_14default_configENS1_20scan_config_selectorIN3c108BFloat16EEEZZNS1_9scan_implILNS1_25lookback_scan_determinismE0ELb0ELb0ES3_PKS6_PS6_S6_ZZZN2at6native31launch_logcumsumexp_cuda_kernelERKNSD_10TensorBaseESH_lENKUlvE_clEvENKUlvE4_clEvEUlS6_S6_E_S6_EEDaPvRmT3_T4_T5_mT6_P12ihipStream_tbENKUlT_T0_E_clISt17integral_constantIbLb0EESX_IbLb1EEEEDaST_SU_EUlST_E0_NS1_11comp_targetILNS1_3genE9ELNS1_11target_archE1100ELNS1_3gpuE3ELNS1_3repE0EEENS1_30default_config_static_selectorELNS0_4arch9wavefront6targetE1EEEvT1_
                                        ; -- End function
	.set _ZN7rocprim17ROCPRIM_400000_NS6detail17trampoline_kernelINS0_14default_configENS1_20scan_config_selectorIN3c108BFloat16EEEZZNS1_9scan_implILNS1_25lookback_scan_determinismE0ELb0ELb0ES3_PKS6_PS6_S6_ZZZN2at6native31launch_logcumsumexp_cuda_kernelERKNSD_10TensorBaseESH_lENKUlvE_clEvENKUlvE4_clEvEUlS6_S6_E_S6_EEDaPvRmT3_T4_T5_mT6_P12ihipStream_tbENKUlT_T0_E_clISt17integral_constantIbLb0EESX_IbLb1EEEEDaST_SU_EUlST_E0_NS1_11comp_targetILNS1_3genE9ELNS1_11target_archE1100ELNS1_3gpuE3ELNS1_3repE0EEENS1_30default_config_static_selectorELNS0_4arch9wavefront6targetE1EEEvT1_.num_vgpr, 0
	.set _ZN7rocprim17ROCPRIM_400000_NS6detail17trampoline_kernelINS0_14default_configENS1_20scan_config_selectorIN3c108BFloat16EEEZZNS1_9scan_implILNS1_25lookback_scan_determinismE0ELb0ELb0ES3_PKS6_PS6_S6_ZZZN2at6native31launch_logcumsumexp_cuda_kernelERKNSD_10TensorBaseESH_lENKUlvE_clEvENKUlvE4_clEvEUlS6_S6_E_S6_EEDaPvRmT3_T4_T5_mT6_P12ihipStream_tbENKUlT_T0_E_clISt17integral_constantIbLb0EESX_IbLb1EEEEDaST_SU_EUlST_E0_NS1_11comp_targetILNS1_3genE9ELNS1_11target_archE1100ELNS1_3gpuE3ELNS1_3repE0EEENS1_30default_config_static_selectorELNS0_4arch9wavefront6targetE1EEEvT1_.num_agpr, 0
	.set _ZN7rocprim17ROCPRIM_400000_NS6detail17trampoline_kernelINS0_14default_configENS1_20scan_config_selectorIN3c108BFloat16EEEZZNS1_9scan_implILNS1_25lookback_scan_determinismE0ELb0ELb0ES3_PKS6_PS6_S6_ZZZN2at6native31launch_logcumsumexp_cuda_kernelERKNSD_10TensorBaseESH_lENKUlvE_clEvENKUlvE4_clEvEUlS6_S6_E_S6_EEDaPvRmT3_T4_T5_mT6_P12ihipStream_tbENKUlT_T0_E_clISt17integral_constantIbLb0EESX_IbLb1EEEEDaST_SU_EUlST_E0_NS1_11comp_targetILNS1_3genE9ELNS1_11target_archE1100ELNS1_3gpuE3ELNS1_3repE0EEENS1_30default_config_static_selectorELNS0_4arch9wavefront6targetE1EEEvT1_.numbered_sgpr, 0
	.set _ZN7rocprim17ROCPRIM_400000_NS6detail17trampoline_kernelINS0_14default_configENS1_20scan_config_selectorIN3c108BFloat16EEEZZNS1_9scan_implILNS1_25lookback_scan_determinismE0ELb0ELb0ES3_PKS6_PS6_S6_ZZZN2at6native31launch_logcumsumexp_cuda_kernelERKNSD_10TensorBaseESH_lENKUlvE_clEvENKUlvE4_clEvEUlS6_S6_E_S6_EEDaPvRmT3_T4_T5_mT6_P12ihipStream_tbENKUlT_T0_E_clISt17integral_constantIbLb0EESX_IbLb1EEEEDaST_SU_EUlST_E0_NS1_11comp_targetILNS1_3genE9ELNS1_11target_archE1100ELNS1_3gpuE3ELNS1_3repE0EEENS1_30default_config_static_selectorELNS0_4arch9wavefront6targetE1EEEvT1_.num_named_barrier, 0
	.set _ZN7rocprim17ROCPRIM_400000_NS6detail17trampoline_kernelINS0_14default_configENS1_20scan_config_selectorIN3c108BFloat16EEEZZNS1_9scan_implILNS1_25lookback_scan_determinismE0ELb0ELb0ES3_PKS6_PS6_S6_ZZZN2at6native31launch_logcumsumexp_cuda_kernelERKNSD_10TensorBaseESH_lENKUlvE_clEvENKUlvE4_clEvEUlS6_S6_E_S6_EEDaPvRmT3_T4_T5_mT6_P12ihipStream_tbENKUlT_T0_E_clISt17integral_constantIbLb0EESX_IbLb1EEEEDaST_SU_EUlST_E0_NS1_11comp_targetILNS1_3genE9ELNS1_11target_archE1100ELNS1_3gpuE3ELNS1_3repE0EEENS1_30default_config_static_selectorELNS0_4arch9wavefront6targetE1EEEvT1_.private_seg_size, 0
	.set _ZN7rocprim17ROCPRIM_400000_NS6detail17trampoline_kernelINS0_14default_configENS1_20scan_config_selectorIN3c108BFloat16EEEZZNS1_9scan_implILNS1_25lookback_scan_determinismE0ELb0ELb0ES3_PKS6_PS6_S6_ZZZN2at6native31launch_logcumsumexp_cuda_kernelERKNSD_10TensorBaseESH_lENKUlvE_clEvENKUlvE4_clEvEUlS6_S6_E_S6_EEDaPvRmT3_T4_T5_mT6_P12ihipStream_tbENKUlT_T0_E_clISt17integral_constantIbLb0EESX_IbLb1EEEEDaST_SU_EUlST_E0_NS1_11comp_targetILNS1_3genE9ELNS1_11target_archE1100ELNS1_3gpuE3ELNS1_3repE0EEENS1_30default_config_static_selectorELNS0_4arch9wavefront6targetE1EEEvT1_.uses_vcc, 0
	.set _ZN7rocprim17ROCPRIM_400000_NS6detail17trampoline_kernelINS0_14default_configENS1_20scan_config_selectorIN3c108BFloat16EEEZZNS1_9scan_implILNS1_25lookback_scan_determinismE0ELb0ELb0ES3_PKS6_PS6_S6_ZZZN2at6native31launch_logcumsumexp_cuda_kernelERKNSD_10TensorBaseESH_lENKUlvE_clEvENKUlvE4_clEvEUlS6_S6_E_S6_EEDaPvRmT3_T4_T5_mT6_P12ihipStream_tbENKUlT_T0_E_clISt17integral_constantIbLb0EESX_IbLb1EEEEDaST_SU_EUlST_E0_NS1_11comp_targetILNS1_3genE9ELNS1_11target_archE1100ELNS1_3gpuE3ELNS1_3repE0EEENS1_30default_config_static_selectorELNS0_4arch9wavefront6targetE1EEEvT1_.uses_flat_scratch, 0
	.set _ZN7rocprim17ROCPRIM_400000_NS6detail17trampoline_kernelINS0_14default_configENS1_20scan_config_selectorIN3c108BFloat16EEEZZNS1_9scan_implILNS1_25lookback_scan_determinismE0ELb0ELb0ES3_PKS6_PS6_S6_ZZZN2at6native31launch_logcumsumexp_cuda_kernelERKNSD_10TensorBaseESH_lENKUlvE_clEvENKUlvE4_clEvEUlS6_S6_E_S6_EEDaPvRmT3_T4_T5_mT6_P12ihipStream_tbENKUlT_T0_E_clISt17integral_constantIbLb0EESX_IbLb1EEEEDaST_SU_EUlST_E0_NS1_11comp_targetILNS1_3genE9ELNS1_11target_archE1100ELNS1_3gpuE3ELNS1_3repE0EEENS1_30default_config_static_selectorELNS0_4arch9wavefront6targetE1EEEvT1_.has_dyn_sized_stack, 0
	.set _ZN7rocprim17ROCPRIM_400000_NS6detail17trampoline_kernelINS0_14default_configENS1_20scan_config_selectorIN3c108BFloat16EEEZZNS1_9scan_implILNS1_25lookback_scan_determinismE0ELb0ELb0ES3_PKS6_PS6_S6_ZZZN2at6native31launch_logcumsumexp_cuda_kernelERKNSD_10TensorBaseESH_lENKUlvE_clEvENKUlvE4_clEvEUlS6_S6_E_S6_EEDaPvRmT3_T4_T5_mT6_P12ihipStream_tbENKUlT_T0_E_clISt17integral_constantIbLb0EESX_IbLb1EEEEDaST_SU_EUlST_E0_NS1_11comp_targetILNS1_3genE9ELNS1_11target_archE1100ELNS1_3gpuE3ELNS1_3repE0EEENS1_30default_config_static_selectorELNS0_4arch9wavefront6targetE1EEEvT1_.has_recursion, 0
	.set _ZN7rocprim17ROCPRIM_400000_NS6detail17trampoline_kernelINS0_14default_configENS1_20scan_config_selectorIN3c108BFloat16EEEZZNS1_9scan_implILNS1_25lookback_scan_determinismE0ELb0ELb0ES3_PKS6_PS6_S6_ZZZN2at6native31launch_logcumsumexp_cuda_kernelERKNSD_10TensorBaseESH_lENKUlvE_clEvENKUlvE4_clEvEUlS6_S6_E_S6_EEDaPvRmT3_T4_T5_mT6_P12ihipStream_tbENKUlT_T0_E_clISt17integral_constantIbLb0EESX_IbLb1EEEEDaST_SU_EUlST_E0_NS1_11comp_targetILNS1_3genE9ELNS1_11target_archE1100ELNS1_3gpuE3ELNS1_3repE0EEENS1_30default_config_static_selectorELNS0_4arch9wavefront6targetE1EEEvT1_.has_indirect_call, 0
	.section	.AMDGPU.csdata,"",@progbits
; Kernel info:
; codeLenInByte = 0
; TotalNumSgprs: 4
; NumVgprs: 0
; ScratchSize: 0
; MemoryBound: 0
; FloatMode: 240
; IeeeMode: 1
; LDSByteSize: 0 bytes/workgroup (compile time only)
; SGPRBlocks: 0
; VGPRBlocks: 0
; NumSGPRsForWavesPerEU: 4
; NumVGPRsForWavesPerEU: 1
; Occupancy: 10
; WaveLimiterHint : 0
; COMPUTE_PGM_RSRC2:SCRATCH_EN: 0
; COMPUTE_PGM_RSRC2:USER_SGPR: 6
; COMPUTE_PGM_RSRC2:TRAP_HANDLER: 0
; COMPUTE_PGM_RSRC2:TGID_X_EN: 1
; COMPUTE_PGM_RSRC2:TGID_Y_EN: 0
; COMPUTE_PGM_RSRC2:TGID_Z_EN: 0
; COMPUTE_PGM_RSRC2:TIDIG_COMP_CNT: 0
	.section	.text._ZN7rocprim17ROCPRIM_400000_NS6detail17trampoline_kernelINS0_14default_configENS1_20scan_config_selectorIN3c108BFloat16EEEZZNS1_9scan_implILNS1_25lookback_scan_determinismE0ELb0ELb0ES3_PKS6_PS6_S6_ZZZN2at6native31launch_logcumsumexp_cuda_kernelERKNSD_10TensorBaseESH_lENKUlvE_clEvENKUlvE4_clEvEUlS6_S6_E_S6_EEDaPvRmT3_T4_T5_mT6_P12ihipStream_tbENKUlT_T0_E_clISt17integral_constantIbLb0EESX_IbLb1EEEEDaST_SU_EUlST_E0_NS1_11comp_targetILNS1_3genE8ELNS1_11target_archE1030ELNS1_3gpuE2ELNS1_3repE0EEENS1_30default_config_static_selectorELNS0_4arch9wavefront6targetE1EEEvT1_,"axG",@progbits,_ZN7rocprim17ROCPRIM_400000_NS6detail17trampoline_kernelINS0_14default_configENS1_20scan_config_selectorIN3c108BFloat16EEEZZNS1_9scan_implILNS1_25lookback_scan_determinismE0ELb0ELb0ES3_PKS6_PS6_S6_ZZZN2at6native31launch_logcumsumexp_cuda_kernelERKNSD_10TensorBaseESH_lENKUlvE_clEvENKUlvE4_clEvEUlS6_S6_E_S6_EEDaPvRmT3_T4_T5_mT6_P12ihipStream_tbENKUlT_T0_E_clISt17integral_constantIbLb0EESX_IbLb1EEEEDaST_SU_EUlST_E0_NS1_11comp_targetILNS1_3genE8ELNS1_11target_archE1030ELNS1_3gpuE2ELNS1_3repE0EEENS1_30default_config_static_selectorELNS0_4arch9wavefront6targetE1EEEvT1_,comdat
	.globl	_ZN7rocprim17ROCPRIM_400000_NS6detail17trampoline_kernelINS0_14default_configENS1_20scan_config_selectorIN3c108BFloat16EEEZZNS1_9scan_implILNS1_25lookback_scan_determinismE0ELb0ELb0ES3_PKS6_PS6_S6_ZZZN2at6native31launch_logcumsumexp_cuda_kernelERKNSD_10TensorBaseESH_lENKUlvE_clEvENKUlvE4_clEvEUlS6_S6_E_S6_EEDaPvRmT3_T4_T5_mT6_P12ihipStream_tbENKUlT_T0_E_clISt17integral_constantIbLb0EESX_IbLb1EEEEDaST_SU_EUlST_E0_NS1_11comp_targetILNS1_3genE8ELNS1_11target_archE1030ELNS1_3gpuE2ELNS1_3repE0EEENS1_30default_config_static_selectorELNS0_4arch9wavefront6targetE1EEEvT1_ ; -- Begin function _ZN7rocprim17ROCPRIM_400000_NS6detail17trampoline_kernelINS0_14default_configENS1_20scan_config_selectorIN3c108BFloat16EEEZZNS1_9scan_implILNS1_25lookback_scan_determinismE0ELb0ELb0ES3_PKS6_PS6_S6_ZZZN2at6native31launch_logcumsumexp_cuda_kernelERKNSD_10TensorBaseESH_lENKUlvE_clEvENKUlvE4_clEvEUlS6_S6_E_S6_EEDaPvRmT3_T4_T5_mT6_P12ihipStream_tbENKUlT_T0_E_clISt17integral_constantIbLb0EESX_IbLb1EEEEDaST_SU_EUlST_E0_NS1_11comp_targetILNS1_3genE8ELNS1_11target_archE1030ELNS1_3gpuE2ELNS1_3repE0EEENS1_30default_config_static_selectorELNS0_4arch9wavefront6targetE1EEEvT1_
	.p2align	8
	.type	_ZN7rocprim17ROCPRIM_400000_NS6detail17trampoline_kernelINS0_14default_configENS1_20scan_config_selectorIN3c108BFloat16EEEZZNS1_9scan_implILNS1_25lookback_scan_determinismE0ELb0ELb0ES3_PKS6_PS6_S6_ZZZN2at6native31launch_logcumsumexp_cuda_kernelERKNSD_10TensorBaseESH_lENKUlvE_clEvENKUlvE4_clEvEUlS6_S6_E_S6_EEDaPvRmT3_T4_T5_mT6_P12ihipStream_tbENKUlT_T0_E_clISt17integral_constantIbLb0EESX_IbLb1EEEEDaST_SU_EUlST_E0_NS1_11comp_targetILNS1_3genE8ELNS1_11target_archE1030ELNS1_3gpuE2ELNS1_3repE0EEENS1_30default_config_static_selectorELNS0_4arch9wavefront6targetE1EEEvT1_,@function
_ZN7rocprim17ROCPRIM_400000_NS6detail17trampoline_kernelINS0_14default_configENS1_20scan_config_selectorIN3c108BFloat16EEEZZNS1_9scan_implILNS1_25lookback_scan_determinismE0ELb0ELb0ES3_PKS6_PS6_S6_ZZZN2at6native31launch_logcumsumexp_cuda_kernelERKNSD_10TensorBaseESH_lENKUlvE_clEvENKUlvE4_clEvEUlS6_S6_E_S6_EEDaPvRmT3_T4_T5_mT6_P12ihipStream_tbENKUlT_T0_E_clISt17integral_constantIbLb0EESX_IbLb1EEEEDaST_SU_EUlST_E0_NS1_11comp_targetILNS1_3genE8ELNS1_11target_archE1030ELNS1_3gpuE2ELNS1_3repE0EEENS1_30default_config_static_selectorELNS0_4arch9wavefront6targetE1EEEvT1_: ; @_ZN7rocprim17ROCPRIM_400000_NS6detail17trampoline_kernelINS0_14default_configENS1_20scan_config_selectorIN3c108BFloat16EEEZZNS1_9scan_implILNS1_25lookback_scan_determinismE0ELb0ELb0ES3_PKS6_PS6_S6_ZZZN2at6native31launch_logcumsumexp_cuda_kernelERKNSD_10TensorBaseESH_lENKUlvE_clEvENKUlvE4_clEvEUlS6_S6_E_S6_EEDaPvRmT3_T4_T5_mT6_P12ihipStream_tbENKUlT_T0_E_clISt17integral_constantIbLb0EESX_IbLb1EEEEDaST_SU_EUlST_E0_NS1_11comp_targetILNS1_3genE8ELNS1_11target_archE1030ELNS1_3gpuE2ELNS1_3repE0EEENS1_30default_config_static_selectorELNS0_4arch9wavefront6targetE1EEEvT1_
; %bb.0:
	.section	.rodata,"a",@progbits
	.p2align	6, 0x0
	.amdhsa_kernel _ZN7rocprim17ROCPRIM_400000_NS6detail17trampoline_kernelINS0_14default_configENS1_20scan_config_selectorIN3c108BFloat16EEEZZNS1_9scan_implILNS1_25lookback_scan_determinismE0ELb0ELb0ES3_PKS6_PS6_S6_ZZZN2at6native31launch_logcumsumexp_cuda_kernelERKNSD_10TensorBaseESH_lENKUlvE_clEvENKUlvE4_clEvEUlS6_S6_E_S6_EEDaPvRmT3_T4_T5_mT6_P12ihipStream_tbENKUlT_T0_E_clISt17integral_constantIbLb0EESX_IbLb1EEEEDaST_SU_EUlST_E0_NS1_11comp_targetILNS1_3genE8ELNS1_11target_archE1030ELNS1_3gpuE2ELNS1_3repE0EEENS1_30default_config_static_selectorELNS0_4arch9wavefront6targetE1EEEvT1_
		.amdhsa_group_segment_fixed_size 0
		.amdhsa_private_segment_fixed_size 0
		.amdhsa_kernarg_size 32
		.amdhsa_user_sgpr_count 6
		.amdhsa_user_sgpr_private_segment_buffer 1
		.amdhsa_user_sgpr_dispatch_ptr 0
		.amdhsa_user_sgpr_queue_ptr 0
		.amdhsa_user_sgpr_kernarg_segment_ptr 1
		.amdhsa_user_sgpr_dispatch_id 0
		.amdhsa_user_sgpr_flat_scratch_init 0
		.amdhsa_user_sgpr_private_segment_size 0
		.amdhsa_uses_dynamic_stack 0
		.amdhsa_system_sgpr_private_segment_wavefront_offset 0
		.amdhsa_system_sgpr_workgroup_id_x 1
		.amdhsa_system_sgpr_workgroup_id_y 0
		.amdhsa_system_sgpr_workgroup_id_z 0
		.amdhsa_system_sgpr_workgroup_info 0
		.amdhsa_system_vgpr_workitem_id 0
		.amdhsa_next_free_vgpr 1
		.amdhsa_next_free_sgpr 0
		.amdhsa_reserve_vcc 0
		.amdhsa_reserve_flat_scratch 0
		.amdhsa_float_round_mode_32 0
		.amdhsa_float_round_mode_16_64 0
		.amdhsa_float_denorm_mode_32 3
		.amdhsa_float_denorm_mode_16_64 3
		.amdhsa_dx10_clamp 1
		.amdhsa_ieee_mode 1
		.amdhsa_fp16_overflow 0
		.amdhsa_exception_fp_ieee_invalid_op 0
		.amdhsa_exception_fp_denorm_src 0
		.amdhsa_exception_fp_ieee_div_zero 0
		.amdhsa_exception_fp_ieee_overflow 0
		.amdhsa_exception_fp_ieee_underflow 0
		.amdhsa_exception_fp_ieee_inexact 0
		.amdhsa_exception_int_div_zero 0
	.end_amdhsa_kernel
	.section	.text._ZN7rocprim17ROCPRIM_400000_NS6detail17trampoline_kernelINS0_14default_configENS1_20scan_config_selectorIN3c108BFloat16EEEZZNS1_9scan_implILNS1_25lookback_scan_determinismE0ELb0ELb0ES3_PKS6_PS6_S6_ZZZN2at6native31launch_logcumsumexp_cuda_kernelERKNSD_10TensorBaseESH_lENKUlvE_clEvENKUlvE4_clEvEUlS6_S6_E_S6_EEDaPvRmT3_T4_T5_mT6_P12ihipStream_tbENKUlT_T0_E_clISt17integral_constantIbLb0EESX_IbLb1EEEEDaST_SU_EUlST_E0_NS1_11comp_targetILNS1_3genE8ELNS1_11target_archE1030ELNS1_3gpuE2ELNS1_3repE0EEENS1_30default_config_static_selectorELNS0_4arch9wavefront6targetE1EEEvT1_,"axG",@progbits,_ZN7rocprim17ROCPRIM_400000_NS6detail17trampoline_kernelINS0_14default_configENS1_20scan_config_selectorIN3c108BFloat16EEEZZNS1_9scan_implILNS1_25lookback_scan_determinismE0ELb0ELb0ES3_PKS6_PS6_S6_ZZZN2at6native31launch_logcumsumexp_cuda_kernelERKNSD_10TensorBaseESH_lENKUlvE_clEvENKUlvE4_clEvEUlS6_S6_E_S6_EEDaPvRmT3_T4_T5_mT6_P12ihipStream_tbENKUlT_T0_E_clISt17integral_constantIbLb0EESX_IbLb1EEEEDaST_SU_EUlST_E0_NS1_11comp_targetILNS1_3genE8ELNS1_11target_archE1030ELNS1_3gpuE2ELNS1_3repE0EEENS1_30default_config_static_selectorELNS0_4arch9wavefront6targetE1EEEvT1_,comdat
.Lfunc_end520:
	.size	_ZN7rocprim17ROCPRIM_400000_NS6detail17trampoline_kernelINS0_14default_configENS1_20scan_config_selectorIN3c108BFloat16EEEZZNS1_9scan_implILNS1_25lookback_scan_determinismE0ELb0ELb0ES3_PKS6_PS6_S6_ZZZN2at6native31launch_logcumsumexp_cuda_kernelERKNSD_10TensorBaseESH_lENKUlvE_clEvENKUlvE4_clEvEUlS6_S6_E_S6_EEDaPvRmT3_T4_T5_mT6_P12ihipStream_tbENKUlT_T0_E_clISt17integral_constantIbLb0EESX_IbLb1EEEEDaST_SU_EUlST_E0_NS1_11comp_targetILNS1_3genE8ELNS1_11target_archE1030ELNS1_3gpuE2ELNS1_3repE0EEENS1_30default_config_static_selectorELNS0_4arch9wavefront6targetE1EEEvT1_, .Lfunc_end520-_ZN7rocprim17ROCPRIM_400000_NS6detail17trampoline_kernelINS0_14default_configENS1_20scan_config_selectorIN3c108BFloat16EEEZZNS1_9scan_implILNS1_25lookback_scan_determinismE0ELb0ELb0ES3_PKS6_PS6_S6_ZZZN2at6native31launch_logcumsumexp_cuda_kernelERKNSD_10TensorBaseESH_lENKUlvE_clEvENKUlvE4_clEvEUlS6_S6_E_S6_EEDaPvRmT3_T4_T5_mT6_P12ihipStream_tbENKUlT_T0_E_clISt17integral_constantIbLb0EESX_IbLb1EEEEDaST_SU_EUlST_E0_NS1_11comp_targetILNS1_3genE8ELNS1_11target_archE1030ELNS1_3gpuE2ELNS1_3repE0EEENS1_30default_config_static_selectorELNS0_4arch9wavefront6targetE1EEEvT1_
                                        ; -- End function
	.set _ZN7rocprim17ROCPRIM_400000_NS6detail17trampoline_kernelINS0_14default_configENS1_20scan_config_selectorIN3c108BFloat16EEEZZNS1_9scan_implILNS1_25lookback_scan_determinismE0ELb0ELb0ES3_PKS6_PS6_S6_ZZZN2at6native31launch_logcumsumexp_cuda_kernelERKNSD_10TensorBaseESH_lENKUlvE_clEvENKUlvE4_clEvEUlS6_S6_E_S6_EEDaPvRmT3_T4_T5_mT6_P12ihipStream_tbENKUlT_T0_E_clISt17integral_constantIbLb0EESX_IbLb1EEEEDaST_SU_EUlST_E0_NS1_11comp_targetILNS1_3genE8ELNS1_11target_archE1030ELNS1_3gpuE2ELNS1_3repE0EEENS1_30default_config_static_selectorELNS0_4arch9wavefront6targetE1EEEvT1_.num_vgpr, 0
	.set _ZN7rocprim17ROCPRIM_400000_NS6detail17trampoline_kernelINS0_14default_configENS1_20scan_config_selectorIN3c108BFloat16EEEZZNS1_9scan_implILNS1_25lookback_scan_determinismE0ELb0ELb0ES3_PKS6_PS6_S6_ZZZN2at6native31launch_logcumsumexp_cuda_kernelERKNSD_10TensorBaseESH_lENKUlvE_clEvENKUlvE4_clEvEUlS6_S6_E_S6_EEDaPvRmT3_T4_T5_mT6_P12ihipStream_tbENKUlT_T0_E_clISt17integral_constantIbLb0EESX_IbLb1EEEEDaST_SU_EUlST_E0_NS1_11comp_targetILNS1_3genE8ELNS1_11target_archE1030ELNS1_3gpuE2ELNS1_3repE0EEENS1_30default_config_static_selectorELNS0_4arch9wavefront6targetE1EEEvT1_.num_agpr, 0
	.set _ZN7rocprim17ROCPRIM_400000_NS6detail17trampoline_kernelINS0_14default_configENS1_20scan_config_selectorIN3c108BFloat16EEEZZNS1_9scan_implILNS1_25lookback_scan_determinismE0ELb0ELb0ES3_PKS6_PS6_S6_ZZZN2at6native31launch_logcumsumexp_cuda_kernelERKNSD_10TensorBaseESH_lENKUlvE_clEvENKUlvE4_clEvEUlS6_S6_E_S6_EEDaPvRmT3_T4_T5_mT6_P12ihipStream_tbENKUlT_T0_E_clISt17integral_constantIbLb0EESX_IbLb1EEEEDaST_SU_EUlST_E0_NS1_11comp_targetILNS1_3genE8ELNS1_11target_archE1030ELNS1_3gpuE2ELNS1_3repE0EEENS1_30default_config_static_selectorELNS0_4arch9wavefront6targetE1EEEvT1_.numbered_sgpr, 0
	.set _ZN7rocprim17ROCPRIM_400000_NS6detail17trampoline_kernelINS0_14default_configENS1_20scan_config_selectorIN3c108BFloat16EEEZZNS1_9scan_implILNS1_25lookback_scan_determinismE0ELb0ELb0ES3_PKS6_PS6_S6_ZZZN2at6native31launch_logcumsumexp_cuda_kernelERKNSD_10TensorBaseESH_lENKUlvE_clEvENKUlvE4_clEvEUlS6_S6_E_S6_EEDaPvRmT3_T4_T5_mT6_P12ihipStream_tbENKUlT_T0_E_clISt17integral_constantIbLb0EESX_IbLb1EEEEDaST_SU_EUlST_E0_NS1_11comp_targetILNS1_3genE8ELNS1_11target_archE1030ELNS1_3gpuE2ELNS1_3repE0EEENS1_30default_config_static_selectorELNS0_4arch9wavefront6targetE1EEEvT1_.num_named_barrier, 0
	.set _ZN7rocprim17ROCPRIM_400000_NS6detail17trampoline_kernelINS0_14default_configENS1_20scan_config_selectorIN3c108BFloat16EEEZZNS1_9scan_implILNS1_25lookback_scan_determinismE0ELb0ELb0ES3_PKS6_PS6_S6_ZZZN2at6native31launch_logcumsumexp_cuda_kernelERKNSD_10TensorBaseESH_lENKUlvE_clEvENKUlvE4_clEvEUlS6_S6_E_S6_EEDaPvRmT3_T4_T5_mT6_P12ihipStream_tbENKUlT_T0_E_clISt17integral_constantIbLb0EESX_IbLb1EEEEDaST_SU_EUlST_E0_NS1_11comp_targetILNS1_3genE8ELNS1_11target_archE1030ELNS1_3gpuE2ELNS1_3repE0EEENS1_30default_config_static_selectorELNS0_4arch9wavefront6targetE1EEEvT1_.private_seg_size, 0
	.set _ZN7rocprim17ROCPRIM_400000_NS6detail17trampoline_kernelINS0_14default_configENS1_20scan_config_selectorIN3c108BFloat16EEEZZNS1_9scan_implILNS1_25lookback_scan_determinismE0ELb0ELb0ES3_PKS6_PS6_S6_ZZZN2at6native31launch_logcumsumexp_cuda_kernelERKNSD_10TensorBaseESH_lENKUlvE_clEvENKUlvE4_clEvEUlS6_S6_E_S6_EEDaPvRmT3_T4_T5_mT6_P12ihipStream_tbENKUlT_T0_E_clISt17integral_constantIbLb0EESX_IbLb1EEEEDaST_SU_EUlST_E0_NS1_11comp_targetILNS1_3genE8ELNS1_11target_archE1030ELNS1_3gpuE2ELNS1_3repE0EEENS1_30default_config_static_selectorELNS0_4arch9wavefront6targetE1EEEvT1_.uses_vcc, 0
	.set _ZN7rocprim17ROCPRIM_400000_NS6detail17trampoline_kernelINS0_14default_configENS1_20scan_config_selectorIN3c108BFloat16EEEZZNS1_9scan_implILNS1_25lookback_scan_determinismE0ELb0ELb0ES3_PKS6_PS6_S6_ZZZN2at6native31launch_logcumsumexp_cuda_kernelERKNSD_10TensorBaseESH_lENKUlvE_clEvENKUlvE4_clEvEUlS6_S6_E_S6_EEDaPvRmT3_T4_T5_mT6_P12ihipStream_tbENKUlT_T0_E_clISt17integral_constantIbLb0EESX_IbLb1EEEEDaST_SU_EUlST_E0_NS1_11comp_targetILNS1_3genE8ELNS1_11target_archE1030ELNS1_3gpuE2ELNS1_3repE0EEENS1_30default_config_static_selectorELNS0_4arch9wavefront6targetE1EEEvT1_.uses_flat_scratch, 0
	.set _ZN7rocprim17ROCPRIM_400000_NS6detail17trampoline_kernelINS0_14default_configENS1_20scan_config_selectorIN3c108BFloat16EEEZZNS1_9scan_implILNS1_25lookback_scan_determinismE0ELb0ELb0ES3_PKS6_PS6_S6_ZZZN2at6native31launch_logcumsumexp_cuda_kernelERKNSD_10TensorBaseESH_lENKUlvE_clEvENKUlvE4_clEvEUlS6_S6_E_S6_EEDaPvRmT3_T4_T5_mT6_P12ihipStream_tbENKUlT_T0_E_clISt17integral_constantIbLb0EESX_IbLb1EEEEDaST_SU_EUlST_E0_NS1_11comp_targetILNS1_3genE8ELNS1_11target_archE1030ELNS1_3gpuE2ELNS1_3repE0EEENS1_30default_config_static_selectorELNS0_4arch9wavefront6targetE1EEEvT1_.has_dyn_sized_stack, 0
	.set _ZN7rocprim17ROCPRIM_400000_NS6detail17trampoline_kernelINS0_14default_configENS1_20scan_config_selectorIN3c108BFloat16EEEZZNS1_9scan_implILNS1_25lookback_scan_determinismE0ELb0ELb0ES3_PKS6_PS6_S6_ZZZN2at6native31launch_logcumsumexp_cuda_kernelERKNSD_10TensorBaseESH_lENKUlvE_clEvENKUlvE4_clEvEUlS6_S6_E_S6_EEDaPvRmT3_T4_T5_mT6_P12ihipStream_tbENKUlT_T0_E_clISt17integral_constantIbLb0EESX_IbLb1EEEEDaST_SU_EUlST_E0_NS1_11comp_targetILNS1_3genE8ELNS1_11target_archE1030ELNS1_3gpuE2ELNS1_3repE0EEENS1_30default_config_static_selectorELNS0_4arch9wavefront6targetE1EEEvT1_.has_recursion, 0
	.set _ZN7rocprim17ROCPRIM_400000_NS6detail17trampoline_kernelINS0_14default_configENS1_20scan_config_selectorIN3c108BFloat16EEEZZNS1_9scan_implILNS1_25lookback_scan_determinismE0ELb0ELb0ES3_PKS6_PS6_S6_ZZZN2at6native31launch_logcumsumexp_cuda_kernelERKNSD_10TensorBaseESH_lENKUlvE_clEvENKUlvE4_clEvEUlS6_S6_E_S6_EEDaPvRmT3_T4_T5_mT6_P12ihipStream_tbENKUlT_T0_E_clISt17integral_constantIbLb0EESX_IbLb1EEEEDaST_SU_EUlST_E0_NS1_11comp_targetILNS1_3genE8ELNS1_11target_archE1030ELNS1_3gpuE2ELNS1_3repE0EEENS1_30default_config_static_selectorELNS0_4arch9wavefront6targetE1EEEvT1_.has_indirect_call, 0
	.section	.AMDGPU.csdata,"",@progbits
; Kernel info:
; codeLenInByte = 0
; TotalNumSgprs: 4
; NumVgprs: 0
; ScratchSize: 0
; MemoryBound: 0
; FloatMode: 240
; IeeeMode: 1
; LDSByteSize: 0 bytes/workgroup (compile time only)
; SGPRBlocks: 0
; VGPRBlocks: 0
; NumSGPRsForWavesPerEU: 4
; NumVGPRsForWavesPerEU: 1
; Occupancy: 10
; WaveLimiterHint : 0
; COMPUTE_PGM_RSRC2:SCRATCH_EN: 0
; COMPUTE_PGM_RSRC2:USER_SGPR: 6
; COMPUTE_PGM_RSRC2:TRAP_HANDLER: 0
; COMPUTE_PGM_RSRC2:TGID_X_EN: 1
; COMPUTE_PGM_RSRC2:TGID_Y_EN: 0
; COMPUTE_PGM_RSRC2:TGID_Z_EN: 0
; COMPUTE_PGM_RSRC2:TIDIG_COMP_CNT: 0
	.section	.text._ZN2at6native32tensor_kernel_scan_innermost_dimIN3c108BFloat16EZZZNS0_31launch_logcumsumexp_cuda_kernelERKNS_10TensorBaseES6_lENKUlvE_clEvENKUlvE4_clEvEUlS3_S3_E_EEvPT_PKSA_jjjSA_T0_,"axG",@progbits,_ZN2at6native32tensor_kernel_scan_innermost_dimIN3c108BFloat16EZZZNS0_31launch_logcumsumexp_cuda_kernelERKNS_10TensorBaseES6_lENKUlvE_clEvENKUlvE4_clEvEUlS3_S3_E_EEvPT_PKSA_jjjSA_T0_,comdat
	.globl	_ZN2at6native32tensor_kernel_scan_innermost_dimIN3c108BFloat16EZZZNS0_31launch_logcumsumexp_cuda_kernelERKNS_10TensorBaseES6_lENKUlvE_clEvENKUlvE4_clEvEUlS3_S3_E_EEvPT_PKSA_jjjSA_T0_ ; -- Begin function _ZN2at6native32tensor_kernel_scan_innermost_dimIN3c108BFloat16EZZZNS0_31launch_logcumsumexp_cuda_kernelERKNS_10TensorBaseES6_lENKUlvE_clEvENKUlvE4_clEvEUlS3_S3_E_EEvPT_PKSA_jjjSA_T0_
	.p2align	8
	.type	_ZN2at6native32tensor_kernel_scan_innermost_dimIN3c108BFloat16EZZZNS0_31launch_logcumsumexp_cuda_kernelERKNS_10TensorBaseES6_lENKUlvE_clEvENKUlvE4_clEvEUlS3_S3_E_EEvPT_PKSA_jjjSA_T0_,@function
_ZN2at6native32tensor_kernel_scan_innermost_dimIN3c108BFloat16EZZZNS0_31launch_logcumsumexp_cuda_kernelERKNS_10TensorBaseES6_lENKUlvE_clEvENKUlvE4_clEvEUlS3_S3_E_EEvPT_PKSA_jjjSA_T0_: ; @_ZN2at6native32tensor_kernel_scan_innermost_dimIN3c108BFloat16EZZZNS0_31launch_logcumsumexp_cuda_kernelERKNS_10TensorBaseES6_lENKUlvE_clEvENKUlvE4_clEvEUlS3_S3_E_EEvPT_PKSA_jjjSA_T0_
; %bb.0:
	s_load_dwordx8 s[16:23], s[4:5], 0x0
	v_mov_b32_e32 v2, v1
	s_waitcnt lgkmcnt(0)
	s_lshl_b32 s7, 2, s22
	v_mul_lo_u32 v1, s7, v2
	s_mul_hi_u32 s0, s20, s21
	s_cmp_lg_u32 s0, 0
	s_mov_b64 s[0:1], -1
	v_lshl_add_u32 v10, v1, 1, 0
	s_cbranch_scc1 .LBB521_30
; %bb.1:
	s_load_dword s2, s[4:5], 0x2c
	s_add_u32 s0, s4, 32
	s_addc_u32 s1, s5, 0
	s_waitcnt lgkmcnt(0)
	s_lshr_b32 s2, s2, 16
	s_mul_i32 s26, s6, s2
	s_cmp_ge_u32 s26, s20
	s_cbranch_scc1 .LBB521_29
; %bb.2:
	s_load_dword s28, s[0:1], 0x0
	s_lshl_b32 s27, 1, s22
	s_cmp_lg_u32 s21, 0
	s_cselect_b64 s[8:9], -1, 0
	v_lshl_add_u32 v1, v0, 1, v10
	s_lshl_b32 s3, s7, 1
	v_cndmask_b32_e64 v3, 0, 1, s[8:9]
	v_lshl_add_u32 v7, s27, 1, v1
	v_cmp_eq_u32_e64 s[0:1], 0, v0
	v_add3_u32 v8, v10, s3, -2
	s_waitcnt lgkmcnt(0)
	s_mul_i32 s28, s28, s2
	s_add_i32 s29, s22, 1
	v_cmp_ne_u32_e64 s[2:3], 1, v3
	v_mov_b32_e32 v4, 0
	s_movk_i32 s30, 0x1f8
	s_mov_b32 s31, 0x3fb8aa3b
	s_mov_b32 s33, 0xc2ce8ed0
	;; [unrolled: 1-line block ×5, first 2 shown]
	v_mov_b32_e32 v9, 0x3f2aaada
	s_mov_b32 s37, 0x3f317218
	s_mov_b32 s38, 0x33800000
	s_movk_i32 s39, 0x7fff
	v_mov_b32_e32 v11, 0x7f800000
	v_mov_b32_e32 v12, 0x7fc0
	s_branch .LBB521_4
.LBB521_3:                              ;   in Loop: Header=BB521_4 Depth=1
	s_add_i32 s26, s26, s28
	s_cmp_ge_u32 s26, s20
	s_cbranch_scc1 .LBB521_29
.LBB521_4:                              ; =>This Loop Header: Depth=1
                                        ;     Child Loop BB521_7 Depth 2
                                        ;       Child Loop BB521_19 Depth 3
	s_and_b64 vcc, exec, s[2:3]
	s_cbranch_vccnz .LBB521_3
; %bb.5:                                ;   in Loop: Header=BB521_4 Depth=1
	v_add_u32_e32 v17, s26, v2
	v_mul_lo_u32 v3, v17, s21
	v_mov_b32_e32 v14, s19
	v_cmp_gt_u32_e64 s[10:11], s20, v17
	v_cmp_le_u32_e64 s[8:9], s20, v17
	v_lshlrev_b64 v[5:6], 1, v[3:4]
	v_mov_b32_e32 v3, s17
	v_add_co_u32_e32 v13, vcc, s18, v5
	v_addc_co_u32_e32 v14, vcc, v14, v6, vcc
	v_add_co_u32_e32 v15, vcc, s16, v5
	v_addc_co_u32_e32 v16, vcc, v3, v6, vcc
	s_mov_b32 s40, 0
	v_mov_b32_e32 v17, s23
	s_branch .LBB521_7
.LBB521_6:                              ;   in Loop: Header=BB521_7 Depth=2
	s_or_b64 exec, exec, s[12:13]
	ds_read_u16 v17, v8
	s_add_i32 s40, s40, s7
	s_cmp_ge_u32 s40, s21
	s_waitcnt vmcnt(0) lgkmcnt(0)
	s_barrier
	s_cbranch_scc1 .LBB521_3
.LBB521_7:                              ;   Parent Loop BB521_4 Depth=1
                                        ; =>  This Loop Header: Depth=2
                                        ;       Child Loop BB521_19 Depth 3
	v_add_u32_e32 v3, s40, v0
	v_add_u32_e32 v5, s27, v3
	s_and_saveexec_b64 s[14:15], s[10:11]
	s_cbranch_execz .LBB521_16
; %bb.8:                                ;   in Loop: Header=BB521_7 Depth=2
	v_cmp_gt_u32_e32 vcc, s21, v3
	v_mov_b32_e32 v6, s23
	s_and_saveexec_b64 s[12:13], vcc
	s_cbranch_execz .LBB521_10
; %bb.9:                                ;   in Loop: Header=BB521_7 Depth=2
	v_lshlrev_b64 v[18:19], 1, v[3:4]
	v_add_co_u32_e32 v18, vcc, v13, v18
	v_addc_co_u32_e32 v19, vcc, v14, v19, vcc
	global_load_ushort v6, v[18:19], off
.LBB521_10:                             ;   in Loop: Header=BB521_7 Depth=2
	s_or_b64 exec, exec, s[12:13]
	s_waitcnt vmcnt(0)
	ds_write_b16 v1, v6
	v_cmp_gt_u32_e32 vcc, s21, v5
	v_mov_b32_e32 v6, s23
	s_and_saveexec_b64 s[12:13], vcc
	s_cbranch_execz .LBB521_12
; %bb.11:                               ;   in Loop: Header=BB521_7 Depth=2
	v_mov_b32_e32 v6, v4
	v_lshlrev_b64 v[18:19], 1, v[5:6]
	v_add_co_u32_e32 v18, vcc, v13, v18
	v_addc_co_u32_e32 v19, vcc, v14, v19, vcc
	global_load_ushort v6, v[18:19], off
.LBB521_12:                             ;   in Loop: Header=BB521_7 Depth=2
	s_or_b64 exec, exec, s[12:13]
	s_waitcnt vmcnt(0)
	ds_write_b16 v7, v6
	s_and_b64 exec, exec, s[0:1]
	s_cbranch_execz .LBB521_16
; %bb.13:                               ;   in Loop: Header=BB521_7 Depth=2
	ds_read_u16 v6, v10
	v_lshlrev_b32_e32 v19, 16, v17
	v_max_f32_e32 v20, v19, v19
	v_cmp_u_f32_e64 s[12:13], v19, v19
	s_waitcnt lgkmcnt(0)
	v_lshlrev_b32_e32 v17, 16, v6
	v_max_f32_e32 v6, v17, v17
	v_min_f32_e32 v18, v6, v20
	v_cmp_u_f32_e32 vcc, v17, v17
	v_max_f32_e32 v6, v6, v20
	v_cndmask_b32_e32 v18, v18, v17, vcc
	v_cndmask_b32_e32 v6, v6, v17, vcc
	v_cndmask_b32_e64 v18, v18, v19, s[12:13]
	v_cndmask_b32_e64 v6, v6, v19, s[12:13]
	v_cmp_neq_f32_e32 vcc, v18, v6
	v_cmp_class_f32_e64 s[12:13], v18, s30
	s_or_b64 s[24:25], vcc, s[12:13]
	s_and_saveexec_b64 s[12:13], s[24:25]
	s_cbranch_execz .LBB521_15
; %bb.14:                               ;   in Loop: Header=BB521_7 Depth=2
	v_sub_f32_e32 v17, v18, v6
	v_mul_f32_e32 v18, 0x3fb8aa3b, v17
	v_fma_f32 v19, v17, s31, -v18
	v_rndne_f32_e32 v20, v18
	v_fmac_f32_e32 v19, 0x32a5705f, v17
	v_sub_f32_e32 v18, v18, v20
	v_add_f32_e32 v18, v18, v19
	v_cvt_i32_f32_e32 v19, v20
	v_exp_f32_e32 v18, v18
	v_cmp_ngt_f32_e32 vcc, s33, v17
	v_ldexp_f32 v18, v18, v19
	v_cndmask_b32_e32 v18, 0, v18, vcc
	v_cmp_nlt_f32_e32 vcc, s34, v17
	v_cndmask_b32_e32 v19, v11, v18, vcc
	v_add_f32_e32 v20, 1.0, v19
	v_cvt_f64_f32_e32 v[17:18], v20
	v_add_f32_e32 v21, -1.0, v20
	v_sub_f32_e32 v22, v21, v20
	v_sub_f32_e32 v21, v19, v21
	v_frexp_exp_i32_f64_e32 v17, v[17:18]
	v_frexp_mant_f32_e32 v18, v20
	v_cmp_gt_f32_e32 vcc, s36, v18
	v_add_f32_e32 v22, 1.0, v22
	v_add_f32_e32 v21, v21, v22
	v_subbrev_co_u32_e32 v17, vcc, 0, v17, vcc
	v_sub_u32_e32 v18, 0, v17
	v_ldexp_f32 v20, v20, v18
	v_ldexp_f32 v18, v21, v18
	v_add_f32_e32 v21, -1.0, v20
	v_add_f32_e32 v24, 1.0, v20
	v_add_f32_e32 v22, 1.0, v21
	v_add_f32_e32 v25, -1.0, v24
	v_sub_f32_e32 v22, v20, v22
	v_sub_f32_e32 v20, v20, v25
	v_add_f32_e32 v22, v18, v22
	v_add_f32_e32 v18, v18, v20
	;; [unrolled: 1-line block ×3, first 2 shown]
	v_rcp_f32_e32 v25, v20
	v_add_f32_e32 v23, v21, v22
	v_sub_f32_e32 v21, v21, v23
	v_add_f32_e32 v21, v22, v21
	v_sub_f32_e32 v22, v24, v20
	v_add_f32_e32 v18, v18, v22
	v_mul_f32_e32 v22, v23, v25
	v_mul_f32_e32 v24, v20, v22
	v_fma_f32 v26, v22, v20, -v24
	v_fmac_f32_e32 v26, v22, v18
	v_add_f32_e32 v27, v24, v26
	v_sub_f32_e32 v28, v23, v27
	v_sub_f32_e32 v23, v23, v28
	v_sub_f32_e32 v24, v27, v24
	v_sub_f32_e32 v23, v23, v27
	v_add_f32_e32 v21, v21, v23
	v_sub_f32_e32 v23, v24, v26
	v_add_f32_e32 v21, v23, v21
	v_add_f32_e32 v23, v28, v21
	v_mul_f32_e32 v24, v25, v23
	v_mul_f32_e32 v26, v20, v24
	v_fma_f32 v20, v24, v20, -v26
	v_fmac_f32_e32 v20, v24, v18
	v_sub_f32_e32 v18, v28, v23
	v_add_f32_e32 v18, v21, v18
	v_add_f32_e32 v21, v26, v20
	v_sub_f32_e32 v27, v23, v21
	v_sub_f32_e32 v23, v23, v27
	;; [unrolled: 1-line block ×4, first 2 shown]
	v_add_f32_e32 v18, v18, v21
	v_sub_f32_e32 v20, v26, v20
	v_cvt_f32_i32_e32 v17, v17
	v_add_f32_e32 v18, v20, v18
	v_add_f32_e32 v20, v22, v24
	;; [unrolled: 1-line block ×3, first 2 shown]
	v_sub_f32_e32 v21, v20, v22
	v_mul_f32_e32 v18, v25, v18
	v_sub_f32_e32 v21, v24, v21
	v_add_f32_e32 v18, v21, v18
	v_mul_f32_e32 v24, 0x3f317218, v17
	v_add_f32_e32 v21, v20, v18
	v_fma_f32 v25, v17, s37, -v24
	v_mul_f32_e32 v22, v21, v21
	v_mov_b32_e32 v23, 0x3ecc95a3
	v_fmac_f32_e32 v25, 0xb102e308, v17
	v_sub_f32_e32 v17, v21, v20
	v_fmac_f32_e32 v23, 0x3e9b6dac, v22
	v_sub_f32_e32 v17, v18, v17
	v_add_f32_e32 v18, v24, v25
	v_fma_f32 v23, v22, v23, v9
	v_sub_f32_e32 v20, v18, v24
	v_ldexp_f32 v24, v21, 1
	v_mul_f32_e32 v21, v21, v22
	v_mul_f32_e32 v21, v21, v23
	v_add_f32_e32 v22, v24, v21
	v_sub_f32_e32 v23, v22, v24
	v_ldexp_f32 v17, v17, 1
	v_sub_f32_e32 v21, v21, v23
	v_add_f32_e32 v17, v17, v21
	v_add_f32_e32 v21, v22, v17
	v_sub_f32_e32 v22, v21, v22
	v_sub_f32_e32 v17, v17, v22
	v_add_f32_e32 v22, v18, v21
	v_sub_f32_e32 v23, v22, v18
	v_sub_f32_e32 v24, v22, v23
	;; [unrolled: 1-line block ×5, first 2 shown]
	v_add_f32_e32 v18, v21, v18
	v_add_f32_e32 v21, v20, v17
	v_sub_f32_e32 v23, v21, v20
	v_sub_f32_e32 v24, v21, v23
	;; [unrolled: 1-line block ×4, first 2 shown]
	v_add_f32_e32 v18, v21, v18
	v_add_f32_e32 v17, v17, v20
	;; [unrolled: 1-line block ×3, first 2 shown]
	v_sub_f32_e32 v21, v20, v22
	v_sub_f32_e32 v18, v18, v21
	v_add_f32_e32 v17, v17, v18
	v_add_f32_e32 v17, v20, v17
	v_cmp_neq_f32_e32 vcc, s35, v19
	v_cndmask_b32_e32 v17, v11, v17, vcc
	v_cmp_lt_f32_e64 vcc, |v19|, s38
	v_cndmask_b32_e32 v17, v17, v19, vcc
	v_add_f32_e32 v17, v6, v17
.LBB521_15:                             ;   in Loop: Header=BB521_7 Depth=2
	s_or_b64 exec, exec, s[12:13]
	v_bfe_u32 v6, v17, 16, 1
	v_add3_u32 v6, v17, v6, s39
	v_cmp_o_f32_e32 vcc, v17, v17
	v_cndmask_b32_sdwa v6, v12, v6, vcc dst_sel:DWORD dst_unused:UNUSED_PAD src0_sel:DWORD src1_sel:WORD_1
	ds_write_b16 v10, v6
.LBB521_16:                             ;   in Loop: Header=BB521_7 Depth=2
	s_or_b64 exec, exec, s[14:15]
	v_mov_b32_e32 v17, 0
	s_mov_b64 s[14:15], 0
	s_waitcnt lgkmcnt(0)
	s_barrier
	s_branch .LBB521_19
.LBB521_17:                             ;   in Loop: Header=BB521_19 Depth=3
	s_or_b64 exec, exec, s[12:13]
	v_bfe_u32 v18, v19, 16, 1
	v_add3_u32 v18, v19, v18, s39
	v_cmp_o_f32_e32 vcc, v19, v19
	v_cndmask_b32_sdwa v18, v12, v18, vcc dst_sel:DWORD dst_unused:UNUSED_PAD src0_sel:DWORD src1_sel:WORD_1
	ds_write_b16 v17, v18
.LBB521_18:                             ;   in Loop: Header=BB521_19 Depth=3
	s_or_b64 exec, exec, s[24:25]
	v_cmp_eq_u32_e32 vcc, s29, v6
	s_or_b64 s[14:15], vcc, s[14:15]
	v_mov_b32_e32 v17, v6
	s_waitcnt lgkmcnt(0)
	s_barrier
	s_andn2_b64 exec, exec, s[14:15]
	s_cbranch_execz .LBB521_24
.LBB521_19:                             ;   Parent Loop BB521_4 Depth=1
                                        ;     Parent Loop BB521_7 Depth=2
                                        ; =>    This Inner Loop Header: Depth=3
	v_add_u32_e32 v6, 1, v17
	s_and_saveexec_b64 s[12:13], s[8:9]
	s_xor_b64 s[12:13], exec, s[12:13]
; %bb.20:                               ;   in Loop: Header=BB521_19 Depth=3
	v_add_u32_e32 v6, 1, v17
                                        ; implicit-def: $vgpr17
; %bb.21:                               ;   in Loop: Header=BB521_19 Depth=3
	s_andn2_saveexec_b64 s[24:25], s[12:13]
	s_cbranch_execz .LBB521_18
; %bb.22:                               ;   in Loop: Header=BB521_19 Depth=3
	v_lshlrev_b32_e64 v18, v17, 1
	v_lshrrev_b32_e32 v19, v17, v0
	v_lshl_or_b32 v18, v19, v6, v18
	v_bfm_b32 v17, v17, 0
	v_and_b32_e32 v17, v17, v0
	v_lshl_add_u32 v18, v18, 1, v10
	v_lshl_add_u32 v17, v17, 1, v18
	v_add_u32_e32 v18, -2, v18
	ds_read_u16 v19, v17
	ds_read_u16 v18, v18
	s_waitcnt lgkmcnt(1)
	v_lshlrev_b32_e32 v19, 16, v19
	s_waitcnt lgkmcnt(0)
	v_lshlrev_b32_e32 v18, 16, v18
	v_max_f32_e32 v21, v18, v18
	v_max_f32_e32 v22, v19, v19
	v_min_f32_e32 v20, v22, v21
	v_cmp_u_f32_e32 vcc, v19, v19
	v_max_f32_e32 v21, v22, v21
	v_cndmask_b32_e32 v20, v20, v19, vcc
	v_cmp_u_f32_e64 s[12:13], v18, v18
	v_cndmask_b32_e32 v21, v21, v19, vcc
	v_cndmask_b32_e64 v20, v20, v18, s[12:13]
	v_cndmask_b32_e64 v18, v21, v18, s[12:13]
	v_cmp_neq_f32_e32 vcc, v20, v18
	v_cmp_class_f32_e64 s[12:13], v20, s30
	s_or_b64 s[42:43], vcc, s[12:13]
	s_and_saveexec_b64 s[12:13], s[42:43]
	s_cbranch_execz .LBB521_17
; %bb.23:                               ;   in Loop: Header=BB521_19 Depth=3
	v_sub_f32_e32 v19, v20, v18
	v_mul_f32_e32 v20, 0x3fb8aa3b, v19
	v_fma_f32 v21, v19, s31, -v20
	v_rndne_f32_e32 v22, v20
	v_fmac_f32_e32 v21, 0x32a5705f, v19
	v_sub_f32_e32 v20, v20, v22
	v_add_f32_e32 v20, v20, v21
	v_cvt_i32_f32_e32 v21, v22
	v_exp_f32_e32 v20, v20
	v_cmp_ngt_f32_e32 vcc, s33, v19
	v_ldexp_f32 v20, v20, v21
	v_cndmask_b32_e32 v20, 0, v20, vcc
	v_cmp_nlt_f32_e32 vcc, s34, v19
	v_cndmask_b32_e32 v21, v11, v20, vcc
	v_add_f32_e32 v22, 1.0, v21
	v_cvt_f64_f32_e32 v[19:20], v22
	v_add_f32_e32 v23, -1.0, v22
	v_sub_f32_e32 v24, v23, v22
	v_sub_f32_e32 v23, v21, v23
	v_frexp_exp_i32_f64_e32 v19, v[19:20]
	v_frexp_mant_f32_e32 v20, v22
	v_cmp_gt_f32_e32 vcc, s36, v20
	v_add_f32_e32 v24, 1.0, v24
	v_add_f32_e32 v23, v23, v24
	v_subbrev_co_u32_e32 v19, vcc, 0, v19, vcc
	v_sub_u32_e32 v20, 0, v19
	v_ldexp_f32 v22, v22, v20
	v_ldexp_f32 v20, v23, v20
	v_add_f32_e32 v23, -1.0, v22
	v_add_f32_e32 v26, 1.0, v22
	v_add_f32_e32 v24, 1.0, v23
	v_add_f32_e32 v27, -1.0, v26
	v_sub_f32_e32 v24, v22, v24
	v_sub_f32_e32 v22, v22, v27
	v_add_f32_e32 v24, v20, v24
	v_add_f32_e32 v20, v20, v22
	;; [unrolled: 1-line block ×3, first 2 shown]
	v_rcp_f32_e32 v27, v22
	v_add_f32_e32 v25, v23, v24
	v_sub_f32_e32 v23, v23, v25
	v_add_f32_e32 v23, v24, v23
	v_sub_f32_e32 v24, v26, v22
	v_add_f32_e32 v20, v20, v24
	v_mul_f32_e32 v24, v25, v27
	v_mul_f32_e32 v26, v22, v24
	v_fma_f32 v28, v24, v22, -v26
	v_fmac_f32_e32 v28, v24, v20
	v_add_f32_e32 v29, v26, v28
	v_sub_f32_e32 v30, v25, v29
	v_sub_f32_e32 v25, v25, v30
	v_sub_f32_e32 v26, v29, v26
	v_sub_f32_e32 v25, v25, v29
	v_add_f32_e32 v23, v23, v25
	v_sub_f32_e32 v25, v26, v28
	v_add_f32_e32 v23, v25, v23
	v_add_f32_e32 v25, v30, v23
	v_mul_f32_e32 v26, v27, v25
	v_mul_f32_e32 v28, v22, v26
	v_fma_f32 v22, v26, v22, -v28
	v_fmac_f32_e32 v22, v26, v20
	v_sub_f32_e32 v20, v30, v25
	v_add_f32_e32 v20, v23, v20
	v_add_f32_e32 v23, v28, v22
	v_sub_f32_e32 v29, v25, v23
	v_sub_f32_e32 v25, v25, v29
	;; [unrolled: 1-line block ×4, first 2 shown]
	v_add_f32_e32 v20, v20, v23
	v_sub_f32_e32 v22, v28, v22
	v_cvt_f32_i32_e32 v19, v19
	v_add_f32_e32 v20, v22, v20
	v_add_f32_e32 v22, v24, v26
	;; [unrolled: 1-line block ×3, first 2 shown]
	v_sub_f32_e32 v23, v22, v24
	v_mul_f32_e32 v20, v27, v20
	v_sub_f32_e32 v23, v26, v23
	v_add_f32_e32 v20, v23, v20
	v_mul_f32_e32 v26, 0x3f317218, v19
	v_add_f32_e32 v23, v22, v20
	v_fma_f32 v27, v19, s37, -v26
	v_mul_f32_e32 v24, v23, v23
	v_mov_b32_e32 v25, 0x3ecc95a3
	v_fmac_f32_e32 v27, 0xb102e308, v19
	v_sub_f32_e32 v19, v23, v22
	v_fmac_f32_e32 v25, 0x3e9b6dac, v24
	v_sub_f32_e32 v19, v20, v19
	v_add_f32_e32 v20, v26, v27
	v_fma_f32 v25, v24, v25, v9
	v_sub_f32_e32 v22, v20, v26
	v_ldexp_f32 v26, v23, 1
	v_mul_f32_e32 v23, v23, v24
	v_mul_f32_e32 v23, v23, v25
	v_add_f32_e32 v24, v26, v23
	v_sub_f32_e32 v25, v24, v26
	v_ldexp_f32 v19, v19, 1
	v_sub_f32_e32 v23, v23, v25
	v_add_f32_e32 v19, v19, v23
	v_add_f32_e32 v23, v24, v19
	v_sub_f32_e32 v24, v23, v24
	v_sub_f32_e32 v19, v19, v24
	v_add_f32_e32 v24, v20, v23
	v_sub_f32_e32 v25, v24, v20
	v_sub_f32_e32 v26, v24, v25
	;; [unrolled: 1-line block ×5, first 2 shown]
	v_add_f32_e32 v20, v23, v20
	v_add_f32_e32 v23, v22, v19
	v_sub_f32_e32 v25, v23, v22
	v_sub_f32_e32 v26, v23, v25
	;; [unrolled: 1-line block ×4, first 2 shown]
	v_add_f32_e32 v20, v23, v20
	v_add_f32_e32 v19, v19, v22
	;; [unrolled: 1-line block ×3, first 2 shown]
	v_sub_f32_e32 v23, v22, v24
	v_sub_f32_e32 v20, v20, v23
	v_add_f32_e32 v19, v19, v20
	v_add_f32_e32 v19, v22, v19
	v_cmp_neq_f32_e32 vcc, s35, v21
	v_cndmask_b32_e32 v19, v11, v19, vcc
	v_cmp_lt_f32_e64 vcc, |v21|, s38
	v_cndmask_b32_e32 v19, v19, v21, vcc
	v_add_f32_e32 v19, v18, v19
	s_branch .LBB521_17
.LBB521_24:                             ;   in Loop: Header=BB521_7 Depth=2
	s_or_b64 exec, exec, s[14:15]
	s_and_saveexec_b64 s[12:13], s[10:11]
	s_cbranch_execz .LBB521_6
; %bb.25:                               ;   in Loop: Header=BB521_7 Depth=2
	v_cmp_gt_u32_e32 vcc, s21, v3
	s_and_saveexec_b64 s[14:15], vcc
	s_cbranch_execz .LBB521_27
; %bb.26:                               ;   in Loop: Header=BB521_7 Depth=2
	v_lshlrev_b64 v[17:18], 1, v[3:4]
	ds_read_u16 v3, v1
	v_add_co_u32_e32 v17, vcc, v15, v17
	v_addc_co_u32_e32 v18, vcc, v16, v18, vcc
	s_waitcnt lgkmcnt(0)
	global_store_short v[17:18], v3, off
.LBB521_27:                             ;   in Loop: Header=BB521_7 Depth=2
	s_or_b64 exec, exec, s[14:15]
	v_cmp_gt_u32_e32 vcc, s21, v5
	s_and_b64 exec, exec, vcc
	s_cbranch_execz .LBB521_6
; %bb.28:                               ;   in Loop: Header=BB521_7 Depth=2
	v_mov_b32_e32 v6, v4
	ds_read_u16 v3, v7
	v_lshlrev_b64 v[5:6], 1, v[5:6]
	v_add_co_u32_e32 v5, vcc, v15, v5
	v_addc_co_u32_e32 v6, vcc, v16, v6, vcc
	s_waitcnt lgkmcnt(0)
	global_store_short v[5:6], v3, off
	s_branch .LBB521_6
.LBB521_29:
	s_mov_b64 s[0:1], 0
.LBB521_30:
	s_andn2_b64 vcc, exec, s[0:1]
	s_cbranch_vccnz .LBB521_61
; %bb.31:
	s_load_dword s2, s[4:5], 0x2c
	s_add_u32 s0, s4, 32
	s_mov_b32 s10, s20
	s_mov_b32 s11, 0
	s_addc_u32 s1, s5, 0
	s_waitcnt lgkmcnt(0)
	s_lshr_b32 s2, s2, 16
	v_mov_b32_e32 v3, s10
	s_mul_hi_u32 s13, s2, s6
	s_mul_i32 s12, s2, s6
	v_mov_b32_e32 v4, s11
	v_cmp_ge_u64_e32 vcc, s[12:13], v[3:4]
	s_cbranch_vccnz .LBB521_61
; %bb.32:
	s_lshl_b32 s14, 1, s22
	s_load_dword s5, s[0:1], 0x0
	s_and_b32 s4, 0xffff, s2
	s_ashr_i32 s15, s14, 31
	s_cmp_lg_u32 s21, 0
	s_mov_b32 s24, s21
	s_cselect_b64 s[2:3], -1, 0
	s_lshl_b64 s[20:21], s[14:15], 1
	v_lshl_add_u32 v11, v0, 1, v10
	s_lshl_b32 s6, s20, 1
	v_cndmask_b32_e64 v3, 0, 1, s[2:3]
	v_mov_b32_e32 v1, 0
	s_mov_b32 s25, s11
	v_lshl_add_u32 v12, s14, 1, v11
	v_cmp_eq_u32_e64 s[0:1], 0, v0
	v_add3_u32 v13, v10, s6, -2
	s_waitcnt lgkmcnt(0)
	s_mul_i32 s33, s5, s4
	s_add_i32 s22, s22, 1
	v_cmp_ne_u32_e64 s[2:3], 1, v3
	s_movk_i32 s34, 0x1f8
	s_mov_b32 s35, 0x3fb8aa3b
	s_mov_b32 s36, 0xc2ce8ed0
	;; [unrolled: 1-line block ×5, first 2 shown]
	v_mov_b32_e32 v14, 0x3f2aaada
	s_mov_b32 s40, 0x3f317218
	s_mov_b32 s41, 0x33800000
	s_movk_i32 s42, 0x7fff
	v_mov_b32_e32 v15, 0x7f800000
	v_mov_b32_e32 v16, 0x7fc0
	s_branch .LBB521_34
.LBB521_33:                             ;   in Loop: Header=BB521_34 Depth=1
	s_add_u32 s12, s12, s33
	v_mov_b32_e32 v3, s10
	s_addc_u32 s13, s13, 0
	v_mov_b32_e32 v4, s11
	v_cmp_ge_u64_e32 vcc, s[12:13], v[3:4]
	s_cbranch_vccnz .LBB521_61
.LBB521_34:                             ; =>This Loop Header: Depth=1
                                        ;     Child Loop BB521_37 Depth 2
                                        ;       Child Loop BB521_49 Depth 3
	s_and_b64 vcc, exec, s[2:3]
	s_cbranch_vccnz .LBB521_33
; %bb.35:                               ;   in Loop: Header=BB521_34 Depth=1
	v_add_co_u32_e32 v3, vcc, s12, v2
	v_mad_u64_u32 v[5:6], s[4:5], v3, s24, 0
	v_mov_b32_e32 v4, s13
	v_addc_co_u32_e32 v4, vcc, 0, v4, vcc
	v_mad_u64_u32 v[6:7], s[4:5], v4, s24, v[6:7]
	v_mov_b32_e32 v7, s19
	v_cmp_gt_u64_e64 s[4:5], s[10:11], v[3:4]
	v_lshlrev_b64 v[5:6], 1, v[5:6]
	v_cmp_le_u64_e64 s[6:7], s[10:11], v[3:4]
	v_add_co_u32_e32 v17, vcc, s18, v5
	v_addc_co_u32_e32 v18, vcc, v7, v6, vcc
	v_mov_b32_e32 v7, s17
	v_add_co_u32_e32 v19, vcc, s16, v5
	v_addc_co_u32_e32 v20, vcc, v7, v6, vcc
	s_mov_b64 s[26:27], 0
	v_mov_b32_e32 v7, s23
	s_branch .LBB521_37
.LBB521_36:                             ;   in Loop: Header=BB521_37 Depth=2
	s_or_b64 exec, exec, s[8:9]
	ds_read_u16 v7, v13
	s_add_u32 s26, s26, s20
	v_mov_b32_e32 v3, s24
	s_addc_u32 s27, s27, s21
	v_mov_b32_e32 v4, s25
	v_cmp_ge_u64_e32 vcc, s[26:27], v[3:4]
	s_waitcnt lgkmcnt(0)
	s_waitcnt vmcnt(0)
	s_barrier
	s_cbranch_vccnz .LBB521_33
.LBB521_37:                             ;   Parent Loop BB521_34 Depth=1
                                        ; =>  This Loop Header: Depth=2
                                        ;       Child Loop BB521_49 Depth 3
	v_mov_b32_e32 v3, s27
	v_add_co_u32_e32 v5, vcc, s26, v0
	v_addc_co_u32_e32 v6, vcc, 0, v3, vcc
	v_mov_b32_e32 v4, s15
	v_add_co_u32_e32 v3, vcc, s14, v5
	v_addc_co_u32_e32 v4, vcc, v6, v4, vcc
	s_and_saveexec_b64 s[28:29], s[4:5]
	s_cbranch_execz .LBB521_46
; %bb.38:                               ;   in Loop: Header=BB521_37 Depth=2
	v_cmp_gt_u64_e32 vcc, s[24:25], v[5:6]
	v_mov_b32_e32 v8, s23
	s_and_saveexec_b64 s[8:9], vcc
	s_cbranch_execz .LBB521_40
; %bb.39:                               ;   in Loop: Header=BB521_37 Depth=2
	v_lshlrev_b64 v[8:9], 1, v[5:6]
	v_add_co_u32_e32 v8, vcc, v17, v8
	v_addc_co_u32_e32 v9, vcc, v18, v9, vcc
	global_load_ushort v8, v[8:9], off
.LBB521_40:                             ;   in Loop: Header=BB521_37 Depth=2
	s_or_b64 exec, exec, s[8:9]
	v_cmp_gt_u64_e32 vcc, s[24:25], v[3:4]
	s_waitcnt vmcnt(0)
	ds_write_b16 v11, v8
	v_mov_b32_e32 v8, s23
	s_and_saveexec_b64 s[8:9], vcc
	s_cbranch_execz .LBB521_42
; %bb.41:                               ;   in Loop: Header=BB521_37 Depth=2
	v_lshlrev_b64 v[8:9], 1, v[3:4]
	v_add_co_u32_e32 v8, vcc, v17, v8
	v_addc_co_u32_e32 v9, vcc, v18, v9, vcc
	global_load_ushort v8, v[8:9], off
.LBB521_42:                             ;   in Loop: Header=BB521_37 Depth=2
	s_or_b64 exec, exec, s[8:9]
	s_waitcnt vmcnt(0)
	ds_write_b16 v12, v8
	s_and_b64 exec, exec, s[0:1]
	s_cbranch_execz .LBB521_46
; %bb.43:                               ;   in Loop: Header=BB521_37 Depth=2
	ds_read_u16 v8, v10
	v_lshlrev_b32_e32 v7, 16, v7
	v_max_f32_e32 v21, v7, v7
	v_cmp_u_f32_e64 s[8:9], v7, v7
	s_waitcnt lgkmcnt(0)
	v_lshlrev_b32_e32 v8, 16, v8
	v_max_f32_e32 v22, v8, v8
	v_min_f32_e32 v9, v22, v21
	v_cmp_u_f32_e32 vcc, v8, v8
	v_max_f32_e32 v21, v22, v21
	v_cndmask_b32_e32 v9, v9, v8, vcc
	v_cndmask_b32_e32 v21, v21, v8, vcc
	v_cndmask_b32_e64 v9, v9, v7, s[8:9]
	v_cndmask_b32_e64 v7, v21, v7, s[8:9]
	v_cmp_neq_f32_e32 vcc, v9, v7
	v_cmp_class_f32_e64 s[8:9], v9, s34
	s_or_b64 s[30:31], vcc, s[8:9]
	s_and_saveexec_b64 s[8:9], s[30:31]
	s_cbranch_execz .LBB521_45
; %bb.44:                               ;   in Loop: Header=BB521_37 Depth=2
	v_sub_f32_e32 v8, v9, v7
	v_mul_f32_e32 v9, 0x3fb8aa3b, v8
	v_fma_f32 v21, v8, s35, -v9
	v_rndne_f32_e32 v22, v9
	v_fmac_f32_e32 v21, 0x32a5705f, v8
	v_sub_f32_e32 v9, v9, v22
	v_add_f32_e32 v9, v9, v21
	v_cvt_i32_f32_e32 v21, v22
	v_exp_f32_e32 v9, v9
	v_cmp_ngt_f32_e32 vcc, s36, v8
	v_ldexp_f32 v9, v9, v21
	v_cndmask_b32_e32 v9, 0, v9, vcc
	v_cmp_nlt_f32_e32 vcc, s37, v8
	v_cndmask_b32_e32 v21, v15, v9, vcc
	v_add_f32_e32 v22, 1.0, v21
	v_cvt_f64_f32_e32 v[8:9], v22
	v_add_f32_e32 v23, -1.0, v22
	v_sub_f32_e32 v24, v23, v22
	v_sub_f32_e32 v23, v21, v23
	v_frexp_exp_i32_f64_e32 v8, v[8:9]
	v_frexp_mant_f32_e32 v9, v22
	v_cmp_gt_f32_e32 vcc, s39, v9
	v_add_f32_e32 v24, 1.0, v24
	v_add_f32_e32 v23, v23, v24
	v_subbrev_co_u32_e32 v8, vcc, 0, v8, vcc
	v_sub_u32_e32 v9, 0, v8
	v_ldexp_f32 v22, v22, v9
	v_ldexp_f32 v9, v23, v9
	v_add_f32_e32 v23, -1.0, v22
	v_add_f32_e32 v26, 1.0, v22
	v_add_f32_e32 v24, 1.0, v23
	v_add_f32_e32 v27, -1.0, v26
	v_sub_f32_e32 v24, v22, v24
	v_sub_f32_e32 v22, v22, v27
	v_add_f32_e32 v24, v9, v24
	v_add_f32_e32 v9, v9, v22
	;; [unrolled: 1-line block ×3, first 2 shown]
	v_rcp_f32_e32 v27, v22
	v_add_f32_e32 v25, v23, v24
	v_sub_f32_e32 v23, v23, v25
	v_add_f32_e32 v23, v24, v23
	v_sub_f32_e32 v24, v26, v22
	v_add_f32_e32 v9, v9, v24
	v_mul_f32_e32 v24, v25, v27
	v_mul_f32_e32 v26, v22, v24
	v_fma_f32 v28, v24, v22, -v26
	v_fmac_f32_e32 v28, v24, v9
	v_add_f32_e32 v29, v26, v28
	v_sub_f32_e32 v30, v25, v29
	v_sub_f32_e32 v25, v25, v30
	;; [unrolled: 1-line block ×4, first 2 shown]
	v_add_f32_e32 v23, v23, v25
	v_sub_f32_e32 v25, v26, v28
	v_add_f32_e32 v23, v25, v23
	v_add_f32_e32 v25, v30, v23
	v_mul_f32_e32 v26, v27, v25
	v_mul_f32_e32 v28, v22, v26
	v_fma_f32 v22, v26, v22, -v28
	v_fmac_f32_e32 v22, v26, v9
	v_sub_f32_e32 v9, v30, v25
	v_add_f32_e32 v9, v23, v9
	v_add_f32_e32 v23, v28, v22
	v_sub_f32_e32 v29, v25, v23
	v_sub_f32_e32 v25, v25, v29
	;; [unrolled: 1-line block ×4, first 2 shown]
	v_add_f32_e32 v9, v9, v23
	v_sub_f32_e32 v22, v28, v22
	v_cvt_f32_i32_e32 v8, v8
	v_add_f32_e32 v9, v22, v9
	v_add_f32_e32 v22, v24, v26
	;; [unrolled: 1-line block ×3, first 2 shown]
	v_sub_f32_e32 v23, v22, v24
	v_mul_f32_e32 v9, v27, v9
	v_sub_f32_e32 v23, v26, v23
	v_add_f32_e32 v9, v23, v9
	v_mul_f32_e32 v26, 0x3f317218, v8
	v_add_f32_e32 v23, v22, v9
	v_fma_f32 v27, v8, s40, -v26
	v_mul_f32_e32 v24, v23, v23
	v_mov_b32_e32 v25, 0x3ecc95a3
	v_fmac_f32_e32 v27, 0xb102e308, v8
	v_sub_f32_e32 v8, v23, v22
	v_fmac_f32_e32 v25, 0x3e9b6dac, v24
	v_sub_f32_e32 v8, v9, v8
	v_add_f32_e32 v9, v26, v27
	v_fma_f32 v25, v24, v25, v14
	v_sub_f32_e32 v22, v9, v26
	v_ldexp_f32 v26, v23, 1
	v_mul_f32_e32 v23, v23, v24
	v_mul_f32_e32 v23, v23, v25
	v_add_f32_e32 v24, v26, v23
	v_sub_f32_e32 v25, v24, v26
	v_ldexp_f32 v8, v8, 1
	v_sub_f32_e32 v23, v23, v25
	v_add_f32_e32 v8, v8, v23
	v_add_f32_e32 v23, v24, v8
	v_sub_f32_e32 v24, v23, v24
	v_sub_f32_e32 v8, v8, v24
	v_add_f32_e32 v24, v9, v23
	v_sub_f32_e32 v25, v24, v9
	v_sub_f32_e32 v26, v24, v25
	;; [unrolled: 1-line block ×5, first 2 shown]
	v_add_f32_e32 v9, v23, v9
	v_add_f32_e32 v23, v22, v8
	v_sub_f32_e32 v25, v23, v22
	v_sub_f32_e32 v26, v23, v25
	;; [unrolled: 1-line block ×4, first 2 shown]
	v_add_f32_e32 v9, v23, v9
	v_add_f32_e32 v8, v8, v22
	;; [unrolled: 1-line block ×3, first 2 shown]
	v_sub_f32_e32 v23, v22, v24
	v_sub_f32_e32 v9, v9, v23
	v_add_f32_e32 v8, v8, v9
	v_add_f32_e32 v8, v22, v8
	v_cmp_neq_f32_e32 vcc, s38, v21
	v_cndmask_b32_e32 v8, v15, v8, vcc
	v_cmp_lt_f32_e64 vcc, |v21|, s41
	v_cndmask_b32_e32 v8, v8, v21, vcc
	v_add_f32_e32 v8, v7, v8
.LBB521_45:                             ;   in Loop: Header=BB521_37 Depth=2
	s_or_b64 exec, exec, s[8:9]
	v_bfe_u32 v7, v8, 16, 1
	v_add3_u32 v7, v8, v7, s42
	v_cmp_o_f32_e32 vcc, v8, v8
	v_cndmask_b32_sdwa v7, v16, v7, vcc dst_sel:DWORD dst_unused:UNUSED_PAD src0_sel:DWORD src1_sel:WORD_1
	ds_write_b16 v10, v7
.LBB521_46:                             ;   in Loop: Header=BB521_37 Depth=2
	s_or_b64 exec, exec, s[28:29]
	v_mov_b32_e32 v22, 0
	s_mov_b64 s[28:29], 0
	s_waitcnt lgkmcnt(0)
	s_barrier
	s_branch .LBB521_49
.LBB521_47:                             ;   in Loop: Header=BB521_49 Depth=3
	s_or_b64 exec, exec, s[8:9]
	v_bfe_u32 v8, v9, 16, 1
	v_add3_u32 v8, v9, v8, s42
	v_cmp_o_f32_e32 vcc, v9, v9
	v_cndmask_b32_sdwa v8, v16, v8, vcc dst_sel:DWORD dst_unused:UNUSED_PAD src0_sel:DWORD src1_sel:WORD_1
	ds_write_b16 v7, v8
.LBB521_48:                             ;   in Loop: Header=BB521_49 Depth=3
	s_or_b64 exec, exec, s[30:31]
	v_cmp_eq_u32_e32 vcc, s22, v21
	s_or_b64 s[28:29], vcc, s[28:29]
	v_mov_b32_e32 v22, v21
	s_waitcnt lgkmcnt(0)
	s_barrier
	s_andn2_b64 exec, exec, s[28:29]
	s_cbranch_execz .LBB521_56
.LBB521_49:                             ;   Parent Loop BB521_34 Depth=1
                                        ;     Parent Loop BB521_37 Depth=2
                                        ; =>    This Inner Loop Header: Depth=3
	v_add_u32_e32 v21, 1, v22
	s_and_saveexec_b64 s[8:9], s[6:7]
	s_xor_b64 s[8:9], exec, s[8:9]
; %bb.50:                               ;   in Loop: Header=BB521_49 Depth=3
	v_add_u32_e32 v21, 1, v22
                                        ; implicit-def: $vgpr22
; %bb.51:                               ;   in Loop: Header=BB521_49 Depth=3
	s_andn2_saveexec_b64 s[30:31], s[8:9]
	s_cbranch_execz .LBB521_48
; %bb.52:                               ;   in Loop: Header=BB521_49 Depth=3
	v_lshlrev_b32_e64 v7, v22, 1
	v_ashrrev_i32_e32 v8, 31, v7
	v_cmp_ge_u64_e32 vcc, v[0:1], v[7:8]
	v_mov_b32_e32 v9, v1
	v_mov_b32_e32 v8, v0
	s_and_saveexec_b64 s[8:9], vcc
	s_cbranch_execz .LBB521_54
; %bb.53:                               ;   in Loop: Header=BB521_49 Depth=3
	v_cvt_f32_u32_e32 v8, v7
	v_sub_u32_e32 v9, 0, v7
	v_rcp_iflag_f32_e32 v8, v8
	v_mul_f32_e32 v8, 0x4f7ffffe, v8
	v_cvt_u32_f32_e32 v8, v8
	v_mul_lo_u32 v9, v9, v8
	v_mul_hi_u32 v9, v8, v9
	v_add_u32_e32 v8, v8, v9
	v_mul_hi_u32 v8, v0, v8
	v_mul_lo_u32 v8, v8, v7
	v_sub_u32_e32 v8, v0, v8
	v_sub_u32_e32 v9, v8, v7
	v_cmp_ge_u32_e32 vcc, v8, v7
	v_cndmask_b32_e32 v8, v8, v9, vcc
	v_sub_u32_e32 v9, v8, v7
	v_cmp_ge_u32_e32 vcc, v8, v7
	v_cndmask_b32_e32 v8, v8, v9, vcc
.LBB521_54:                             ;   in Loop: Header=BB521_49 Depth=3
	s_or_b64 exec, exec, s[8:9]
	v_lshrrev_b32_e32 v9, v22, v0
	v_lshl_or_b32 v7, v9, v21, v7
	v_lshl_add_u32 v9, v7, 1, v10
	v_lshl_add_u32 v7, v8, 1, v9
	v_add_u32_e32 v8, -2, v9
	ds_read_u16 v9, v7
	ds_read_u16 v8, v8
	s_waitcnt lgkmcnt(1)
	v_lshlrev_b32_e32 v9, 16, v9
	s_waitcnt lgkmcnt(0)
	v_lshlrev_b32_e32 v8, 16, v8
	v_max_f32_e32 v23, v8, v8
	v_max_f32_e32 v24, v9, v9
	v_min_f32_e32 v22, v24, v23
	v_cmp_u_f32_e32 vcc, v9, v9
	v_max_f32_e32 v23, v24, v23
	v_cndmask_b32_e32 v22, v22, v9, vcc
	v_cmp_u_f32_e64 s[8:9], v8, v8
	v_cndmask_b32_e32 v23, v23, v9, vcc
	v_cndmask_b32_e64 v22, v22, v8, s[8:9]
	v_cndmask_b32_e64 v8, v23, v8, s[8:9]
	v_cmp_neq_f32_e32 vcc, v22, v8
	v_cmp_class_f32_e64 s[8:9], v22, s34
	s_or_b64 s[44:45], vcc, s[8:9]
	s_and_saveexec_b64 s[8:9], s[44:45]
	s_cbranch_execz .LBB521_47
; %bb.55:                               ;   in Loop: Header=BB521_49 Depth=3
	v_sub_f32_e32 v9, v22, v8
	v_mul_f32_e32 v22, 0x3fb8aa3b, v9
	v_fma_f32 v23, v9, s35, -v22
	v_rndne_f32_e32 v24, v22
	v_fmac_f32_e32 v23, 0x32a5705f, v9
	v_sub_f32_e32 v22, v22, v24
	v_add_f32_e32 v22, v22, v23
	v_cvt_i32_f32_e32 v23, v24
	v_exp_f32_e32 v22, v22
	v_cmp_ngt_f32_e32 vcc, s36, v9
	v_ldexp_f32 v22, v22, v23
	v_cndmask_b32_e32 v22, 0, v22, vcc
	v_cmp_nlt_f32_e32 vcc, s37, v9
	v_cndmask_b32_e32 v9, v15, v22, vcc
	v_add_f32_e32 v24, 1.0, v9
	v_cvt_f64_f32_e32 v[22:23], v24
	v_add_f32_e32 v25, -1.0, v24
	v_sub_f32_e32 v26, v25, v24
	v_sub_f32_e32 v25, v9, v25
	v_frexp_exp_i32_f64_e32 v22, v[22:23]
	v_frexp_mant_f32_e32 v23, v24
	v_cmp_gt_f32_e32 vcc, s39, v23
	v_add_f32_e32 v26, 1.0, v26
	v_add_f32_e32 v25, v25, v26
	v_subbrev_co_u32_e32 v22, vcc, 0, v22, vcc
	v_sub_u32_e32 v23, 0, v22
	v_ldexp_f32 v24, v24, v23
	v_ldexp_f32 v23, v25, v23
	v_add_f32_e32 v25, -1.0, v24
	v_add_f32_e32 v28, 1.0, v24
	v_add_f32_e32 v26, 1.0, v25
	v_add_f32_e32 v29, -1.0, v28
	v_sub_f32_e32 v26, v24, v26
	v_sub_f32_e32 v24, v24, v29
	v_add_f32_e32 v26, v23, v26
	v_add_f32_e32 v23, v23, v24
	;; [unrolled: 1-line block ×3, first 2 shown]
	v_rcp_f32_e32 v29, v24
	v_add_f32_e32 v27, v25, v26
	v_sub_f32_e32 v25, v25, v27
	v_add_f32_e32 v25, v26, v25
	v_sub_f32_e32 v26, v28, v24
	v_add_f32_e32 v23, v23, v26
	v_mul_f32_e32 v26, v27, v29
	v_mul_f32_e32 v28, v24, v26
	v_fma_f32 v30, v26, v24, -v28
	v_fmac_f32_e32 v30, v26, v23
	v_add_f32_e32 v31, v28, v30
	v_sub_f32_e32 v32, v27, v31
	v_sub_f32_e32 v27, v27, v32
	;; [unrolled: 1-line block ×4, first 2 shown]
	v_add_f32_e32 v25, v25, v27
	v_sub_f32_e32 v27, v28, v30
	v_add_f32_e32 v25, v27, v25
	v_add_f32_e32 v27, v32, v25
	v_mul_f32_e32 v28, v29, v27
	v_mul_f32_e32 v30, v24, v28
	v_fma_f32 v24, v28, v24, -v30
	v_fmac_f32_e32 v24, v28, v23
	v_sub_f32_e32 v23, v32, v27
	v_add_f32_e32 v23, v25, v23
	v_add_f32_e32 v25, v30, v24
	v_sub_f32_e32 v31, v27, v25
	v_sub_f32_e32 v27, v27, v31
	;; [unrolled: 1-line block ×4, first 2 shown]
	v_add_f32_e32 v23, v23, v25
	v_sub_f32_e32 v24, v30, v24
	v_cvt_f32_i32_e32 v22, v22
	v_add_f32_e32 v23, v24, v23
	v_add_f32_e32 v24, v26, v28
	v_add_f32_e32 v23, v31, v23
	v_sub_f32_e32 v25, v24, v26
	v_mul_f32_e32 v23, v29, v23
	v_sub_f32_e32 v25, v28, v25
	v_add_f32_e32 v23, v25, v23
	v_mul_f32_e32 v28, 0x3f317218, v22
	v_add_f32_e32 v25, v24, v23
	v_fma_f32 v29, v22, s40, -v28
	v_mul_f32_e32 v26, v25, v25
	v_mov_b32_e32 v27, 0x3ecc95a3
	v_fmac_f32_e32 v29, 0xb102e308, v22
	v_sub_f32_e32 v22, v25, v24
	v_fmac_f32_e32 v27, 0x3e9b6dac, v26
	v_sub_f32_e32 v22, v23, v22
	v_add_f32_e32 v23, v28, v29
	v_fma_f32 v27, v26, v27, v14
	v_sub_f32_e32 v24, v23, v28
	v_ldexp_f32 v28, v25, 1
	v_mul_f32_e32 v25, v25, v26
	v_mul_f32_e32 v25, v25, v27
	v_add_f32_e32 v26, v28, v25
	v_sub_f32_e32 v27, v26, v28
	v_ldexp_f32 v22, v22, 1
	v_sub_f32_e32 v25, v25, v27
	v_add_f32_e32 v22, v22, v25
	v_add_f32_e32 v25, v26, v22
	v_sub_f32_e32 v26, v25, v26
	v_sub_f32_e32 v22, v22, v26
	v_add_f32_e32 v26, v23, v25
	v_sub_f32_e32 v27, v26, v23
	v_sub_f32_e32 v28, v26, v27
	;; [unrolled: 1-line block ×5, first 2 shown]
	v_add_f32_e32 v23, v25, v23
	v_add_f32_e32 v25, v24, v22
	v_sub_f32_e32 v27, v25, v24
	v_sub_f32_e32 v28, v25, v27
	;; [unrolled: 1-line block ×4, first 2 shown]
	v_add_f32_e32 v23, v25, v23
	v_add_f32_e32 v22, v22, v24
	;; [unrolled: 1-line block ×3, first 2 shown]
	v_sub_f32_e32 v25, v24, v26
	v_sub_f32_e32 v23, v23, v25
	v_add_f32_e32 v22, v22, v23
	v_add_f32_e32 v22, v24, v22
	v_cmp_neq_f32_e32 vcc, s38, v9
	v_cndmask_b32_e32 v22, v15, v22, vcc
	v_cmp_lt_f32_e64 vcc, |v9|, s41
	v_cndmask_b32_e32 v9, v22, v9, vcc
	v_add_f32_e32 v9, v8, v9
	s_branch .LBB521_47
.LBB521_56:                             ;   in Loop: Header=BB521_37 Depth=2
	s_or_b64 exec, exec, s[28:29]
	s_and_saveexec_b64 s[8:9], s[4:5]
	s_cbranch_execz .LBB521_36
; %bb.57:                               ;   in Loop: Header=BB521_37 Depth=2
	v_cmp_gt_u64_e32 vcc, s[24:25], v[5:6]
	s_and_saveexec_b64 s[28:29], vcc
	s_cbranch_execz .LBB521_59
; %bb.58:                               ;   in Loop: Header=BB521_37 Depth=2
	ds_read_u16 v7, v11
	v_lshlrev_b64 v[5:6], 1, v[5:6]
	v_add_co_u32_e32 v5, vcc, v19, v5
	v_addc_co_u32_e32 v6, vcc, v20, v6, vcc
	s_waitcnt lgkmcnt(0)
	global_store_short v[5:6], v7, off
.LBB521_59:                             ;   in Loop: Header=BB521_37 Depth=2
	s_or_b64 exec, exec, s[28:29]
	v_cmp_gt_u64_e32 vcc, s[24:25], v[3:4]
	s_and_b64 exec, exec, vcc
	s_cbranch_execz .LBB521_36
; %bb.60:                               ;   in Loop: Header=BB521_37 Depth=2
	ds_read_u16 v5, v12
	v_lshlrev_b64 v[3:4], 1, v[3:4]
	v_add_co_u32_e32 v3, vcc, v19, v3
	v_addc_co_u32_e32 v4, vcc, v20, v4, vcc
	s_waitcnt lgkmcnt(0)
	global_store_short v[3:4], v5, off
	s_branch .LBB521_36
.LBB521_61:
	s_endpgm
	.section	.rodata,"a",@progbits
	.p2align	6, 0x0
	.amdhsa_kernel _ZN2at6native32tensor_kernel_scan_innermost_dimIN3c108BFloat16EZZZNS0_31launch_logcumsumexp_cuda_kernelERKNS_10TensorBaseES6_lENKUlvE_clEvENKUlvE4_clEvEUlS3_S3_E_EEvPT_PKSA_jjjSA_T0_
		.amdhsa_group_segment_fixed_size 0
		.amdhsa_private_segment_fixed_size 0
		.amdhsa_kernarg_size 288
		.amdhsa_user_sgpr_count 6
		.amdhsa_user_sgpr_private_segment_buffer 1
		.amdhsa_user_sgpr_dispatch_ptr 0
		.amdhsa_user_sgpr_queue_ptr 0
		.amdhsa_user_sgpr_kernarg_segment_ptr 1
		.amdhsa_user_sgpr_dispatch_id 0
		.amdhsa_user_sgpr_flat_scratch_init 0
		.amdhsa_user_sgpr_private_segment_size 0
		.amdhsa_uses_dynamic_stack 0
		.amdhsa_system_sgpr_private_segment_wavefront_offset 0
		.amdhsa_system_sgpr_workgroup_id_x 1
		.amdhsa_system_sgpr_workgroup_id_y 0
		.amdhsa_system_sgpr_workgroup_id_z 0
		.amdhsa_system_sgpr_workgroup_info 0
		.amdhsa_system_vgpr_workitem_id 1
		.amdhsa_next_free_vgpr 33
		.amdhsa_next_free_sgpr 46
		.amdhsa_reserve_vcc 1
		.amdhsa_reserve_flat_scratch 0
		.amdhsa_float_round_mode_32 0
		.amdhsa_float_round_mode_16_64 0
		.amdhsa_float_denorm_mode_32 3
		.amdhsa_float_denorm_mode_16_64 3
		.amdhsa_dx10_clamp 1
		.amdhsa_ieee_mode 1
		.amdhsa_fp16_overflow 0
		.amdhsa_exception_fp_ieee_invalid_op 0
		.amdhsa_exception_fp_denorm_src 0
		.amdhsa_exception_fp_ieee_div_zero 0
		.amdhsa_exception_fp_ieee_overflow 0
		.amdhsa_exception_fp_ieee_underflow 0
		.amdhsa_exception_fp_ieee_inexact 0
		.amdhsa_exception_int_div_zero 0
	.end_amdhsa_kernel
	.section	.text._ZN2at6native32tensor_kernel_scan_innermost_dimIN3c108BFloat16EZZZNS0_31launch_logcumsumexp_cuda_kernelERKNS_10TensorBaseES6_lENKUlvE_clEvENKUlvE4_clEvEUlS3_S3_E_EEvPT_PKSA_jjjSA_T0_,"axG",@progbits,_ZN2at6native32tensor_kernel_scan_innermost_dimIN3c108BFloat16EZZZNS0_31launch_logcumsumexp_cuda_kernelERKNS_10TensorBaseES6_lENKUlvE_clEvENKUlvE4_clEvEUlS3_S3_E_EEvPT_PKSA_jjjSA_T0_,comdat
.Lfunc_end521:
	.size	_ZN2at6native32tensor_kernel_scan_innermost_dimIN3c108BFloat16EZZZNS0_31launch_logcumsumexp_cuda_kernelERKNS_10TensorBaseES6_lENKUlvE_clEvENKUlvE4_clEvEUlS3_S3_E_EEvPT_PKSA_jjjSA_T0_, .Lfunc_end521-_ZN2at6native32tensor_kernel_scan_innermost_dimIN3c108BFloat16EZZZNS0_31launch_logcumsumexp_cuda_kernelERKNS_10TensorBaseES6_lENKUlvE_clEvENKUlvE4_clEvEUlS3_S3_E_EEvPT_PKSA_jjjSA_T0_
                                        ; -- End function
	.set _ZN2at6native32tensor_kernel_scan_innermost_dimIN3c108BFloat16EZZZNS0_31launch_logcumsumexp_cuda_kernelERKNS_10TensorBaseES6_lENKUlvE_clEvENKUlvE4_clEvEUlS3_S3_E_EEvPT_PKSA_jjjSA_T0_.num_vgpr, 33
	.set _ZN2at6native32tensor_kernel_scan_innermost_dimIN3c108BFloat16EZZZNS0_31launch_logcumsumexp_cuda_kernelERKNS_10TensorBaseES6_lENKUlvE_clEvENKUlvE4_clEvEUlS3_S3_E_EEvPT_PKSA_jjjSA_T0_.num_agpr, 0
	.set _ZN2at6native32tensor_kernel_scan_innermost_dimIN3c108BFloat16EZZZNS0_31launch_logcumsumexp_cuda_kernelERKNS_10TensorBaseES6_lENKUlvE_clEvENKUlvE4_clEvEUlS3_S3_E_EEvPT_PKSA_jjjSA_T0_.numbered_sgpr, 46
	.set _ZN2at6native32tensor_kernel_scan_innermost_dimIN3c108BFloat16EZZZNS0_31launch_logcumsumexp_cuda_kernelERKNS_10TensorBaseES6_lENKUlvE_clEvENKUlvE4_clEvEUlS3_S3_E_EEvPT_PKSA_jjjSA_T0_.num_named_barrier, 0
	.set _ZN2at6native32tensor_kernel_scan_innermost_dimIN3c108BFloat16EZZZNS0_31launch_logcumsumexp_cuda_kernelERKNS_10TensorBaseES6_lENKUlvE_clEvENKUlvE4_clEvEUlS3_S3_E_EEvPT_PKSA_jjjSA_T0_.private_seg_size, 0
	.set _ZN2at6native32tensor_kernel_scan_innermost_dimIN3c108BFloat16EZZZNS0_31launch_logcumsumexp_cuda_kernelERKNS_10TensorBaseES6_lENKUlvE_clEvENKUlvE4_clEvEUlS3_S3_E_EEvPT_PKSA_jjjSA_T0_.uses_vcc, 1
	.set _ZN2at6native32tensor_kernel_scan_innermost_dimIN3c108BFloat16EZZZNS0_31launch_logcumsumexp_cuda_kernelERKNS_10TensorBaseES6_lENKUlvE_clEvENKUlvE4_clEvEUlS3_S3_E_EEvPT_PKSA_jjjSA_T0_.uses_flat_scratch, 0
	.set _ZN2at6native32tensor_kernel_scan_innermost_dimIN3c108BFloat16EZZZNS0_31launch_logcumsumexp_cuda_kernelERKNS_10TensorBaseES6_lENKUlvE_clEvENKUlvE4_clEvEUlS3_S3_E_EEvPT_PKSA_jjjSA_T0_.has_dyn_sized_stack, 0
	.set _ZN2at6native32tensor_kernel_scan_innermost_dimIN3c108BFloat16EZZZNS0_31launch_logcumsumexp_cuda_kernelERKNS_10TensorBaseES6_lENKUlvE_clEvENKUlvE4_clEvEUlS3_S3_E_EEvPT_PKSA_jjjSA_T0_.has_recursion, 0
	.set _ZN2at6native32tensor_kernel_scan_innermost_dimIN3c108BFloat16EZZZNS0_31launch_logcumsumexp_cuda_kernelERKNS_10TensorBaseES6_lENKUlvE_clEvENKUlvE4_clEvEUlS3_S3_E_EEvPT_PKSA_jjjSA_T0_.has_indirect_call, 0
	.section	.AMDGPU.csdata,"",@progbits
; Kernel info:
; codeLenInByte = 4564
; TotalNumSgprs: 50
; NumVgprs: 33
; ScratchSize: 0
; MemoryBound: 0
; FloatMode: 240
; IeeeMode: 1
; LDSByteSize: 0 bytes/workgroup (compile time only)
; SGPRBlocks: 6
; VGPRBlocks: 8
; NumSGPRsForWavesPerEU: 50
; NumVGPRsForWavesPerEU: 33
; Occupancy: 7
; WaveLimiterHint : 0
; COMPUTE_PGM_RSRC2:SCRATCH_EN: 0
; COMPUTE_PGM_RSRC2:USER_SGPR: 6
; COMPUTE_PGM_RSRC2:TRAP_HANDLER: 0
; COMPUTE_PGM_RSRC2:TGID_X_EN: 1
; COMPUTE_PGM_RSRC2:TGID_Y_EN: 0
; COMPUTE_PGM_RSRC2:TGID_Z_EN: 0
; COMPUTE_PGM_RSRC2:TIDIG_COMP_CNT: 1
	.section	.text._ZN2at6native28tensor_kernel_scan_outer_dimIN3c108BFloat16EjZZZNS0_31launch_logcumsumexp_cuda_kernelERKNS_10TensorBaseES6_lENKUlvE_clEvENKUlvE4_clEvEUlS3_S3_E_EEvPT_PKSA_jjjSA_T1_,"axG",@progbits,_ZN2at6native28tensor_kernel_scan_outer_dimIN3c108BFloat16EjZZZNS0_31launch_logcumsumexp_cuda_kernelERKNS_10TensorBaseES6_lENKUlvE_clEvENKUlvE4_clEvEUlS3_S3_E_EEvPT_PKSA_jjjSA_T1_,comdat
	.globl	_ZN2at6native28tensor_kernel_scan_outer_dimIN3c108BFloat16EjZZZNS0_31launch_logcumsumexp_cuda_kernelERKNS_10TensorBaseES6_lENKUlvE_clEvENKUlvE4_clEvEUlS3_S3_E_EEvPT_PKSA_jjjSA_T1_ ; -- Begin function _ZN2at6native28tensor_kernel_scan_outer_dimIN3c108BFloat16EjZZZNS0_31launch_logcumsumexp_cuda_kernelERKNS_10TensorBaseES6_lENKUlvE_clEvENKUlvE4_clEvEUlS3_S3_E_EEvPT_PKSA_jjjSA_T1_
	.p2align	8
	.type	_ZN2at6native28tensor_kernel_scan_outer_dimIN3c108BFloat16EjZZZNS0_31launch_logcumsumexp_cuda_kernelERKNS_10TensorBaseES6_lENKUlvE_clEvENKUlvE4_clEvEUlS3_S3_E_EEvPT_PKSA_jjjSA_T1_,@function
_ZN2at6native28tensor_kernel_scan_outer_dimIN3c108BFloat16EjZZZNS0_31launch_logcumsumexp_cuda_kernelERKNS_10TensorBaseES6_lENKUlvE_clEvENKUlvE4_clEvEUlS3_S3_E_EEvPT_PKSA_jjjSA_T1_: ; @_ZN2at6native28tensor_kernel_scan_outer_dimIN3c108BFloat16EjZZZNS0_31launch_logcumsumexp_cuda_kernelERKNS_10TensorBaseES6_lENKUlvE_clEvENKUlvE4_clEvEUlS3_S3_E_EEvPT_PKSA_jjjSA_T1_
; %bb.0:
	s_load_dwordx4 s[8:11], s[4:5], 0x10
	s_waitcnt lgkmcnt(0)
	s_cmp_ge_u32 s6, s8
	s_cbranch_scc1 .LBB522_11
; %bb.1:
	s_load_dword s0, s[4:5], 0x2c
	s_load_dwordx4 s[12:15], s[4:5], 0x0
	s_load_dword s28, s[4:5], 0x20
	s_add_u32 s4, s4, 32
	s_addc_u32 s5, s5, 0
	s_waitcnt lgkmcnt(0)
	s_and_b32 s29, s0, 0xffff
	s_mul_i32 s7, s7, s29
	s_cmp_lg_u32 s10, 0
	v_add_u32_e32 v2, s7, v0
	s_cselect_b64 s[2:3], -1, 0
	s_mul_i32 s7, s6, s10
	s_mov_b32 s17, 0
	s_mov_b32 s16, s9
	s_mul_i32 s20, s7, s9
	s_mul_i32 s7, s28, s10
	v_cndmask_b32_e64 v0, 0, 1, s[2:3]
	v_cmp_gt_u32_e64 s[0:1], s9, v2
	s_mul_i32 s7, s7, s9
	s_lshl_b64 s[18:19], s[16:17], 1
	v_cmp_ne_u32_e64 s[2:3], 1, v0
	v_mov_b32_e32 v1, 0
	s_movk_i32 s30, 0x1f8
	s_mov_b32 s31, 0x3fb8aa3b
	s_mov_b32 s33, 0xc2ce8ed0
	;; [unrolled: 1-line block ×5, first 2 shown]
	v_mov_b32_e32 v3, 0x3f2aaada
	s_mov_b32 s37, 0x3f317218
	s_mov_b32 s38, 0x33800000
	s_movk_i32 s39, 0x7fff
	v_mov_b32_e32 v4, 0x7f800000
	v_mov_b32_e32 v5, 0x7fc0
	s_mov_b32 s16, s20
	s_branch .LBB522_3
.LBB522_2:                              ;   in Loop: Header=BB522_3 Depth=1
	s_or_b64 exec, exec, s[20:21]
	s_add_i32 s6, s28, s6
	s_add_i32 s16, s16, s7
	s_cmp_ge_u32 s6, s8
	s_cbranch_scc1 .LBB522_11
.LBB522_3:                              ; =>This Loop Header: Depth=1
                                        ;     Child Loop BB522_6 Depth 2
                                        ;       Child Loop BB522_9 Depth 3
	s_and_saveexec_b64 s[20:21], s[0:1]
	s_cbranch_execz .LBB522_2
; %bb.4:                                ;   in Loop: Header=BB522_3 Depth=1
	s_load_dword s40, s[4:5], 0x4
	s_lshl_b64 s[22:23], s[16:17], 1
	s_mov_b64 s[24:25], 0
	v_mov_b32_e32 v0, v2
	s_waitcnt lgkmcnt(0)
	s_mul_i32 s40, s40, s29
	s_branch .LBB522_6
.LBB522_5:                              ;   in Loop: Header=BB522_6 Depth=2
	v_add_u32_e32 v0, s40, v0
	v_cmp_le_u32_e32 vcc, s9, v0
	s_or_b64 s[24:25], vcc, s[24:25]
	s_andn2_b64 exec, exec, s[24:25]
	s_cbranch_execz .LBB522_2
.LBB522_6:                              ;   Parent Loop BB522_3 Depth=1
                                        ; =>  This Loop Header: Depth=2
                                        ;       Child Loop BB522_9 Depth 3
	s_and_b64 vcc, exec, s[2:3]
	s_cbranch_vccnz .LBB522_5
; %bb.7:                                ;   in Loop: Header=BB522_6 Depth=2
	v_lshlrev_b64 v[6:7], 1, v[0:1]
	v_mov_b32_e32 v8, s23
	v_add_co_u32_e32 v6, vcc, s22, v6
	v_addc_co_u32_e32 v7, vcc, v8, v7, vcc
	v_mov_b32_e32 v8, s11
	s_mov_b32 s41, s10
	s_branch .LBB522_9
.LBB522_8:                              ;   in Loop: Header=BB522_9 Depth=3
	s_or_b64 exec, exec, s[26:27]
	v_mov_b32_e32 v8, s13
	v_add_co_u32_e32 v10, vcc, s12, v6
	v_addc_co_u32_e32 v11, vcc, v8, v7, vcc
	v_bfe_u32 v8, v9, 16, 1
	v_add3_u32 v8, v9, v8, s39
	v_cmp_o_f32_e32 vcc, v9, v9
	v_cndmask_b32_sdwa v8, v5, v8, vcc dst_sel:DWORD dst_unused:UNUSED_PAD src0_sel:DWORD src1_sel:WORD_1
	s_add_i32 s41, s41, -1
	v_mov_b32_e32 v9, s19
	v_add_co_u32_e32 v6, vcc, s18, v6
	s_cmp_eq_u32 s41, 0
	v_addc_co_u32_e32 v7, vcc, v7, v9, vcc
	global_store_short v[10:11], v8, off
	s_cbranch_scc1 .LBB522_5
.LBB522_9:                              ;   Parent Loop BB522_3 Depth=1
                                        ;     Parent Loop BB522_6 Depth=2
                                        ; =>    This Inner Loop Header: Depth=3
	v_mov_b32_e32 v10, s15
	v_add_co_u32_e32 v9, vcc, s14, v6
	v_addc_co_u32_e32 v10, vcc, v10, v7, vcc
	global_load_ushort v10, v[9:10], off
	v_lshlrev_b32_e32 v9, 16, v8
	v_max_f32_e32 v8, v9, v9
	v_cmp_u_f32_e32 vcc, v9, v9
	s_waitcnt vmcnt(0)
	v_lshlrev_b32_e32 v11, 16, v10
	v_max_f32_e32 v10, v11, v11
	v_min_f32_e32 v12, v8, v10
	v_max_f32_e32 v8, v8, v10
	v_cndmask_b32_e32 v10, v12, v9, vcc
	v_cndmask_b32_e32 v8, v8, v9, vcc
	v_cmp_u_f32_e32 vcc, v11, v11
	v_cndmask_b32_e32 v10, v10, v11, vcc
	v_cndmask_b32_e32 v8, v8, v11, vcc
	v_cmp_neq_f32_e32 vcc, v10, v8
	v_cmp_class_f32_e64 s[26:27], v10, s30
	s_or_b64 s[42:43], vcc, s[26:27]
	s_and_saveexec_b64 s[26:27], s[42:43]
	s_cbranch_execz .LBB522_8
; %bb.10:                               ;   in Loop: Header=BB522_9 Depth=3
	v_sub_f32_e32 v9, v10, v8
	v_mul_f32_e32 v10, 0x3fb8aa3b, v9
	v_fma_f32 v11, v9, s31, -v10
	v_rndne_f32_e32 v12, v10
	v_fmac_f32_e32 v11, 0x32a5705f, v9
	v_sub_f32_e32 v10, v10, v12
	v_add_f32_e32 v10, v10, v11
	v_cvt_i32_f32_e32 v11, v12
	v_exp_f32_e32 v10, v10
	v_cmp_ngt_f32_e32 vcc, s33, v9
	v_ldexp_f32 v10, v10, v11
	v_cndmask_b32_e32 v10, 0, v10, vcc
	v_cmp_nlt_f32_e32 vcc, s34, v9
	v_cndmask_b32_e32 v11, v4, v10, vcc
	v_add_f32_e32 v12, 1.0, v11
	v_cvt_f64_f32_e32 v[9:10], v12
	v_add_f32_e32 v13, -1.0, v12
	v_sub_f32_e32 v14, v13, v12
	v_sub_f32_e32 v13, v11, v13
	v_frexp_exp_i32_f64_e32 v9, v[9:10]
	v_frexp_mant_f32_e32 v10, v12
	v_cmp_gt_f32_e32 vcc, s36, v10
	v_add_f32_e32 v14, 1.0, v14
	v_add_f32_e32 v13, v13, v14
	v_subbrev_co_u32_e32 v9, vcc, 0, v9, vcc
	v_sub_u32_e32 v10, 0, v9
	v_ldexp_f32 v12, v12, v10
	v_ldexp_f32 v10, v13, v10
	v_add_f32_e32 v13, -1.0, v12
	v_add_f32_e32 v16, 1.0, v12
	v_add_f32_e32 v14, 1.0, v13
	v_add_f32_e32 v17, -1.0, v16
	v_sub_f32_e32 v14, v12, v14
	v_sub_f32_e32 v12, v12, v17
	v_add_f32_e32 v14, v10, v14
	v_add_f32_e32 v10, v10, v12
	;; [unrolled: 1-line block ×3, first 2 shown]
	v_rcp_f32_e32 v17, v12
	v_add_f32_e32 v15, v13, v14
	v_sub_f32_e32 v13, v13, v15
	v_add_f32_e32 v13, v14, v13
	v_sub_f32_e32 v14, v16, v12
	v_add_f32_e32 v10, v10, v14
	v_mul_f32_e32 v14, v15, v17
	v_mul_f32_e32 v16, v12, v14
	v_fma_f32 v18, v14, v12, -v16
	v_fmac_f32_e32 v18, v14, v10
	v_add_f32_e32 v19, v16, v18
	v_sub_f32_e32 v20, v15, v19
	v_sub_f32_e32 v15, v15, v20
	;; [unrolled: 1-line block ×4, first 2 shown]
	v_add_f32_e32 v13, v13, v15
	v_sub_f32_e32 v15, v16, v18
	v_add_f32_e32 v13, v15, v13
	v_add_f32_e32 v15, v20, v13
	v_mul_f32_e32 v16, v17, v15
	v_mul_f32_e32 v18, v12, v16
	v_fma_f32 v12, v16, v12, -v18
	v_fmac_f32_e32 v12, v16, v10
	v_sub_f32_e32 v10, v20, v15
	v_add_f32_e32 v10, v13, v10
	v_add_f32_e32 v13, v18, v12
	v_sub_f32_e32 v19, v15, v13
	v_sub_f32_e32 v15, v15, v19
	;; [unrolled: 1-line block ×4, first 2 shown]
	v_add_f32_e32 v10, v10, v13
	v_sub_f32_e32 v12, v18, v12
	v_cvt_f32_i32_e32 v9, v9
	v_add_f32_e32 v10, v12, v10
	v_add_f32_e32 v12, v14, v16
	v_add_f32_e32 v10, v19, v10
	v_sub_f32_e32 v13, v12, v14
	v_mul_f32_e32 v10, v17, v10
	v_sub_f32_e32 v13, v16, v13
	v_add_f32_e32 v10, v13, v10
	v_mul_f32_e32 v16, 0x3f317218, v9
	v_add_f32_e32 v13, v12, v10
	v_fma_f32 v17, v9, s37, -v16
	v_mul_f32_e32 v14, v13, v13
	v_mov_b32_e32 v15, 0x3ecc95a3
	v_fmac_f32_e32 v17, 0xb102e308, v9
	v_sub_f32_e32 v9, v13, v12
	v_fmac_f32_e32 v15, 0x3e9b6dac, v14
	v_sub_f32_e32 v9, v10, v9
	v_add_f32_e32 v10, v16, v17
	v_fma_f32 v15, v14, v15, v3
	v_sub_f32_e32 v12, v10, v16
	v_ldexp_f32 v16, v13, 1
	v_mul_f32_e32 v13, v13, v14
	v_mul_f32_e32 v13, v13, v15
	v_add_f32_e32 v14, v16, v13
	v_sub_f32_e32 v15, v14, v16
	v_ldexp_f32 v9, v9, 1
	v_sub_f32_e32 v13, v13, v15
	v_add_f32_e32 v9, v9, v13
	v_add_f32_e32 v13, v14, v9
	v_sub_f32_e32 v14, v13, v14
	v_sub_f32_e32 v9, v9, v14
	v_add_f32_e32 v14, v10, v13
	v_sub_f32_e32 v15, v14, v10
	v_sub_f32_e32 v16, v14, v15
	;; [unrolled: 1-line block ×5, first 2 shown]
	v_add_f32_e32 v10, v13, v10
	v_add_f32_e32 v13, v12, v9
	v_sub_f32_e32 v15, v13, v12
	v_sub_f32_e32 v16, v13, v15
	v_sub_f32_e32 v12, v12, v16
	v_sub_f32_e32 v9, v9, v15
	v_add_f32_e32 v10, v13, v10
	v_add_f32_e32 v9, v9, v12
	;; [unrolled: 1-line block ×3, first 2 shown]
	v_sub_f32_e32 v13, v12, v14
	v_sub_f32_e32 v10, v10, v13
	v_add_f32_e32 v9, v9, v10
	v_add_f32_e32 v9, v12, v9
	v_cmp_neq_f32_e32 vcc, s35, v11
	v_cndmask_b32_e32 v9, v4, v9, vcc
	v_cmp_lt_f32_e64 vcc, |v11|, s38
	v_cndmask_b32_e32 v9, v9, v11, vcc
	v_add_f32_e32 v9, v8, v9
	s_branch .LBB522_8
.LBB522_11:
	s_endpgm
	.section	.rodata,"a",@progbits
	.p2align	6, 0x0
	.amdhsa_kernel _ZN2at6native28tensor_kernel_scan_outer_dimIN3c108BFloat16EjZZZNS0_31launch_logcumsumexp_cuda_kernelERKNS_10TensorBaseES6_lENKUlvE_clEvENKUlvE4_clEvEUlS3_S3_E_EEvPT_PKSA_jjjSA_T1_
		.amdhsa_group_segment_fixed_size 0
		.amdhsa_private_segment_fixed_size 0
		.amdhsa_kernarg_size 288
		.amdhsa_user_sgpr_count 6
		.amdhsa_user_sgpr_private_segment_buffer 1
		.amdhsa_user_sgpr_dispatch_ptr 0
		.amdhsa_user_sgpr_queue_ptr 0
		.amdhsa_user_sgpr_kernarg_segment_ptr 1
		.amdhsa_user_sgpr_dispatch_id 0
		.amdhsa_user_sgpr_flat_scratch_init 0
		.amdhsa_user_sgpr_private_segment_size 0
		.amdhsa_uses_dynamic_stack 0
		.amdhsa_system_sgpr_private_segment_wavefront_offset 0
		.amdhsa_system_sgpr_workgroup_id_x 1
		.amdhsa_system_sgpr_workgroup_id_y 1
		.amdhsa_system_sgpr_workgroup_id_z 0
		.amdhsa_system_sgpr_workgroup_info 0
		.amdhsa_system_vgpr_workitem_id 0
		.amdhsa_next_free_vgpr 21
		.amdhsa_next_free_sgpr 44
		.amdhsa_reserve_vcc 1
		.amdhsa_reserve_flat_scratch 0
		.amdhsa_float_round_mode_32 0
		.amdhsa_float_round_mode_16_64 0
		.amdhsa_float_denorm_mode_32 3
		.amdhsa_float_denorm_mode_16_64 3
		.amdhsa_dx10_clamp 1
		.amdhsa_ieee_mode 1
		.amdhsa_fp16_overflow 0
		.amdhsa_exception_fp_ieee_invalid_op 0
		.amdhsa_exception_fp_denorm_src 0
		.amdhsa_exception_fp_ieee_div_zero 0
		.amdhsa_exception_fp_ieee_overflow 0
		.amdhsa_exception_fp_ieee_underflow 0
		.amdhsa_exception_fp_ieee_inexact 0
		.amdhsa_exception_int_div_zero 0
	.end_amdhsa_kernel
	.section	.text._ZN2at6native28tensor_kernel_scan_outer_dimIN3c108BFloat16EjZZZNS0_31launch_logcumsumexp_cuda_kernelERKNS_10TensorBaseES6_lENKUlvE_clEvENKUlvE4_clEvEUlS3_S3_E_EEvPT_PKSA_jjjSA_T1_,"axG",@progbits,_ZN2at6native28tensor_kernel_scan_outer_dimIN3c108BFloat16EjZZZNS0_31launch_logcumsumexp_cuda_kernelERKNS_10TensorBaseES6_lENKUlvE_clEvENKUlvE4_clEvEUlS3_S3_E_EEvPT_PKSA_jjjSA_T1_,comdat
.Lfunc_end522:
	.size	_ZN2at6native28tensor_kernel_scan_outer_dimIN3c108BFloat16EjZZZNS0_31launch_logcumsumexp_cuda_kernelERKNS_10TensorBaseES6_lENKUlvE_clEvENKUlvE4_clEvEUlS3_S3_E_EEvPT_PKSA_jjjSA_T1_, .Lfunc_end522-_ZN2at6native28tensor_kernel_scan_outer_dimIN3c108BFloat16EjZZZNS0_31launch_logcumsumexp_cuda_kernelERKNS_10TensorBaseES6_lENKUlvE_clEvENKUlvE4_clEvEUlS3_S3_E_EEvPT_PKSA_jjjSA_T1_
                                        ; -- End function
	.set _ZN2at6native28tensor_kernel_scan_outer_dimIN3c108BFloat16EjZZZNS0_31launch_logcumsumexp_cuda_kernelERKNS_10TensorBaseES6_lENKUlvE_clEvENKUlvE4_clEvEUlS3_S3_E_EEvPT_PKSA_jjjSA_T1_.num_vgpr, 21
	.set _ZN2at6native28tensor_kernel_scan_outer_dimIN3c108BFloat16EjZZZNS0_31launch_logcumsumexp_cuda_kernelERKNS_10TensorBaseES6_lENKUlvE_clEvENKUlvE4_clEvEUlS3_S3_E_EEvPT_PKSA_jjjSA_T1_.num_agpr, 0
	.set _ZN2at6native28tensor_kernel_scan_outer_dimIN3c108BFloat16EjZZZNS0_31launch_logcumsumexp_cuda_kernelERKNS_10TensorBaseES6_lENKUlvE_clEvENKUlvE4_clEvEUlS3_S3_E_EEvPT_PKSA_jjjSA_T1_.numbered_sgpr, 44
	.set _ZN2at6native28tensor_kernel_scan_outer_dimIN3c108BFloat16EjZZZNS0_31launch_logcumsumexp_cuda_kernelERKNS_10TensorBaseES6_lENKUlvE_clEvENKUlvE4_clEvEUlS3_S3_E_EEvPT_PKSA_jjjSA_T1_.num_named_barrier, 0
	.set _ZN2at6native28tensor_kernel_scan_outer_dimIN3c108BFloat16EjZZZNS0_31launch_logcumsumexp_cuda_kernelERKNS_10TensorBaseES6_lENKUlvE_clEvENKUlvE4_clEvEUlS3_S3_E_EEvPT_PKSA_jjjSA_T1_.private_seg_size, 0
	.set _ZN2at6native28tensor_kernel_scan_outer_dimIN3c108BFloat16EjZZZNS0_31launch_logcumsumexp_cuda_kernelERKNS_10TensorBaseES6_lENKUlvE_clEvENKUlvE4_clEvEUlS3_S3_E_EEvPT_PKSA_jjjSA_T1_.uses_vcc, 1
	.set _ZN2at6native28tensor_kernel_scan_outer_dimIN3c108BFloat16EjZZZNS0_31launch_logcumsumexp_cuda_kernelERKNS_10TensorBaseES6_lENKUlvE_clEvENKUlvE4_clEvEUlS3_S3_E_EEvPT_PKSA_jjjSA_T1_.uses_flat_scratch, 0
	.set _ZN2at6native28tensor_kernel_scan_outer_dimIN3c108BFloat16EjZZZNS0_31launch_logcumsumexp_cuda_kernelERKNS_10TensorBaseES6_lENKUlvE_clEvENKUlvE4_clEvEUlS3_S3_E_EEvPT_PKSA_jjjSA_T1_.has_dyn_sized_stack, 0
	.set _ZN2at6native28tensor_kernel_scan_outer_dimIN3c108BFloat16EjZZZNS0_31launch_logcumsumexp_cuda_kernelERKNS_10TensorBaseES6_lENKUlvE_clEvENKUlvE4_clEvEUlS3_S3_E_EEvPT_PKSA_jjjSA_T1_.has_recursion, 0
	.set _ZN2at6native28tensor_kernel_scan_outer_dimIN3c108BFloat16EjZZZNS0_31launch_logcumsumexp_cuda_kernelERKNS_10TensorBaseES6_lENKUlvE_clEvENKUlvE4_clEvEUlS3_S3_E_EEvPT_PKSA_jjjSA_T1_.has_indirect_call, 0
	.section	.AMDGPU.csdata,"",@progbits
; Kernel info:
; codeLenInByte = 1096
; TotalNumSgprs: 48
; NumVgprs: 21
; ScratchSize: 0
; MemoryBound: 0
; FloatMode: 240
; IeeeMode: 1
; LDSByteSize: 0 bytes/workgroup (compile time only)
; SGPRBlocks: 5
; VGPRBlocks: 5
; NumSGPRsForWavesPerEU: 48
; NumVGPRsForWavesPerEU: 21
; Occupancy: 10
; WaveLimiterHint : 0
; COMPUTE_PGM_RSRC2:SCRATCH_EN: 0
; COMPUTE_PGM_RSRC2:USER_SGPR: 6
; COMPUTE_PGM_RSRC2:TRAP_HANDLER: 0
; COMPUTE_PGM_RSRC2:TGID_X_EN: 1
; COMPUTE_PGM_RSRC2:TGID_Y_EN: 1
; COMPUTE_PGM_RSRC2:TGID_Z_EN: 0
; COMPUTE_PGM_RSRC2:TIDIG_COMP_CNT: 0
	.section	.text._ZN2at6native28tensor_kernel_scan_outer_dimIN3c108BFloat16EmZZZNS0_31launch_logcumsumexp_cuda_kernelERKNS_10TensorBaseES6_lENKUlvE_clEvENKUlvE4_clEvEUlS3_S3_E_EEvPT_PKSA_jjjSA_T1_,"axG",@progbits,_ZN2at6native28tensor_kernel_scan_outer_dimIN3c108BFloat16EmZZZNS0_31launch_logcumsumexp_cuda_kernelERKNS_10TensorBaseES6_lENKUlvE_clEvENKUlvE4_clEvEUlS3_S3_E_EEvPT_PKSA_jjjSA_T1_,comdat
	.globl	_ZN2at6native28tensor_kernel_scan_outer_dimIN3c108BFloat16EmZZZNS0_31launch_logcumsumexp_cuda_kernelERKNS_10TensorBaseES6_lENKUlvE_clEvENKUlvE4_clEvEUlS3_S3_E_EEvPT_PKSA_jjjSA_T1_ ; -- Begin function _ZN2at6native28tensor_kernel_scan_outer_dimIN3c108BFloat16EmZZZNS0_31launch_logcumsumexp_cuda_kernelERKNS_10TensorBaseES6_lENKUlvE_clEvENKUlvE4_clEvEUlS3_S3_E_EEvPT_PKSA_jjjSA_T1_
	.p2align	8
	.type	_ZN2at6native28tensor_kernel_scan_outer_dimIN3c108BFloat16EmZZZNS0_31launch_logcumsumexp_cuda_kernelERKNS_10TensorBaseES6_lENKUlvE_clEvENKUlvE4_clEvEUlS3_S3_E_EEvPT_PKSA_jjjSA_T1_,@function
_ZN2at6native28tensor_kernel_scan_outer_dimIN3c108BFloat16EmZZZNS0_31launch_logcumsumexp_cuda_kernelERKNS_10TensorBaseES6_lENKUlvE_clEvENKUlvE4_clEvEUlS3_S3_E_EEvPT_PKSA_jjjSA_T1_: ; @_ZN2at6native28tensor_kernel_scan_outer_dimIN3c108BFloat16EmZZZNS0_31launch_logcumsumexp_cuda_kernelERKNS_10TensorBaseES6_lENKUlvE_clEvENKUlvE4_clEvEUlS3_S3_E_EEvPT_PKSA_jjjSA_T1_
; %bb.0:
	s_load_dwordx4 s[8:11], s[4:5], 0x10
	s_waitcnt lgkmcnt(0)
	s_cmp_ge_u32 s6, s8
	s_cbranch_scc1 .LBB523_11
; %bb.1:
	s_load_dword s0, s[4:5], 0x2c
	s_load_dwordx4 s[12:15], s[4:5], 0x0
	s_load_dword s26, s[4:5], 0x20
	s_add_u32 s4, s4, 32
	s_addc_u32 s5, s5, 0
	s_waitcnt lgkmcnt(0)
	s_and_b32 s27, s0, 0xffff
	s_cmp_lg_u32 s10, 0
	s_mul_i32 s7, s7, s27
	s_cselect_b64 s[20:21], -1, 0
	v_add_u32_e32 v2, s7, v0
	s_mov_b32 s3, 0
	s_mov_b32 s2, s9
	s_mul_hi_u32 s17, s10, s9
	s_mul_i32 s16, s10, s9
	v_cndmask_b32_e64 v0, 0, 1, s[20:21]
	v_cmp_gt_u32_e64 s[0:1], s9, v2
	s_lshl_b64 s[16:17], s[16:17], 1
	s_lshl_b64 s[18:19], s[2:3], 1
	v_cmp_ne_u32_e64 s[2:3], 1, v0
	v_mov_b32_e32 v1, 0
	s_movk_i32 s7, 0x1f8
	s_mov_b32 s28, 0x3fb8aa3b
	s_mov_b32 s29, 0xc2ce8ed0
	;; [unrolled: 1-line block ×5, first 2 shown]
	v_mov_b32_e32 v3, 0x3f2aaada
	s_mov_b32 s34, 0x3f317218
	s_mov_b32 s35, 0x33800000
	s_movk_i32 s36, 0x7fff
	v_mov_b32_e32 v4, 0x7f800000
	v_mov_b32_e32 v5, 0x7fc0
	s_branch .LBB523_3
.LBB523_2:                              ;   in Loop: Header=BB523_3 Depth=1
	s_or_b64 exec, exec, s[20:21]
	s_add_i32 s6, s6, s26
	s_cmp_ge_u32 s6, s8
	s_cbranch_scc1 .LBB523_11
.LBB523_3:                              ; =>This Loop Header: Depth=1
                                        ;     Child Loop BB523_6 Depth 2
                                        ;       Child Loop BB523_9 Depth 3
	s_and_saveexec_b64 s[20:21], s[0:1]
	s_cbranch_execz .LBB523_2
; %bb.4:                                ;   in Loop: Header=BB523_3 Depth=1
	s_load_dword s39, s[4:5], 0x4
	s_mul_i32 s22, s17, s6
	s_mul_hi_u32 s23, s16, s6
	s_mul_i32 s37, s16, s6
	s_add_i32 s38, s23, s22
	s_waitcnt lgkmcnt(0)
	s_mul_i32 s39, s39, s27
	s_mov_b64 s[22:23], 0
	v_mov_b32_e32 v0, v2
	s_branch .LBB523_6
.LBB523_5:                              ;   in Loop: Header=BB523_6 Depth=2
	v_add_u32_e32 v0, s39, v0
	v_cmp_le_u32_e32 vcc, s9, v0
	s_or_b64 s[22:23], vcc, s[22:23]
	s_andn2_b64 exec, exec, s[22:23]
	s_cbranch_execz .LBB523_2
.LBB523_6:                              ;   Parent Loop BB523_3 Depth=1
                                        ; =>  This Loop Header: Depth=2
                                        ;       Child Loop BB523_9 Depth 3
	s_and_b64 vcc, exec, s[2:3]
	s_cbranch_vccnz .LBB523_5
; %bb.7:                                ;   in Loop: Header=BB523_6 Depth=2
	v_lshlrev_b64 v[6:7], 1, v[0:1]
	v_mov_b32_e32 v8, s38
	v_add_co_u32_e32 v6, vcc, s37, v6
	v_addc_co_u32_e32 v7, vcc, v8, v7, vcc
	v_mov_b32_e32 v8, s11
	s_mov_b32 s40, s10
	s_branch .LBB523_9
.LBB523_8:                              ;   in Loop: Header=BB523_9 Depth=3
	s_or_b64 exec, exec, s[24:25]
	v_mov_b32_e32 v8, s13
	v_add_co_u32_e32 v10, vcc, s12, v6
	v_addc_co_u32_e32 v11, vcc, v8, v7, vcc
	v_bfe_u32 v8, v9, 16, 1
	v_add3_u32 v8, v9, v8, s36
	v_cmp_o_f32_e32 vcc, v9, v9
	v_cndmask_b32_sdwa v8, v5, v8, vcc dst_sel:DWORD dst_unused:UNUSED_PAD src0_sel:DWORD src1_sel:WORD_1
	s_add_i32 s40, s40, -1
	v_mov_b32_e32 v9, s19
	v_add_co_u32_e32 v6, vcc, s18, v6
	s_cmp_eq_u32 s40, 0
	v_addc_co_u32_e32 v7, vcc, v7, v9, vcc
	global_store_short v[10:11], v8, off
	s_cbranch_scc1 .LBB523_5
.LBB523_9:                              ;   Parent Loop BB523_3 Depth=1
                                        ;     Parent Loop BB523_6 Depth=2
                                        ; =>    This Inner Loop Header: Depth=3
	v_mov_b32_e32 v10, s15
	v_add_co_u32_e32 v9, vcc, s14, v6
	v_addc_co_u32_e32 v10, vcc, v10, v7, vcc
	global_load_ushort v10, v[9:10], off
	v_lshlrev_b32_e32 v9, 16, v8
	v_max_f32_e32 v8, v9, v9
	v_cmp_u_f32_e32 vcc, v9, v9
	s_waitcnt vmcnt(0)
	v_lshlrev_b32_e32 v11, 16, v10
	v_max_f32_e32 v10, v11, v11
	v_min_f32_e32 v12, v8, v10
	v_max_f32_e32 v8, v8, v10
	v_cndmask_b32_e32 v10, v12, v9, vcc
	v_cndmask_b32_e32 v8, v8, v9, vcc
	v_cmp_u_f32_e32 vcc, v11, v11
	v_cndmask_b32_e32 v10, v10, v11, vcc
	v_cndmask_b32_e32 v8, v8, v11, vcc
	v_cmp_neq_f32_e32 vcc, v10, v8
	v_cmp_class_f32_e64 s[24:25], v10, s7
	s_or_b64 s[42:43], vcc, s[24:25]
	s_and_saveexec_b64 s[24:25], s[42:43]
	s_cbranch_execz .LBB523_8
; %bb.10:                               ;   in Loop: Header=BB523_9 Depth=3
	v_sub_f32_e32 v9, v10, v8
	v_mul_f32_e32 v10, 0x3fb8aa3b, v9
	v_fma_f32 v11, v9, s28, -v10
	v_rndne_f32_e32 v12, v10
	v_fmac_f32_e32 v11, 0x32a5705f, v9
	v_sub_f32_e32 v10, v10, v12
	v_add_f32_e32 v10, v10, v11
	v_cvt_i32_f32_e32 v11, v12
	v_exp_f32_e32 v10, v10
	v_cmp_ngt_f32_e32 vcc, s29, v9
	v_ldexp_f32 v10, v10, v11
	v_cndmask_b32_e32 v10, 0, v10, vcc
	v_cmp_nlt_f32_e32 vcc, s30, v9
	v_cndmask_b32_e32 v11, v4, v10, vcc
	v_add_f32_e32 v12, 1.0, v11
	v_cvt_f64_f32_e32 v[9:10], v12
	v_add_f32_e32 v13, -1.0, v12
	v_sub_f32_e32 v14, v13, v12
	v_sub_f32_e32 v13, v11, v13
	v_frexp_exp_i32_f64_e32 v9, v[9:10]
	v_frexp_mant_f32_e32 v10, v12
	v_cmp_gt_f32_e32 vcc, s33, v10
	v_add_f32_e32 v14, 1.0, v14
	v_add_f32_e32 v13, v13, v14
	v_subbrev_co_u32_e32 v9, vcc, 0, v9, vcc
	v_sub_u32_e32 v10, 0, v9
	v_ldexp_f32 v12, v12, v10
	v_ldexp_f32 v10, v13, v10
	v_add_f32_e32 v13, -1.0, v12
	v_add_f32_e32 v16, 1.0, v12
	v_add_f32_e32 v14, 1.0, v13
	v_add_f32_e32 v17, -1.0, v16
	v_sub_f32_e32 v14, v12, v14
	v_sub_f32_e32 v12, v12, v17
	v_add_f32_e32 v14, v10, v14
	v_add_f32_e32 v10, v10, v12
	;; [unrolled: 1-line block ×3, first 2 shown]
	v_rcp_f32_e32 v17, v12
	v_add_f32_e32 v15, v13, v14
	v_sub_f32_e32 v13, v13, v15
	v_add_f32_e32 v13, v14, v13
	v_sub_f32_e32 v14, v16, v12
	v_add_f32_e32 v10, v10, v14
	v_mul_f32_e32 v14, v15, v17
	v_mul_f32_e32 v16, v12, v14
	v_fma_f32 v18, v14, v12, -v16
	v_fmac_f32_e32 v18, v14, v10
	v_add_f32_e32 v19, v16, v18
	v_sub_f32_e32 v20, v15, v19
	v_sub_f32_e32 v15, v15, v20
	;; [unrolled: 1-line block ×4, first 2 shown]
	v_add_f32_e32 v13, v13, v15
	v_sub_f32_e32 v15, v16, v18
	v_add_f32_e32 v13, v15, v13
	v_add_f32_e32 v15, v20, v13
	v_mul_f32_e32 v16, v17, v15
	v_mul_f32_e32 v18, v12, v16
	v_fma_f32 v12, v16, v12, -v18
	v_fmac_f32_e32 v12, v16, v10
	v_sub_f32_e32 v10, v20, v15
	v_add_f32_e32 v10, v13, v10
	v_add_f32_e32 v13, v18, v12
	v_sub_f32_e32 v19, v15, v13
	v_sub_f32_e32 v15, v15, v19
	;; [unrolled: 1-line block ×4, first 2 shown]
	v_add_f32_e32 v10, v10, v13
	v_sub_f32_e32 v12, v18, v12
	v_cvt_f32_i32_e32 v9, v9
	v_add_f32_e32 v10, v12, v10
	v_add_f32_e32 v12, v14, v16
	v_add_f32_e32 v10, v19, v10
	v_sub_f32_e32 v13, v12, v14
	v_mul_f32_e32 v10, v17, v10
	v_sub_f32_e32 v13, v16, v13
	v_add_f32_e32 v10, v13, v10
	v_mul_f32_e32 v16, 0x3f317218, v9
	v_add_f32_e32 v13, v12, v10
	v_fma_f32 v17, v9, s34, -v16
	v_mul_f32_e32 v14, v13, v13
	v_mov_b32_e32 v15, 0x3ecc95a3
	v_fmac_f32_e32 v17, 0xb102e308, v9
	v_sub_f32_e32 v9, v13, v12
	v_fmac_f32_e32 v15, 0x3e9b6dac, v14
	v_sub_f32_e32 v9, v10, v9
	v_add_f32_e32 v10, v16, v17
	v_fma_f32 v15, v14, v15, v3
	v_sub_f32_e32 v12, v10, v16
	v_ldexp_f32 v16, v13, 1
	v_mul_f32_e32 v13, v13, v14
	v_mul_f32_e32 v13, v13, v15
	v_add_f32_e32 v14, v16, v13
	v_sub_f32_e32 v15, v14, v16
	v_ldexp_f32 v9, v9, 1
	v_sub_f32_e32 v13, v13, v15
	v_add_f32_e32 v9, v9, v13
	v_add_f32_e32 v13, v14, v9
	v_sub_f32_e32 v14, v13, v14
	v_sub_f32_e32 v9, v9, v14
	v_add_f32_e32 v14, v10, v13
	v_sub_f32_e32 v15, v14, v10
	v_sub_f32_e32 v16, v14, v15
	v_sub_f32_e32 v12, v17, v12
	v_sub_f32_e32 v10, v10, v16
	v_sub_f32_e32 v13, v13, v15
	v_add_f32_e32 v10, v13, v10
	v_add_f32_e32 v13, v12, v9
	v_sub_f32_e32 v15, v13, v12
	v_sub_f32_e32 v16, v13, v15
	;; [unrolled: 1-line block ×4, first 2 shown]
	v_add_f32_e32 v10, v13, v10
	v_add_f32_e32 v9, v9, v12
	;; [unrolled: 1-line block ×3, first 2 shown]
	v_sub_f32_e32 v13, v12, v14
	v_sub_f32_e32 v10, v10, v13
	v_add_f32_e32 v9, v9, v10
	v_add_f32_e32 v9, v12, v9
	v_cmp_neq_f32_e32 vcc, s31, v11
	v_cndmask_b32_e32 v9, v4, v9, vcc
	v_cmp_lt_f32_e64 vcc, |v11|, s35
	v_cndmask_b32_e32 v9, v9, v11, vcc
	v_add_f32_e32 v9, v8, v9
	s_branch .LBB523_8
.LBB523_11:
	s_endpgm
	.section	.rodata,"a",@progbits
	.p2align	6, 0x0
	.amdhsa_kernel _ZN2at6native28tensor_kernel_scan_outer_dimIN3c108BFloat16EmZZZNS0_31launch_logcumsumexp_cuda_kernelERKNS_10TensorBaseES6_lENKUlvE_clEvENKUlvE4_clEvEUlS3_S3_E_EEvPT_PKSA_jjjSA_T1_
		.amdhsa_group_segment_fixed_size 0
		.amdhsa_private_segment_fixed_size 0
		.amdhsa_kernarg_size 288
		.amdhsa_user_sgpr_count 6
		.amdhsa_user_sgpr_private_segment_buffer 1
		.amdhsa_user_sgpr_dispatch_ptr 0
		.amdhsa_user_sgpr_queue_ptr 0
		.amdhsa_user_sgpr_kernarg_segment_ptr 1
		.amdhsa_user_sgpr_dispatch_id 0
		.amdhsa_user_sgpr_flat_scratch_init 0
		.amdhsa_user_sgpr_private_segment_size 0
		.amdhsa_uses_dynamic_stack 0
		.amdhsa_system_sgpr_private_segment_wavefront_offset 0
		.amdhsa_system_sgpr_workgroup_id_x 1
		.amdhsa_system_sgpr_workgroup_id_y 1
		.amdhsa_system_sgpr_workgroup_id_z 0
		.amdhsa_system_sgpr_workgroup_info 0
		.amdhsa_system_vgpr_workitem_id 0
		.amdhsa_next_free_vgpr 21
		.amdhsa_next_free_sgpr 44
		.amdhsa_reserve_vcc 1
		.amdhsa_reserve_flat_scratch 0
		.amdhsa_float_round_mode_32 0
		.amdhsa_float_round_mode_16_64 0
		.amdhsa_float_denorm_mode_32 3
		.amdhsa_float_denorm_mode_16_64 3
		.amdhsa_dx10_clamp 1
		.amdhsa_ieee_mode 1
		.amdhsa_fp16_overflow 0
		.amdhsa_exception_fp_ieee_invalid_op 0
		.amdhsa_exception_fp_denorm_src 0
		.amdhsa_exception_fp_ieee_div_zero 0
		.amdhsa_exception_fp_ieee_overflow 0
		.amdhsa_exception_fp_ieee_underflow 0
		.amdhsa_exception_fp_ieee_inexact 0
		.amdhsa_exception_int_div_zero 0
	.end_amdhsa_kernel
	.section	.text._ZN2at6native28tensor_kernel_scan_outer_dimIN3c108BFloat16EmZZZNS0_31launch_logcumsumexp_cuda_kernelERKNS_10TensorBaseES6_lENKUlvE_clEvENKUlvE4_clEvEUlS3_S3_E_EEvPT_PKSA_jjjSA_T1_,"axG",@progbits,_ZN2at6native28tensor_kernel_scan_outer_dimIN3c108BFloat16EmZZZNS0_31launch_logcumsumexp_cuda_kernelERKNS_10TensorBaseES6_lENKUlvE_clEvENKUlvE4_clEvEUlS3_S3_E_EEvPT_PKSA_jjjSA_T1_,comdat
.Lfunc_end523:
	.size	_ZN2at6native28tensor_kernel_scan_outer_dimIN3c108BFloat16EmZZZNS0_31launch_logcumsumexp_cuda_kernelERKNS_10TensorBaseES6_lENKUlvE_clEvENKUlvE4_clEvEUlS3_S3_E_EEvPT_PKSA_jjjSA_T1_, .Lfunc_end523-_ZN2at6native28tensor_kernel_scan_outer_dimIN3c108BFloat16EmZZZNS0_31launch_logcumsumexp_cuda_kernelERKNS_10TensorBaseES6_lENKUlvE_clEvENKUlvE4_clEvEUlS3_S3_E_EEvPT_PKSA_jjjSA_T1_
                                        ; -- End function
	.set _ZN2at6native28tensor_kernel_scan_outer_dimIN3c108BFloat16EmZZZNS0_31launch_logcumsumexp_cuda_kernelERKNS_10TensorBaseES6_lENKUlvE_clEvENKUlvE4_clEvEUlS3_S3_E_EEvPT_PKSA_jjjSA_T1_.num_vgpr, 21
	.set _ZN2at6native28tensor_kernel_scan_outer_dimIN3c108BFloat16EmZZZNS0_31launch_logcumsumexp_cuda_kernelERKNS_10TensorBaseES6_lENKUlvE_clEvENKUlvE4_clEvEUlS3_S3_E_EEvPT_PKSA_jjjSA_T1_.num_agpr, 0
	.set _ZN2at6native28tensor_kernel_scan_outer_dimIN3c108BFloat16EmZZZNS0_31launch_logcumsumexp_cuda_kernelERKNS_10TensorBaseES6_lENKUlvE_clEvENKUlvE4_clEvEUlS3_S3_E_EEvPT_PKSA_jjjSA_T1_.numbered_sgpr, 44
	.set _ZN2at6native28tensor_kernel_scan_outer_dimIN3c108BFloat16EmZZZNS0_31launch_logcumsumexp_cuda_kernelERKNS_10TensorBaseES6_lENKUlvE_clEvENKUlvE4_clEvEUlS3_S3_E_EEvPT_PKSA_jjjSA_T1_.num_named_barrier, 0
	.set _ZN2at6native28tensor_kernel_scan_outer_dimIN3c108BFloat16EmZZZNS0_31launch_logcumsumexp_cuda_kernelERKNS_10TensorBaseES6_lENKUlvE_clEvENKUlvE4_clEvEUlS3_S3_E_EEvPT_PKSA_jjjSA_T1_.private_seg_size, 0
	.set _ZN2at6native28tensor_kernel_scan_outer_dimIN3c108BFloat16EmZZZNS0_31launch_logcumsumexp_cuda_kernelERKNS_10TensorBaseES6_lENKUlvE_clEvENKUlvE4_clEvEUlS3_S3_E_EEvPT_PKSA_jjjSA_T1_.uses_vcc, 1
	.set _ZN2at6native28tensor_kernel_scan_outer_dimIN3c108BFloat16EmZZZNS0_31launch_logcumsumexp_cuda_kernelERKNS_10TensorBaseES6_lENKUlvE_clEvENKUlvE4_clEvEUlS3_S3_E_EEvPT_PKSA_jjjSA_T1_.uses_flat_scratch, 0
	.set _ZN2at6native28tensor_kernel_scan_outer_dimIN3c108BFloat16EmZZZNS0_31launch_logcumsumexp_cuda_kernelERKNS_10TensorBaseES6_lENKUlvE_clEvENKUlvE4_clEvEUlS3_S3_E_EEvPT_PKSA_jjjSA_T1_.has_dyn_sized_stack, 0
	.set _ZN2at6native28tensor_kernel_scan_outer_dimIN3c108BFloat16EmZZZNS0_31launch_logcumsumexp_cuda_kernelERKNS_10TensorBaseES6_lENKUlvE_clEvENKUlvE4_clEvEUlS3_S3_E_EEvPT_PKSA_jjjSA_T1_.has_recursion, 0
	.set _ZN2at6native28tensor_kernel_scan_outer_dimIN3c108BFloat16EmZZZNS0_31launch_logcumsumexp_cuda_kernelERKNS_10TensorBaseES6_lENKUlvE_clEvENKUlvE4_clEvEUlS3_S3_E_EEvPT_PKSA_jjjSA_T1_.has_indirect_call, 0
	.section	.AMDGPU.csdata,"",@progbits
; Kernel info:
; codeLenInByte = 1096
; TotalNumSgprs: 48
; NumVgprs: 21
; ScratchSize: 0
; MemoryBound: 0
; FloatMode: 240
; IeeeMode: 1
; LDSByteSize: 0 bytes/workgroup (compile time only)
; SGPRBlocks: 5
; VGPRBlocks: 5
; NumSGPRsForWavesPerEU: 48
; NumVGPRsForWavesPerEU: 21
; Occupancy: 10
; WaveLimiterHint : 0
; COMPUTE_PGM_RSRC2:SCRATCH_EN: 0
; COMPUTE_PGM_RSRC2:USER_SGPR: 6
; COMPUTE_PGM_RSRC2:TRAP_HANDLER: 0
; COMPUTE_PGM_RSRC2:TGID_X_EN: 1
; COMPUTE_PGM_RSRC2:TGID_Y_EN: 1
; COMPUTE_PGM_RSRC2:TGID_Z_EN: 0
; COMPUTE_PGM_RSRC2:TIDIG_COMP_CNT: 0
	.section	.AMDGPU.gpr_maximums,"",@progbits
	.set amdgpu.max_num_vgpr, 55
	.set amdgpu.max_num_agpr, 0
	.set amdgpu.max_num_sgpr, 41
	.section	.AMDGPU.csdata,"",@progbits
	.type	__hip_cuid_27e7582eb3caf828,@object ; @__hip_cuid_27e7582eb3caf828
	.section	.bss,"aw",@nobits
	.globl	__hip_cuid_27e7582eb3caf828
__hip_cuid_27e7582eb3caf828:
	.byte	0                               ; 0x0
	.size	__hip_cuid_27e7582eb3caf828, 1

	.ident	"AMD clang version 22.0.0git (https://github.com/RadeonOpenCompute/llvm-project roc-7.2.4 26084 f58b06dce1f9c15707c5f808fd002e18c2accf7e)"
	.section	".note.GNU-stack","",@progbits
	.addrsig
	.addrsig_sym __hip_cuid_27e7582eb3caf828
	.amdgpu_metadata
---
amdhsa.kernels:
  - .args:
      - .address_space:  global
        .offset:         0
        .size:           8
        .value_kind:     global_buffer
      - .offset:         8
        .size:           4
        .value_kind:     by_value
      - .offset:         12
        .size:           1
        .value_kind:     by_value
      - .offset:         16
        .size:           4
        .value_kind:     by_value
      - .address_space:  global
        .offset:         24
        .size:           8
        .value_kind:     global_buffer
      - .offset:         32
        .size:           4
        .value_kind:     hidden_block_count_x
      - .offset:         36
        .size:           4
        .value_kind:     hidden_block_count_y
      - .offset:         40
        .size:           4
        .value_kind:     hidden_block_count_z
      - .offset:         44
        .size:           2
        .value_kind:     hidden_group_size_x
      - .offset:         46
        .size:           2
        .value_kind:     hidden_group_size_y
      - .offset:         48
        .size:           2
        .value_kind:     hidden_group_size_z
      - .offset:         50
        .size:           2
        .value_kind:     hidden_remainder_x
      - .offset:         52
        .size:           2
        .value_kind:     hidden_remainder_y
      - .offset:         54
        .size:           2
        .value_kind:     hidden_remainder_z
      - .offset:         72
        .size:           8
        .value_kind:     hidden_global_offset_x
      - .offset:         80
        .size:           8
        .value_kind:     hidden_global_offset_y
      - .offset:         88
        .size:           8
        .value_kind:     hidden_global_offset_z
      - .offset:         96
        .size:           2
        .value_kind:     hidden_grid_dims
    .group_segment_fixed_size: 0
    .kernarg_segment_align: 8
    .kernarg_segment_size: 288
    .language:       OpenCL C
    .language_version:
      - 2
      - 0
    .max_flat_workgroup_size: 256
    .name:           _ZN7rocprim17ROCPRIM_400000_NS6detail31init_lookback_scan_state_kernelINS1_19lookback_scan_stateIdLb0ELb1EEENS1_16block_id_wrapperIjLb0EEEEEvT_jT0_jPNS7_10value_typeE
    .private_segment_fixed_size: 0
    .sgpr_count:     17
    .sgpr_spill_count: 0
    .symbol:         _ZN7rocprim17ROCPRIM_400000_NS6detail31init_lookback_scan_state_kernelINS1_19lookback_scan_stateIdLb0ELb1EEENS1_16block_id_wrapperIjLb0EEEEEvT_jT0_jPNS7_10value_typeE.kd
    .uniform_work_group_size: 1
    .uses_dynamic_stack: false
    .vgpr_count:     8
    .vgpr_spill_count: 0
    .wavefront_size: 64
  - .args:
      - .offset:         0
        .size:           104
        .value_kind:     by_value
    .group_segment_fixed_size: 0
    .kernarg_segment_align: 8
    .kernarg_segment_size: 104
    .language:       OpenCL C
    .language_version:
      - 2
      - 0
    .max_flat_workgroup_size: 256
    .name:           _ZN7rocprim17ROCPRIM_400000_NS6detail17trampoline_kernelINS0_14default_configENS1_20scan_config_selectorIdEEZZNS1_9scan_implILNS1_25lookback_scan_determinismE0ELb0ELb0ES3_PKdPddZZZN2at6native31launch_logcumsumexp_cuda_kernelERKNSB_10TensorBaseESF_lENKUlvE_clEvENKUlvE_clEvEUlddE_dEEDaPvRmT3_T4_T5_mT6_P12ihipStream_tbENKUlT_T0_E_clISt17integral_constantIbLb0EESW_EEDaSR_SS_EUlSR_E_NS1_11comp_targetILNS1_3genE0ELNS1_11target_archE4294967295ELNS1_3gpuE0ELNS1_3repE0EEENS1_30default_config_static_selectorELNS0_4arch9wavefront6targetE1EEEvT1_
    .private_segment_fixed_size: 0
    .sgpr_count:     4
    .sgpr_spill_count: 0
    .symbol:         _ZN7rocprim17ROCPRIM_400000_NS6detail17trampoline_kernelINS0_14default_configENS1_20scan_config_selectorIdEEZZNS1_9scan_implILNS1_25lookback_scan_determinismE0ELb0ELb0ES3_PKdPddZZZN2at6native31launch_logcumsumexp_cuda_kernelERKNSB_10TensorBaseESF_lENKUlvE_clEvENKUlvE_clEvEUlddE_dEEDaPvRmT3_T4_T5_mT6_P12ihipStream_tbENKUlT_T0_E_clISt17integral_constantIbLb0EESW_EEDaSR_SS_EUlSR_E_NS1_11comp_targetILNS1_3genE0ELNS1_11target_archE4294967295ELNS1_3gpuE0ELNS1_3repE0EEENS1_30default_config_static_selectorELNS0_4arch9wavefront6targetE1EEEvT1_.kd
    .uniform_work_group_size: 1
    .uses_dynamic_stack: false
    .vgpr_count:     0
    .vgpr_spill_count: 0
    .wavefront_size: 64
  - .args:
      - .offset:         0
        .size:           104
        .value_kind:     by_value
    .group_segment_fixed_size: 0
    .kernarg_segment_align: 8
    .kernarg_segment_size: 104
    .language:       OpenCL C
    .language_version:
      - 2
      - 0
    .max_flat_workgroup_size: 256
    .name:           _ZN7rocprim17ROCPRIM_400000_NS6detail17trampoline_kernelINS0_14default_configENS1_20scan_config_selectorIdEEZZNS1_9scan_implILNS1_25lookback_scan_determinismE0ELb0ELb0ES3_PKdPddZZZN2at6native31launch_logcumsumexp_cuda_kernelERKNSB_10TensorBaseESF_lENKUlvE_clEvENKUlvE_clEvEUlddE_dEEDaPvRmT3_T4_T5_mT6_P12ihipStream_tbENKUlT_T0_E_clISt17integral_constantIbLb0EESW_EEDaSR_SS_EUlSR_E_NS1_11comp_targetILNS1_3genE5ELNS1_11target_archE942ELNS1_3gpuE9ELNS1_3repE0EEENS1_30default_config_static_selectorELNS0_4arch9wavefront6targetE1EEEvT1_
    .private_segment_fixed_size: 0
    .sgpr_count:     4
    .sgpr_spill_count: 0
    .symbol:         _ZN7rocprim17ROCPRIM_400000_NS6detail17trampoline_kernelINS0_14default_configENS1_20scan_config_selectorIdEEZZNS1_9scan_implILNS1_25lookback_scan_determinismE0ELb0ELb0ES3_PKdPddZZZN2at6native31launch_logcumsumexp_cuda_kernelERKNSB_10TensorBaseESF_lENKUlvE_clEvENKUlvE_clEvEUlddE_dEEDaPvRmT3_T4_T5_mT6_P12ihipStream_tbENKUlT_T0_E_clISt17integral_constantIbLb0EESW_EEDaSR_SS_EUlSR_E_NS1_11comp_targetILNS1_3genE5ELNS1_11target_archE942ELNS1_3gpuE9ELNS1_3repE0EEENS1_30default_config_static_selectorELNS0_4arch9wavefront6targetE1EEEvT1_.kd
    .uniform_work_group_size: 1
    .uses_dynamic_stack: false
    .vgpr_count:     0
    .vgpr_spill_count: 0
    .wavefront_size: 64
  - .args:
      - .offset:         0
        .size:           104
        .value_kind:     by_value
    .group_segment_fixed_size: 0
    .kernarg_segment_align: 8
    .kernarg_segment_size: 104
    .language:       OpenCL C
    .language_version:
      - 2
      - 0
    .max_flat_workgroup_size: 128
    .name:           _ZN7rocprim17ROCPRIM_400000_NS6detail17trampoline_kernelINS0_14default_configENS1_20scan_config_selectorIdEEZZNS1_9scan_implILNS1_25lookback_scan_determinismE0ELb0ELb0ES3_PKdPddZZZN2at6native31launch_logcumsumexp_cuda_kernelERKNSB_10TensorBaseESF_lENKUlvE_clEvENKUlvE_clEvEUlddE_dEEDaPvRmT3_T4_T5_mT6_P12ihipStream_tbENKUlT_T0_E_clISt17integral_constantIbLb0EESW_EEDaSR_SS_EUlSR_E_NS1_11comp_targetILNS1_3genE4ELNS1_11target_archE910ELNS1_3gpuE8ELNS1_3repE0EEENS1_30default_config_static_selectorELNS0_4arch9wavefront6targetE1EEEvT1_
    .private_segment_fixed_size: 0
    .sgpr_count:     4
    .sgpr_spill_count: 0
    .symbol:         _ZN7rocprim17ROCPRIM_400000_NS6detail17trampoline_kernelINS0_14default_configENS1_20scan_config_selectorIdEEZZNS1_9scan_implILNS1_25lookback_scan_determinismE0ELb0ELb0ES3_PKdPddZZZN2at6native31launch_logcumsumexp_cuda_kernelERKNSB_10TensorBaseESF_lENKUlvE_clEvENKUlvE_clEvEUlddE_dEEDaPvRmT3_T4_T5_mT6_P12ihipStream_tbENKUlT_T0_E_clISt17integral_constantIbLb0EESW_EEDaSR_SS_EUlSR_E_NS1_11comp_targetILNS1_3genE4ELNS1_11target_archE910ELNS1_3gpuE8ELNS1_3repE0EEENS1_30default_config_static_selectorELNS0_4arch9wavefront6targetE1EEEvT1_.kd
    .uniform_work_group_size: 1
    .uses_dynamic_stack: false
    .vgpr_count:     0
    .vgpr_spill_count: 0
    .wavefront_size: 64
  - .args:
      - .offset:         0
        .size:           104
        .value_kind:     by_value
    .group_segment_fixed_size: 0
    .kernarg_segment_align: 8
    .kernarg_segment_size: 104
    .language:       OpenCL C
    .language_version:
      - 2
      - 0
    .max_flat_workgroup_size: 256
    .name:           _ZN7rocprim17ROCPRIM_400000_NS6detail17trampoline_kernelINS0_14default_configENS1_20scan_config_selectorIdEEZZNS1_9scan_implILNS1_25lookback_scan_determinismE0ELb0ELb0ES3_PKdPddZZZN2at6native31launch_logcumsumexp_cuda_kernelERKNSB_10TensorBaseESF_lENKUlvE_clEvENKUlvE_clEvEUlddE_dEEDaPvRmT3_T4_T5_mT6_P12ihipStream_tbENKUlT_T0_E_clISt17integral_constantIbLb0EESW_EEDaSR_SS_EUlSR_E_NS1_11comp_targetILNS1_3genE3ELNS1_11target_archE908ELNS1_3gpuE7ELNS1_3repE0EEENS1_30default_config_static_selectorELNS0_4arch9wavefront6targetE1EEEvT1_
    .private_segment_fixed_size: 0
    .sgpr_count:     4
    .sgpr_spill_count: 0
    .symbol:         _ZN7rocprim17ROCPRIM_400000_NS6detail17trampoline_kernelINS0_14default_configENS1_20scan_config_selectorIdEEZZNS1_9scan_implILNS1_25lookback_scan_determinismE0ELb0ELb0ES3_PKdPddZZZN2at6native31launch_logcumsumexp_cuda_kernelERKNSB_10TensorBaseESF_lENKUlvE_clEvENKUlvE_clEvEUlddE_dEEDaPvRmT3_T4_T5_mT6_P12ihipStream_tbENKUlT_T0_E_clISt17integral_constantIbLb0EESW_EEDaSR_SS_EUlSR_E_NS1_11comp_targetILNS1_3genE3ELNS1_11target_archE908ELNS1_3gpuE7ELNS1_3repE0EEENS1_30default_config_static_selectorELNS0_4arch9wavefront6targetE1EEEvT1_.kd
    .uniform_work_group_size: 1
    .uses_dynamic_stack: false
    .vgpr_count:     0
    .vgpr_spill_count: 0
    .wavefront_size: 64
  - .args:
      - .offset:         0
        .size:           104
        .value_kind:     by_value
    .group_segment_fixed_size: 10240
    .kernarg_segment_align: 8
    .kernarg_segment_size: 104
    .language:       OpenCL C
    .language_version:
      - 2
      - 0
    .max_flat_workgroup_size: 128
    .name:           _ZN7rocprim17ROCPRIM_400000_NS6detail17trampoline_kernelINS0_14default_configENS1_20scan_config_selectorIdEEZZNS1_9scan_implILNS1_25lookback_scan_determinismE0ELb0ELb0ES3_PKdPddZZZN2at6native31launch_logcumsumexp_cuda_kernelERKNSB_10TensorBaseESF_lENKUlvE_clEvENKUlvE_clEvEUlddE_dEEDaPvRmT3_T4_T5_mT6_P12ihipStream_tbENKUlT_T0_E_clISt17integral_constantIbLb0EESW_EEDaSR_SS_EUlSR_E_NS1_11comp_targetILNS1_3genE2ELNS1_11target_archE906ELNS1_3gpuE6ELNS1_3repE0EEENS1_30default_config_static_selectorELNS0_4arch9wavefront6targetE1EEEvT1_
    .private_segment_fixed_size: 0
    .sgpr_count:     100
    .sgpr_spill_count: 3
    .symbol:         _ZN7rocprim17ROCPRIM_400000_NS6detail17trampoline_kernelINS0_14default_configENS1_20scan_config_selectorIdEEZZNS1_9scan_implILNS1_25lookback_scan_determinismE0ELb0ELb0ES3_PKdPddZZZN2at6native31launch_logcumsumexp_cuda_kernelERKNSB_10TensorBaseESF_lENKUlvE_clEvENKUlvE_clEvEUlddE_dEEDaPvRmT3_T4_T5_mT6_P12ihipStream_tbENKUlT_T0_E_clISt17integral_constantIbLb0EESW_EEDaSR_SS_EUlSR_E_NS1_11comp_targetILNS1_3genE2ELNS1_11target_archE906ELNS1_3gpuE6ELNS1_3repE0EEENS1_30default_config_static_selectorELNS0_4arch9wavefront6targetE1EEEvT1_.kd
    .uniform_work_group_size: 1
    .uses_dynamic_stack: false
    .vgpr_count:     103
    .vgpr_spill_count: 0
    .wavefront_size: 64
  - .args:
      - .offset:         0
        .size:           104
        .value_kind:     by_value
    .group_segment_fixed_size: 0
    .kernarg_segment_align: 8
    .kernarg_segment_size: 104
    .language:       OpenCL C
    .language_version:
      - 2
      - 0
    .max_flat_workgroup_size: 256
    .name:           _ZN7rocprim17ROCPRIM_400000_NS6detail17trampoline_kernelINS0_14default_configENS1_20scan_config_selectorIdEEZZNS1_9scan_implILNS1_25lookback_scan_determinismE0ELb0ELb0ES3_PKdPddZZZN2at6native31launch_logcumsumexp_cuda_kernelERKNSB_10TensorBaseESF_lENKUlvE_clEvENKUlvE_clEvEUlddE_dEEDaPvRmT3_T4_T5_mT6_P12ihipStream_tbENKUlT_T0_E_clISt17integral_constantIbLb0EESW_EEDaSR_SS_EUlSR_E_NS1_11comp_targetILNS1_3genE10ELNS1_11target_archE1201ELNS1_3gpuE5ELNS1_3repE0EEENS1_30default_config_static_selectorELNS0_4arch9wavefront6targetE1EEEvT1_
    .private_segment_fixed_size: 0
    .sgpr_count:     4
    .sgpr_spill_count: 0
    .symbol:         _ZN7rocprim17ROCPRIM_400000_NS6detail17trampoline_kernelINS0_14default_configENS1_20scan_config_selectorIdEEZZNS1_9scan_implILNS1_25lookback_scan_determinismE0ELb0ELb0ES3_PKdPddZZZN2at6native31launch_logcumsumexp_cuda_kernelERKNSB_10TensorBaseESF_lENKUlvE_clEvENKUlvE_clEvEUlddE_dEEDaPvRmT3_T4_T5_mT6_P12ihipStream_tbENKUlT_T0_E_clISt17integral_constantIbLb0EESW_EEDaSR_SS_EUlSR_E_NS1_11comp_targetILNS1_3genE10ELNS1_11target_archE1201ELNS1_3gpuE5ELNS1_3repE0EEENS1_30default_config_static_selectorELNS0_4arch9wavefront6targetE1EEEvT1_.kd
    .uniform_work_group_size: 1
    .uses_dynamic_stack: false
    .vgpr_count:     0
    .vgpr_spill_count: 0
    .wavefront_size: 64
  - .args:
      - .offset:         0
        .size:           104
        .value_kind:     by_value
    .group_segment_fixed_size: 0
    .kernarg_segment_align: 8
    .kernarg_segment_size: 104
    .language:       OpenCL C
    .language_version:
      - 2
      - 0
    .max_flat_workgroup_size: 256
    .name:           _ZN7rocprim17ROCPRIM_400000_NS6detail17trampoline_kernelINS0_14default_configENS1_20scan_config_selectorIdEEZZNS1_9scan_implILNS1_25lookback_scan_determinismE0ELb0ELb0ES3_PKdPddZZZN2at6native31launch_logcumsumexp_cuda_kernelERKNSB_10TensorBaseESF_lENKUlvE_clEvENKUlvE_clEvEUlddE_dEEDaPvRmT3_T4_T5_mT6_P12ihipStream_tbENKUlT_T0_E_clISt17integral_constantIbLb0EESW_EEDaSR_SS_EUlSR_E_NS1_11comp_targetILNS1_3genE10ELNS1_11target_archE1200ELNS1_3gpuE4ELNS1_3repE0EEENS1_30default_config_static_selectorELNS0_4arch9wavefront6targetE1EEEvT1_
    .private_segment_fixed_size: 0
    .sgpr_count:     4
    .sgpr_spill_count: 0
    .symbol:         _ZN7rocprim17ROCPRIM_400000_NS6detail17trampoline_kernelINS0_14default_configENS1_20scan_config_selectorIdEEZZNS1_9scan_implILNS1_25lookback_scan_determinismE0ELb0ELb0ES3_PKdPddZZZN2at6native31launch_logcumsumexp_cuda_kernelERKNSB_10TensorBaseESF_lENKUlvE_clEvENKUlvE_clEvEUlddE_dEEDaPvRmT3_T4_T5_mT6_P12ihipStream_tbENKUlT_T0_E_clISt17integral_constantIbLb0EESW_EEDaSR_SS_EUlSR_E_NS1_11comp_targetILNS1_3genE10ELNS1_11target_archE1200ELNS1_3gpuE4ELNS1_3repE0EEENS1_30default_config_static_selectorELNS0_4arch9wavefront6targetE1EEEvT1_.kd
    .uniform_work_group_size: 1
    .uses_dynamic_stack: false
    .vgpr_count:     0
    .vgpr_spill_count: 0
    .wavefront_size: 64
  - .args:
      - .offset:         0
        .size:           104
        .value_kind:     by_value
    .group_segment_fixed_size: 0
    .kernarg_segment_align: 8
    .kernarg_segment_size: 104
    .language:       OpenCL C
    .language_version:
      - 2
      - 0
    .max_flat_workgroup_size: 256
    .name:           _ZN7rocprim17ROCPRIM_400000_NS6detail17trampoline_kernelINS0_14default_configENS1_20scan_config_selectorIdEEZZNS1_9scan_implILNS1_25lookback_scan_determinismE0ELb0ELb0ES3_PKdPddZZZN2at6native31launch_logcumsumexp_cuda_kernelERKNSB_10TensorBaseESF_lENKUlvE_clEvENKUlvE_clEvEUlddE_dEEDaPvRmT3_T4_T5_mT6_P12ihipStream_tbENKUlT_T0_E_clISt17integral_constantIbLb0EESW_EEDaSR_SS_EUlSR_E_NS1_11comp_targetILNS1_3genE9ELNS1_11target_archE1100ELNS1_3gpuE3ELNS1_3repE0EEENS1_30default_config_static_selectorELNS0_4arch9wavefront6targetE1EEEvT1_
    .private_segment_fixed_size: 0
    .sgpr_count:     4
    .sgpr_spill_count: 0
    .symbol:         _ZN7rocprim17ROCPRIM_400000_NS6detail17trampoline_kernelINS0_14default_configENS1_20scan_config_selectorIdEEZZNS1_9scan_implILNS1_25lookback_scan_determinismE0ELb0ELb0ES3_PKdPddZZZN2at6native31launch_logcumsumexp_cuda_kernelERKNSB_10TensorBaseESF_lENKUlvE_clEvENKUlvE_clEvEUlddE_dEEDaPvRmT3_T4_T5_mT6_P12ihipStream_tbENKUlT_T0_E_clISt17integral_constantIbLb0EESW_EEDaSR_SS_EUlSR_E_NS1_11comp_targetILNS1_3genE9ELNS1_11target_archE1100ELNS1_3gpuE3ELNS1_3repE0EEENS1_30default_config_static_selectorELNS0_4arch9wavefront6targetE1EEEvT1_.kd
    .uniform_work_group_size: 1
    .uses_dynamic_stack: false
    .vgpr_count:     0
    .vgpr_spill_count: 0
    .wavefront_size: 64
  - .args:
      - .offset:         0
        .size:           104
        .value_kind:     by_value
    .group_segment_fixed_size: 0
    .kernarg_segment_align: 8
    .kernarg_segment_size: 104
    .language:       OpenCL C
    .language_version:
      - 2
      - 0
    .max_flat_workgroup_size: 128
    .name:           _ZN7rocprim17ROCPRIM_400000_NS6detail17trampoline_kernelINS0_14default_configENS1_20scan_config_selectorIdEEZZNS1_9scan_implILNS1_25lookback_scan_determinismE0ELb0ELb0ES3_PKdPddZZZN2at6native31launch_logcumsumexp_cuda_kernelERKNSB_10TensorBaseESF_lENKUlvE_clEvENKUlvE_clEvEUlddE_dEEDaPvRmT3_T4_T5_mT6_P12ihipStream_tbENKUlT_T0_E_clISt17integral_constantIbLb0EESW_EEDaSR_SS_EUlSR_E_NS1_11comp_targetILNS1_3genE8ELNS1_11target_archE1030ELNS1_3gpuE2ELNS1_3repE0EEENS1_30default_config_static_selectorELNS0_4arch9wavefront6targetE1EEEvT1_
    .private_segment_fixed_size: 0
    .sgpr_count:     4
    .sgpr_spill_count: 0
    .symbol:         _ZN7rocprim17ROCPRIM_400000_NS6detail17trampoline_kernelINS0_14default_configENS1_20scan_config_selectorIdEEZZNS1_9scan_implILNS1_25lookback_scan_determinismE0ELb0ELb0ES3_PKdPddZZZN2at6native31launch_logcumsumexp_cuda_kernelERKNSB_10TensorBaseESF_lENKUlvE_clEvENKUlvE_clEvEUlddE_dEEDaPvRmT3_T4_T5_mT6_P12ihipStream_tbENKUlT_T0_E_clISt17integral_constantIbLb0EESW_EEDaSR_SS_EUlSR_E_NS1_11comp_targetILNS1_3genE8ELNS1_11target_archE1030ELNS1_3gpuE2ELNS1_3repE0EEENS1_30default_config_static_selectorELNS0_4arch9wavefront6targetE1EEEvT1_.kd
    .uniform_work_group_size: 1
    .uses_dynamic_stack: false
    .vgpr_count:     0
    .vgpr_spill_count: 0
    .wavefront_size: 64
  - .args:
      - .offset:         0
        .size:           40
        .value_kind:     by_value
    .group_segment_fixed_size: 0
    .kernarg_segment_align: 8
    .kernarg_segment_size: 40
    .language:       OpenCL C
    .language_version:
      - 2
      - 0
    .max_flat_workgroup_size: 128
    .name:           _ZN7rocprim17ROCPRIM_400000_NS6detail17trampoline_kernelINS0_14default_configENS1_25transform_config_selectorIdLb1EEEZNS1_14transform_implILb1ES3_S5_PdS7_NS0_8identityIdEEEE10hipError_tT2_T3_mT4_P12ihipStream_tbEUlT_E_NS1_11comp_targetILNS1_3genE0ELNS1_11target_archE4294967295ELNS1_3gpuE0ELNS1_3repE0EEENS1_30default_config_static_selectorELNS0_4arch9wavefront6targetE1EEEvT1_
    .private_segment_fixed_size: 0
    .sgpr_count:     4
    .sgpr_spill_count: 0
    .symbol:         _ZN7rocprim17ROCPRIM_400000_NS6detail17trampoline_kernelINS0_14default_configENS1_25transform_config_selectorIdLb1EEEZNS1_14transform_implILb1ES3_S5_PdS7_NS0_8identityIdEEEE10hipError_tT2_T3_mT4_P12ihipStream_tbEUlT_E_NS1_11comp_targetILNS1_3genE0ELNS1_11target_archE4294967295ELNS1_3gpuE0ELNS1_3repE0EEENS1_30default_config_static_selectorELNS0_4arch9wavefront6targetE1EEEvT1_.kd
    .uniform_work_group_size: 1
    .uses_dynamic_stack: false
    .vgpr_count:     0
    .vgpr_spill_count: 0
    .wavefront_size: 64
  - .args:
      - .offset:         0
        .size:           40
        .value_kind:     by_value
    .group_segment_fixed_size: 0
    .kernarg_segment_align: 8
    .kernarg_segment_size: 40
    .language:       OpenCL C
    .language_version:
      - 2
      - 0
    .max_flat_workgroup_size: 1024
    .name:           _ZN7rocprim17ROCPRIM_400000_NS6detail17trampoline_kernelINS0_14default_configENS1_25transform_config_selectorIdLb1EEEZNS1_14transform_implILb1ES3_S5_PdS7_NS0_8identityIdEEEE10hipError_tT2_T3_mT4_P12ihipStream_tbEUlT_E_NS1_11comp_targetILNS1_3genE10ELNS1_11target_archE1201ELNS1_3gpuE5ELNS1_3repE0EEENS1_30default_config_static_selectorELNS0_4arch9wavefront6targetE1EEEvT1_
    .private_segment_fixed_size: 0
    .sgpr_count:     4
    .sgpr_spill_count: 0
    .symbol:         _ZN7rocprim17ROCPRIM_400000_NS6detail17trampoline_kernelINS0_14default_configENS1_25transform_config_selectorIdLb1EEEZNS1_14transform_implILb1ES3_S5_PdS7_NS0_8identityIdEEEE10hipError_tT2_T3_mT4_P12ihipStream_tbEUlT_E_NS1_11comp_targetILNS1_3genE10ELNS1_11target_archE1201ELNS1_3gpuE5ELNS1_3repE0EEENS1_30default_config_static_selectorELNS0_4arch9wavefront6targetE1EEEvT1_.kd
    .uniform_work_group_size: 1
    .uses_dynamic_stack: false
    .vgpr_count:     0
    .vgpr_spill_count: 0
    .wavefront_size: 64
  - .args:
      - .offset:         0
        .size:           40
        .value_kind:     by_value
    .group_segment_fixed_size: 0
    .kernarg_segment_align: 8
    .kernarg_segment_size: 40
    .language:       OpenCL C
    .language_version:
      - 2
      - 0
    .max_flat_workgroup_size: 1024
    .name:           _ZN7rocprim17ROCPRIM_400000_NS6detail17trampoline_kernelINS0_14default_configENS1_25transform_config_selectorIdLb1EEEZNS1_14transform_implILb1ES3_S5_PdS7_NS0_8identityIdEEEE10hipError_tT2_T3_mT4_P12ihipStream_tbEUlT_E_NS1_11comp_targetILNS1_3genE5ELNS1_11target_archE942ELNS1_3gpuE9ELNS1_3repE0EEENS1_30default_config_static_selectorELNS0_4arch9wavefront6targetE1EEEvT1_
    .private_segment_fixed_size: 0
    .sgpr_count:     4
    .sgpr_spill_count: 0
    .symbol:         _ZN7rocprim17ROCPRIM_400000_NS6detail17trampoline_kernelINS0_14default_configENS1_25transform_config_selectorIdLb1EEEZNS1_14transform_implILb1ES3_S5_PdS7_NS0_8identityIdEEEE10hipError_tT2_T3_mT4_P12ihipStream_tbEUlT_E_NS1_11comp_targetILNS1_3genE5ELNS1_11target_archE942ELNS1_3gpuE9ELNS1_3repE0EEENS1_30default_config_static_selectorELNS0_4arch9wavefront6targetE1EEEvT1_.kd
    .uniform_work_group_size: 1
    .uses_dynamic_stack: false
    .vgpr_count:     0
    .vgpr_spill_count: 0
    .wavefront_size: 64
  - .args:
      - .offset:         0
        .size:           40
        .value_kind:     by_value
    .group_segment_fixed_size: 0
    .kernarg_segment_align: 8
    .kernarg_segment_size: 40
    .language:       OpenCL C
    .language_version:
      - 2
      - 0
    .max_flat_workgroup_size: 1024
    .name:           _ZN7rocprim17ROCPRIM_400000_NS6detail17trampoline_kernelINS0_14default_configENS1_25transform_config_selectorIdLb1EEEZNS1_14transform_implILb1ES3_S5_PdS7_NS0_8identityIdEEEE10hipError_tT2_T3_mT4_P12ihipStream_tbEUlT_E_NS1_11comp_targetILNS1_3genE4ELNS1_11target_archE910ELNS1_3gpuE8ELNS1_3repE0EEENS1_30default_config_static_selectorELNS0_4arch9wavefront6targetE1EEEvT1_
    .private_segment_fixed_size: 0
    .sgpr_count:     4
    .sgpr_spill_count: 0
    .symbol:         _ZN7rocprim17ROCPRIM_400000_NS6detail17trampoline_kernelINS0_14default_configENS1_25transform_config_selectorIdLb1EEEZNS1_14transform_implILb1ES3_S5_PdS7_NS0_8identityIdEEEE10hipError_tT2_T3_mT4_P12ihipStream_tbEUlT_E_NS1_11comp_targetILNS1_3genE4ELNS1_11target_archE910ELNS1_3gpuE8ELNS1_3repE0EEENS1_30default_config_static_selectorELNS0_4arch9wavefront6targetE1EEEvT1_.kd
    .uniform_work_group_size: 1
    .uses_dynamic_stack: false
    .vgpr_count:     0
    .vgpr_spill_count: 0
    .wavefront_size: 64
  - .args:
      - .offset:         0
        .size:           40
        .value_kind:     by_value
    .group_segment_fixed_size: 0
    .kernarg_segment_align: 8
    .kernarg_segment_size: 40
    .language:       OpenCL C
    .language_version:
      - 2
      - 0
    .max_flat_workgroup_size: 128
    .name:           _ZN7rocprim17ROCPRIM_400000_NS6detail17trampoline_kernelINS0_14default_configENS1_25transform_config_selectorIdLb1EEEZNS1_14transform_implILb1ES3_S5_PdS7_NS0_8identityIdEEEE10hipError_tT2_T3_mT4_P12ihipStream_tbEUlT_E_NS1_11comp_targetILNS1_3genE3ELNS1_11target_archE908ELNS1_3gpuE7ELNS1_3repE0EEENS1_30default_config_static_selectorELNS0_4arch9wavefront6targetE1EEEvT1_
    .private_segment_fixed_size: 0
    .sgpr_count:     4
    .sgpr_spill_count: 0
    .symbol:         _ZN7rocprim17ROCPRIM_400000_NS6detail17trampoline_kernelINS0_14default_configENS1_25transform_config_selectorIdLb1EEEZNS1_14transform_implILb1ES3_S5_PdS7_NS0_8identityIdEEEE10hipError_tT2_T3_mT4_P12ihipStream_tbEUlT_E_NS1_11comp_targetILNS1_3genE3ELNS1_11target_archE908ELNS1_3gpuE7ELNS1_3repE0EEENS1_30default_config_static_selectorELNS0_4arch9wavefront6targetE1EEEvT1_.kd
    .uniform_work_group_size: 1
    .uses_dynamic_stack: false
    .vgpr_count:     0
    .vgpr_spill_count: 0
    .wavefront_size: 64
  - .args:
      - .offset:         0
        .size:           40
        .value_kind:     by_value
      - .offset:         40
        .size:           4
        .value_kind:     hidden_block_count_x
      - .offset:         44
        .size:           4
        .value_kind:     hidden_block_count_y
      - .offset:         48
        .size:           4
        .value_kind:     hidden_block_count_z
      - .offset:         52
        .size:           2
        .value_kind:     hidden_group_size_x
      - .offset:         54
        .size:           2
        .value_kind:     hidden_group_size_y
      - .offset:         56
        .size:           2
        .value_kind:     hidden_group_size_z
      - .offset:         58
        .size:           2
        .value_kind:     hidden_remainder_x
      - .offset:         60
        .size:           2
        .value_kind:     hidden_remainder_y
      - .offset:         62
        .size:           2
        .value_kind:     hidden_remainder_z
      - .offset:         80
        .size:           8
        .value_kind:     hidden_global_offset_x
      - .offset:         88
        .size:           8
        .value_kind:     hidden_global_offset_y
      - .offset:         96
        .size:           8
        .value_kind:     hidden_global_offset_z
      - .offset:         104
        .size:           2
        .value_kind:     hidden_grid_dims
    .group_segment_fixed_size: 0
    .kernarg_segment_align: 8
    .kernarg_segment_size: 296
    .language:       OpenCL C
    .language_version:
      - 2
      - 0
    .max_flat_workgroup_size: 1024
    .name:           _ZN7rocprim17ROCPRIM_400000_NS6detail17trampoline_kernelINS0_14default_configENS1_25transform_config_selectorIdLb1EEEZNS1_14transform_implILb1ES3_S5_PdS7_NS0_8identityIdEEEE10hipError_tT2_T3_mT4_P12ihipStream_tbEUlT_E_NS1_11comp_targetILNS1_3genE2ELNS1_11target_archE906ELNS1_3gpuE6ELNS1_3repE0EEENS1_30default_config_static_selectorELNS0_4arch9wavefront6targetE1EEEvT1_
    .private_segment_fixed_size: 0
    .sgpr_count:     16
    .sgpr_spill_count: 0
    .symbol:         _ZN7rocprim17ROCPRIM_400000_NS6detail17trampoline_kernelINS0_14default_configENS1_25transform_config_selectorIdLb1EEEZNS1_14transform_implILb1ES3_S5_PdS7_NS0_8identityIdEEEE10hipError_tT2_T3_mT4_P12ihipStream_tbEUlT_E_NS1_11comp_targetILNS1_3genE2ELNS1_11target_archE906ELNS1_3gpuE6ELNS1_3repE0EEENS1_30default_config_static_selectorELNS0_4arch9wavefront6targetE1EEEvT1_.kd
    .uniform_work_group_size: 1
    .uses_dynamic_stack: false
    .vgpr_count:     3
    .vgpr_spill_count: 0
    .wavefront_size: 64
  - .args:
      - .offset:         0
        .size:           40
        .value_kind:     by_value
    .group_segment_fixed_size: 0
    .kernarg_segment_align: 8
    .kernarg_segment_size: 40
    .language:       OpenCL C
    .language_version:
      - 2
      - 0
    .max_flat_workgroup_size: 1024
    .name:           _ZN7rocprim17ROCPRIM_400000_NS6detail17trampoline_kernelINS0_14default_configENS1_25transform_config_selectorIdLb1EEEZNS1_14transform_implILb1ES3_S5_PdS7_NS0_8identityIdEEEE10hipError_tT2_T3_mT4_P12ihipStream_tbEUlT_E_NS1_11comp_targetILNS1_3genE9ELNS1_11target_archE1100ELNS1_3gpuE3ELNS1_3repE0EEENS1_30default_config_static_selectorELNS0_4arch9wavefront6targetE1EEEvT1_
    .private_segment_fixed_size: 0
    .sgpr_count:     4
    .sgpr_spill_count: 0
    .symbol:         _ZN7rocprim17ROCPRIM_400000_NS6detail17trampoline_kernelINS0_14default_configENS1_25transform_config_selectorIdLb1EEEZNS1_14transform_implILb1ES3_S5_PdS7_NS0_8identityIdEEEE10hipError_tT2_T3_mT4_P12ihipStream_tbEUlT_E_NS1_11comp_targetILNS1_3genE9ELNS1_11target_archE1100ELNS1_3gpuE3ELNS1_3repE0EEENS1_30default_config_static_selectorELNS0_4arch9wavefront6targetE1EEEvT1_.kd
    .uniform_work_group_size: 1
    .uses_dynamic_stack: false
    .vgpr_count:     0
    .vgpr_spill_count: 0
    .wavefront_size: 64
  - .args:
      - .offset:         0
        .size:           40
        .value_kind:     by_value
    .group_segment_fixed_size: 0
    .kernarg_segment_align: 8
    .kernarg_segment_size: 40
    .language:       OpenCL C
    .language_version:
      - 2
      - 0
    .max_flat_workgroup_size: 1024
    .name:           _ZN7rocprim17ROCPRIM_400000_NS6detail17trampoline_kernelINS0_14default_configENS1_25transform_config_selectorIdLb1EEEZNS1_14transform_implILb1ES3_S5_PdS7_NS0_8identityIdEEEE10hipError_tT2_T3_mT4_P12ihipStream_tbEUlT_E_NS1_11comp_targetILNS1_3genE8ELNS1_11target_archE1030ELNS1_3gpuE2ELNS1_3repE0EEENS1_30default_config_static_selectorELNS0_4arch9wavefront6targetE1EEEvT1_
    .private_segment_fixed_size: 0
    .sgpr_count:     4
    .sgpr_spill_count: 0
    .symbol:         _ZN7rocprim17ROCPRIM_400000_NS6detail17trampoline_kernelINS0_14default_configENS1_25transform_config_selectorIdLb1EEEZNS1_14transform_implILb1ES3_S5_PdS7_NS0_8identityIdEEEE10hipError_tT2_T3_mT4_P12ihipStream_tbEUlT_E_NS1_11comp_targetILNS1_3genE8ELNS1_11target_archE1030ELNS1_3gpuE2ELNS1_3repE0EEENS1_30default_config_static_selectorELNS0_4arch9wavefront6targetE1EEEvT1_.kd
    .uniform_work_group_size: 1
    .uses_dynamic_stack: false
    .vgpr_count:     0
    .vgpr_spill_count: 0
    .wavefront_size: 64
  - .args:
      - .offset:         0
        .size:           40
        .value_kind:     by_value
    .group_segment_fixed_size: 0
    .kernarg_segment_align: 8
    .kernarg_segment_size: 40
    .language:       OpenCL C
    .language_version:
      - 2
      - 0
    .max_flat_workgroup_size: 256
    .name:           _ZN7rocprim17ROCPRIM_400000_NS6detail17trampoline_kernelINS0_14default_configENS1_20scan_config_selectorIdEEZZNS1_9scan_implILNS1_25lookback_scan_determinismE0ELb0ELb0ES3_PKdPddZZZN2at6native31launch_logcumsumexp_cuda_kernelERKNSB_10TensorBaseESF_lENKUlvE_clEvENKUlvE_clEvEUlddE_dEEDaPvRmT3_T4_T5_mT6_P12ihipStream_tbENKUlT_T0_E_clISt17integral_constantIbLb0EESW_EEDaSR_SS_EUlSR_E0_NS1_11comp_targetILNS1_3genE0ELNS1_11target_archE4294967295ELNS1_3gpuE0ELNS1_3repE0EEENS1_30default_config_static_selectorELNS0_4arch9wavefront6targetE1EEEvT1_
    .private_segment_fixed_size: 0
    .sgpr_count:     4
    .sgpr_spill_count: 0
    .symbol:         _ZN7rocprim17ROCPRIM_400000_NS6detail17trampoline_kernelINS0_14default_configENS1_20scan_config_selectorIdEEZZNS1_9scan_implILNS1_25lookback_scan_determinismE0ELb0ELb0ES3_PKdPddZZZN2at6native31launch_logcumsumexp_cuda_kernelERKNSB_10TensorBaseESF_lENKUlvE_clEvENKUlvE_clEvEUlddE_dEEDaPvRmT3_T4_T5_mT6_P12ihipStream_tbENKUlT_T0_E_clISt17integral_constantIbLb0EESW_EEDaSR_SS_EUlSR_E0_NS1_11comp_targetILNS1_3genE0ELNS1_11target_archE4294967295ELNS1_3gpuE0ELNS1_3repE0EEENS1_30default_config_static_selectorELNS0_4arch9wavefront6targetE1EEEvT1_.kd
    .uniform_work_group_size: 1
    .uses_dynamic_stack: false
    .vgpr_count:     0
    .vgpr_spill_count: 0
    .wavefront_size: 64
  - .args:
      - .offset:         0
        .size:           40
        .value_kind:     by_value
    .group_segment_fixed_size: 0
    .kernarg_segment_align: 8
    .kernarg_segment_size: 40
    .language:       OpenCL C
    .language_version:
      - 2
      - 0
    .max_flat_workgroup_size: 256
    .name:           _ZN7rocprim17ROCPRIM_400000_NS6detail17trampoline_kernelINS0_14default_configENS1_20scan_config_selectorIdEEZZNS1_9scan_implILNS1_25lookback_scan_determinismE0ELb0ELb0ES3_PKdPddZZZN2at6native31launch_logcumsumexp_cuda_kernelERKNSB_10TensorBaseESF_lENKUlvE_clEvENKUlvE_clEvEUlddE_dEEDaPvRmT3_T4_T5_mT6_P12ihipStream_tbENKUlT_T0_E_clISt17integral_constantIbLb0EESW_EEDaSR_SS_EUlSR_E0_NS1_11comp_targetILNS1_3genE5ELNS1_11target_archE942ELNS1_3gpuE9ELNS1_3repE0EEENS1_30default_config_static_selectorELNS0_4arch9wavefront6targetE1EEEvT1_
    .private_segment_fixed_size: 0
    .sgpr_count:     4
    .sgpr_spill_count: 0
    .symbol:         _ZN7rocprim17ROCPRIM_400000_NS6detail17trampoline_kernelINS0_14default_configENS1_20scan_config_selectorIdEEZZNS1_9scan_implILNS1_25lookback_scan_determinismE0ELb0ELb0ES3_PKdPddZZZN2at6native31launch_logcumsumexp_cuda_kernelERKNSB_10TensorBaseESF_lENKUlvE_clEvENKUlvE_clEvEUlddE_dEEDaPvRmT3_T4_T5_mT6_P12ihipStream_tbENKUlT_T0_E_clISt17integral_constantIbLb0EESW_EEDaSR_SS_EUlSR_E0_NS1_11comp_targetILNS1_3genE5ELNS1_11target_archE942ELNS1_3gpuE9ELNS1_3repE0EEENS1_30default_config_static_selectorELNS0_4arch9wavefront6targetE1EEEvT1_.kd
    .uniform_work_group_size: 1
    .uses_dynamic_stack: false
    .vgpr_count:     0
    .vgpr_spill_count: 0
    .wavefront_size: 64
  - .args:
      - .offset:         0
        .size:           40
        .value_kind:     by_value
    .group_segment_fixed_size: 0
    .kernarg_segment_align: 8
    .kernarg_segment_size: 40
    .language:       OpenCL C
    .language_version:
      - 2
      - 0
    .max_flat_workgroup_size: 128
    .name:           _ZN7rocprim17ROCPRIM_400000_NS6detail17trampoline_kernelINS0_14default_configENS1_20scan_config_selectorIdEEZZNS1_9scan_implILNS1_25lookback_scan_determinismE0ELb0ELb0ES3_PKdPddZZZN2at6native31launch_logcumsumexp_cuda_kernelERKNSB_10TensorBaseESF_lENKUlvE_clEvENKUlvE_clEvEUlddE_dEEDaPvRmT3_T4_T5_mT6_P12ihipStream_tbENKUlT_T0_E_clISt17integral_constantIbLb0EESW_EEDaSR_SS_EUlSR_E0_NS1_11comp_targetILNS1_3genE4ELNS1_11target_archE910ELNS1_3gpuE8ELNS1_3repE0EEENS1_30default_config_static_selectorELNS0_4arch9wavefront6targetE1EEEvT1_
    .private_segment_fixed_size: 0
    .sgpr_count:     4
    .sgpr_spill_count: 0
    .symbol:         _ZN7rocprim17ROCPRIM_400000_NS6detail17trampoline_kernelINS0_14default_configENS1_20scan_config_selectorIdEEZZNS1_9scan_implILNS1_25lookback_scan_determinismE0ELb0ELb0ES3_PKdPddZZZN2at6native31launch_logcumsumexp_cuda_kernelERKNSB_10TensorBaseESF_lENKUlvE_clEvENKUlvE_clEvEUlddE_dEEDaPvRmT3_T4_T5_mT6_P12ihipStream_tbENKUlT_T0_E_clISt17integral_constantIbLb0EESW_EEDaSR_SS_EUlSR_E0_NS1_11comp_targetILNS1_3genE4ELNS1_11target_archE910ELNS1_3gpuE8ELNS1_3repE0EEENS1_30default_config_static_selectorELNS0_4arch9wavefront6targetE1EEEvT1_.kd
    .uniform_work_group_size: 1
    .uses_dynamic_stack: false
    .vgpr_count:     0
    .vgpr_spill_count: 0
    .wavefront_size: 64
  - .args:
      - .offset:         0
        .size:           40
        .value_kind:     by_value
    .group_segment_fixed_size: 0
    .kernarg_segment_align: 8
    .kernarg_segment_size: 40
    .language:       OpenCL C
    .language_version:
      - 2
      - 0
    .max_flat_workgroup_size: 256
    .name:           _ZN7rocprim17ROCPRIM_400000_NS6detail17trampoline_kernelINS0_14default_configENS1_20scan_config_selectorIdEEZZNS1_9scan_implILNS1_25lookback_scan_determinismE0ELb0ELb0ES3_PKdPddZZZN2at6native31launch_logcumsumexp_cuda_kernelERKNSB_10TensorBaseESF_lENKUlvE_clEvENKUlvE_clEvEUlddE_dEEDaPvRmT3_T4_T5_mT6_P12ihipStream_tbENKUlT_T0_E_clISt17integral_constantIbLb0EESW_EEDaSR_SS_EUlSR_E0_NS1_11comp_targetILNS1_3genE3ELNS1_11target_archE908ELNS1_3gpuE7ELNS1_3repE0EEENS1_30default_config_static_selectorELNS0_4arch9wavefront6targetE1EEEvT1_
    .private_segment_fixed_size: 0
    .sgpr_count:     4
    .sgpr_spill_count: 0
    .symbol:         _ZN7rocprim17ROCPRIM_400000_NS6detail17trampoline_kernelINS0_14default_configENS1_20scan_config_selectorIdEEZZNS1_9scan_implILNS1_25lookback_scan_determinismE0ELb0ELb0ES3_PKdPddZZZN2at6native31launch_logcumsumexp_cuda_kernelERKNSB_10TensorBaseESF_lENKUlvE_clEvENKUlvE_clEvEUlddE_dEEDaPvRmT3_T4_T5_mT6_P12ihipStream_tbENKUlT_T0_E_clISt17integral_constantIbLb0EESW_EEDaSR_SS_EUlSR_E0_NS1_11comp_targetILNS1_3genE3ELNS1_11target_archE908ELNS1_3gpuE7ELNS1_3repE0EEENS1_30default_config_static_selectorELNS0_4arch9wavefront6targetE1EEEvT1_.kd
    .uniform_work_group_size: 1
    .uses_dynamic_stack: false
    .vgpr_count:     0
    .vgpr_spill_count: 0
    .wavefront_size: 64
  - .args:
      - .offset:         0
        .size:           40
        .value_kind:     by_value
    .group_segment_fixed_size: 10240
    .kernarg_segment_align: 8
    .kernarg_segment_size: 40
    .language:       OpenCL C
    .language_version:
      - 2
      - 0
    .max_flat_workgroup_size: 128
    .name:           _ZN7rocprim17ROCPRIM_400000_NS6detail17trampoline_kernelINS0_14default_configENS1_20scan_config_selectorIdEEZZNS1_9scan_implILNS1_25lookback_scan_determinismE0ELb0ELb0ES3_PKdPddZZZN2at6native31launch_logcumsumexp_cuda_kernelERKNSB_10TensorBaseESF_lENKUlvE_clEvENKUlvE_clEvEUlddE_dEEDaPvRmT3_T4_T5_mT6_P12ihipStream_tbENKUlT_T0_E_clISt17integral_constantIbLb0EESW_EEDaSR_SS_EUlSR_E0_NS1_11comp_targetILNS1_3genE2ELNS1_11target_archE906ELNS1_3gpuE6ELNS1_3repE0EEENS1_30default_config_static_selectorELNS0_4arch9wavefront6targetE1EEEvT1_
    .private_segment_fixed_size: 0
    .sgpr_count:     62
    .sgpr_spill_count: 0
    .symbol:         _ZN7rocprim17ROCPRIM_400000_NS6detail17trampoline_kernelINS0_14default_configENS1_20scan_config_selectorIdEEZZNS1_9scan_implILNS1_25lookback_scan_determinismE0ELb0ELb0ES3_PKdPddZZZN2at6native31launch_logcumsumexp_cuda_kernelERKNSB_10TensorBaseESF_lENKUlvE_clEvENKUlvE_clEvEUlddE_dEEDaPvRmT3_T4_T5_mT6_P12ihipStream_tbENKUlT_T0_E_clISt17integral_constantIbLb0EESW_EEDaSR_SS_EUlSR_E0_NS1_11comp_targetILNS1_3genE2ELNS1_11target_archE906ELNS1_3gpuE6ELNS1_3repE0EEENS1_30default_config_static_selectorELNS0_4arch9wavefront6targetE1EEEvT1_.kd
    .uniform_work_group_size: 1
    .uses_dynamic_stack: false
    .vgpr_count:     82
    .vgpr_spill_count: 0
    .wavefront_size: 64
  - .args:
      - .offset:         0
        .size:           40
        .value_kind:     by_value
    .group_segment_fixed_size: 0
    .kernarg_segment_align: 8
    .kernarg_segment_size: 40
    .language:       OpenCL C
    .language_version:
      - 2
      - 0
    .max_flat_workgroup_size: 256
    .name:           _ZN7rocprim17ROCPRIM_400000_NS6detail17trampoline_kernelINS0_14default_configENS1_20scan_config_selectorIdEEZZNS1_9scan_implILNS1_25lookback_scan_determinismE0ELb0ELb0ES3_PKdPddZZZN2at6native31launch_logcumsumexp_cuda_kernelERKNSB_10TensorBaseESF_lENKUlvE_clEvENKUlvE_clEvEUlddE_dEEDaPvRmT3_T4_T5_mT6_P12ihipStream_tbENKUlT_T0_E_clISt17integral_constantIbLb0EESW_EEDaSR_SS_EUlSR_E0_NS1_11comp_targetILNS1_3genE10ELNS1_11target_archE1201ELNS1_3gpuE5ELNS1_3repE0EEENS1_30default_config_static_selectorELNS0_4arch9wavefront6targetE1EEEvT1_
    .private_segment_fixed_size: 0
    .sgpr_count:     4
    .sgpr_spill_count: 0
    .symbol:         _ZN7rocprim17ROCPRIM_400000_NS6detail17trampoline_kernelINS0_14default_configENS1_20scan_config_selectorIdEEZZNS1_9scan_implILNS1_25lookback_scan_determinismE0ELb0ELb0ES3_PKdPddZZZN2at6native31launch_logcumsumexp_cuda_kernelERKNSB_10TensorBaseESF_lENKUlvE_clEvENKUlvE_clEvEUlddE_dEEDaPvRmT3_T4_T5_mT6_P12ihipStream_tbENKUlT_T0_E_clISt17integral_constantIbLb0EESW_EEDaSR_SS_EUlSR_E0_NS1_11comp_targetILNS1_3genE10ELNS1_11target_archE1201ELNS1_3gpuE5ELNS1_3repE0EEENS1_30default_config_static_selectorELNS0_4arch9wavefront6targetE1EEEvT1_.kd
    .uniform_work_group_size: 1
    .uses_dynamic_stack: false
    .vgpr_count:     0
    .vgpr_spill_count: 0
    .wavefront_size: 64
  - .args:
      - .offset:         0
        .size:           40
        .value_kind:     by_value
    .group_segment_fixed_size: 0
    .kernarg_segment_align: 8
    .kernarg_segment_size: 40
    .language:       OpenCL C
    .language_version:
      - 2
      - 0
    .max_flat_workgroup_size: 256
    .name:           _ZN7rocprim17ROCPRIM_400000_NS6detail17trampoline_kernelINS0_14default_configENS1_20scan_config_selectorIdEEZZNS1_9scan_implILNS1_25lookback_scan_determinismE0ELb0ELb0ES3_PKdPddZZZN2at6native31launch_logcumsumexp_cuda_kernelERKNSB_10TensorBaseESF_lENKUlvE_clEvENKUlvE_clEvEUlddE_dEEDaPvRmT3_T4_T5_mT6_P12ihipStream_tbENKUlT_T0_E_clISt17integral_constantIbLb0EESW_EEDaSR_SS_EUlSR_E0_NS1_11comp_targetILNS1_3genE10ELNS1_11target_archE1200ELNS1_3gpuE4ELNS1_3repE0EEENS1_30default_config_static_selectorELNS0_4arch9wavefront6targetE1EEEvT1_
    .private_segment_fixed_size: 0
    .sgpr_count:     4
    .sgpr_spill_count: 0
    .symbol:         _ZN7rocprim17ROCPRIM_400000_NS6detail17trampoline_kernelINS0_14default_configENS1_20scan_config_selectorIdEEZZNS1_9scan_implILNS1_25lookback_scan_determinismE0ELb0ELb0ES3_PKdPddZZZN2at6native31launch_logcumsumexp_cuda_kernelERKNSB_10TensorBaseESF_lENKUlvE_clEvENKUlvE_clEvEUlddE_dEEDaPvRmT3_T4_T5_mT6_P12ihipStream_tbENKUlT_T0_E_clISt17integral_constantIbLb0EESW_EEDaSR_SS_EUlSR_E0_NS1_11comp_targetILNS1_3genE10ELNS1_11target_archE1200ELNS1_3gpuE4ELNS1_3repE0EEENS1_30default_config_static_selectorELNS0_4arch9wavefront6targetE1EEEvT1_.kd
    .uniform_work_group_size: 1
    .uses_dynamic_stack: false
    .vgpr_count:     0
    .vgpr_spill_count: 0
    .wavefront_size: 64
  - .args:
      - .offset:         0
        .size:           40
        .value_kind:     by_value
    .group_segment_fixed_size: 0
    .kernarg_segment_align: 8
    .kernarg_segment_size: 40
    .language:       OpenCL C
    .language_version:
      - 2
      - 0
    .max_flat_workgroup_size: 256
    .name:           _ZN7rocprim17ROCPRIM_400000_NS6detail17trampoline_kernelINS0_14default_configENS1_20scan_config_selectorIdEEZZNS1_9scan_implILNS1_25lookback_scan_determinismE0ELb0ELb0ES3_PKdPddZZZN2at6native31launch_logcumsumexp_cuda_kernelERKNSB_10TensorBaseESF_lENKUlvE_clEvENKUlvE_clEvEUlddE_dEEDaPvRmT3_T4_T5_mT6_P12ihipStream_tbENKUlT_T0_E_clISt17integral_constantIbLb0EESW_EEDaSR_SS_EUlSR_E0_NS1_11comp_targetILNS1_3genE9ELNS1_11target_archE1100ELNS1_3gpuE3ELNS1_3repE0EEENS1_30default_config_static_selectorELNS0_4arch9wavefront6targetE1EEEvT1_
    .private_segment_fixed_size: 0
    .sgpr_count:     4
    .sgpr_spill_count: 0
    .symbol:         _ZN7rocprim17ROCPRIM_400000_NS6detail17trampoline_kernelINS0_14default_configENS1_20scan_config_selectorIdEEZZNS1_9scan_implILNS1_25lookback_scan_determinismE0ELb0ELb0ES3_PKdPddZZZN2at6native31launch_logcumsumexp_cuda_kernelERKNSB_10TensorBaseESF_lENKUlvE_clEvENKUlvE_clEvEUlddE_dEEDaPvRmT3_T4_T5_mT6_P12ihipStream_tbENKUlT_T0_E_clISt17integral_constantIbLb0EESW_EEDaSR_SS_EUlSR_E0_NS1_11comp_targetILNS1_3genE9ELNS1_11target_archE1100ELNS1_3gpuE3ELNS1_3repE0EEENS1_30default_config_static_selectorELNS0_4arch9wavefront6targetE1EEEvT1_.kd
    .uniform_work_group_size: 1
    .uses_dynamic_stack: false
    .vgpr_count:     0
    .vgpr_spill_count: 0
    .wavefront_size: 64
  - .args:
      - .offset:         0
        .size:           40
        .value_kind:     by_value
    .group_segment_fixed_size: 0
    .kernarg_segment_align: 8
    .kernarg_segment_size: 40
    .language:       OpenCL C
    .language_version:
      - 2
      - 0
    .max_flat_workgroup_size: 128
    .name:           _ZN7rocprim17ROCPRIM_400000_NS6detail17trampoline_kernelINS0_14default_configENS1_20scan_config_selectorIdEEZZNS1_9scan_implILNS1_25lookback_scan_determinismE0ELb0ELb0ES3_PKdPddZZZN2at6native31launch_logcumsumexp_cuda_kernelERKNSB_10TensorBaseESF_lENKUlvE_clEvENKUlvE_clEvEUlddE_dEEDaPvRmT3_T4_T5_mT6_P12ihipStream_tbENKUlT_T0_E_clISt17integral_constantIbLb0EESW_EEDaSR_SS_EUlSR_E0_NS1_11comp_targetILNS1_3genE8ELNS1_11target_archE1030ELNS1_3gpuE2ELNS1_3repE0EEENS1_30default_config_static_selectorELNS0_4arch9wavefront6targetE1EEEvT1_
    .private_segment_fixed_size: 0
    .sgpr_count:     4
    .sgpr_spill_count: 0
    .symbol:         _ZN7rocprim17ROCPRIM_400000_NS6detail17trampoline_kernelINS0_14default_configENS1_20scan_config_selectorIdEEZZNS1_9scan_implILNS1_25lookback_scan_determinismE0ELb0ELb0ES3_PKdPddZZZN2at6native31launch_logcumsumexp_cuda_kernelERKNSB_10TensorBaseESF_lENKUlvE_clEvENKUlvE_clEvEUlddE_dEEDaPvRmT3_T4_T5_mT6_P12ihipStream_tbENKUlT_T0_E_clISt17integral_constantIbLb0EESW_EEDaSR_SS_EUlSR_E0_NS1_11comp_targetILNS1_3genE8ELNS1_11target_archE1030ELNS1_3gpuE2ELNS1_3repE0EEENS1_30default_config_static_selectorELNS0_4arch9wavefront6targetE1EEEvT1_.kd
    .uniform_work_group_size: 1
    .uses_dynamic_stack: false
    .vgpr_count:     0
    .vgpr_spill_count: 0
    .wavefront_size: 64
  - .args:
      - .address_space:  global
        .offset:         0
        .size:           8
        .value_kind:     global_buffer
      - .offset:         8
        .size:           4
        .value_kind:     by_value
      - .address_space:  global
        .offset:         16
        .size:           8
        .value_kind:     global_buffer
      - .offset:         24
        .size:           4
        .value_kind:     by_value
      - .address_space:  global
        .offset:         32
        .size:           8
        .value_kind:     global_buffer
      - .offset:         40
        .size:           4
        .value_kind:     hidden_block_count_x
      - .offset:         44
        .size:           4
        .value_kind:     hidden_block_count_y
      - .offset:         48
        .size:           4
        .value_kind:     hidden_block_count_z
      - .offset:         52
        .size:           2
        .value_kind:     hidden_group_size_x
      - .offset:         54
        .size:           2
        .value_kind:     hidden_group_size_y
      - .offset:         56
        .size:           2
        .value_kind:     hidden_group_size_z
      - .offset:         58
        .size:           2
        .value_kind:     hidden_remainder_x
      - .offset:         60
        .size:           2
        .value_kind:     hidden_remainder_y
      - .offset:         62
        .size:           2
        .value_kind:     hidden_remainder_z
      - .offset:         80
        .size:           8
        .value_kind:     hidden_global_offset_x
      - .offset:         88
        .size:           8
        .value_kind:     hidden_global_offset_y
      - .offset:         96
        .size:           8
        .value_kind:     hidden_global_offset_z
      - .offset:         104
        .size:           2
        .value_kind:     hidden_grid_dims
    .group_segment_fixed_size: 0
    .kernarg_segment_align: 8
    .kernarg_segment_size: 296
    .language:       OpenCL C
    .language_version:
      - 2
      - 0
    .max_flat_workgroup_size: 256
    .name:           _ZN7rocprim17ROCPRIM_400000_NS6detail31init_lookback_scan_state_kernelINS1_19lookback_scan_stateIdLb1ELb1EEENS1_16block_id_wrapperIjLb1EEEEEvT_jT0_jPNS7_10value_typeE
    .private_segment_fixed_size: 0
    .sgpr_count:     20
    .sgpr_spill_count: 0
    .symbol:         _ZN7rocprim17ROCPRIM_400000_NS6detail31init_lookback_scan_state_kernelINS1_19lookback_scan_stateIdLb1ELb1EEENS1_16block_id_wrapperIjLb1EEEEEvT_jT0_jPNS7_10value_typeE.kd
    .uniform_work_group_size: 1
    .uses_dynamic_stack: false
    .vgpr_count:     8
    .vgpr_spill_count: 0
    .wavefront_size: 64
  - .args:
      - .offset:         0
        .size:           104
        .value_kind:     by_value
    .group_segment_fixed_size: 0
    .kernarg_segment_align: 8
    .kernarg_segment_size: 104
    .language:       OpenCL C
    .language_version:
      - 2
      - 0
    .max_flat_workgroup_size: 256
    .name:           _ZN7rocprim17ROCPRIM_400000_NS6detail17trampoline_kernelINS0_14default_configENS1_20scan_config_selectorIdEEZZNS1_9scan_implILNS1_25lookback_scan_determinismE0ELb0ELb0ES3_PKdPddZZZN2at6native31launch_logcumsumexp_cuda_kernelERKNSB_10TensorBaseESF_lENKUlvE_clEvENKUlvE_clEvEUlddE_dEEDaPvRmT3_T4_T5_mT6_P12ihipStream_tbENKUlT_T0_E_clISt17integral_constantIbLb1EESW_EEDaSR_SS_EUlSR_E_NS1_11comp_targetILNS1_3genE0ELNS1_11target_archE4294967295ELNS1_3gpuE0ELNS1_3repE0EEENS1_30default_config_static_selectorELNS0_4arch9wavefront6targetE1EEEvT1_
    .private_segment_fixed_size: 0
    .sgpr_count:     4
    .sgpr_spill_count: 0
    .symbol:         _ZN7rocprim17ROCPRIM_400000_NS6detail17trampoline_kernelINS0_14default_configENS1_20scan_config_selectorIdEEZZNS1_9scan_implILNS1_25lookback_scan_determinismE0ELb0ELb0ES3_PKdPddZZZN2at6native31launch_logcumsumexp_cuda_kernelERKNSB_10TensorBaseESF_lENKUlvE_clEvENKUlvE_clEvEUlddE_dEEDaPvRmT3_T4_T5_mT6_P12ihipStream_tbENKUlT_T0_E_clISt17integral_constantIbLb1EESW_EEDaSR_SS_EUlSR_E_NS1_11comp_targetILNS1_3genE0ELNS1_11target_archE4294967295ELNS1_3gpuE0ELNS1_3repE0EEENS1_30default_config_static_selectorELNS0_4arch9wavefront6targetE1EEEvT1_.kd
    .uniform_work_group_size: 1
    .uses_dynamic_stack: false
    .vgpr_count:     0
    .vgpr_spill_count: 0
    .wavefront_size: 64
  - .args:
      - .offset:         0
        .size:           104
        .value_kind:     by_value
    .group_segment_fixed_size: 0
    .kernarg_segment_align: 8
    .kernarg_segment_size: 104
    .language:       OpenCL C
    .language_version:
      - 2
      - 0
    .max_flat_workgroup_size: 256
    .name:           _ZN7rocprim17ROCPRIM_400000_NS6detail17trampoline_kernelINS0_14default_configENS1_20scan_config_selectorIdEEZZNS1_9scan_implILNS1_25lookback_scan_determinismE0ELb0ELb0ES3_PKdPddZZZN2at6native31launch_logcumsumexp_cuda_kernelERKNSB_10TensorBaseESF_lENKUlvE_clEvENKUlvE_clEvEUlddE_dEEDaPvRmT3_T4_T5_mT6_P12ihipStream_tbENKUlT_T0_E_clISt17integral_constantIbLb1EESW_EEDaSR_SS_EUlSR_E_NS1_11comp_targetILNS1_3genE5ELNS1_11target_archE942ELNS1_3gpuE9ELNS1_3repE0EEENS1_30default_config_static_selectorELNS0_4arch9wavefront6targetE1EEEvT1_
    .private_segment_fixed_size: 0
    .sgpr_count:     4
    .sgpr_spill_count: 0
    .symbol:         _ZN7rocprim17ROCPRIM_400000_NS6detail17trampoline_kernelINS0_14default_configENS1_20scan_config_selectorIdEEZZNS1_9scan_implILNS1_25lookback_scan_determinismE0ELb0ELb0ES3_PKdPddZZZN2at6native31launch_logcumsumexp_cuda_kernelERKNSB_10TensorBaseESF_lENKUlvE_clEvENKUlvE_clEvEUlddE_dEEDaPvRmT3_T4_T5_mT6_P12ihipStream_tbENKUlT_T0_E_clISt17integral_constantIbLb1EESW_EEDaSR_SS_EUlSR_E_NS1_11comp_targetILNS1_3genE5ELNS1_11target_archE942ELNS1_3gpuE9ELNS1_3repE0EEENS1_30default_config_static_selectorELNS0_4arch9wavefront6targetE1EEEvT1_.kd
    .uniform_work_group_size: 1
    .uses_dynamic_stack: false
    .vgpr_count:     0
    .vgpr_spill_count: 0
    .wavefront_size: 64
  - .args:
      - .offset:         0
        .size:           104
        .value_kind:     by_value
    .group_segment_fixed_size: 0
    .kernarg_segment_align: 8
    .kernarg_segment_size: 104
    .language:       OpenCL C
    .language_version:
      - 2
      - 0
    .max_flat_workgroup_size: 128
    .name:           _ZN7rocprim17ROCPRIM_400000_NS6detail17trampoline_kernelINS0_14default_configENS1_20scan_config_selectorIdEEZZNS1_9scan_implILNS1_25lookback_scan_determinismE0ELb0ELb0ES3_PKdPddZZZN2at6native31launch_logcumsumexp_cuda_kernelERKNSB_10TensorBaseESF_lENKUlvE_clEvENKUlvE_clEvEUlddE_dEEDaPvRmT3_T4_T5_mT6_P12ihipStream_tbENKUlT_T0_E_clISt17integral_constantIbLb1EESW_EEDaSR_SS_EUlSR_E_NS1_11comp_targetILNS1_3genE4ELNS1_11target_archE910ELNS1_3gpuE8ELNS1_3repE0EEENS1_30default_config_static_selectorELNS0_4arch9wavefront6targetE1EEEvT1_
    .private_segment_fixed_size: 0
    .sgpr_count:     4
    .sgpr_spill_count: 0
    .symbol:         _ZN7rocprim17ROCPRIM_400000_NS6detail17trampoline_kernelINS0_14default_configENS1_20scan_config_selectorIdEEZZNS1_9scan_implILNS1_25lookback_scan_determinismE0ELb0ELb0ES3_PKdPddZZZN2at6native31launch_logcumsumexp_cuda_kernelERKNSB_10TensorBaseESF_lENKUlvE_clEvENKUlvE_clEvEUlddE_dEEDaPvRmT3_T4_T5_mT6_P12ihipStream_tbENKUlT_T0_E_clISt17integral_constantIbLb1EESW_EEDaSR_SS_EUlSR_E_NS1_11comp_targetILNS1_3genE4ELNS1_11target_archE910ELNS1_3gpuE8ELNS1_3repE0EEENS1_30default_config_static_selectorELNS0_4arch9wavefront6targetE1EEEvT1_.kd
    .uniform_work_group_size: 1
    .uses_dynamic_stack: false
    .vgpr_count:     0
    .vgpr_spill_count: 0
    .wavefront_size: 64
  - .args:
      - .offset:         0
        .size:           104
        .value_kind:     by_value
    .group_segment_fixed_size: 0
    .kernarg_segment_align: 8
    .kernarg_segment_size: 104
    .language:       OpenCL C
    .language_version:
      - 2
      - 0
    .max_flat_workgroup_size: 256
    .name:           _ZN7rocprim17ROCPRIM_400000_NS6detail17trampoline_kernelINS0_14default_configENS1_20scan_config_selectorIdEEZZNS1_9scan_implILNS1_25lookback_scan_determinismE0ELb0ELb0ES3_PKdPddZZZN2at6native31launch_logcumsumexp_cuda_kernelERKNSB_10TensorBaseESF_lENKUlvE_clEvENKUlvE_clEvEUlddE_dEEDaPvRmT3_T4_T5_mT6_P12ihipStream_tbENKUlT_T0_E_clISt17integral_constantIbLb1EESW_EEDaSR_SS_EUlSR_E_NS1_11comp_targetILNS1_3genE3ELNS1_11target_archE908ELNS1_3gpuE7ELNS1_3repE0EEENS1_30default_config_static_selectorELNS0_4arch9wavefront6targetE1EEEvT1_
    .private_segment_fixed_size: 0
    .sgpr_count:     4
    .sgpr_spill_count: 0
    .symbol:         _ZN7rocprim17ROCPRIM_400000_NS6detail17trampoline_kernelINS0_14default_configENS1_20scan_config_selectorIdEEZZNS1_9scan_implILNS1_25lookback_scan_determinismE0ELb0ELb0ES3_PKdPddZZZN2at6native31launch_logcumsumexp_cuda_kernelERKNSB_10TensorBaseESF_lENKUlvE_clEvENKUlvE_clEvEUlddE_dEEDaPvRmT3_T4_T5_mT6_P12ihipStream_tbENKUlT_T0_E_clISt17integral_constantIbLb1EESW_EEDaSR_SS_EUlSR_E_NS1_11comp_targetILNS1_3genE3ELNS1_11target_archE908ELNS1_3gpuE7ELNS1_3repE0EEENS1_30default_config_static_selectorELNS0_4arch9wavefront6targetE1EEEvT1_.kd
    .uniform_work_group_size: 1
    .uses_dynamic_stack: false
    .vgpr_count:     0
    .vgpr_spill_count: 0
    .wavefront_size: 64
  - .args:
      - .offset:         0
        .size:           104
        .value_kind:     by_value
    .group_segment_fixed_size: 0
    .kernarg_segment_align: 8
    .kernarg_segment_size: 104
    .language:       OpenCL C
    .language_version:
      - 2
      - 0
    .max_flat_workgroup_size: 128
    .name:           _ZN7rocprim17ROCPRIM_400000_NS6detail17trampoline_kernelINS0_14default_configENS1_20scan_config_selectorIdEEZZNS1_9scan_implILNS1_25lookback_scan_determinismE0ELb0ELb0ES3_PKdPddZZZN2at6native31launch_logcumsumexp_cuda_kernelERKNSB_10TensorBaseESF_lENKUlvE_clEvENKUlvE_clEvEUlddE_dEEDaPvRmT3_T4_T5_mT6_P12ihipStream_tbENKUlT_T0_E_clISt17integral_constantIbLb1EESW_EEDaSR_SS_EUlSR_E_NS1_11comp_targetILNS1_3genE2ELNS1_11target_archE906ELNS1_3gpuE6ELNS1_3repE0EEENS1_30default_config_static_selectorELNS0_4arch9wavefront6targetE1EEEvT1_
    .private_segment_fixed_size: 0
    .sgpr_count:     4
    .sgpr_spill_count: 0
    .symbol:         _ZN7rocprim17ROCPRIM_400000_NS6detail17trampoline_kernelINS0_14default_configENS1_20scan_config_selectorIdEEZZNS1_9scan_implILNS1_25lookback_scan_determinismE0ELb0ELb0ES3_PKdPddZZZN2at6native31launch_logcumsumexp_cuda_kernelERKNSB_10TensorBaseESF_lENKUlvE_clEvENKUlvE_clEvEUlddE_dEEDaPvRmT3_T4_T5_mT6_P12ihipStream_tbENKUlT_T0_E_clISt17integral_constantIbLb1EESW_EEDaSR_SS_EUlSR_E_NS1_11comp_targetILNS1_3genE2ELNS1_11target_archE906ELNS1_3gpuE6ELNS1_3repE0EEENS1_30default_config_static_selectorELNS0_4arch9wavefront6targetE1EEEvT1_.kd
    .uniform_work_group_size: 1
    .uses_dynamic_stack: false
    .vgpr_count:     0
    .vgpr_spill_count: 0
    .wavefront_size: 64
  - .args:
      - .offset:         0
        .size:           104
        .value_kind:     by_value
    .group_segment_fixed_size: 0
    .kernarg_segment_align: 8
    .kernarg_segment_size: 104
    .language:       OpenCL C
    .language_version:
      - 2
      - 0
    .max_flat_workgroup_size: 256
    .name:           _ZN7rocprim17ROCPRIM_400000_NS6detail17trampoline_kernelINS0_14default_configENS1_20scan_config_selectorIdEEZZNS1_9scan_implILNS1_25lookback_scan_determinismE0ELb0ELb0ES3_PKdPddZZZN2at6native31launch_logcumsumexp_cuda_kernelERKNSB_10TensorBaseESF_lENKUlvE_clEvENKUlvE_clEvEUlddE_dEEDaPvRmT3_T4_T5_mT6_P12ihipStream_tbENKUlT_T0_E_clISt17integral_constantIbLb1EESW_EEDaSR_SS_EUlSR_E_NS1_11comp_targetILNS1_3genE10ELNS1_11target_archE1201ELNS1_3gpuE5ELNS1_3repE0EEENS1_30default_config_static_selectorELNS0_4arch9wavefront6targetE1EEEvT1_
    .private_segment_fixed_size: 0
    .sgpr_count:     4
    .sgpr_spill_count: 0
    .symbol:         _ZN7rocprim17ROCPRIM_400000_NS6detail17trampoline_kernelINS0_14default_configENS1_20scan_config_selectorIdEEZZNS1_9scan_implILNS1_25lookback_scan_determinismE0ELb0ELb0ES3_PKdPddZZZN2at6native31launch_logcumsumexp_cuda_kernelERKNSB_10TensorBaseESF_lENKUlvE_clEvENKUlvE_clEvEUlddE_dEEDaPvRmT3_T4_T5_mT6_P12ihipStream_tbENKUlT_T0_E_clISt17integral_constantIbLb1EESW_EEDaSR_SS_EUlSR_E_NS1_11comp_targetILNS1_3genE10ELNS1_11target_archE1201ELNS1_3gpuE5ELNS1_3repE0EEENS1_30default_config_static_selectorELNS0_4arch9wavefront6targetE1EEEvT1_.kd
    .uniform_work_group_size: 1
    .uses_dynamic_stack: false
    .vgpr_count:     0
    .vgpr_spill_count: 0
    .wavefront_size: 64
  - .args:
      - .offset:         0
        .size:           104
        .value_kind:     by_value
    .group_segment_fixed_size: 0
    .kernarg_segment_align: 8
    .kernarg_segment_size: 104
    .language:       OpenCL C
    .language_version:
      - 2
      - 0
    .max_flat_workgroup_size: 256
    .name:           _ZN7rocprim17ROCPRIM_400000_NS6detail17trampoline_kernelINS0_14default_configENS1_20scan_config_selectorIdEEZZNS1_9scan_implILNS1_25lookback_scan_determinismE0ELb0ELb0ES3_PKdPddZZZN2at6native31launch_logcumsumexp_cuda_kernelERKNSB_10TensorBaseESF_lENKUlvE_clEvENKUlvE_clEvEUlddE_dEEDaPvRmT3_T4_T5_mT6_P12ihipStream_tbENKUlT_T0_E_clISt17integral_constantIbLb1EESW_EEDaSR_SS_EUlSR_E_NS1_11comp_targetILNS1_3genE10ELNS1_11target_archE1200ELNS1_3gpuE4ELNS1_3repE0EEENS1_30default_config_static_selectorELNS0_4arch9wavefront6targetE1EEEvT1_
    .private_segment_fixed_size: 0
    .sgpr_count:     4
    .sgpr_spill_count: 0
    .symbol:         _ZN7rocprim17ROCPRIM_400000_NS6detail17trampoline_kernelINS0_14default_configENS1_20scan_config_selectorIdEEZZNS1_9scan_implILNS1_25lookback_scan_determinismE0ELb0ELb0ES3_PKdPddZZZN2at6native31launch_logcumsumexp_cuda_kernelERKNSB_10TensorBaseESF_lENKUlvE_clEvENKUlvE_clEvEUlddE_dEEDaPvRmT3_T4_T5_mT6_P12ihipStream_tbENKUlT_T0_E_clISt17integral_constantIbLb1EESW_EEDaSR_SS_EUlSR_E_NS1_11comp_targetILNS1_3genE10ELNS1_11target_archE1200ELNS1_3gpuE4ELNS1_3repE0EEENS1_30default_config_static_selectorELNS0_4arch9wavefront6targetE1EEEvT1_.kd
    .uniform_work_group_size: 1
    .uses_dynamic_stack: false
    .vgpr_count:     0
    .vgpr_spill_count: 0
    .wavefront_size: 64
  - .args:
      - .offset:         0
        .size:           104
        .value_kind:     by_value
    .group_segment_fixed_size: 0
    .kernarg_segment_align: 8
    .kernarg_segment_size: 104
    .language:       OpenCL C
    .language_version:
      - 2
      - 0
    .max_flat_workgroup_size: 256
    .name:           _ZN7rocprim17ROCPRIM_400000_NS6detail17trampoline_kernelINS0_14default_configENS1_20scan_config_selectorIdEEZZNS1_9scan_implILNS1_25lookback_scan_determinismE0ELb0ELb0ES3_PKdPddZZZN2at6native31launch_logcumsumexp_cuda_kernelERKNSB_10TensorBaseESF_lENKUlvE_clEvENKUlvE_clEvEUlddE_dEEDaPvRmT3_T4_T5_mT6_P12ihipStream_tbENKUlT_T0_E_clISt17integral_constantIbLb1EESW_EEDaSR_SS_EUlSR_E_NS1_11comp_targetILNS1_3genE9ELNS1_11target_archE1100ELNS1_3gpuE3ELNS1_3repE0EEENS1_30default_config_static_selectorELNS0_4arch9wavefront6targetE1EEEvT1_
    .private_segment_fixed_size: 0
    .sgpr_count:     4
    .sgpr_spill_count: 0
    .symbol:         _ZN7rocprim17ROCPRIM_400000_NS6detail17trampoline_kernelINS0_14default_configENS1_20scan_config_selectorIdEEZZNS1_9scan_implILNS1_25lookback_scan_determinismE0ELb0ELb0ES3_PKdPddZZZN2at6native31launch_logcumsumexp_cuda_kernelERKNSB_10TensorBaseESF_lENKUlvE_clEvENKUlvE_clEvEUlddE_dEEDaPvRmT3_T4_T5_mT6_P12ihipStream_tbENKUlT_T0_E_clISt17integral_constantIbLb1EESW_EEDaSR_SS_EUlSR_E_NS1_11comp_targetILNS1_3genE9ELNS1_11target_archE1100ELNS1_3gpuE3ELNS1_3repE0EEENS1_30default_config_static_selectorELNS0_4arch9wavefront6targetE1EEEvT1_.kd
    .uniform_work_group_size: 1
    .uses_dynamic_stack: false
    .vgpr_count:     0
    .vgpr_spill_count: 0
    .wavefront_size: 64
  - .args:
      - .offset:         0
        .size:           104
        .value_kind:     by_value
    .group_segment_fixed_size: 0
    .kernarg_segment_align: 8
    .kernarg_segment_size: 104
    .language:       OpenCL C
    .language_version:
      - 2
      - 0
    .max_flat_workgroup_size: 128
    .name:           _ZN7rocprim17ROCPRIM_400000_NS6detail17trampoline_kernelINS0_14default_configENS1_20scan_config_selectorIdEEZZNS1_9scan_implILNS1_25lookback_scan_determinismE0ELb0ELb0ES3_PKdPddZZZN2at6native31launch_logcumsumexp_cuda_kernelERKNSB_10TensorBaseESF_lENKUlvE_clEvENKUlvE_clEvEUlddE_dEEDaPvRmT3_T4_T5_mT6_P12ihipStream_tbENKUlT_T0_E_clISt17integral_constantIbLb1EESW_EEDaSR_SS_EUlSR_E_NS1_11comp_targetILNS1_3genE8ELNS1_11target_archE1030ELNS1_3gpuE2ELNS1_3repE0EEENS1_30default_config_static_selectorELNS0_4arch9wavefront6targetE1EEEvT1_
    .private_segment_fixed_size: 0
    .sgpr_count:     4
    .sgpr_spill_count: 0
    .symbol:         _ZN7rocprim17ROCPRIM_400000_NS6detail17trampoline_kernelINS0_14default_configENS1_20scan_config_selectorIdEEZZNS1_9scan_implILNS1_25lookback_scan_determinismE0ELb0ELb0ES3_PKdPddZZZN2at6native31launch_logcumsumexp_cuda_kernelERKNSB_10TensorBaseESF_lENKUlvE_clEvENKUlvE_clEvEUlddE_dEEDaPvRmT3_T4_T5_mT6_P12ihipStream_tbENKUlT_T0_E_clISt17integral_constantIbLb1EESW_EEDaSR_SS_EUlSR_E_NS1_11comp_targetILNS1_3genE8ELNS1_11target_archE1030ELNS1_3gpuE2ELNS1_3repE0EEENS1_30default_config_static_selectorELNS0_4arch9wavefront6targetE1EEEvT1_.kd
    .uniform_work_group_size: 1
    .uses_dynamic_stack: false
    .vgpr_count:     0
    .vgpr_spill_count: 0
    .wavefront_size: 64
  - .args:
      - .offset:         0
        .size:           40
        .value_kind:     by_value
    .group_segment_fixed_size: 0
    .kernarg_segment_align: 8
    .kernarg_segment_size: 40
    .language:       OpenCL C
    .language_version:
      - 2
      - 0
    .max_flat_workgroup_size: 256
    .name:           _ZN7rocprim17ROCPRIM_400000_NS6detail17trampoline_kernelINS0_14default_configENS1_20scan_config_selectorIdEEZZNS1_9scan_implILNS1_25lookback_scan_determinismE0ELb0ELb0ES3_PKdPddZZZN2at6native31launch_logcumsumexp_cuda_kernelERKNSB_10TensorBaseESF_lENKUlvE_clEvENKUlvE_clEvEUlddE_dEEDaPvRmT3_T4_T5_mT6_P12ihipStream_tbENKUlT_T0_E_clISt17integral_constantIbLb1EESW_EEDaSR_SS_EUlSR_E0_NS1_11comp_targetILNS1_3genE0ELNS1_11target_archE4294967295ELNS1_3gpuE0ELNS1_3repE0EEENS1_30default_config_static_selectorELNS0_4arch9wavefront6targetE1EEEvT1_
    .private_segment_fixed_size: 0
    .sgpr_count:     4
    .sgpr_spill_count: 0
    .symbol:         _ZN7rocprim17ROCPRIM_400000_NS6detail17trampoline_kernelINS0_14default_configENS1_20scan_config_selectorIdEEZZNS1_9scan_implILNS1_25lookback_scan_determinismE0ELb0ELb0ES3_PKdPddZZZN2at6native31launch_logcumsumexp_cuda_kernelERKNSB_10TensorBaseESF_lENKUlvE_clEvENKUlvE_clEvEUlddE_dEEDaPvRmT3_T4_T5_mT6_P12ihipStream_tbENKUlT_T0_E_clISt17integral_constantIbLb1EESW_EEDaSR_SS_EUlSR_E0_NS1_11comp_targetILNS1_3genE0ELNS1_11target_archE4294967295ELNS1_3gpuE0ELNS1_3repE0EEENS1_30default_config_static_selectorELNS0_4arch9wavefront6targetE1EEEvT1_.kd
    .uniform_work_group_size: 1
    .uses_dynamic_stack: false
    .vgpr_count:     0
    .vgpr_spill_count: 0
    .wavefront_size: 64
  - .args:
      - .offset:         0
        .size:           40
        .value_kind:     by_value
    .group_segment_fixed_size: 0
    .kernarg_segment_align: 8
    .kernarg_segment_size: 40
    .language:       OpenCL C
    .language_version:
      - 2
      - 0
    .max_flat_workgroup_size: 256
    .name:           _ZN7rocprim17ROCPRIM_400000_NS6detail17trampoline_kernelINS0_14default_configENS1_20scan_config_selectorIdEEZZNS1_9scan_implILNS1_25lookback_scan_determinismE0ELb0ELb0ES3_PKdPddZZZN2at6native31launch_logcumsumexp_cuda_kernelERKNSB_10TensorBaseESF_lENKUlvE_clEvENKUlvE_clEvEUlddE_dEEDaPvRmT3_T4_T5_mT6_P12ihipStream_tbENKUlT_T0_E_clISt17integral_constantIbLb1EESW_EEDaSR_SS_EUlSR_E0_NS1_11comp_targetILNS1_3genE5ELNS1_11target_archE942ELNS1_3gpuE9ELNS1_3repE0EEENS1_30default_config_static_selectorELNS0_4arch9wavefront6targetE1EEEvT1_
    .private_segment_fixed_size: 0
    .sgpr_count:     4
    .sgpr_spill_count: 0
    .symbol:         _ZN7rocprim17ROCPRIM_400000_NS6detail17trampoline_kernelINS0_14default_configENS1_20scan_config_selectorIdEEZZNS1_9scan_implILNS1_25lookback_scan_determinismE0ELb0ELb0ES3_PKdPddZZZN2at6native31launch_logcumsumexp_cuda_kernelERKNSB_10TensorBaseESF_lENKUlvE_clEvENKUlvE_clEvEUlddE_dEEDaPvRmT3_T4_T5_mT6_P12ihipStream_tbENKUlT_T0_E_clISt17integral_constantIbLb1EESW_EEDaSR_SS_EUlSR_E0_NS1_11comp_targetILNS1_3genE5ELNS1_11target_archE942ELNS1_3gpuE9ELNS1_3repE0EEENS1_30default_config_static_selectorELNS0_4arch9wavefront6targetE1EEEvT1_.kd
    .uniform_work_group_size: 1
    .uses_dynamic_stack: false
    .vgpr_count:     0
    .vgpr_spill_count: 0
    .wavefront_size: 64
  - .args:
      - .offset:         0
        .size:           40
        .value_kind:     by_value
    .group_segment_fixed_size: 0
    .kernarg_segment_align: 8
    .kernarg_segment_size: 40
    .language:       OpenCL C
    .language_version:
      - 2
      - 0
    .max_flat_workgroup_size: 128
    .name:           _ZN7rocprim17ROCPRIM_400000_NS6detail17trampoline_kernelINS0_14default_configENS1_20scan_config_selectorIdEEZZNS1_9scan_implILNS1_25lookback_scan_determinismE0ELb0ELb0ES3_PKdPddZZZN2at6native31launch_logcumsumexp_cuda_kernelERKNSB_10TensorBaseESF_lENKUlvE_clEvENKUlvE_clEvEUlddE_dEEDaPvRmT3_T4_T5_mT6_P12ihipStream_tbENKUlT_T0_E_clISt17integral_constantIbLb1EESW_EEDaSR_SS_EUlSR_E0_NS1_11comp_targetILNS1_3genE4ELNS1_11target_archE910ELNS1_3gpuE8ELNS1_3repE0EEENS1_30default_config_static_selectorELNS0_4arch9wavefront6targetE1EEEvT1_
    .private_segment_fixed_size: 0
    .sgpr_count:     4
    .sgpr_spill_count: 0
    .symbol:         _ZN7rocprim17ROCPRIM_400000_NS6detail17trampoline_kernelINS0_14default_configENS1_20scan_config_selectorIdEEZZNS1_9scan_implILNS1_25lookback_scan_determinismE0ELb0ELb0ES3_PKdPddZZZN2at6native31launch_logcumsumexp_cuda_kernelERKNSB_10TensorBaseESF_lENKUlvE_clEvENKUlvE_clEvEUlddE_dEEDaPvRmT3_T4_T5_mT6_P12ihipStream_tbENKUlT_T0_E_clISt17integral_constantIbLb1EESW_EEDaSR_SS_EUlSR_E0_NS1_11comp_targetILNS1_3genE4ELNS1_11target_archE910ELNS1_3gpuE8ELNS1_3repE0EEENS1_30default_config_static_selectorELNS0_4arch9wavefront6targetE1EEEvT1_.kd
    .uniform_work_group_size: 1
    .uses_dynamic_stack: false
    .vgpr_count:     0
    .vgpr_spill_count: 0
    .wavefront_size: 64
  - .args:
      - .offset:         0
        .size:           40
        .value_kind:     by_value
    .group_segment_fixed_size: 0
    .kernarg_segment_align: 8
    .kernarg_segment_size: 40
    .language:       OpenCL C
    .language_version:
      - 2
      - 0
    .max_flat_workgroup_size: 256
    .name:           _ZN7rocprim17ROCPRIM_400000_NS6detail17trampoline_kernelINS0_14default_configENS1_20scan_config_selectorIdEEZZNS1_9scan_implILNS1_25lookback_scan_determinismE0ELb0ELb0ES3_PKdPddZZZN2at6native31launch_logcumsumexp_cuda_kernelERKNSB_10TensorBaseESF_lENKUlvE_clEvENKUlvE_clEvEUlddE_dEEDaPvRmT3_T4_T5_mT6_P12ihipStream_tbENKUlT_T0_E_clISt17integral_constantIbLb1EESW_EEDaSR_SS_EUlSR_E0_NS1_11comp_targetILNS1_3genE3ELNS1_11target_archE908ELNS1_3gpuE7ELNS1_3repE0EEENS1_30default_config_static_selectorELNS0_4arch9wavefront6targetE1EEEvT1_
    .private_segment_fixed_size: 0
    .sgpr_count:     4
    .sgpr_spill_count: 0
    .symbol:         _ZN7rocprim17ROCPRIM_400000_NS6detail17trampoline_kernelINS0_14default_configENS1_20scan_config_selectorIdEEZZNS1_9scan_implILNS1_25lookback_scan_determinismE0ELb0ELb0ES3_PKdPddZZZN2at6native31launch_logcumsumexp_cuda_kernelERKNSB_10TensorBaseESF_lENKUlvE_clEvENKUlvE_clEvEUlddE_dEEDaPvRmT3_T4_T5_mT6_P12ihipStream_tbENKUlT_T0_E_clISt17integral_constantIbLb1EESW_EEDaSR_SS_EUlSR_E0_NS1_11comp_targetILNS1_3genE3ELNS1_11target_archE908ELNS1_3gpuE7ELNS1_3repE0EEENS1_30default_config_static_selectorELNS0_4arch9wavefront6targetE1EEEvT1_.kd
    .uniform_work_group_size: 1
    .uses_dynamic_stack: false
    .vgpr_count:     0
    .vgpr_spill_count: 0
    .wavefront_size: 64
  - .args:
      - .offset:         0
        .size:           40
        .value_kind:     by_value
    .group_segment_fixed_size: 10240
    .kernarg_segment_align: 8
    .kernarg_segment_size: 40
    .language:       OpenCL C
    .language_version:
      - 2
      - 0
    .max_flat_workgroup_size: 128
    .name:           _ZN7rocprim17ROCPRIM_400000_NS6detail17trampoline_kernelINS0_14default_configENS1_20scan_config_selectorIdEEZZNS1_9scan_implILNS1_25lookback_scan_determinismE0ELb0ELb0ES3_PKdPddZZZN2at6native31launch_logcumsumexp_cuda_kernelERKNSB_10TensorBaseESF_lENKUlvE_clEvENKUlvE_clEvEUlddE_dEEDaPvRmT3_T4_T5_mT6_P12ihipStream_tbENKUlT_T0_E_clISt17integral_constantIbLb1EESW_EEDaSR_SS_EUlSR_E0_NS1_11comp_targetILNS1_3genE2ELNS1_11target_archE906ELNS1_3gpuE6ELNS1_3repE0EEENS1_30default_config_static_selectorELNS0_4arch9wavefront6targetE1EEEvT1_
    .private_segment_fixed_size: 0
    .sgpr_count:     62
    .sgpr_spill_count: 0
    .symbol:         _ZN7rocprim17ROCPRIM_400000_NS6detail17trampoline_kernelINS0_14default_configENS1_20scan_config_selectorIdEEZZNS1_9scan_implILNS1_25lookback_scan_determinismE0ELb0ELb0ES3_PKdPddZZZN2at6native31launch_logcumsumexp_cuda_kernelERKNSB_10TensorBaseESF_lENKUlvE_clEvENKUlvE_clEvEUlddE_dEEDaPvRmT3_T4_T5_mT6_P12ihipStream_tbENKUlT_T0_E_clISt17integral_constantIbLb1EESW_EEDaSR_SS_EUlSR_E0_NS1_11comp_targetILNS1_3genE2ELNS1_11target_archE906ELNS1_3gpuE6ELNS1_3repE0EEENS1_30default_config_static_selectorELNS0_4arch9wavefront6targetE1EEEvT1_.kd
    .uniform_work_group_size: 1
    .uses_dynamic_stack: false
    .vgpr_count:     82
    .vgpr_spill_count: 0
    .wavefront_size: 64
  - .args:
      - .offset:         0
        .size:           40
        .value_kind:     by_value
    .group_segment_fixed_size: 0
    .kernarg_segment_align: 8
    .kernarg_segment_size: 40
    .language:       OpenCL C
    .language_version:
      - 2
      - 0
    .max_flat_workgroup_size: 256
    .name:           _ZN7rocprim17ROCPRIM_400000_NS6detail17trampoline_kernelINS0_14default_configENS1_20scan_config_selectorIdEEZZNS1_9scan_implILNS1_25lookback_scan_determinismE0ELb0ELb0ES3_PKdPddZZZN2at6native31launch_logcumsumexp_cuda_kernelERKNSB_10TensorBaseESF_lENKUlvE_clEvENKUlvE_clEvEUlddE_dEEDaPvRmT3_T4_T5_mT6_P12ihipStream_tbENKUlT_T0_E_clISt17integral_constantIbLb1EESW_EEDaSR_SS_EUlSR_E0_NS1_11comp_targetILNS1_3genE10ELNS1_11target_archE1201ELNS1_3gpuE5ELNS1_3repE0EEENS1_30default_config_static_selectorELNS0_4arch9wavefront6targetE1EEEvT1_
    .private_segment_fixed_size: 0
    .sgpr_count:     4
    .sgpr_spill_count: 0
    .symbol:         _ZN7rocprim17ROCPRIM_400000_NS6detail17trampoline_kernelINS0_14default_configENS1_20scan_config_selectorIdEEZZNS1_9scan_implILNS1_25lookback_scan_determinismE0ELb0ELb0ES3_PKdPddZZZN2at6native31launch_logcumsumexp_cuda_kernelERKNSB_10TensorBaseESF_lENKUlvE_clEvENKUlvE_clEvEUlddE_dEEDaPvRmT3_T4_T5_mT6_P12ihipStream_tbENKUlT_T0_E_clISt17integral_constantIbLb1EESW_EEDaSR_SS_EUlSR_E0_NS1_11comp_targetILNS1_3genE10ELNS1_11target_archE1201ELNS1_3gpuE5ELNS1_3repE0EEENS1_30default_config_static_selectorELNS0_4arch9wavefront6targetE1EEEvT1_.kd
    .uniform_work_group_size: 1
    .uses_dynamic_stack: false
    .vgpr_count:     0
    .vgpr_spill_count: 0
    .wavefront_size: 64
  - .args:
      - .offset:         0
        .size:           40
        .value_kind:     by_value
    .group_segment_fixed_size: 0
    .kernarg_segment_align: 8
    .kernarg_segment_size: 40
    .language:       OpenCL C
    .language_version:
      - 2
      - 0
    .max_flat_workgroup_size: 256
    .name:           _ZN7rocprim17ROCPRIM_400000_NS6detail17trampoline_kernelINS0_14default_configENS1_20scan_config_selectorIdEEZZNS1_9scan_implILNS1_25lookback_scan_determinismE0ELb0ELb0ES3_PKdPddZZZN2at6native31launch_logcumsumexp_cuda_kernelERKNSB_10TensorBaseESF_lENKUlvE_clEvENKUlvE_clEvEUlddE_dEEDaPvRmT3_T4_T5_mT6_P12ihipStream_tbENKUlT_T0_E_clISt17integral_constantIbLb1EESW_EEDaSR_SS_EUlSR_E0_NS1_11comp_targetILNS1_3genE10ELNS1_11target_archE1200ELNS1_3gpuE4ELNS1_3repE0EEENS1_30default_config_static_selectorELNS0_4arch9wavefront6targetE1EEEvT1_
    .private_segment_fixed_size: 0
    .sgpr_count:     4
    .sgpr_spill_count: 0
    .symbol:         _ZN7rocprim17ROCPRIM_400000_NS6detail17trampoline_kernelINS0_14default_configENS1_20scan_config_selectorIdEEZZNS1_9scan_implILNS1_25lookback_scan_determinismE0ELb0ELb0ES3_PKdPddZZZN2at6native31launch_logcumsumexp_cuda_kernelERKNSB_10TensorBaseESF_lENKUlvE_clEvENKUlvE_clEvEUlddE_dEEDaPvRmT3_T4_T5_mT6_P12ihipStream_tbENKUlT_T0_E_clISt17integral_constantIbLb1EESW_EEDaSR_SS_EUlSR_E0_NS1_11comp_targetILNS1_3genE10ELNS1_11target_archE1200ELNS1_3gpuE4ELNS1_3repE0EEENS1_30default_config_static_selectorELNS0_4arch9wavefront6targetE1EEEvT1_.kd
    .uniform_work_group_size: 1
    .uses_dynamic_stack: false
    .vgpr_count:     0
    .vgpr_spill_count: 0
    .wavefront_size: 64
  - .args:
      - .offset:         0
        .size:           40
        .value_kind:     by_value
    .group_segment_fixed_size: 0
    .kernarg_segment_align: 8
    .kernarg_segment_size: 40
    .language:       OpenCL C
    .language_version:
      - 2
      - 0
    .max_flat_workgroup_size: 256
    .name:           _ZN7rocprim17ROCPRIM_400000_NS6detail17trampoline_kernelINS0_14default_configENS1_20scan_config_selectorIdEEZZNS1_9scan_implILNS1_25lookback_scan_determinismE0ELb0ELb0ES3_PKdPddZZZN2at6native31launch_logcumsumexp_cuda_kernelERKNSB_10TensorBaseESF_lENKUlvE_clEvENKUlvE_clEvEUlddE_dEEDaPvRmT3_T4_T5_mT6_P12ihipStream_tbENKUlT_T0_E_clISt17integral_constantIbLb1EESW_EEDaSR_SS_EUlSR_E0_NS1_11comp_targetILNS1_3genE9ELNS1_11target_archE1100ELNS1_3gpuE3ELNS1_3repE0EEENS1_30default_config_static_selectorELNS0_4arch9wavefront6targetE1EEEvT1_
    .private_segment_fixed_size: 0
    .sgpr_count:     4
    .sgpr_spill_count: 0
    .symbol:         _ZN7rocprim17ROCPRIM_400000_NS6detail17trampoline_kernelINS0_14default_configENS1_20scan_config_selectorIdEEZZNS1_9scan_implILNS1_25lookback_scan_determinismE0ELb0ELb0ES3_PKdPddZZZN2at6native31launch_logcumsumexp_cuda_kernelERKNSB_10TensorBaseESF_lENKUlvE_clEvENKUlvE_clEvEUlddE_dEEDaPvRmT3_T4_T5_mT6_P12ihipStream_tbENKUlT_T0_E_clISt17integral_constantIbLb1EESW_EEDaSR_SS_EUlSR_E0_NS1_11comp_targetILNS1_3genE9ELNS1_11target_archE1100ELNS1_3gpuE3ELNS1_3repE0EEENS1_30default_config_static_selectorELNS0_4arch9wavefront6targetE1EEEvT1_.kd
    .uniform_work_group_size: 1
    .uses_dynamic_stack: false
    .vgpr_count:     0
    .vgpr_spill_count: 0
    .wavefront_size: 64
  - .args:
      - .offset:         0
        .size:           40
        .value_kind:     by_value
    .group_segment_fixed_size: 0
    .kernarg_segment_align: 8
    .kernarg_segment_size: 40
    .language:       OpenCL C
    .language_version:
      - 2
      - 0
    .max_flat_workgroup_size: 128
    .name:           _ZN7rocprim17ROCPRIM_400000_NS6detail17trampoline_kernelINS0_14default_configENS1_20scan_config_selectorIdEEZZNS1_9scan_implILNS1_25lookback_scan_determinismE0ELb0ELb0ES3_PKdPddZZZN2at6native31launch_logcumsumexp_cuda_kernelERKNSB_10TensorBaseESF_lENKUlvE_clEvENKUlvE_clEvEUlddE_dEEDaPvRmT3_T4_T5_mT6_P12ihipStream_tbENKUlT_T0_E_clISt17integral_constantIbLb1EESW_EEDaSR_SS_EUlSR_E0_NS1_11comp_targetILNS1_3genE8ELNS1_11target_archE1030ELNS1_3gpuE2ELNS1_3repE0EEENS1_30default_config_static_selectorELNS0_4arch9wavefront6targetE1EEEvT1_
    .private_segment_fixed_size: 0
    .sgpr_count:     4
    .sgpr_spill_count: 0
    .symbol:         _ZN7rocprim17ROCPRIM_400000_NS6detail17trampoline_kernelINS0_14default_configENS1_20scan_config_selectorIdEEZZNS1_9scan_implILNS1_25lookback_scan_determinismE0ELb0ELb0ES3_PKdPddZZZN2at6native31launch_logcumsumexp_cuda_kernelERKNSB_10TensorBaseESF_lENKUlvE_clEvENKUlvE_clEvEUlddE_dEEDaPvRmT3_T4_T5_mT6_P12ihipStream_tbENKUlT_T0_E_clISt17integral_constantIbLb1EESW_EEDaSR_SS_EUlSR_E0_NS1_11comp_targetILNS1_3genE8ELNS1_11target_archE1030ELNS1_3gpuE2ELNS1_3repE0EEENS1_30default_config_static_selectorELNS0_4arch9wavefront6targetE1EEEvT1_.kd
    .uniform_work_group_size: 1
    .uses_dynamic_stack: false
    .vgpr_count:     0
    .vgpr_spill_count: 0
    .wavefront_size: 64
  - .args:
      - .address_space:  global
        .offset:         0
        .size:           8
        .value_kind:     global_buffer
      - .offset:         8
        .size:           4
        .value_kind:     by_value
      - .offset:         12
        .size:           1
        .value_kind:     by_value
      - .offset:         16
        .size:           4
        .value_kind:     by_value
      - .address_space:  global
        .offset:         24
        .size:           8
        .value_kind:     global_buffer
      - .offset:         32
        .size:           4
        .value_kind:     hidden_block_count_x
      - .offset:         36
        .size:           4
        .value_kind:     hidden_block_count_y
      - .offset:         40
        .size:           4
        .value_kind:     hidden_block_count_z
      - .offset:         44
        .size:           2
        .value_kind:     hidden_group_size_x
      - .offset:         46
        .size:           2
        .value_kind:     hidden_group_size_y
      - .offset:         48
        .size:           2
        .value_kind:     hidden_group_size_z
      - .offset:         50
        .size:           2
        .value_kind:     hidden_remainder_x
      - .offset:         52
        .size:           2
        .value_kind:     hidden_remainder_y
      - .offset:         54
        .size:           2
        .value_kind:     hidden_remainder_z
      - .offset:         72
        .size:           8
        .value_kind:     hidden_global_offset_x
      - .offset:         80
        .size:           8
        .value_kind:     hidden_global_offset_y
      - .offset:         88
        .size:           8
        .value_kind:     hidden_global_offset_z
      - .offset:         96
        .size:           2
        .value_kind:     hidden_grid_dims
    .group_segment_fixed_size: 0
    .kernarg_segment_align: 8
    .kernarg_segment_size: 288
    .language:       OpenCL C
    .language_version:
      - 2
      - 0
    .max_flat_workgroup_size: 256
    .name:           _ZN7rocprim17ROCPRIM_400000_NS6detail31init_lookback_scan_state_kernelINS1_19lookback_scan_stateIdLb1ELb1EEENS1_16block_id_wrapperIjLb0EEEEEvT_jT0_jPNS7_10value_typeE
    .private_segment_fixed_size: 0
    .sgpr_count:     18
    .sgpr_spill_count: 0
    .symbol:         _ZN7rocprim17ROCPRIM_400000_NS6detail31init_lookback_scan_state_kernelINS1_19lookback_scan_stateIdLb1ELb1EEENS1_16block_id_wrapperIjLb0EEEEEvT_jT0_jPNS7_10value_typeE.kd
    .uniform_work_group_size: 1
    .uses_dynamic_stack: false
    .vgpr_count:     8
    .vgpr_spill_count: 0
    .wavefront_size: 64
  - .args:
      - .offset:         0
        .size:           104
        .value_kind:     by_value
    .group_segment_fixed_size: 0
    .kernarg_segment_align: 8
    .kernarg_segment_size: 104
    .language:       OpenCL C
    .language_version:
      - 2
      - 0
    .max_flat_workgroup_size: 256
    .name:           _ZN7rocprim17ROCPRIM_400000_NS6detail17trampoline_kernelINS0_14default_configENS1_20scan_config_selectorIdEEZZNS1_9scan_implILNS1_25lookback_scan_determinismE0ELb0ELb0ES3_PKdPddZZZN2at6native31launch_logcumsumexp_cuda_kernelERKNSB_10TensorBaseESF_lENKUlvE_clEvENKUlvE_clEvEUlddE_dEEDaPvRmT3_T4_T5_mT6_P12ihipStream_tbENKUlT_T0_E_clISt17integral_constantIbLb1EESV_IbLb0EEEEDaSR_SS_EUlSR_E_NS1_11comp_targetILNS1_3genE0ELNS1_11target_archE4294967295ELNS1_3gpuE0ELNS1_3repE0EEENS1_30default_config_static_selectorELNS0_4arch9wavefront6targetE1EEEvT1_
    .private_segment_fixed_size: 0
    .sgpr_count:     4
    .sgpr_spill_count: 0
    .symbol:         _ZN7rocprim17ROCPRIM_400000_NS6detail17trampoline_kernelINS0_14default_configENS1_20scan_config_selectorIdEEZZNS1_9scan_implILNS1_25lookback_scan_determinismE0ELb0ELb0ES3_PKdPddZZZN2at6native31launch_logcumsumexp_cuda_kernelERKNSB_10TensorBaseESF_lENKUlvE_clEvENKUlvE_clEvEUlddE_dEEDaPvRmT3_T4_T5_mT6_P12ihipStream_tbENKUlT_T0_E_clISt17integral_constantIbLb1EESV_IbLb0EEEEDaSR_SS_EUlSR_E_NS1_11comp_targetILNS1_3genE0ELNS1_11target_archE4294967295ELNS1_3gpuE0ELNS1_3repE0EEENS1_30default_config_static_selectorELNS0_4arch9wavefront6targetE1EEEvT1_.kd
    .uniform_work_group_size: 1
    .uses_dynamic_stack: false
    .vgpr_count:     0
    .vgpr_spill_count: 0
    .wavefront_size: 64
  - .args:
      - .offset:         0
        .size:           104
        .value_kind:     by_value
    .group_segment_fixed_size: 0
    .kernarg_segment_align: 8
    .kernarg_segment_size: 104
    .language:       OpenCL C
    .language_version:
      - 2
      - 0
    .max_flat_workgroup_size: 256
    .name:           _ZN7rocprim17ROCPRIM_400000_NS6detail17trampoline_kernelINS0_14default_configENS1_20scan_config_selectorIdEEZZNS1_9scan_implILNS1_25lookback_scan_determinismE0ELb0ELb0ES3_PKdPddZZZN2at6native31launch_logcumsumexp_cuda_kernelERKNSB_10TensorBaseESF_lENKUlvE_clEvENKUlvE_clEvEUlddE_dEEDaPvRmT3_T4_T5_mT6_P12ihipStream_tbENKUlT_T0_E_clISt17integral_constantIbLb1EESV_IbLb0EEEEDaSR_SS_EUlSR_E_NS1_11comp_targetILNS1_3genE5ELNS1_11target_archE942ELNS1_3gpuE9ELNS1_3repE0EEENS1_30default_config_static_selectorELNS0_4arch9wavefront6targetE1EEEvT1_
    .private_segment_fixed_size: 0
    .sgpr_count:     4
    .sgpr_spill_count: 0
    .symbol:         _ZN7rocprim17ROCPRIM_400000_NS6detail17trampoline_kernelINS0_14default_configENS1_20scan_config_selectorIdEEZZNS1_9scan_implILNS1_25lookback_scan_determinismE0ELb0ELb0ES3_PKdPddZZZN2at6native31launch_logcumsumexp_cuda_kernelERKNSB_10TensorBaseESF_lENKUlvE_clEvENKUlvE_clEvEUlddE_dEEDaPvRmT3_T4_T5_mT6_P12ihipStream_tbENKUlT_T0_E_clISt17integral_constantIbLb1EESV_IbLb0EEEEDaSR_SS_EUlSR_E_NS1_11comp_targetILNS1_3genE5ELNS1_11target_archE942ELNS1_3gpuE9ELNS1_3repE0EEENS1_30default_config_static_selectorELNS0_4arch9wavefront6targetE1EEEvT1_.kd
    .uniform_work_group_size: 1
    .uses_dynamic_stack: false
    .vgpr_count:     0
    .vgpr_spill_count: 0
    .wavefront_size: 64
  - .args:
      - .offset:         0
        .size:           104
        .value_kind:     by_value
    .group_segment_fixed_size: 0
    .kernarg_segment_align: 8
    .kernarg_segment_size: 104
    .language:       OpenCL C
    .language_version:
      - 2
      - 0
    .max_flat_workgroup_size: 128
    .name:           _ZN7rocprim17ROCPRIM_400000_NS6detail17trampoline_kernelINS0_14default_configENS1_20scan_config_selectorIdEEZZNS1_9scan_implILNS1_25lookback_scan_determinismE0ELb0ELb0ES3_PKdPddZZZN2at6native31launch_logcumsumexp_cuda_kernelERKNSB_10TensorBaseESF_lENKUlvE_clEvENKUlvE_clEvEUlddE_dEEDaPvRmT3_T4_T5_mT6_P12ihipStream_tbENKUlT_T0_E_clISt17integral_constantIbLb1EESV_IbLb0EEEEDaSR_SS_EUlSR_E_NS1_11comp_targetILNS1_3genE4ELNS1_11target_archE910ELNS1_3gpuE8ELNS1_3repE0EEENS1_30default_config_static_selectorELNS0_4arch9wavefront6targetE1EEEvT1_
    .private_segment_fixed_size: 0
    .sgpr_count:     4
    .sgpr_spill_count: 0
    .symbol:         _ZN7rocprim17ROCPRIM_400000_NS6detail17trampoline_kernelINS0_14default_configENS1_20scan_config_selectorIdEEZZNS1_9scan_implILNS1_25lookback_scan_determinismE0ELb0ELb0ES3_PKdPddZZZN2at6native31launch_logcumsumexp_cuda_kernelERKNSB_10TensorBaseESF_lENKUlvE_clEvENKUlvE_clEvEUlddE_dEEDaPvRmT3_T4_T5_mT6_P12ihipStream_tbENKUlT_T0_E_clISt17integral_constantIbLb1EESV_IbLb0EEEEDaSR_SS_EUlSR_E_NS1_11comp_targetILNS1_3genE4ELNS1_11target_archE910ELNS1_3gpuE8ELNS1_3repE0EEENS1_30default_config_static_selectorELNS0_4arch9wavefront6targetE1EEEvT1_.kd
    .uniform_work_group_size: 1
    .uses_dynamic_stack: false
    .vgpr_count:     0
    .vgpr_spill_count: 0
    .wavefront_size: 64
  - .args:
      - .offset:         0
        .size:           104
        .value_kind:     by_value
    .group_segment_fixed_size: 0
    .kernarg_segment_align: 8
    .kernarg_segment_size: 104
    .language:       OpenCL C
    .language_version:
      - 2
      - 0
    .max_flat_workgroup_size: 256
    .name:           _ZN7rocprim17ROCPRIM_400000_NS6detail17trampoline_kernelINS0_14default_configENS1_20scan_config_selectorIdEEZZNS1_9scan_implILNS1_25lookback_scan_determinismE0ELb0ELb0ES3_PKdPddZZZN2at6native31launch_logcumsumexp_cuda_kernelERKNSB_10TensorBaseESF_lENKUlvE_clEvENKUlvE_clEvEUlddE_dEEDaPvRmT3_T4_T5_mT6_P12ihipStream_tbENKUlT_T0_E_clISt17integral_constantIbLb1EESV_IbLb0EEEEDaSR_SS_EUlSR_E_NS1_11comp_targetILNS1_3genE3ELNS1_11target_archE908ELNS1_3gpuE7ELNS1_3repE0EEENS1_30default_config_static_selectorELNS0_4arch9wavefront6targetE1EEEvT1_
    .private_segment_fixed_size: 0
    .sgpr_count:     4
    .sgpr_spill_count: 0
    .symbol:         _ZN7rocprim17ROCPRIM_400000_NS6detail17trampoline_kernelINS0_14default_configENS1_20scan_config_selectorIdEEZZNS1_9scan_implILNS1_25lookback_scan_determinismE0ELb0ELb0ES3_PKdPddZZZN2at6native31launch_logcumsumexp_cuda_kernelERKNSB_10TensorBaseESF_lENKUlvE_clEvENKUlvE_clEvEUlddE_dEEDaPvRmT3_T4_T5_mT6_P12ihipStream_tbENKUlT_T0_E_clISt17integral_constantIbLb1EESV_IbLb0EEEEDaSR_SS_EUlSR_E_NS1_11comp_targetILNS1_3genE3ELNS1_11target_archE908ELNS1_3gpuE7ELNS1_3repE0EEENS1_30default_config_static_selectorELNS0_4arch9wavefront6targetE1EEEvT1_.kd
    .uniform_work_group_size: 1
    .uses_dynamic_stack: false
    .vgpr_count:     0
    .vgpr_spill_count: 0
    .wavefront_size: 64
  - .args:
      - .offset:         0
        .size:           104
        .value_kind:     by_value
    .group_segment_fixed_size: 0
    .kernarg_segment_align: 8
    .kernarg_segment_size: 104
    .language:       OpenCL C
    .language_version:
      - 2
      - 0
    .max_flat_workgroup_size: 128
    .name:           _ZN7rocprim17ROCPRIM_400000_NS6detail17trampoline_kernelINS0_14default_configENS1_20scan_config_selectorIdEEZZNS1_9scan_implILNS1_25lookback_scan_determinismE0ELb0ELb0ES3_PKdPddZZZN2at6native31launch_logcumsumexp_cuda_kernelERKNSB_10TensorBaseESF_lENKUlvE_clEvENKUlvE_clEvEUlddE_dEEDaPvRmT3_T4_T5_mT6_P12ihipStream_tbENKUlT_T0_E_clISt17integral_constantIbLb1EESV_IbLb0EEEEDaSR_SS_EUlSR_E_NS1_11comp_targetILNS1_3genE2ELNS1_11target_archE906ELNS1_3gpuE6ELNS1_3repE0EEENS1_30default_config_static_selectorELNS0_4arch9wavefront6targetE1EEEvT1_
    .private_segment_fixed_size: 0
    .sgpr_count:     4
    .sgpr_spill_count: 0
    .symbol:         _ZN7rocprim17ROCPRIM_400000_NS6detail17trampoline_kernelINS0_14default_configENS1_20scan_config_selectorIdEEZZNS1_9scan_implILNS1_25lookback_scan_determinismE0ELb0ELb0ES3_PKdPddZZZN2at6native31launch_logcumsumexp_cuda_kernelERKNSB_10TensorBaseESF_lENKUlvE_clEvENKUlvE_clEvEUlddE_dEEDaPvRmT3_T4_T5_mT6_P12ihipStream_tbENKUlT_T0_E_clISt17integral_constantIbLb1EESV_IbLb0EEEEDaSR_SS_EUlSR_E_NS1_11comp_targetILNS1_3genE2ELNS1_11target_archE906ELNS1_3gpuE6ELNS1_3repE0EEENS1_30default_config_static_selectorELNS0_4arch9wavefront6targetE1EEEvT1_.kd
    .uniform_work_group_size: 1
    .uses_dynamic_stack: false
    .vgpr_count:     0
    .vgpr_spill_count: 0
    .wavefront_size: 64
  - .args:
      - .offset:         0
        .size:           104
        .value_kind:     by_value
    .group_segment_fixed_size: 0
    .kernarg_segment_align: 8
    .kernarg_segment_size: 104
    .language:       OpenCL C
    .language_version:
      - 2
      - 0
    .max_flat_workgroup_size: 256
    .name:           _ZN7rocprim17ROCPRIM_400000_NS6detail17trampoline_kernelINS0_14default_configENS1_20scan_config_selectorIdEEZZNS1_9scan_implILNS1_25lookback_scan_determinismE0ELb0ELb0ES3_PKdPddZZZN2at6native31launch_logcumsumexp_cuda_kernelERKNSB_10TensorBaseESF_lENKUlvE_clEvENKUlvE_clEvEUlddE_dEEDaPvRmT3_T4_T5_mT6_P12ihipStream_tbENKUlT_T0_E_clISt17integral_constantIbLb1EESV_IbLb0EEEEDaSR_SS_EUlSR_E_NS1_11comp_targetILNS1_3genE10ELNS1_11target_archE1201ELNS1_3gpuE5ELNS1_3repE0EEENS1_30default_config_static_selectorELNS0_4arch9wavefront6targetE1EEEvT1_
    .private_segment_fixed_size: 0
    .sgpr_count:     4
    .sgpr_spill_count: 0
    .symbol:         _ZN7rocprim17ROCPRIM_400000_NS6detail17trampoline_kernelINS0_14default_configENS1_20scan_config_selectorIdEEZZNS1_9scan_implILNS1_25lookback_scan_determinismE0ELb0ELb0ES3_PKdPddZZZN2at6native31launch_logcumsumexp_cuda_kernelERKNSB_10TensorBaseESF_lENKUlvE_clEvENKUlvE_clEvEUlddE_dEEDaPvRmT3_T4_T5_mT6_P12ihipStream_tbENKUlT_T0_E_clISt17integral_constantIbLb1EESV_IbLb0EEEEDaSR_SS_EUlSR_E_NS1_11comp_targetILNS1_3genE10ELNS1_11target_archE1201ELNS1_3gpuE5ELNS1_3repE0EEENS1_30default_config_static_selectorELNS0_4arch9wavefront6targetE1EEEvT1_.kd
    .uniform_work_group_size: 1
    .uses_dynamic_stack: false
    .vgpr_count:     0
    .vgpr_spill_count: 0
    .wavefront_size: 64
  - .args:
      - .offset:         0
        .size:           104
        .value_kind:     by_value
    .group_segment_fixed_size: 0
    .kernarg_segment_align: 8
    .kernarg_segment_size: 104
    .language:       OpenCL C
    .language_version:
      - 2
      - 0
    .max_flat_workgroup_size: 256
    .name:           _ZN7rocprim17ROCPRIM_400000_NS6detail17trampoline_kernelINS0_14default_configENS1_20scan_config_selectorIdEEZZNS1_9scan_implILNS1_25lookback_scan_determinismE0ELb0ELb0ES3_PKdPddZZZN2at6native31launch_logcumsumexp_cuda_kernelERKNSB_10TensorBaseESF_lENKUlvE_clEvENKUlvE_clEvEUlddE_dEEDaPvRmT3_T4_T5_mT6_P12ihipStream_tbENKUlT_T0_E_clISt17integral_constantIbLb1EESV_IbLb0EEEEDaSR_SS_EUlSR_E_NS1_11comp_targetILNS1_3genE10ELNS1_11target_archE1200ELNS1_3gpuE4ELNS1_3repE0EEENS1_30default_config_static_selectorELNS0_4arch9wavefront6targetE1EEEvT1_
    .private_segment_fixed_size: 0
    .sgpr_count:     4
    .sgpr_spill_count: 0
    .symbol:         _ZN7rocprim17ROCPRIM_400000_NS6detail17trampoline_kernelINS0_14default_configENS1_20scan_config_selectorIdEEZZNS1_9scan_implILNS1_25lookback_scan_determinismE0ELb0ELb0ES3_PKdPddZZZN2at6native31launch_logcumsumexp_cuda_kernelERKNSB_10TensorBaseESF_lENKUlvE_clEvENKUlvE_clEvEUlddE_dEEDaPvRmT3_T4_T5_mT6_P12ihipStream_tbENKUlT_T0_E_clISt17integral_constantIbLb1EESV_IbLb0EEEEDaSR_SS_EUlSR_E_NS1_11comp_targetILNS1_3genE10ELNS1_11target_archE1200ELNS1_3gpuE4ELNS1_3repE0EEENS1_30default_config_static_selectorELNS0_4arch9wavefront6targetE1EEEvT1_.kd
    .uniform_work_group_size: 1
    .uses_dynamic_stack: false
    .vgpr_count:     0
    .vgpr_spill_count: 0
    .wavefront_size: 64
  - .args:
      - .offset:         0
        .size:           104
        .value_kind:     by_value
    .group_segment_fixed_size: 0
    .kernarg_segment_align: 8
    .kernarg_segment_size: 104
    .language:       OpenCL C
    .language_version:
      - 2
      - 0
    .max_flat_workgroup_size: 256
    .name:           _ZN7rocprim17ROCPRIM_400000_NS6detail17trampoline_kernelINS0_14default_configENS1_20scan_config_selectorIdEEZZNS1_9scan_implILNS1_25lookback_scan_determinismE0ELb0ELb0ES3_PKdPddZZZN2at6native31launch_logcumsumexp_cuda_kernelERKNSB_10TensorBaseESF_lENKUlvE_clEvENKUlvE_clEvEUlddE_dEEDaPvRmT3_T4_T5_mT6_P12ihipStream_tbENKUlT_T0_E_clISt17integral_constantIbLb1EESV_IbLb0EEEEDaSR_SS_EUlSR_E_NS1_11comp_targetILNS1_3genE9ELNS1_11target_archE1100ELNS1_3gpuE3ELNS1_3repE0EEENS1_30default_config_static_selectorELNS0_4arch9wavefront6targetE1EEEvT1_
    .private_segment_fixed_size: 0
    .sgpr_count:     4
    .sgpr_spill_count: 0
    .symbol:         _ZN7rocprim17ROCPRIM_400000_NS6detail17trampoline_kernelINS0_14default_configENS1_20scan_config_selectorIdEEZZNS1_9scan_implILNS1_25lookback_scan_determinismE0ELb0ELb0ES3_PKdPddZZZN2at6native31launch_logcumsumexp_cuda_kernelERKNSB_10TensorBaseESF_lENKUlvE_clEvENKUlvE_clEvEUlddE_dEEDaPvRmT3_T4_T5_mT6_P12ihipStream_tbENKUlT_T0_E_clISt17integral_constantIbLb1EESV_IbLb0EEEEDaSR_SS_EUlSR_E_NS1_11comp_targetILNS1_3genE9ELNS1_11target_archE1100ELNS1_3gpuE3ELNS1_3repE0EEENS1_30default_config_static_selectorELNS0_4arch9wavefront6targetE1EEEvT1_.kd
    .uniform_work_group_size: 1
    .uses_dynamic_stack: false
    .vgpr_count:     0
    .vgpr_spill_count: 0
    .wavefront_size: 64
  - .args:
      - .offset:         0
        .size:           104
        .value_kind:     by_value
    .group_segment_fixed_size: 0
    .kernarg_segment_align: 8
    .kernarg_segment_size: 104
    .language:       OpenCL C
    .language_version:
      - 2
      - 0
    .max_flat_workgroup_size: 128
    .name:           _ZN7rocprim17ROCPRIM_400000_NS6detail17trampoline_kernelINS0_14default_configENS1_20scan_config_selectorIdEEZZNS1_9scan_implILNS1_25lookback_scan_determinismE0ELb0ELb0ES3_PKdPddZZZN2at6native31launch_logcumsumexp_cuda_kernelERKNSB_10TensorBaseESF_lENKUlvE_clEvENKUlvE_clEvEUlddE_dEEDaPvRmT3_T4_T5_mT6_P12ihipStream_tbENKUlT_T0_E_clISt17integral_constantIbLb1EESV_IbLb0EEEEDaSR_SS_EUlSR_E_NS1_11comp_targetILNS1_3genE8ELNS1_11target_archE1030ELNS1_3gpuE2ELNS1_3repE0EEENS1_30default_config_static_selectorELNS0_4arch9wavefront6targetE1EEEvT1_
    .private_segment_fixed_size: 0
    .sgpr_count:     4
    .sgpr_spill_count: 0
    .symbol:         _ZN7rocprim17ROCPRIM_400000_NS6detail17trampoline_kernelINS0_14default_configENS1_20scan_config_selectorIdEEZZNS1_9scan_implILNS1_25lookback_scan_determinismE0ELb0ELb0ES3_PKdPddZZZN2at6native31launch_logcumsumexp_cuda_kernelERKNSB_10TensorBaseESF_lENKUlvE_clEvENKUlvE_clEvEUlddE_dEEDaPvRmT3_T4_T5_mT6_P12ihipStream_tbENKUlT_T0_E_clISt17integral_constantIbLb1EESV_IbLb0EEEEDaSR_SS_EUlSR_E_NS1_11comp_targetILNS1_3genE8ELNS1_11target_archE1030ELNS1_3gpuE2ELNS1_3repE0EEENS1_30default_config_static_selectorELNS0_4arch9wavefront6targetE1EEEvT1_.kd
    .uniform_work_group_size: 1
    .uses_dynamic_stack: false
    .vgpr_count:     0
    .vgpr_spill_count: 0
    .wavefront_size: 64
  - .args:
      - .offset:         0
        .size:           40
        .value_kind:     by_value
    .group_segment_fixed_size: 0
    .kernarg_segment_align: 8
    .kernarg_segment_size: 40
    .language:       OpenCL C
    .language_version:
      - 2
      - 0
    .max_flat_workgroup_size: 256
    .name:           _ZN7rocprim17ROCPRIM_400000_NS6detail17trampoline_kernelINS0_14default_configENS1_20scan_config_selectorIdEEZZNS1_9scan_implILNS1_25lookback_scan_determinismE0ELb0ELb0ES3_PKdPddZZZN2at6native31launch_logcumsumexp_cuda_kernelERKNSB_10TensorBaseESF_lENKUlvE_clEvENKUlvE_clEvEUlddE_dEEDaPvRmT3_T4_T5_mT6_P12ihipStream_tbENKUlT_T0_E_clISt17integral_constantIbLb1EESV_IbLb0EEEEDaSR_SS_EUlSR_E0_NS1_11comp_targetILNS1_3genE0ELNS1_11target_archE4294967295ELNS1_3gpuE0ELNS1_3repE0EEENS1_30default_config_static_selectorELNS0_4arch9wavefront6targetE1EEEvT1_
    .private_segment_fixed_size: 0
    .sgpr_count:     4
    .sgpr_spill_count: 0
    .symbol:         _ZN7rocprim17ROCPRIM_400000_NS6detail17trampoline_kernelINS0_14default_configENS1_20scan_config_selectorIdEEZZNS1_9scan_implILNS1_25lookback_scan_determinismE0ELb0ELb0ES3_PKdPddZZZN2at6native31launch_logcumsumexp_cuda_kernelERKNSB_10TensorBaseESF_lENKUlvE_clEvENKUlvE_clEvEUlddE_dEEDaPvRmT3_T4_T5_mT6_P12ihipStream_tbENKUlT_T0_E_clISt17integral_constantIbLb1EESV_IbLb0EEEEDaSR_SS_EUlSR_E0_NS1_11comp_targetILNS1_3genE0ELNS1_11target_archE4294967295ELNS1_3gpuE0ELNS1_3repE0EEENS1_30default_config_static_selectorELNS0_4arch9wavefront6targetE1EEEvT1_.kd
    .uniform_work_group_size: 1
    .uses_dynamic_stack: false
    .vgpr_count:     0
    .vgpr_spill_count: 0
    .wavefront_size: 64
  - .args:
      - .offset:         0
        .size:           40
        .value_kind:     by_value
    .group_segment_fixed_size: 0
    .kernarg_segment_align: 8
    .kernarg_segment_size: 40
    .language:       OpenCL C
    .language_version:
      - 2
      - 0
    .max_flat_workgroup_size: 256
    .name:           _ZN7rocprim17ROCPRIM_400000_NS6detail17trampoline_kernelINS0_14default_configENS1_20scan_config_selectorIdEEZZNS1_9scan_implILNS1_25lookback_scan_determinismE0ELb0ELb0ES3_PKdPddZZZN2at6native31launch_logcumsumexp_cuda_kernelERKNSB_10TensorBaseESF_lENKUlvE_clEvENKUlvE_clEvEUlddE_dEEDaPvRmT3_T4_T5_mT6_P12ihipStream_tbENKUlT_T0_E_clISt17integral_constantIbLb1EESV_IbLb0EEEEDaSR_SS_EUlSR_E0_NS1_11comp_targetILNS1_3genE5ELNS1_11target_archE942ELNS1_3gpuE9ELNS1_3repE0EEENS1_30default_config_static_selectorELNS0_4arch9wavefront6targetE1EEEvT1_
    .private_segment_fixed_size: 0
    .sgpr_count:     4
    .sgpr_spill_count: 0
    .symbol:         _ZN7rocprim17ROCPRIM_400000_NS6detail17trampoline_kernelINS0_14default_configENS1_20scan_config_selectorIdEEZZNS1_9scan_implILNS1_25lookback_scan_determinismE0ELb0ELb0ES3_PKdPddZZZN2at6native31launch_logcumsumexp_cuda_kernelERKNSB_10TensorBaseESF_lENKUlvE_clEvENKUlvE_clEvEUlddE_dEEDaPvRmT3_T4_T5_mT6_P12ihipStream_tbENKUlT_T0_E_clISt17integral_constantIbLb1EESV_IbLb0EEEEDaSR_SS_EUlSR_E0_NS1_11comp_targetILNS1_3genE5ELNS1_11target_archE942ELNS1_3gpuE9ELNS1_3repE0EEENS1_30default_config_static_selectorELNS0_4arch9wavefront6targetE1EEEvT1_.kd
    .uniform_work_group_size: 1
    .uses_dynamic_stack: false
    .vgpr_count:     0
    .vgpr_spill_count: 0
    .wavefront_size: 64
  - .args:
      - .offset:         0
        .size:           40
        .value_kind:     by_value
    .group_segment_fixed_size: 0
    .kernarg_segment_align: 8
    .kernarg_segment_size: 40
    .language:       OpenCL C
    .language_version:
      - 2
      - 0
    .max_flat_workgroup_size: 128
    .name:           _ZN7rocprim17ROCPRIM_400000_NS6detail17trampoline_kernelINS0_14default_configENS1_20scan_config_selectorIdEEZZNS1_9scan_implILNS1_25lookback_scan_determinismE0ELb0ELb0ES3_PKdPddZZZN2at6native31launch_logcumsumexp_cuda_kernelERKNSB_10TensorBaseESF_lENKUlvE_clEvENKUlvE_clEvEUlddE_dEEDaPvRmT3_T4_T5_mT6_P12ihipStream_tbENKUlT_T0_E_clISt17integral_constantIbLb1EESV_IbLb0EEEEDaSR_SS_EUlSR_E0_NS1_11comp_targetILNS1_3genE4ELNS1_11target_archE910ELNS1_3gpuE8ELNS1_3repE0EEENS1_30default_config_static_selectorELNS0_4arch9wavefront6targetE1EEEvT1_
    .private_segment_fixed_size: 0
    .sgpr_count:     4
    .sgpr_spill_count: 0
    .symbol:         _ZN7rocprim17ROCPRIM_400000_NS6detail17trampoline_kernelINS0_14default_configENS1_20scan_config_selectorIdEEZZNS1_9scan_implILNS1_25lookback_scan_determinismE0ELb0ELb0ES3_PKdPddZZZN2at6native31launch_logcumsumexp_cuda_kernelERKNSB_10TensorBaseESF_lENKUlvE_clEvENKUlvE_clEvEUlddE_dEEDaPvRmT3_T4_T5_mT6_P12ihipStream_tbENKUlT_T0_E_clISt17integral_constantIbLb1EESV_IbLb0EEEEDaSR_SS_EUlSR_E0_NS1_11comp_targetILNS1_3genE4ELNS1_11target_archE910ELNS1_3gpuE8ELNS1_3repE0EEENS1_30default_config_static_selectorELNS0_4arch9wavefront6targetE1EEEvT1_.kd
    .uniform_work_group_size: 1
    .uses_dynamic_stack: false
    .vgpr_count:     0
    .vgpr_spill_count: 0
    .wavefront_size: 64
  - .args:
      - .offset:         0
        .size:           40
        .value_kind:     by_value
    .group_segment_fixed_size: 0
    .kernarg_segment_align: 8
    .kernarg_segment_size: 40
    .language:       OpenCL C
    .language_version:
      - 2
      - 0
    .max_flat_workgroup_size: 256
    .name:           _ZN7rocprim17ROCPRIM_400000_NS6detail17trampoline_kernelINS0_14default_configENS1_20scan_config_selectorIdEEZZNS1_9scan_implILNS1_25lookback_scan_determinismE0ELb0ELb0ES3_PKdPddZZZN2at6native31launch_logcumsumexp_cuda_kernelERKNSB_10TensorBaseESF_lENKUlvE_clEvENKUlvE_clEvEUlddE_dEEDaPvRmT3_T4_T5_mT6_P12ihipStream_tbENKUlT_T0_E_clISt17integral_constantIbLb1EESV_IbLb0EEEEDaSR_SS_EUlSR_E0_NS1_11comp_targetILNS1_3genE3ELNS1_11target_archE908ELNS1_3gpuE7ELNS1_3repE0EEENS1_30default_config_static_selectorELNS0_4arch9wavefront6targetE1EEEvT1_
    .private_segment_fixed_size: 0
    .sgpr_count:     4
    .sgpr_spill_count: 0
    .symbol:         _ZN7rocprim17ROCPRIM_400000_NS6detail17trampoline_kernelINS0_14default_configENS1_20scan_config_selectorIdEEZZNS1_9scan_implILNS1_25lookback_scan_determinismE0ELb0ELb0ES3_PKdPddZZZN2at6native31launch_logcumsumexp_cuda_kernelERKNSB_10TensorBaseESF_lENKUlvE_clEvENKUlvE_clEvEUlddE_dEEDaPvRmT3_T4_T5_mT6_P12ihipStream_tbENKUlT_T0_E_clISt17integral_constantIbLb1EESV_IbLb0EEEEDaSR_SS_EUlSR_E0_NS1_11comp_targetILNS1_3genE3ELNS1_11target_archE908ELNS1_3gpuE7ELNS1_3repE0EEENS1_30default_config_static_selectorELNS0_4arch9wavefront6targetE1EEEvT1_.kd
    .uniform_work_group_size: 1
    .uses_dynamic_stack: false
    .vgpr_count:     0
    .vgpr_spill_count: 0
    .wavefront_size: 64
  - .args:
      - .offset:         0
        .size:           40
        .value_kind:     by_value
    .group_segment_fixed_size: 10240
    .kernarg_segment_align: 8
    .kernarg_segment_size: 40
    .language:       OpenCL C
    .language_version:
      - 2
      - 0
    .max_flat_workgroup_size: 128
    .name:           _ZN7rocprim17ROCPRIM_400000_NS6detail17trampoline_kernelINS0_14default_configENS1_20scan_config_selectorIdEEZZNS1_9scan_implILNS1_25lookback_scan_determinismE0ELb0ELb0ES3_PKdPddZZZN2at6native31launch_logcumsumexp_cuda_kernelERKNSB_10TensorBaseESF_lENKUlvE_clEvENKUlvE_clEvEUlddE_dEEDaPvRmT3_T4_T5_mT6_P12ihipStream_tbENKUlT_T0_E_clISt17integral_constantIbLb1EESV_IbLb0EEEEDaSR_SS_EUlSR_E0_NS1_11comp_targetILNS1_3genE2ELNS1_11target_archE906ELNS1_3gpuE6ELNS1_3repE0EEENS1_30default_config_static_selectorELNS0_4arch9wavefront6targetE1EEEvT1_
    .private_segment_fixed_size: 0
    .sgpr_count:     62
    .sgpr_spill_count: 0
    .symbol:         _ZN7rocprim17ROCPRIM_400000_NS6detail17trampoline_kernelINS0_14default_configENS1_20scan_config_selectorIdEEZZNS1_9scan_implILNS1_25lookback_scan_determinismE0ELb0ELb0ES3_PKdPddZZZN2at6native31launch_logcumsumexp_cuda_kernelERKNSB_10TensorBaseESF_lENKUlvE_clEvENKUlvE_clEvEUlddE_dEEDaPvRmT3_T4_T5_mT6_P12ihipStream_tbENKUlT_T0_E_clISt17integral_constantIbLb1EESV_IbLb0EEEEDaSR_SS_EUlSR_E0_NS1_11comp_targetILNS1_3genE2ELNS1_11target_archE906ELNS1_3gpuE6ELNS1_3repE0EEENS1_30default_config_static_selectorELNS0_4arch9wavefront6targetE1EEEvT1_.kd
    .uniform_work_group_size: 1
    .uses_dynamic_stack: false
    .vgpr_count:     82
    .vgpr_spill_count: 0
    .wavefront_size: 64
  - .args:
      - .offset:         0
        .size:           40
        .value_kind:     by_value
    .group_segment_fixed_size: 0
    .kernarg_segment_align: 8
    .kernarg_segment_size: 40
    .language:       OpenCL C
    .language_version:
      - 2
      - 0
    .max_flat_workgroup_size: 256
    .name:           _ZN7rocprim17ROCPRIM_400000_NS6detail17trampoline_kernelINS0_14default_configENS1_20scan_config_selectorIdEEZZNS1_9scan_implILNS1_25lookback_scan_determinismE0ELb0ELb0ES3_PKdPddZZZN2at6native31launch_logcumsumexp_cuda_kernelERKNSB_10TensorBaseESF_lENKUlvE_clEvENKUlvE_clEvEUlddE_dEEDaPvRmT3_T4_T5_mT6_P12ihipStream_tbENKUlT_T0_E_clISt17integral_constantIbLb1EESV_IbLb0EEEEDaSR_SS_EUlSR_E0_NS1_11comp_targetILNS1_3genE10ELNS1_11target_archE1201ELNS1_3gpuE5ELNS1_3repE0EEENS1_30default_config_static_selectorELNS0_4arch9wavefront6targetE1EEEvT1_
    .private_segment_fixed_size: 0
    .sgpr_count:     4
    .sgpr_spill_count: 0
    .symbol:         _ZN7rocprim17ROCPRIM_400000_NS6detail17trampoline_kernelINS0_14default_configENS1_20scan_config_selectorIdEEZZNS1_9scan_implILNS1_25lookback_scan_determinismE0ELb0ELb0ES3_PKdPddZZZN2at6native31launch_logcumsumexp_cuda_kernelERKNSB_10TensorBaseESF_lENKUlvE_clEvENKUlvE_clEvEUlddE_dEEDaPvRmT3_T4_T5_mT6_P12ihipStream_tbENKUlT_T0_E_clISt17integral_constantIbLb1EESV_IbLb0EEEEDaSR_SS_EUlSR_E0_NS1_11comp_targetILNS1_3genE10ELNS1_11target_archE1201ELNS1_3gpuE5ELNS1_3repE0EEENS1_30default_config_static_selectorELNS0_4arch9wavefront6targetE1EEEvT1_.kd
    .uniform_work_group_size: 1
    .uses_dynamic_stack: false
    .vgpr_count:     0
    .vgpr_spill_count: 0
    .wavefront_size: 64
  - .args:
      - .offset:         0
        .size:           40
        .value_kind:     by_value
    .group_segment_fixed_size: 0
    .kernarg_segment_align: 8
    .kernarg_segment_size: 40
    .language:       OpenCL C
    .language_version:
      - 2
      - 0
    .max_flat_workgroup_size: 256
    .name:           _ZN7rocprim17ROCPRIM_400000_NS6detail17trampoline_kernelINS0_14default_configENS1_20scan_config_selectorIdEEZZNS1_9scan_implILNS1_25lookback_scan_determinismE0ELb0ELb0ES3_PKdPddZZZN2at6native31launch_logcumsumexp_cuda_kernelERKNSB_10TensorBaseESF_lENKUlvE_clEvENKUlvE_clEvEUlddE_dEEDaPvRmT3_T4_T5_mT6_P12ihipStream_tbENKUlT_T0_E_clISt17integral_constantIbLb1EESV_IbLb0EEEEDaSR_SS_EUlSR_E0_NS1_11comp_targetILNS1_3genE10ELNS1_11target_archE1200ELNS1_3gpuE4ELNS1_3repE0EEENS1_30default_config_static_selectorELNS0_4arch9wavefront6targetE1EEEvT1_
    .private_segment_fixed_size: 0
    .sgpr_count:     4
    .sgpr_spill_count: 0
    .symbol:         _ZN7rocprim17ROCPRIM_400000_NS6detail17trampoline_kernelINS0_14default_configENS1_20scan_config_selectorIdEEZZNS1_9scan_implILNS1_25lookback_scan_determinismE0ELb0ELb0ES3_PKdPddZZZN2at6native31launch_logcumsumexp_cuda_kernelERKNSB_10TensorBaseESF_lENKUlvE_clEvENKUlvE_clEvEUlddE_dEEDaPvRmT3_T4_T5_mT6_P12ihipStream_tbENKUlT_T0_E_clISt17integral_constantIbLb1EESV_IbLb0EEEEDaSR_SS_EUlSR_E0_NS1_11comp_targetILNS1_3genE10ELNS1_11target_archE1200ELNS1_3gpuE4ELNS1_3repE0EEENS1_30default_config_static_selectorELNS0_4arch9wavefront6targetE1EEEvT1_.kd
    .uniform_work_group_size: 1
    .uses_dynamic_stack: false
    .vgpr_count:     0
    .vgpr_spill_count: 0
    .wavefront_size: 64
  - .args:
      - .offset:         0
        .size:           40
        .value_kind:     by_value
    .group_segment_fixed_size: 0
    .kernarg_segment_align: 8
    .kernarg_segment_size: 40
    .language:       OpenCL C
    .language_version:
      - 2
      - 0
    .max_flat_workgroup_size: 256
    .name:           _ZN7rocprim17ROCPRIM_400000_NS6detail17trampoline_kernelINS0_14default_configENS1_20scan_config_selectorIdEEZZNS1_9scan_implILNS1_25lookback_scan_determinismE0ELb0ELb0ES3_PKdPddZZZN2at6native31launch_logcumsumexp_cuda_kernelERKNSB_10TensorBaseESF_lENKUlvE_clEvENKUlvE_clEvEUlddE_dEEDaPvRmT3_T4_T5_mT6_P12ihipStream_tbENKUlT_T0_E_clISt17integral_constantIbLb1EESV_IbLb0EEEEDaSR_SS_EUlSR_E0_NS1_11comp_targetILNS1_3genE9ELNS1_11target_archE1100ELNS1_3gpuE3ELNS1_3repE0EEENS1_30default_config_static_selectorELNS0_4arch9wavefront6targetE1EEEvT1_
    .private_segment_fixed_size: 0
    .sgpr_count:     4
    .sgpr_spill_count: 0
    .symbol:         _ZN7rocprim17ROCPRIM_400000_NS6detail17trampoline_kernelINS0_14default_configENS1_20scan_config_selectorIdEEZZNS1_9scan_implILNS1_25lookback_scan_determinismE0ELb0ELb0ES3_PKdPddZZZN2at6native31launch_logcumsumexp_cuda_kernelERKNSB_10TensorBaseESF_lENKUlvE_clEvENKUlvE_clEvEUlddE_dEEDaPvRmT3_T4_T5_mT6_P12ihipStream_tbENKUlT_T0_E_clISt17integral_constantIbLb1EESV_IbLb0EEEEDaSR_SS_EUlSR_E0_NS1_11comp_targetILNS1_3genE9ELNS1_11target_archE1100ELNS1_3gpuE3ELNS1_3repE0EEENS1_30default_config_static_selectorELNS0_4arch9wavefront6targetE1EEEvT1_.kd
    .uniform_work_group_size: 1
    .uses_dynamic_stack: false
    .vgpr_count:     0
    .vgpr_spill_count: 0
    .wavefront_size: 64
  - .args:
      - .offset:         0
        .size:           40
        .value_kind:     by_value
    .group_segment_fixed_size: 0
    .kernarg_segment_align: 8
    .kernarg_segment_size: 40
    .language:       OpenCL C
    .language_version:
      - 2
      - 0
    .max_flat_workgroup_size: 128
    .name:           _ZN7rocprim17ROCPRIM_400000_NS6detail17trampoline_kernelINS0_14default_configENS1_20scan_config_selectorIdEEZZNS1_9scan_implILNS1_25lookback_scan_determinismE0ELb0ELb0ES3_PKdPddZZZN2at6native31launch_logcumsumexp_cuda_kernelERKNSB_10TensorBaseESF_lENKUlvE_clEvENKUlvE_clEvEUlddE_dEEDaPvRmT3_T4_T5_mT6_P12ihipStream_tbENKUlT_T0_E_clISt17integral_constantIbLb1EESV_IbLb0EEEEDaSR_SS_EUlSR_E0_NS1_11comp_targetILNS1_3genE8ELNS1_11target_archE1030ELNS1_3gpuE2ELNS1_3repE0EEENS1_30default_config_static_selectorELNS0_4arch9wavefront6targetE1EEEvT1_
    .private_segment_fixed_size: 0
    .sgpr_count:     4
    .sgpr_spill_count: 0
    .symbol:         _ZN7rocprim17ROCPRIM_400000_NS6detail17trampoline_kernelINS0_14default_configENS1_20scan_config_selectorIdEEZZNS1_9scan_implILNS1_25lookback_scan_determinismE0ELb0ELb0ES3_PKdPddZZZN2at6native31launch_logcumsumexp_cuda_kernelERKNSB_10TensorBaseESF_lENKUlvE_clEvENKUlvE_clEvEUlddE_dEEDaPvRmT3_T4_T5_mT6_P12ihipStream_tbENKUlT_T0_E_clISt17integral_constantIbLb1EESV_IbLb0EEEEDaSR_SS_EUlSR_E0_NS1_11comp_targetILNS1_3genE8ELNS1_11target_archE1030ELNS1_3gpuE2ELNS1_3repE0EEENS1_30default_config_static_selectorELNS0_4arch9wavefront6targetE1EEEvT1_.kd
    .uniform_work_group_size: 1
    .uses_dynamic_stack: false
    .vgpr_count:     0
    .vgpr_spill_count: 0
    .wavefront_size: 64
  - .args:
      - .address_space:  global
        .offset:         0
        .size:           8
        .value_kind:     global_buffer
      - .offset:         8
        .size:           4
        .value_kind:     by_value
      - .address_space:  global
        .offset:         16
        .size:           8
        .value_kind:     global_buffer
      - .offset:         24
        .size:           4
        .value_kind:     by_value
      - .address_space:  global
        .offset:         32
        .size:           8
        .value_kind:     global_buffer
      - .offset:         40
        .size:           4
        .value_kind:     hidden_block_count_x
      - .offset:         44
        .size:           4
        .value_kind:     hidden_block_count_y
      - .offset:         48
        .size:           4
        .value_kind:     hidden_block_count_z
      - .offset:         52
        .size:           2
        .value_kind:     hidden_group_size_x
      - .offset:         54
        .size:           2
        .value_kind:     hidden_group_size_y
      - .offset:         56
        .size:           2
        .value_kind:     hidden_group_size_z
      - .offset:         58
        .size:           2
        .value_kind:     hidden_remainder_x
      - .offset:         60
        .size:           2
        .value_kind:     hidden_remainder_y
      - .offset:         62
        .size:           2
        .value_kind:     hidden_remainder_z
      - .offset:         80
        .size:           8
        .value_kind:     hidden_global_offset_x
      - .offset:         88
        .size:           8
        .value_kind:     hidden_global_offset_y
      - .offset:         96
        .size:           8
        .value_kind:     hidden_global_offset_z
      - .offset:         104
        .size:           2
        .value_kind:     hidden_grid_dims
    .group_segment_fixed_size: 0
    .kernarg_segment_align: 8
    .kernarg_segment_size: 296
    .language:       OpenCL C
    .language_version:
      - 2
      - 0
    .max_flat_workgroup_size: 256
    .name:           _ZN7rocprim17ROCPRIM_400000_NS6detail31init_lookback_scan_state_kernelINS1_19lookback_scan_stateIdLb0ELb1EEENS1_16block_id_wrapperIjLb1EEEEEvT_jT0_jPNS7_10value_typeE
    .private_segment_fixed_size: 0
    .sgpr_count:     19
    .sgpr_spill_count: 0
    .symbol:         _ZN7rocprim17ROCPRIM_400000_NS6detail31init_lookback_scan_state_kernelINS1_19lookback_scan_stateIdLb0ELb1EEENS1_16block_id_wrapperIjLb1EEEEEvT_jT0_jPNS7_10value_typeE.kd
    .uniform_work_group_size: 1
    .uses_dynamic_stack: false
    .vgpr_count:     8
    .vgpr_spill_count: 0
    .wavefront_size: 64
  - .args:
      - .offset:         0
        .size:           104
        .value_kind:     by_value
    .group_segment_fixed_size: 0
    .kernarg_segment_align: 8
    .kernarg_segment_size: 104
    .language:       OpenCL C
    .language_version:
      - 2
      - 0
    .max_flat_workgroup_size: 256
    .name:           _ZN7rocprim17ROCPRIM_400000_NS6detail17trampoline_kernelINS0_14default_configENS1_20scan_config_selectorIdEEZZNS1_9scan_implILNS1_25lookback_scan_determinismE0ELb0ELb0ES3_PKdPddZZZN2at6native31launch_logcumsumexp_cuda_kernelERKNSB_10TensorBaseESF_lENKUlvE_clEvENKUlvE_clEvEUlddE_dEEDaPvRmT3_T4_T5_mT6_P12ihipStream_tbENKUlT_T0_E_clISt17integral_constantIbLb0EESV_IbLb1EEEEDaSR_SS_EUlSR_E_NS1_11comp_targetILNS1_3genE0ELNS1_11target_archE4294967295ELNS1_3gpuE0ELNS1_3repE0EEENS1_30default_config_static_selectorELNS0_4arch9wavefront6targetE1EEEvT1_
    .private_segment_fixed_size: 0
    .sgpr_count:     4
    .sgpr_spill_count: 0
    .symbol:         _ZN7rocprim17ROCPRIM_400000_NS6detail17trampoline_kernelINS0_14default_configENS1_20scan_config_selectorIdEEZZNS1_9scan_implILNS1_25lookback_scan_determinismE0ELb0ELb0ES3_PKdPddZZZN2at6native31launch_logcumsumexp_cuda_kernelERKNSB_10TensorBaseESF_lENKUlvE_clEvENKUlvE_clEvEUlddE_dEEDaPvRmT3_T4_T5_mT6_P12ihipStream_tbENKUlT_T0_E_clISt17integral_constantIbLb0EESV_IbLb1EEEEDaSR_SS_EUlSR_E_NS1_11comp_targetILNS1_3genE0ELNS1_11target_archE4294967295ELNS1_3gpuE0ELNS1_3repE0EEENS1_30default_config_static_selectorELNS0_4arch9wavefront6targetE1EEEvT1_.kd
    .uniform_work_group_size: 1
    .uses_dynamic_stack: false
    .vgpr_count:     0
    .vgpr_spill_count: 0
    .wavefront_size: 64
  - .args:
      - .offset:         0
        .size:           104
        .value_kind:     by_value
    .group_segment_fixed_size: 0
    .kernarg_segment_align: 8
    .kernarg_segment_size: 104
    .language:       OpenCL C
    .language_version:
      - 2
      - 0
    .max_flat_workgroup_size: 256
    .name:           _ZN7rocprim17ROCPRIM_400000_NS6detail17trampoline_kernelINS0_14default_configENS1_20scan_config_selectorIdEEZZNS1_9scan_implILNS1_25lookback_scan_determinismE0ELb0ELb0ES3_PKdPddZZZN2at6native31launch_logcumsumexp_cuda_kernelERKNSB_10TensorBaseESF_lENKUlvE_clEvENKUlvE_clEvEUlddE_dEEDaPvRmT3_T4_T5_mT6_P12ihipStream_tbENKUlT_T0_E_clISt17integral_constantIbLb0EESV_IbLb1EEEEDaSR_SS_EUlSR_E_NS1_11comp_targetILNS1_3genE5ELNS1_11target_archE942ELNS1_3gpuE9ELNS1_3repE0EEENS1_30default_config_static_selectorELNS0_4arch9wavefront6targetE1EEEvT1_
    .private_segment_fixed_size: 0
    .sgpr_count:     4
    .sgpr_spill_count: 0
    .symbol:         _ZN7rocprim17ROCPRIM_400000_NS6detail17trampoline_kernelINS0_14default_configENS1_20scan_config_selectorIdEEZZNS1_9scan_implILNS1_25lookback_scan_determinismE0ELb0ELb0ES3_PKdPddZZZN2at6native31launch_logcumsumexp_cuda_kernelERKNSB_10TensorBaseESF_lENKUlvE_clEvENKUlvE_clEvEUlddE_dEEDaPvRmT3_T4_T5_mT6_P12ihipStream_tbENKUlT_T0_E_clISt17integral_constantIbLb0EESV_IbLb1EEEEDaSR_SS_EUlSR_E_NS1_11comp_targetILNS1_3genE5ELNS1_11target_archE942ELNS1_3gpuE9ELNS1_3repE0EEENS1_30default_config_static_selectorELNS0_4arch9wavefront6targetE1EEEvT1_.kd
    .uniform_work_group_size: 1
    .uses_dynamic_stack: false
    .vgpr_count:     0
    .vgpr_spill_count: 0
    .wavefront_size: 64
  - .args:
      - .offset:         0
        .size:           104
        .value_kind:     by_value
    .group_segment_fixed_size: 0
    .kernarg_segment_align: 8
    .kernarg_segment_size: 104
    .language:       OpenCL C
    .language_version:
      - 2
      - 0
    .max_flat_workgroup_size: 128
    .name:           _ZN7rocprim17ROCPRIM_400000_NS6detail17trampoline_kernelINS0_14default_configENS1_20scan_config_selectorIdEEZZNS1_9scan_implILNS1_25lookback_scan_determinismE0ELb0ELb0ES3_PKdPddZZZN2at6native31launch_logcumsumexp_cuda_kernelERKNSB_10TensorBaseESF_lENKUlvE_clEvENKUlvE_clEvEUlddE_dEEDaPvRmT3_T4_T5_mT6_P12ihipStream_tbENKUlT_T0_E_clISt17integral_constantIbLb0EESV_IbLb1EEEEDaSR_SS_EUlSR_E_NS1_11comp_targetILNS1_3genE4ELNS1_11target_archE910ELNS1_3gpuE8ELNS1_3repE0EEENS1_30default_config_static_selectorELNS0_4arch9wavefront6targetE1EEEvT1_
    .private_segment_fixed_size: 0
    .sgpr_count:     4
    .sgpr_spill_count: 0
    .symbol:         _ZN7rocprim17ROCPRIM_400000_NS6detail17trampoline_kernelINS0_14default_configENS1_20scan_config_selectorIdEEZZNS1_9scan_implILNS1_25lookback_scan_determinismE0ELb0ELb0ES3_PKdPddZZZN2at6native31launch_logcumsumexp_cuda_kernelERKNSB_10TensorBaseESF_lENKUlvE_clEvENKUlvE_clEvEUlddE_dEEDaPvRmT3_T4_T5_mT6_P12ihipStream_tbENKUlT_T0_E_clISt17integral_constantIbLb0EESV_IbLb1EEEEDaSR_SS_EUlSR_E_NS1_11comp_targetILNS1_3genE4ELNS1_11target_archE910ELNS1_3gpuE8ELNS1_3repE0EEENS1_30default_config_static_selectorELNS0_4arch9wavefront6targetE1EEEvT1_.kd
    .uniform_work_group_size: 1
    .uses_dynamic_stack: false
    .vgpr_count:     0
    .vgpr_spill_count: 0
    .wavefront_size: 64
  - .args:
      - .offset:         0
        .size:           104
        .value_kind:     by_value
    .group_segment_fixed_size: 0
    .kernarg_segment_align: 8
    .kernarg_segment_size: 104
    .language:       OpenCL C
    .language_version:
      - 2
      - 0
    .max_flat_workgroup_size: 256
    .name:           _ZN7rocprim17ROCPRIM_400000_NS6detail17trampoline_kernelINS0_14default_configENS1_20scan_config_selectorIdEEZZNS1_9scan_implILNS1_25lookback_scan_determinismE0ELb0ELb0ES3_PKdPddZZZN2at6native31launch_logcumsumexp_cuda_kernelERKNSB_10TensorBaseESF_lENKUlvE_clEvENKUlvE_clEvEUlddE_dEEDaPvRmT3_T4_T5_mT6_P12ihipStream_tbENKUlT_T0_E_clISt17integral_constantIbLb0EESV_IbLb1EEEEDaSR_SS_EUlSR_E_NS1_11comp_targetILNS1_3genE3ELNS1_11target_archE908ELNS1_3gpuE7ELNS1_3repE0EEENS1_30default_config_static_selectorELNS0_4arch9wavefront6targetE1EEEvT1_
    .private_segment_fixed_size: 0
    .sgpr_count:     4
    .sgpr_spill_count: 0
    .symbol:         _ZN7rocprim17ROCPRIM_400000_NS6detail17trampoline_kernelINS0_14default_configENS1_20scan_config_selectorIdEEZZNS1_9scan_implILNS1_25lookback_scan_determinismE0ELb0ELb0ES3_PKdPddZZZN2at6native31launch_logcumsumexp_cuda_kernelERKNSB_10TensorBaseESF_lENKUlvE_clEvENKUlvE_clEvEUlddE_dEEDaPvRmT3_T4_T5_mT6_P12ihipStream_tbENKUlT_T0_E_clISt17integral_constantIbLb0EESV_IbLb1EEEEDaSR_SS_EUlSR_E_NS1_11comp_targetILNS1_3genE3ELNS1_11target_archE908ELNS1_3gpuE7ELNS1_3repE0EEENS1_30default_config_static_selectorELNS0_4arch9wavefront6targetE1EEEvT1_.kd
    .uniform_work_group_size: 1
    .uses_dynamic_stack: false
    .vgpr_count:     0
    .vgpr_spill_count: 0
    .wavefront_size: 64
  - .args:
      - .offset:         0
        .size:           104
        .value_kind:     by_value
    .group_segment_fixed_size: 10240
    .kernarg_segment_align: 8
    .kernarg_segment_size: 104
    .language:       OpenCL C
    .language_version:
      - 2
      - 0
    .max_flat_workgroup_size: 128
    .name:           _ZN7rocprim17ROCPRIM_400000_NS6detail17trampoline_kernelINS0_14default_configENS1_20scan_config_selectorIdEEZZNS1_9scan_implILNS1_25lookback_scan_determinismE0ELb0ELb0ES3_PKdPddZZZN2at6native31launch_logcumsumexp_cuda_kernelERKNSB_10TensorBaseESF_lENKUlvE_clEvENKUlvE_clEvEUlddE_dEEDaPvRmT3_T4_T5_mT6_P12ihipStream_tbENKUlT_T0_E_clISt17integral_constantIbLb0EESV_IbLb1EEEEDaSR_SS_EUlSR_E_NS1_11comp_targetILNS1_3genE2ELNS1_11target_archE906ELNS1_3gpuE6ELNS1_3repE0EEENS1_30default_config_static_selectorELNS0_4arch9wavefront6targetE1EEEvT1_
    .private_segment_fixed_size: 0
    .sgpr_count:     100
    .sgpr_spill_count: 10
    .symbol:         _ZN7rocprim17ROCPRIM_400000_NS6detail17trampoline_kernelINS0_14default_configENS1_20scan_config_selectorIdEEZZNS1_9scan_implILNS1_25lookback_scan_determinismE0ELb0ELb0ES3_PKdPddZZZN2at6native31launch_logcumsumexp_cuda_kernelERKNSB_10TensorBaseESF_lENKUlvE_clEvENKUlvE_clEvEUlddE_dEEDaPvRmT3_T4_T5_mT6_P12ihipStream_tbENKUlT_T0_E_clISt17integral_constantIbLb0EESV_IbLb1EEEEDaSR_SS_EUlSR_E_NS1_11comp_targetILNS1_3genE2ELNS1_11target_archE906ELNS1_3gpuE6ELNS1_3repE0EEENS1_30default_config_static_selectorELNS0_4arch9wavefront6targetE1EEEvT1_.kd
    .uniform_work_group_size: 1
    .uses_dynamic_stack: false
    .vgpr_count:     103
    .vgpr_spill_count: 0
    .wavefront_size: 64
  - .args:
      - .offset:         0
        .size:           104
        .value_kind:     by_value
    .group_segment_fixed_size: 0
    .kernarg_segment_align: 8
    .kernarg_segment_size: 104
    .language:       OpenCL C
    .language_version:
      - 2
      - 0
    .max_flat_workgroup_size: 256
    .name:           _ZN7rocprim17ROCPRIM_400000_NS6detail17trampoline_kernelINS0_14default_configENS1_20scan_config_selectorIdEEZZNS1_9scan_implILNS1_25lookback_scan_determinismE0ELb0ELb0ES3_PKdPddZZZN2at6native31launch_logcumsumexp_cuda_kernelERKNSB_10TensorBaseESF_lENKUlvE_clEvENKUlvE_clEvEUlddE_dEEDaPvRmT3_T4_T5_mT6_P12ihipStream_tbENKUlT_T0_E_clISt17integral_constantIbLb0EESV_IbLb1EEEEDaSR_SS_EUlSR_E_NS1_11comp_targetILNS1_3genE10ELNS1_11target_archE1201ELNS1_3gpuE5ELNS1_3repE0EEENS1_30default_config_static_selectorELNS0_4arch9wavefront6targetE1EEEvT1_
    .private_segment_fixed_size: 0
    .sgpr_count:     4
    .sgpr_spill_count: 0
    .symbol:         _ZN7rocprim17ROCPRIM_400000_NS6detail17trampoline_kernelINS0_14default_configENS1_20scan_config_selectorIdEEZZNS1_9scan_implILNS1_25lookback_scan_determinismE0ELb0ELb0ES3_PKdPddZZZN2at6native31launch_logcumsumexp_cuda_kernelERKNSB_10TensorBaseESF_lENKUlvE_clEvENKUlvE_clEvEUlddE_dEEDaPvRmT3_T4_T5_mT6_P12ihipStream_tbENKUlT_T0_E_clISt17integral_constantIbLb0EESV_IbLb1EEEEDaSR_SS_EUlSR_E_NS1_11comp_targetILNS1_3genE10ELNS1_11target_archE1201ELNS1_3gpuE5ELNS1_3repE0EEENS1_30default_config_static_selectorELNS0_4arch9wavefront6targetE1EEEvT1_.kd
    .uniform_work_group_size: 1
    .uses_dynamic_stack: false
    .vgpr_count:     0
    .vgpr_spill_count: 0
    .wavefront_size: 64
  - .args:
      - .offset:         0
        .size:           104
        .value_kind:     by_value
    .group_segment_fixed_size: 0
    .kernarg_segment_align: 8
    .kernarg_segment_size: 104
    .language:       OpenCL C
    .language_version:
      - 2
      - 0
    .max_flat_workgroup_size: 256
    .name:           _ZN7rocprim17ROCPRIM_400000_NS6detail17trampoline_kernelINS0_14default_configENS1_20scan_config_selectorIdEEZZNS1_9scan_implILNS1_25lookback_scan_determinismE0ELb0ELb0ES3_PKdPddZZZN2at6native31launch_logcumsumexp_cuda_kernelERKNSB_10TensorBaseESF_lENKUlvE_clEvENKUlvE_clEvEUlddE_dEEDaPvRmT3_T4_T5_mT6_P12ihipStream_tbENKUlT_T0_E_clISt17integral_constantIbLb0EESV_IbLb1EEEEDaSR_SS_EUlSR_E_NS1_11comp_targetILNS1_3genE10ELNS1_11target_archE1200ELNS1_3gpuE4ELNS1_3repE0EEENS1_30default_config_static_selectorELNS0_4arch9wavefront6targetE1EEEvT1_
    .private_segment_fixed_size: 0
    .sgpr_count:     4
    .sgpr_spill_count: 0
    .symbol:         _ZN7rocprim17ROCPRIM_400000_NS6detail17trampoline_kernelINS0_14default_configENS1_20scan_config_selectorIdEEZZNS1_9scan_implILNS1_25lookback_scan_determinismE0ELb0ELb0ES3_PKdPddZZZN2at6native31launch_logcumsumexp_cuda_kernelERKNSB_10TensorBaseESF_lENKUlvE_clEvENKUlvE_clEvEUlddE_dEEDaPvRmT3_T4_T5_mT6_P12ihipStream_tbENKUlT_T0_E_clISt17integral_constantIbLb0EESV_IbLb1EEEEDaSR_SS_EUlSR_E_NS1_11comp_targetILNS1_3genE10ELNS1_11target_archE1200ELNS1_3gpuE4ELNS1_3repE0EEENS1_30default_config_static_selectorELNS0_4arch9wavefront6targetE1EEEvT1_.kd
    .uniform_work_group_size: 1
    .uses_dynamic_stack: false
    .vgpr_count:     0
    .vgpr_spill_count: 0
    .wavefront_size: 64
  - .args:
      - .offset:         0
        .size:           104
        .value_kind:     by_value
    .group_segment_fixed_size: 0
    .kernarg_segment_align: 8
    .kernarg_segment_size: 104
    .language:       OpenCL C
    .language_version:
      - 2
      - 0
    .max_flat_workgroup_size: 256
    .name:           _ZN7rocprim17ROCPRIM_400000_NS6detail17trampoline_kernelINS0_14default_configENS1_20scan_config_selectorIdEEZZNS1_9scan_implILNS1_25lookback_scan_determinismE0ELb0ELb0ES3_PKdPddZZZN2at6native31launch_logcumsumexp_cuda_kernelERKNSB_10TensorBaseESF_lENKUlvE_clEvENKUlvE_clEvEUlddE_dEEDaPvRmT3_T4_T5_mT6_P12ihipStream_tbENKUlT_T0_E_clISt17integral_constantIbLb0EESV_IbLb1EEEEDaSR_SS_EUlSR_E_NS1_11comp_targetILNS1_3genE9ELNS1_11target_archE1100ELNS1_3gpuE3ELNS1_3repE0EEENS1_30default_config_static_selectorELNS0_4arch9wavefront6targetE1EEEvT1_
    .private_segment_fixed_size: 0
    .sgpr_count:     4
    .sgpr_spill_count: 0
    .symbol:         _ZN7rocprim17ROCPRIM_400000_NS6detail17trampoline_kernelINS0_14default_configENS1_20scan_config_selectorIdEEZZNS1_9scan_implILNS1_25lookback_scan_determinismE0ELb0ELb0ES3_PKdPddZZZN2at6native31launch_logcumsumexp_cuda_kernelERKNSB_10TensorBaseESF_lENKUlvE_clEvENKUlvE_clEvEUlddE_dEEDaPvRmT3_T4_T5_mT6_P12ihipStream_tbENKUlT_T0_E_clISt17integral_constantIbLb0EESV_IbLb1EEEEDaSR_SS_EUlSR_E_NS1_11comp_targetILNS1_3genE9ELNS1_11target_archE1100ELNS1_3gpuE3ELNS1_3repE0EEENS1_30default_config_static_selectorELNS0_4arch9wavefront6targetE1EEEvT1_.kd
    .uniform_work_group_size: 1
    .uses_dynamic_stack: false
    .vgpr_count:     0
    .vgpr_spill_count: 0
    .wavefront_size: 64
  - .args:
      - .offset:         0
        .size:           104
        .value_kind:     by_value
    .group_segment_fixed_size: 0
    .kernarg_segment_align: 8
    .kernarg_segment_size: 104
    .language:       OpenCL C
    .language_version:
      - 2
      - 0
    .max_flat_workgroup_size: 128
    .name:           _ZN7rocprim17ROCPRIM_400000_NS6detail17trampoline_kernelINS0_14default_configENS1_20scan_config_selectorIdEEZZNS1_9scan_implILNS1_25lookback_scan_determinismE0ELb0ELb0ES3_PKdPddZZZN2at6native31launch_logcumsumexp_cuda_kernelERKNSB_10TensorBaseESF_lENKUlvE_clEvENKUlvE_clEvEUlddE_dEEDaPvRmT3_T4_T5_mT6_P12ihipStream_tbENKUlT_T0_E_clISt17integral_constantIbLb0EESV_IbLb1EEEEDaSR_SS_EUlSR_E_NS1_11comp_targetILNS1_3genE8ELNS1_11target_archE1030ELNS1_3gpuE2ELNS1_3repE0EEENS1_30default_config_static_selectorELNS0_4arch9wavefront6targetE1EEEvT1_
    .private_segment_fixed_size: 0
    .sgpr_count:     4
    .sgpr_spill_count: 0
    .symbol:         _ZN7rocprim17ROCPRIM_400000_NS6detail17trampoline_kernelINS0_14default_configENS1_20scan_config_selectorIdEEZZNS1_9scan_implILNS1_25lookback_scan_determinismE0ELb0ELb0ES3_PKdPddZZZN2at6native31launch_logcumsumexp_cuda_kernelERKNSB_10TensorBaseESF_lENKUlvE_clEvENKUlvE_clEvEUlddE_dEEDaPvRmT3_T4_T5_mT6_P12ihipStream_tbENKUlT_T0_E_clISt17integral_constantIbLb0EESV_IbLb1EEEEDaSR_SS_EUlSR_E_NS1_11comp_targetILNS1_3genE8ELNS1_11target_archE1030ELNS1_3gpuE2ELNS1_3repE0EEENS1_30default_config_static_selectorELNS0_4arch9wavefront6targetE1EEEvT1_.kd
    .uniform_work_group_size: 1
    .uses_dynamic_stack: false
    .vgpr_count:     0
    .vgpr_spill_count: 0
    .wavefront_size: 64
  - .args:
      - .offset:         0
        .size:           40
        .value_kind:     by_value
    .group_segment_fixed_size: 0
    .kernarg_segment_align: 8
    .kernarg_segment_size: 40
    .language:       OpenCL C
    .language_version:
      - 2
      - 0
    .max_flat_workgroup_size: 256
    .name:           _ZN7rocprim17ROCPRIM_400000_NS6detail17trampoline_kernelINS0_14default_configENS1_20scan_config_selectorIdEEZZNS1_9scan_implILNS1_25lookback_scan_determinismE0ELb0ELb0ES3_PKdPddZZZN2at6native31launch_logcumsumexp_cuda_kernelERKNSB_10TensorBaseESF_lENKUlvE_clEvENKUlvE_clEvEUlddE_dEEDaPvRmT3_T4_T5_mT6_P12ihipStream_tbENKUlT_T0_E_clISt17integral_constantIbLb0EESV_IbLb1EEEEDaSR_SS_EUlSR_E0_NS1_11comp_targetILNS1_3genE0ELNS1_11target_archE4294967295ELNS1_3gpuE0ELNS1_3repE0EEENS1_30default_config_static_selectorELNS0_4arch9wavefront6targetE1EEEvT1_
    .private_segment_fixed_size: 0
    .sgpr_count:     4
    .sgpr_spill_count: 0
    .symbol:         _ZN7rocprim17ROCPRIM_400000_NS6detail17trampoline_kernelINS0_14default_configENS1_20scan_config_selectorIdEEZZNS1_9scan_implILNS1_25lookback_scan_determinismE0ELb0ELb0ES3_PKdPddZZZN2at6native31launch_logcumsumexp_cuda_kernelERKNSB_10TensorBaseESF_lENKUlvE_clEvENKUlvE_clEvEUlddE_dEEDaPvRmT3_T4_T5_mT6_P12ihipStream_tbENKUlT_T0_E_clISt17integral_constantIbLb0EESV_IbLb1EEEEDaSR_SS_EUlSR_E0_NS1_11comp_targetILNS1_3genE0ELNS1_11target_archE4294967295ELNS1_3gpuE0ELNS1_3repE0EEENS1_30default_config_static_selectorELNS0_4arch9wavefront6targetE1EEEvT1_.kd
    .uniform_work_group_size: 1
    .uses_dynamic_stack: false
    .vgpr_count:     0
    .vgpr_spill_count: 0
    .wavefront_size: 64
  - .args:
      - .offset:         0
        .size:           40
        .value_kind:     by_value
    .group_segment_fixed_size: 0
    .kernarg_segment_align: 8
    .kernarg_segment_size: 40
    .language:       OpenCL C
    .language_version:
      - 2
      - 0
    .max_flat_workgroup_size: 256
    .name:           _ZN7rocprim17ROCPRIM_400000_NS6detail17trampoline_kernelINS0_14default_configENS1_20scan_config_selectorIdEEZZNS1_9scan_implILNS1_25lookback_scan_determinismE0ELb0ELb0ES3_PKdPddZZZN2at6native31launch_logcumsumexp_cuda_kernelERKNSB_10TensorBaseESF_lENKUlvE_clEvENKUlvE_clEvEUlddE_dEEDaPvRmT3_T4_T5_mT6_P12ihipStream_tbENKUlT_T0_E_clISt17integral_constantIbLb0EESV_IbLb1EEEEDaSR_SS_EUlSR_E0_NS1_11comp_targetILNS1_3genE5ELNS1_11target_archE942ELNS1_3gpuE9ELNS1_3repE0EEENS1_30default_config_static_selectorELNS0_4arch9wavefront6targetE1EEEvT1_
    .private_segment_fixed_size: 0
    .sgpr_count:     4
    .sgpr_spill_count: 0
    .symbol:         _ZN7rocprim17ROCPRIM_400000_NS6detail17trampoline_kernelINS0_14default_configENS1_20scan_config_selectorIdEEZZNS1_9scan_implILNS1_25lookback_scan_determinismE0ELb0ELb0ES3_PKdPddZZZN2at6native31launch_logcumsumexp_cuda_kernelERKNSB_10TensorBaseESF_lENKUlvE_clEvENKUlvE_clEvEUlddE_dEEDaPvRmT3_T4_T5_mT6_P12ihipStream_tbENKUlT_T0_E_clISt17integral_constantIbLb0EESV_IbLb1EEEEDaSR_SS_EUlSR_E0_NS1_11comp_targetILNS1_3genE5ELNS1_11target_archE942ELNS1_3gpuE9ELNS1_3repE0EEENS1_30default_config_static_selectorELNS0_4arch9wavefront6targetE1EEEvT1_.kd
    .uniform_work_group_size: 1
    .uses_dynamic_stack: false
    .vgpr_count:     0
    .vgpr_spill_count: 0
    .wavefront_size: 64
  - .args:
      - .offset:         0
        .size:           40
        .value_kind:     by_value
    .group_segment_fixed_size: 0
    .kernarg_segment_align: 8
    .kernarg_segment_size: 40
    .language:       OpenCL C
    .language_version:
      - 2
      - 0
    .max_flat_workgroup_size: 128
    .name:           _ZN7rocprim17ROCPRIM_400000_NS6detail17trampoline_kernelINS0_14default_configENS1_20scan_config_selectorIdEEZZNS1_9scan_implILNS1_25lookback_scan_determinismE0ELb0ELb0ES3_PKdPddZZZN2at6native31launch_logcumsumexp_cuda_kernelERKNSB_10TensorBaseESF_lENKUlvE_clEvENKUlvE_clEvEUlddE_dEEDaPvRmT3_T4_T5_mT6_P12ihipStream_tbENKUlT_T0_E_clISt17integral_constantIbLb0EESV_IbLb1EEEEDaSR_SS_EUlSR_E0_NS1_11comp_targetILNS1_3genE4ELNS1_11target_archE910ELNS1_3gpuE8ELNS1_3repE0EEENS1_30default_config_static_selectorELNS0_4arch9wavefront6targetE1EEEvT1_
    .private_segment_fixed_size: 0
    .sgpr_count:     4
    .sgpr_spill_count: 0
    .symbol:         _ZN7rocprim17ROCPRIM_400000_NS6detail17trampoline_kernelINS0_14default_configENS1_20scan_config_selectorIdEEZZNS1_9scan_implILNS1_25lookback_scan_determinismE0ELb0ELb0ES3_PKdPddZZZN2at6native31launch_logcumsumexp_cuda_kernelERKNSB_10TensorBaseESF_lENKUlvE_clEvENKUlvE_clEvEUlddE_dEEDaPvRmT3_T4_T5_mT6_P12ihipStream_tbENKUlT_T0_E_clISt17integral_constantIbLb0EESV_IbLb1EEEEDaSR_SS_EUlSR_E0_NS1_11comp_targetILNS1_3genE4ELNS1_11target_archE910ELNS1_3gpuE8ELNS1_3repE0EEENS1_30default_config_static_selectorELNS0_4arch9wavefront6targetE1EEEvT1_.kd
    .uniform_work_group_size: 1
    .uses_dynamic_stack: false
    .vgpr_count:     0
    .vgpr_spill_count: 0
    .wavefront_size: 64
  - .args:
      - .offset:         0
        .size:           40
        .value_kind:     by_value
    .group_segment_fixed_size: 0
    .kernarg_segment_align: 8
    .kernarg_segment_size: 40
    .language:       OpenCL C
    .language_version:
      - 2
      - 0
    .max_flat_workgroup_size: 256
    .name:           _ZN7rocprim17ROCPRIM_400000_NS6detail17trampoline_kernelINS0_14default_configENS1_20scan_config_selectorIdEEZZNS1_9scan_implILNS1_25lookback_scan_determinismE0ELb0ELb0ES3_PKdPddZZZN2at6native31launch_logcumsumexp_cuda_kernelERKNSB_10TensorBaseESF_lENKUlvE_clEvENKUlvE_clEvEUlddE_dEEDaPvRmT3_T4_T5_mT6_P12ihipStream_tbENKUlT_T0_E_clISt17integral_constantIbLb0EESV_IbLb1EEEEDaSR_SS_EUlSR_E0_NS1_11comp_targetILNS1_3genE3ELNS1_11target_archE908ELNS1_3gpuE7ELNS1_3repE0EEENS1_30default_config_static_selectorELNS0_4arch9wavefront6targetE1EEEvT1_
    .private_segment_fixed_size: 0
    .sgpr_count:     4
    .sgpr_spill_count: 0
    .symbol:         _ZN7rocprim17ROCPRIM_400000_NS6detail17trampoline_kernelINS0_14default_configENS1_20scan_config_selectorIdEEZZNS1_9scan_implILNS1_25lookback_scan_determinismE0ELb0ELb0ES3_PKdPddZZZN2at6native31launch_logcumsumexp_cuda_kernelERKNSB_10TensorBaseESF_lENKUlvE_clEvENKUlvE_clEvEUlddE_dEEDaPvRmT3_T4_T5_mT6_P12ihipStream_tbENKUlT_T0_E_clISt17integral_constantIbLb0EESV_IbLb1EEEEDaSR_SS_EUlSR_E0_NS1_11comp_targetILNS1_3genE3ELNS1_11target_archE908ELNS1_3gpuE7ELNS1_3repE0EEENS1_30default_config_static_selectorELNS0_4arch9wavefront6targetE1EEEvT1_.kd
    .uniform_work_group_size: 1
    .uses_dynamic_stack: false
    .vgpr_count:     0
    .vgpr_spill_count: 0
    .wavefront_size: 64
  - .args:
      - .offset:         0
        .size:           40
        .value_kind:     by_value
    .group_segment_fixed_size: 10240
    .kernarg_segment_align: 8
    .kernarg_segment_size: 40
    .language:       OpenCL C
    .language_version:
      - 2
      - 0
    .max_flat_workgroup_size: 128
    .name:           _ZN7rocprim17ROCPRIM_400000_NS6detail17trampoline_kernelINS0_14default_configENS1_20scan_config_selectorIdEEZZNS1_9scan_implILNS1_25lookback_scan_determinismE0ELb0ELb0ES3_PKdPddZZZN2at6native31launch_logcumsumexp_cuda_kernelERKNSB_10TensorBaseESF_lENKUlvE_clEvENKUlvE_clEvEUlddE_dEEDaPvRmT3_T4_T5_mT6_P12ihipStream_tbENKUlT_T0_E_clISt17integral_constantIbLb0EESV_IbLb1EEEEDaSR_SS_EUlSR_E0_NS1_11comp_targetILNS1_3genE2ELNS1_11target_archE906ELNS1_3gpuE6ELNS1_3repE0EEENS1_30default_config_static_selectorELNS0_4arch9wavefront6targetE1EEEvT1_
    .private_segment_fixed_size: 0
    .sgpr_count:     62
    .sgpr_spill_count: 0
    .symbol:         _ZN7rocprim17ROCPRIM_400000_NS6detail17trampoline_kernelINS0_14default_configENS1_20scan_config_selectorIdEEZZNS1_9scan_implILNS1_25lookback_scan_determinismE0ELb0ELb0ES3_PKdPddZZZN2at6native31launch_logcumsumexp_cuda_kernelERKNSB_10TensorBaseESF_lENKUlvE_clEvENKUlvE_clEvEUlddE_dEEDaPvRmT3_T4_T5_mT6_P12ihipStream_tbENKUlT_T0_E_clISt17integral_constantIbLb0EESV_IbLb1EEEEDaSR_SS_EUlSR_E0_NS1_11comp_targetILNS1_3genE2ELNS1_11target_archE906ELNS1_3gpuE6ELNS1_3repE0EEENS1_30default_config_static_selectorELNS0_4arch9wavefront6targetE1EEEvT1_.kd
    .uniform_work_group_size: 1
    .uses_dynamic_stack: false
    .vgpr_count:     82
    .vgpr_spill_count: 0
    .wavefront_size: 64
  - .args:
      - .offset:         0
        .size:           40
        .value_kind:     by_value
    .group_segment_fixed_size: 0
    .kernarg_segment_align: 8
    .kernarg_segment_size: 40
    .language:       OpenCL C
    .language_version:
      - 2
      - 0
    .max_flat_workgroup_size: 256
    .name:           _ZN7rocprim17ROCPRIM_400000_NS6detail17trampoline_kernelINS0_14default_configENS1_20scan_config_selectorIdEEZZNS1_9scan_implILNS1_25lookback_scan_determinismE0ELb0ELb0ES3_PKdPddZZZN2at6native31launch_logcumsumexp_cuda_kernelERKNSB_10TensorBaseESF_lENKUlvE_clEvENKUlvE_clEvEUlddE_dEEDaPvRmT3_T4_T5_mT6_P12ihipStream_tbENKUlT_T0_E_clISt17integral_constantIbLb0EESV_IbLb1EEEEDaSR_SS_EUlSR_E0_NS1_11comp_targetILNS1_3genE10ELNS1_11target_archE1201ELNS1_3gpuE5ELNS1_3repE0EEENS1_30default_config_static_selectorELNS0_4arch9wavefront6targetE1EEEvT1_
    .private_segment_fixed_size: 0
    .sgpr_count:     4
    .sgpr_spill_count: 0
    .symbol:         _ZN7rocprim17ROCPRIM_400000_NS6detail17trampoline_kernelINS0_14default_configENS1_20scan_config_selectorIdEEZZNS1_9scan_implILNS1_25lookback_scan_determinismE0ELb0ELb0ES3_PKdPddZZZN2at6native31launch_logcumsumexp_cuda_kernelERKNSB_10TensorBaseESF_lENKUlvE_clEvENKUlvE_clEvEUlddE_dEEDaPvRmT3_T4_T5_mT6_P12ihipStream_tbENKUlT_T0_E_clISt17integral_constantIbLb0EESV_IbLb1EEEEDaSR_SS_EUlSR_E0_NS1_11comp_targetILNS1_3genE10ELNS1_11target_archE1201ELNS1_3gpuE5ELNS1_3repE0EEENS1_30default_config_static_selectorELNS0_4arch9wavefront6targetE1EEEvT1_.kd
    .uniform_work_group_size: 1
    .uses_dynamic_stack: false
    .vgpr_count:     0
    .vgpr_spill_count: 0
    .wavefront_size: 64
  - .args:
      - .offset:         0
        .size:           40
        .value_kind:     by_value
    .group_segment_fixed_size: 0
    .kernarg_segment_align: 8
    .kernarg_segment_size: 40
    .language:       OpenCL C
    .language_version:
      - 2
      - 0
    .max_flat_workgroup_size: 256
    .name:           _ZN7rocprim17ROCPRIM_400000_NS6detail17trampoline_kernelINS0_14default_configENS1_20scan_config_selectorIdEEZZNS1_9scan_implILNS1_25lookback_scan_determinismE0ELb0ELb0ES3_PKdPddZZZN2at6native31launch_logcumsumexp_cuda_kernelERKNSB_10TensorBaseESF_lENKUlvE_clEvENKUlvE_clEvEUlddE_dEEDaPvRmT3_T4_T5_mT6_P12ihipStream_tbENKUlT_T0_E_clISt17integral_constantIbLb0EESV_IbLb1EEEEDaSR_SS_EUlSR_E0_NS1_11comp_targetILNS1_3genE10ELNS1_11target_archE1200ELNS1_3gpuE4ELNS1_3repE0EEENS1_30default_config_static_selectorELNS0_4arch9wavefront6targetE1EEEvT1_
    .private_segment_fixed_size: 0
    .sgpr_count:     4
    .sgpr_spill_count: 0
    .symbol:         _ZN7rocprim17ROCPRIM_400000_NS6detail17trampoline_kernelINS0_14default_configENS1_20scan_config_selectorIdEEZZNS1_9scan_implILNS1_25lookback_scan_determinismE0ELb0ELb0ES3_PKdPddZZZN2at6native31launch_logcumsumexp_cuda_kernelERKNSB_10TensorBaseESF_lENKUlvE_clEvENKUlvE_clEvEUlddE_dEEDaPvRmT3_T4_T5_mT6_P12ihipStream_tbENKUlT_T0_E_clISt17integral_constantIbLb0EESV_IbLb1EEEEDaSR_SS_EUlSR_E0_NS1_11comp_targetILNS1_3genE10ELNS1_11target_archE1200ELNS1_3gpuE4ELNS1_3repE0EEENS1_30default_config_static_selectorELNS0_4arch9wavefront6targetE1EEEvT1_.kd
    .uniform_work_group_size: 1
    .uses_dynamic_stack: false
    .vgpr_count:     0
    .vgpr_spill_count: 0
    .wavefront_size: 64
  - .args:
      - .offset:         0
        .size:           40
        .value_kind:     by_value
    .group_segment_fixed_size: 0
    .kernarg_segment_align: 8
    .kernarg_segment_size: 40
    .language:       OpenCL C
    .language_version:
      - 2
      - 0
    .max_flat_workgroup_size: 256
    .name:           _ZN7rocprim17ROCPRIM_400000_NS6detail17trampoline_kernelINS0_14default_configENS1_20scan_config_selectorIdEEZZNS1_9scan_implILNS1_25lookback_scan_determinismE0ELb0ELb0ES3_PKdPddZZZN2at6native31launch_logcumsumexp_cuda_kernelERKNSB_10TensorBaseESF_lENKUlvE_clEvENKUlvE_clEvEUlddE_dEEDaPvRmT3_T4_T5_mT6_P12ihipStream_tbENKUlT_T0_E_clISt17integral_constantIbLb0EESV_IbLb1EEEEDaSR_SS_EUlSR_E0_NS1_11comp_targetILNS1_3genE9ELNS1_11target_archE1100ELNS1_3gpuE3ELNS1_3repE0EEENS1_30default_config_static_selectorELNS0_4arch9wavefront6targetE1EEEvT1_
    .private_segment_fixed_size: 0
    .sgpr_count:     4
    .sgpr_spill_count: 0
    .symbol:         _ZN7rocprim17ROCPRIM_400000_NS6detail17trampoline_kernelINS0_14default_configENS1_20scan_config_selectorIdEEZZNS1_9scan_implILNS1_25lookback_scan_determinismE0ELb0ELb0ES3_PKdPddZZZN2at6native31launch_logcumsumexp_cuda_kernelERKNSB_10TensorBaseESF_lENKUlvE_clEvENKUlvE_clEvEUlddE_dEEDaPvRmT3_T4_T5_mT6_P12ihipStream_tbENKUlT_T0_E_clISt17integral_constantIbLb0EESV_IbLb1EEEEDaSR_SS_EUlSR_E0_NS1_11comp_targetILNS1_3genE9ELNS1_11target_archE1100ELNS1_3gpuE3ELNS1_3repE0EEENS1_30default_config_static_selectorELNS0_4arch9wavefront6targetE1EEEvT1_.kd
    .uniform_work_group_size: 1
    .uses_dynamic_stack: false
    .vgpr_count:     0
    .vgpr_spill_count: 0
    .wavefront_size: 64
  - .args:
      - .offset:         0
        .size:           40
        .value_kind:     by_value
    .group_segment_fixed_size: 0
    .kernarg_segment_align: 8
    .kernarg_segment_size: 40
    .language:       OpenCL C
    .language_version:
      - 2
      - 0
    .max_flat_workgroup_size: 128
    .name:           _ZN7rocprim17ROCPRIM_400000_NS6detail17trampoline_kernelINS0_14default_configENS1_20scan_config_selectorIdEEZZNS1_9scan_implILNS1_25lookback_scan_determinismE0ELb0ELb0ES3_PKdPddZZZN2at6native31launch_logcumsumexp_cuda_kernelERKNSB_10TensorBaseESF_lENKUlvE_clEvENKUlvE_clEvEUlddE_dEEDaPvRmT3_T4_T5_mT6_P12ihipStream_tbENKUlT_T0_E_clISt17integral_constantIbLb0EESV_IbLb1EEEEDaSR_SS_EUlSR_E0_NS1_11comp_targetILNS1_3genE8ELNS1_11target_archE1030ELNS1_3gpuE2ELNS1_3repE0EEENS1_30default_config_static_selectorELNS0_4arch9wavefront6targetE1EEEvT1_
    .private_segment_fixed_size: 0
    .sgpr_count:     4
    .sgpr_spill_count: 0
    .symbol:         _ZN7rocprim17ROCPRIM_400000_NS6detail17trampoline_kernelINS0_14default_configENS1_20scan_config_selectorIdEEZZNS1_9scan_implILNS1_25lookback_scan_determinismE0ELb0ELb0ES3_PKdPddZZZN2at6native31launch_logcumsumexp_cuda_kernelERKNSB_10TensorBaseESF_lENKUlvE_clEvENKUlvE_clEvEUlddE_dEEDaPvRmT3_T4_T5_mT6_P12ihipStream_tbENKUlT_T0_E_clISt17integral_constantIbLb0EESV_IbLb1EEEEDaSR_SS_EUlSR_E0_NS1_11comp_targetILNS1_3genE8ELNS1_11target_archE1030ELNS1_3gpuE2ELNS1_3repE0EEENS1_30default_config_static_selectorELNS0_4arch9wavefront6targetE1EEEvT1_.kd
    .uniform_work_group_size: 1
    .uses_dynamic_stack: false
    .vgpr_count:     0
    .vgpr_spill_count: 0
    .wavefront_size: 64
  - .args:
      - .address_space:  global
        .offset:         0
        .size:           8
        .value_kind:     global_buffer
      - .address_space:  global
        .offset:         8
        .size:           8
        .value_kind:     global_buffer
      - .offset:         16
        .size:           4
        .value_kind:     by_value
      - .offset:         20
        .size:           4
        .value_kind:     by_value
      - .offset:         24
        .size:           4
        .value_kind:     by_value
      - .offset:         32
        .size:           8
        .value_kind:     by_value
      - .offset:         40
        .size:           1
        .value_kind:     by_value
      - .offset:         48
        .size:           4
        .value_kind:     hidden_block_count_x
      - .offset:         52
        .size:           4
        .value_kind:     hidden_block_count_y
      - .offset:         56
        .size:           4
        .value_kind:     hidden_block_count_z
      - .offset:         60
        .size:           2
        .value_kind:     hidden_group_size_x
      - .offset:         62
        .size:           2
        .value_kind:     hidden_group_size_y
      - .offset:         64
        .size:           2
        .value_kind:     hidden_group_size_z
      - .offset:         66
        .size:           2
        .value_kind:     hidden_remainder_x
      - .offset:         68
        .size:           2
        .value_kind:     hidden_remainder_y
      - .offset:         70
        .size:           2
        .value_kind:     hidden_remainder_z
      - .offset:         88
        .size:           8
        .value_kind:     hidden_global_offset_x
      - .offset:         96
        .size:           8
        .value_kind:     hidden_global_offset_y
      - .offset:         104
        .size:           8
        .value_kind:     hidden_global_offset_z
      - .offset:         112
        .size:           2
        .value_kind:     hidden_grid_dims
      - .offset:         168
        .size:           4
        .value_kind:     hidden_dynamic_lds_size
    .group_segment_fixed_size: 0
    .kernarg_segment_align: 8
    .kernarg_segment_size: 304
    .language:       OpenCL C
    .language_version:
      - 2
      - 0
    .max_flat_workgroup_size: 1024
    .name:           _ZN2at6native32tensor_kernel_scan_innermost_dimIdZZZNS0_31launch_logcumsumexp_cuda_kernelERKNS_10TensorBaseES4_lENKUlvE_clEvENKUlvE_clEvEUlddE_EEvPT_PKS8_jjjS8_T0_
    .private_segment_fixed_size: 0
    .sgpr_count:     92
    .sgpr_spill_count: 0
    .symbol:         _ZN2at6native32tensor_kernel_scan_innermost_dimIdZZZNS0_31launch_logcumsumexp_cuda_kernelERKNS_10TensorBaseES4_lENKUlvE_clEvENKUlvE_clEvEUlddE_EEvPT_PKS8_jjjS8_T0_.kd
    .uniform_work_group_size: 1
    .uses_dynamic_stack: false
    .vgpr_count:     51
    .vgpr_spill_count: 0
    .wavefront_size: 64
  - .args:
      - .address_space:  global
        .offset:         0
        .size:           8
        .value_kind:     global_buffer
      - .address_space:  global
        .offset:         8
        .size:           8
        .value_kind:     global_buffer
      - .offset:         16
        .size:           4
        .value_kind:     by_value
      - .offset:         20
        .size:           4
        .value_kind:     by_value
      - .offset:         24
        .size:           4
        .value_kind:     by_value
      - .offset:         32
        .size:           8
        .value_kind:     by_value
      - .offset:         40
        .size:           1
        .value_kind:     by_value
      - .offset:         48
        .size:           4
        .value_kind:     hidden_block_count_x
      - .offset:         52
        .size:           4
        .value_kind:     hidden_block_count_y
      - .offset:         56
        .size:           4
        .value_kind:     hidden_block_count_z
      - .offset:         60
        .size:           2
        .value_kind:     hidden_group_size_x
      - .offset:         62
        .size:           2
        .value_kind:     hidden_group_size_y
      - .offset:         64
        .size:           2
        .value_kind:     hidden_group_size_z
      - .offset:         66
        .size:           2
        .value_kind:     hidden_remainder_x
      - .offset:         68
        .size:           2
        .value_kind:     hidden_remainder_y
      - .offset:         70
        .size:           2
        .value_kind:     hidden_remainder_z
      - .offset:         88
        .size:           8
        .value_kind:     hidden_global_offset_x
      - .offset:         96
        .size:           8
        .value_kind:     hidden_global_offset_y
      - .offset:         104
        .size:           8
        .value_kind:     hidden_global_offset_z
      - .offset:         112
        .size:           2
        .value_kind:     hidden_grid_dims
    .group_segment_fixed_size: 0
    .kernarg_segment_align: 8
    .kernarg_segment_size: 304
    .language:       OpenCL C
    .language_version:
      - 2
      - 0
    .max_flat_workgroup_size: 1024
    .name:           _ZN2at6native28tensor_kernel_scan_outer_dimIdjZZZNS0_31launch_logcumsumexp_cuda_kernelERKNS_10TensorBaseES4_lENKUlvE_clEvENKUlvE_clEvEUlddE_EEvPT_PKS8_jjjS8_T1_
    .private_segment_fixed_size: 0
    .sgpr_count:     93
    .sgpr_spill_count: 0
    .symbol:         _ZN2at6native28tensor_kernel_scan_outer_dimIdjZZZNS0_31launch_logcumsumexp_cuda_kernelERKNS_10TensorBaseES4_lENKUlvE_clEvENKUlvE_clEvEUlddE_EEvPT_PKS8_jjjS8_T1_.kd
    .uniform_work_group_size: 1
    .uses_dynamic_stack: false
    .vgpr_count:     38
    .vgpr_spill_count: 0
    .wavefront_size: 64
  - .args:
      - .address_space:  global
        .offset:         0
        .size:           8
        .value_kind:     global_buffer
      - .address_space:  global
        .offset:         8
        .size:           8
        .value_kind:     global_buffer
      - .offset:         16
        .size:           4
        .value_kind:     by_value
      - .offset:         20
        .size:           4
        .value_kind:     by_value
      - .offset:         24
        .size:           4
        .value_kind:     by_value
      - .offset:         32
        .size:           8
        .value_kind:     by_value
      - .offset:         40
        .size:           1
        .value_kind:     by_value
      - .offset:         48
        .size:           4
        .value_kind:     hidden_block_count_x
      - .offset:         52
        .size:           4
        .value_kind:     hidden_block_count_y
      - .offset:         56
        .size:           4
        .value_kind:     hidden_block_count_z
      - .offset:         60
        .size:           2
        .value_kind:     hidden_group_size_x
      - .offset:         62
        .size:           2
        .value_kind:     hidden_group_size_y
      - .offset:         64
        .size:           2
        .value_kind:     hidden_group_size_z
      - .offset:         66
        .size:           2
        .value_kind:     hidden_remainder_x
      - .offset:         68
        .size:           2
        .value_kind:     hidden_remainder_y
      - .offset:         70
        .size:           2
        .value_kind:     hidden_remainder_z
      - .offset:         88
        .size:           8
        .value_kind:     hidden_global_offset_x
      - .offset:         96
        .size:           8
        .value_kind:     hidden_global_offset_y
      - .offset:         104
        .size:           8
        .value_kind:     hidden_global_offset_z
      - .offset:         112
        .size:           2
        .value_kind:     hidden_grid_dims
    .group_segment_fixed_size: 0
    .kernarg_segment_align: 8
    .kernarg_segment_size: 304
    .language:       OpenCL C
    .language_version:
      - 2
      - 0
    .max_flat_workgroup_size: 1024
    .name:           _ZN2at6native28tensor_kernel_scan_outer_dimIdmZZZNS0_31launch_logcumsumexp_cuda_kernelERKNS_10TensorBaseES4_lENKUlvE_clEvENKUlvE_clEvEUlddE_EEvPT_PKS8_jjjS8_T1_
    .private_segment_fixed_size: 0
    .sgpr_count:     92
    .sgpr_spill_count: 0
    .symbol:         _ZN2at6native28tensor_kernel_scan_outer_dimIdmZZZNS0_31launch_logcumsumexp_cuda_kernelERKNS_10TensorBaseES4_lENKUlvE_clEvENKUlvE_clEvEUlddE_EEvPT_PKS8_jjjS8_T1_.kd
    .uniform_work_group_size: 1
    .uses_dynamic_stack: false
    .vgpr_count:     38
    .vgpr_spill_count: 0
    .wavefront_size: 64
  - .args:
      - .address_space:  global
        .offset:         0
        .size:           8
        .value_kind:     global_buffer
      - .offset:         8
        .size:           4
        .value_kind:     by_value
      - .offset:         12
        .size:           1
        .value_kind:     by_value
      - .offset:         16
        .size:           4
        .value_kind:     by_value
      - .address_space:  global
        .offset:         24
        .size:           8
        .value_kind:     global_buffer
      - .offset:         32
        .size:           4
        .value_kind:     hidden_block_count_x
      - .offset:         36
        .size:           4
        .value_kind:     hidden_block_count_y
      - .offset:         40
        .size:           4
        .value_kind:     hidden_block_count_z
      - .offset:         44
        .size:           2
        .value_kind:     hidden_group_size_x
      - .offset:         46
        .size:           2
        .value_kind:     hidden_group_size_y
      - .offset:         48
        .size:           2
        .value_kind:     hidden_group_size_z
      - .offset:         50
        .size:           2
        .value_kind:     hidden_remainder_x
      - .offset:         52
        .size:           2
        .value_kind:     hidden_remainder_y
      - .offset:         54
        .size:           2
        .value_kind:     hidden_remainder_z
      - .offset:         72
        .size:           8
        .value_kind:     hidden_global_offset_x
      - .offset:         80
        .size:           8
        .value_kind:     hidden_global_offset_y
      - .offset:         88
        .size:           8
        .value_kind:     hidden_global_offset_z
      - .offset:         96
        .size:           2
        .value_kind:     hidden_grid_dims
    .group_segment_fixed_size: 0
    .kernarg_segment_align: 8
    .kernarg_segment_size: 288
    .language:       OpenCL C
    .language_version:
      - 2
      - 0
    .max_flat_workgroup_size: 256
    .name:           _ZN7rocprim17ROCPRIM_400000_NS6detail31init_lookback_scan_state_kernelINS1_19lookback_scan_stateIfLb0ELb1EEENS1_16block_id_wrapperIjLb0EEEEEvT_jT0_jPNS7_10value_typeE
    .private_segment_fixed_size: 0
    .sgpr_count:     13
    .sgpr_spill_count: 0
    .symbol:         _ZN7rocprim17ROCPRIM_400000_NS6detail31init_lookback_scan_state_kernelINS1_19lookback_scan_stateIfLb0ELb1EEENS1_16block_id_wrapperIjLb0EEEEEvT_jT0_jPNS7_10value_typeE.kd
    .uniform_work_group_size: 1
    .uses_dynamic_stack: false
    .vgpr_count:     6
    .vgpr_spill_count: 0
    .wavefront_size: 64
  - .args:
      - .offset:         0
        .size:           96
        .value_kind:     by_value
    .group_segment_fixed_size: 0
    .kernarg_segment_align: 8
    .kernarg_segment_size: 96
    .language:       OpenCL C
    .language_version:
      - 2
      - 0
    .max_flat_workgroup_size: 256
    .name:           _ZN7rocprim17ROCPRIM_400000_NS6detail17trampoline_kernelINS0_14default_configENS1_20scan_config_selectorIfEEZZNS1_9scan_implILNS1_25lookback_scan_determinismE0ELb0ELb0ES3_PKfPffZZZN2at6native31launch_logcumsumexp_cuda_kernelERKNSB_10TensorBaseESF_lENKUlvE_clEvENKUlvE0_clEvEUlffE_fEEDaPvRmT3_T4_T5_mT6_P12ihipStream_tbENKUlT_T0_E_clISt17integral_constantIbLb0EESW_EEDaSR_SS_EUlSR_E_NS1_11comp_targetILNS1_3genE0ELNS1_11target_archE4294967295ELNS1_3gpuE0ELNS1_3repE0EEENS1_30default_config_static_selectorELNS0_4arch9wavefront6targetE1EEEvT1_
    .private_segment_fixed_size: 0
    .sgpr_count:     4
    .sgpr_spill_count: 0
    .symbol:         _ZN7rocprim17ROCPRIM_400000_NS6detail17trampoline_kernelINS0_14default_configENS1_20scan_config_selectorIfEEZZNS1_9scan_implILNS1_25lookback_scan_determinismE0ELb0ELb0ES3_PKfPffZZZN2at6native31launch_logcumsumexp_cuda_kernelERKNSB_10TensorBaseESF_lENKUlvE_clEvENKUlvE0_clEvEUlffE_fEEDaPvRmT3_T4_T5_mT6_P12ihipStream_tbENKUlT_T0_E_clISt17integral_constantIbLb0EESW_EEDaSR_SS_EUlSR_E_NS1_11comp_targetILNS1_3genE0ELNS1_11target_archE4294967295ELNS1_3gpuE0ELNS1_3repE0EEENS1_30default_config_static_selectorELNS0_4arch9wavefront6targetE1EEEvT1_.kd
    .uniform_work_group_size: 1
    .uses_dynamic_stack: false
    .vgpr_count:     0
    .vgpr_spill_count: 0
    .wavefront_size: 64
  - .args:
      - .offset:         0
        .size:           96
        .value_kind:     by_value
    .group_segment_fixed_size: 0
    .kernarg_segment_align: 8
    .kernarg_segment_size: 96
    .language:       OpenCL C
    .language_version:
      - 2
      - 0
    .max_flat_workgroup_size: 256
    .name:           _ZN7rocprim17ROCPRIM_400000_NS6detail17trampoline_kernelINS0_14default_configENS1_20scan_config_selectorIfEEZZNS1_9scan_implILNS1_25lookback_scan_determinismE0ELb0ELb0ES3_PKfPffZZZN2at6native31launch_logcumsumexp_cuda_kernelERKNSB_10TensorBaseESF_lENKUlvE_clEvENKUlvE0_clEvEUlffE_fEEDaPvRmT3_T4_T5_mT6_P12ihipStream_tbENKUlT_T0_E_clISt17integral_constantIbLb0EESW_EEDaSR_SS_EUlSR_E_NS1_11comp_targetILNS1_3genE5ELNS1_11target_archE942ELNS1_3gpuE9ELNS1_3repE0EEENS1_30default_config_static_selectorELNS0_4arch9wavefront6targetE1EEEvT1_
    .private_segment_fixed_size: 0
    .sgpr_count:     4
    .sgpr_spill_count: 0
    .symbol:         _ZN7rocprim17ROCPRIM_400000_NS6detail17trampoline_kernelINS0_14default_configENS1_20scan_config_selectorIfEEZZNS1_9scan_implILNS1_25lookback_scan_determinismE0ELb0ELb0ES3_PKfPffZZZN2at6native31launch_logcumsumexp_cuda_kernelERKNSB_10TensorBaseESF_lENKUlvE_clEvENKUlvE0_clEvEUlffE_fEEDaPvRmT3_T4_T5_mT6_P12ihipStream_tbENKUlT_T0_E_clISt17integral_constantIbLb0EESW_EEDaSR_SS_EUlSR_E_NS1_11comp_targetILNS1_3genE5ELNS1_11target_archE942ELNS1_3gpuE9ELNS1_3repE0EEENS1_30default_config_static_selectorELNS0_4arch9wavefront6targetE1EEEvT1_.kd
    .uniform_work_group_size: 1
    .uses_dynamic_stack: false
    .vgpr_count:     0
    .vgpr_spill_count: 0
    .wavefront_size: 64
  - .args:
      - .offset:         0
        .size:           96
        .value_kind:     by_value
    .group_segment_fixed_size: 0
    .kernarg_segment_align: 8
    .kernarg_segment_size: 96
    .language:       OpenCL C
    .language_version:
      - 2
      - 0
    .max_flat_workgroup_size: 128
    .name:           _ZN7rocprim17ROCPRIM_400000_NS6detail17trampoline_kernelINS0_14default_configENS1_20scan_config_selectorIfEEZZNS1_9scan_implILNS1_25lookback_scan_determinismE0ELb0ELb0ES3_PKfPffZZZN2at6native31launch_logcumsumexp_cuda_kernelERKNSB_10TensorBaseESF_lENKUlvE_clEvENKUlvE0_clEvEUlffE_fEEDaPvRmT3_T4_T5_mT6_P12ihipStream_tbENKUlT_T0_E_clISt17integral_constantIbLb0EESW_EEDaSR_SS_EUlSR_E_NS1_11comp_targetILNS1_3genE4ELNS1_11target_archE910ELNS1_3gpuE8ELNS1_3repE0EEENS1_30default_config_static_selectorELNS0_4arch9wavefront6targetE1EEEvT1_
    .private_segment_fixed_size: 0
    .sgpr_count:     4
    .sgpr_spill_count: 0
    .symbol:         _ZN7rocprim17ROCPRIM_400000_NS6detail17trampoline_kernelINS0_14default_configENS1_20scan_config_selectorIfEEZZNS1_9scan_implILNS1_25lookback_scan_determinismE0ELb0ELb0ES3_PKfPffZZZN2at6native31launch_logcumsumexp_cuda_kernelERKNSB_10TensorBaseESF_lENKUlvE_clEvENKUlvE0_clEvEUlffE_fEEDaPvRmT3_T4_T5_mT6_P12ihipStream_tbENKUlT_T0_E_clISt17integral_constantIbLb0EESW_EEDaSR_SS_EUlSR_E_NS1_11comp_targetILNS1_3genE4ELNS1_11target_archE910ELNS1_3gpuE8ELNS1_3repE0EEENS1_30default_config_static_selectorELNS0_4arch9wavefront6targetE1EEEvT1_.kd
    .uniform_work_group_size: 1
    .uses_dynamic_stack: false
    .vgpr_count:     0
    .vgpr_spill_count: 0
    .wavefront_size: 64
  - .args:
      - .offset:         0
        .size:           96
        .value_kind:     by_value
    .group_segment_fixed_size: 0
    .kernarg_segment_align: 8
    .kernarg_segment_size: 96
    .language:       OpenCL C
    .language_version:
      - 2
      - 0
    .max_flat_workgroup_size: 256
    .name:           _ZN7rocprim17ROCPRIM_400000_NS6detail17trampoline_kernelINS0_14default_configENS1_20scan_config_selectorIfEEZZNS1_9scan_implILNS1_25lookback_scan_determinismE0ELb0ELb0ES3_PKfPffZZZN2at6native31launch_logcumsumexp_cuda_kernelERKNSB_10TensorBaseESF_lENKUlvE_clEvENKUlvE0_clEvEUlffE_fEEDaPvRmT3_T4_T5_mT6_P12ihipStream_tbENKUlT_T0_E_clISt17integral_constantIbLb0EESW_EEDaSR_SS_EUlSR_E_NS1_11comp_targetILNS1_3genE3ELNS1_11target_archE908ELNS1_3gpuE7ELNS1_3repE0EEENS1_30default_config_static_selectorELNS0_4arch9wavefront6targetE1EEEvT1_
    .private_segment_fixed_size: 0
    .sgpr_count:     4
    .sgpr_spill_count: 0
    .symbol:         _ZN7rocprim17ROCPRIM_400000_NS6detail17trampoline_kernelINS0_14default_configENS1_20scan_config_selectorIfEEZZNS1_9scan_implILNS1_25lookback_scan_determinismE0ELb0ELb0ES3_PKfPffZZZN2at6native31launch_logcumsumexp_cuda_kernelERKNSB_10TensorBaseESF_lENKUlvE_clEvENKUlvE0_clEvEUlffE_fEEDaPvRmT3_T4_T5_mT6_P12ihipStream_tbENKUlT_T0_E_clISt17integral_constantIbLb0EESW_EEDaSR_SS_EUlSR_E_NS1_11comp_targetILNS1_3genE3ELNS1_11target_archE908ELNS1_3gpuE7ELNS1_3repE0EEENS1_30default_config_static_selectorELNS0_4arch9wavefront6targetE1EEEvT1_.kd
    .uniform_work_group_size: 1
    .uses_dynamic_stack: false
    .vgpr_count:     0
    .vgpr_spill_count: 0
    .wavefront_size: 64
  - .args:
      - .offset:         0
        .size:           96
        .value_kind:     by_value
    .group_segment_fixed_size: 15360
    .kernarg_segment_align: 8
    .kernarg_segment_size: 96
    .language:       OpenCL C
    .language_version:
      - 2
      - 0
    .max_flat_workgroup_size: 256
    .name:           _ZN7rocprim17ROCPRIM_400000_NS6detail17trampoline_kernelINS0_14default_configENS1_20scan_config_selectorIfEEZZNS1_9scan_implILNS1_25lookback_scan_determinismE0ELb0ELb0ES3_PKfPffZZZN2at6native31launch_logcumsumexp_cuda_kernelERKNSB_10TensorBaseESF_lENKUlvE_clEvENKUlvE0_clEvEUlffE_fEEDaPvRmT3_T4_T5_mT6_P12ihipStream_tbENKUlT_T0_E_clISt17integral_constantIbLb0EESW_EEDaSR_SS_EUlSR_E_NS1_11comp_targetILNS1_3genE2ELNS1_11target_archE906ELNS1_3gpuE6ELNS1_3repE0EEENS1_30default_config_static_selectorELNS0_4arch9wavefront6targetE1EEEvT1_
    .private_segment_fixed_size: 0
    .sgpr_count:     74
    .sgpr_spill_count: 0
    .symbol:         _ZN7rocprim17ROCPRIM_400000_NS6detail17trampoline_kernelINS0_14default_configENS1_20scan_config_selectorIfEEZZNS1_9scan_implILNS1_25lookback_scan_determinismE0ELb0ELb0ES3_PKfPffZZZN2at6native31launch_logcumsumexp_cuda_kernelERKNSB_10TensorBaseESF_lENKUlvE_clEvENKUlvE0_clEvEUlffE_fEEDaPvRmT3_T4_T5_mT6_P12ihipStream_tbENKUlT_T0_E_clISt17integral_constantIbLb0EESW_EEDaSR_SS_EUlSR_E_NS1_11comp_targetILNS1_3genE2ELNS1_11target_archE906ELNS1_3gpuE6ELNS1_3repE0EEENS1_30default_config_static_selectorELNS0_4arch9wavefront6targetE1EEEvT1_.kd
    .uniform_work_group_size: 1
    .uses_dynamic_stack: false
    .vgpr_count:     71
    .vgpr_spill_count: 0
    .wavefront_size: 64
  - .args:
      - .offset:         0
        .size:           96
        .value_kind:     by_value
    .group_segment_fixed_size: 0
    .kernarg_segment_align: 8
    .kernarg_segment_size: 96
    .language:       OpenCL C
    .language_version:
      - 2
      - 0
    .max_flat_workgroup_size: 256
    .name:           _ZN7rocprim17ROCPRIM_400000_NS6detail17trampoline_kernelINS0_14default_configENS1_20scan_config_selectorIfEEZZNS1_9scan_implILNS1_25lookback_scan_determinismE0ELb0ELb0ES3_PKfPffZZZN2at6native31launch_logcumsumexp_cuda_kernelERKNSB_10TensorBaseESF_lENKUlvE_clEvENKUlvE0_clEvEUlffE_fEEDaPvRmT3_T4_T5_mT6_P12ihipStream_tbENKUlT_T0_E_clISt17integral_constantIbLb0EESW_EEDaSR_SS_EUlSR_E_NS1_11comp_targetILNS1_3genE10ELNS1_11target_archE1201ELNS1_3gpuE5ELNS1_3repE0EEENS1_30default_config_static_selectorELNS0_4arch9wavefront6targetE1EEEvT1_
    .private_segment_fixed_size: 0
    .sgpr_count:     4
    .sgpr_spill_count: 0
    .symbol:         _ZN7rocprim17ROCPRIM_400000_NS6detail17trampoline_kernelINS0_14default_configENS1_20scan_config_selectorIfEEZZNS1_9scan_implILNS1_25lookback_scan_determinismE0ELb0ELb0ES3_PKfPffZZZN2at6native31launch_logcumsumexp_cuda_kernelERKNSB_10TensorBaseESF_lENKUlvE_clEvENKUlvE0_clEvEUlffE_fEEDaPvRmT3_T4_T5_mT6_P12ihipStream_tbENKUlT_T0_E_clISt17integral_constantIbLb0EESW_EEDaSR_SS_EUlSR_E_NS1_11comp_targetILNS1_3genE10ELNS1_11target_archE1201ELNS1_3gpuE5ELNS1_3repE0EEENS1_30default_config_static_selectorELNS0_4arch9wavefront6targetE1EEEvT1_.kd
    .uniform_work_group_size: 1
    .uses_dynamic_stack: false
    .vgpr_count:     0
    .vgpr_spill_count: 0
    .wavefront_size: 64
  - .args:
      - .offset:         0
        .size:           96
        .value_kind:     by_value
    .group_segment_fixed_size: 0
    .kernarg_segment_align: 8
    .kernarg_segment_size: 96
    .language:       OpenCL C
    .language_version:
      - 2
      - 0
    .max_flat_workgroup_size: 256
    .name:           _ZN7rocprim17ROCPRIM_400000_NS6detail17trampoline_kernelINS0_14default_configENS1_20scan_config_selectorIfEEZZNS1_9scan_implILNS1_25lookback_scan_determinismE0ELb0ELb0ES3_PKfPffZZZN2at6native31launch_logcumsumexp_cuda_kernelERKNSB_10TensorBaseESF_lENKUlvE_clEvENKUlvE0_clEvEUlffE_fEEDaPvRmT3_T4_T5_mT6_P12ihipStream_tbENKUlT_T0_E_clISt17integral_constantIbLb0EESW_EEDaSR_SS_EUlSR_E_NS1_11comp_targetILNS1_3genE10ELNS1_11target_archE1200ELNS1_3gpuE4ELNS1_3repE0EEENS1_30default_config_static_selectorELNS0_4arch9wavefront6targetE1EEEvT1_
    .private_segment_fixed_size: 0
    .sgpr_count:     4
    .sgpr_spill_count: 0
    .symbol:         _ZN7rocprim17ROCPRIM_400000_NS6detail17trampoline_kernelINS0_14default_configENS1_20scan_config_selectorIfEEZZNS1_9scan_implILNS1_25lookback_scan_determinismE0ELb0ELb0ES3_PKfPffZZZN2at6native31launch_logcumsumexp_cuda_kernelERKNSB_10TensorBaseESF_lENKUlvE_clEvENKUlvE0_clEvEUlffE_fEEDaPvRmT3_T4_T5_mT6_P12ihipStream_tbENKUlT_T0_E_clISt17integral_constantIbLb0EESW_EEDaSR_SS_EUlSR_E_NS1_11comp_targetILNS1_3genE10ELNS1_11target_archE1200ELNS1_3gpuE4ELNS1_3repE0EEENS1_30default_config_static_selectorELNS0_4arch9wavefront6targetE1EEEvT1_.kd
    .uniform_work_group_size: 1
    .uses_dynamic_stack: false
    .vgpr_count:     0
    .vgpr_spill_count: 0
    .wavefront_size: 64
  - .args:
      - .offset:         0
        .size:           96
        .value_kind:     by_value
    .group_segment_fixed_size: 0
    .kernarg_segment_align: 8
    .kernarg_segment_size: 96
    .language:       OpenCL C
    .language_version:
      - 2
      - 0
    .max_flat_workgroup_size: 256
    .name:           _ZN7rocprim17ROCPRIM_400000_NS6detail17trampoline_kernelINS0_14default_configENS1_20scan_config_selectorIfEEZZNS1_9scan_implILNS1_25lookback_scan_determinismE0ELb0ELb0ES3_PKfPffZZZN2at6native31launch_logcumsumexp_cuda_kernelERKNSB_10TensorBaseESF_lENKUlvE_clEvENKUlvE0_clEvEUlffE_fEEDaPvRmT3_T4_T5_mT6_P12ihipStream_tbENKUlT_T0_E_clISt17integral_constantIbLb0EESW_EEDaSR_SS_EUlSR_E_NS1_11comp_targetILNS1_3genE9ELNS1_11target_archE1100ELNS1_3gpuE3ELNS1_3repE0EEENS1_30default_config_static_selectorELNS0_4arch9wavefront6targetE1EEEvT1_
    .private_segment_fixed_size: 0
    .sgpr_count:     4
    .sgpr_spill_count: 0
    .symbol:         _ZN7rocprim17ROCPRIM_400000_NS6detail17trampoline_kernelINS0_14default_configENS1_20scan_config_selectorIfEEZZNS1_9scan_implILNS1_25lookback_scan_determinismE0ELb0ELb0ES3_PKfPffZZZN2at6native31launch_logcumsumexp_cuda_kernelERKNSB_10TensorBaseESF_lENKUlvE_clEvENKUlvE0_clEvEUlffE_fEEDaPvRmT3_T4_T5_mT6_P12ihipStream_tbENKUlT_T0_E_clISt17integral_constantIbLb0EESW_EEDaSR_SS_EUlSR_E_NS1_11comp_targetILNS1_3genE9ELNS1_11target_archE1100ELNS1_3gpuE3ELNS1_3repE0EEENS1_30default_config_static_selectorELNS0_4arch9wavefront6targetE1EEEvT1_.kd
    .uniform_work_group_size: 1
    .uses_dynamic_stack: false
    .vgpr_count:     0
    .vgpr_spill_count: 0
    .wavefront_size: 64
  - .args:
      - .offset:         0
        .size:           96
        .value_kind:     by_value
    .group_segment_fixed_size: 0
    .kernarg_segment_align: 8
    .kernarg_segment_size: 96
    .language:       OpenCL C
    .language_version:
      - 2
      - 0
    .max_flat_workgroup_size: 64
    .name:           _ZN7rocprim17ROCPRIM_400000_NS6detail17trampoline_kernelINS0_14default_configENS1_20scan_config_selectorIfEEZZNS1_9scan_implILNS1_25lookback_scan_determinismE0ELb0ELb0ES3_PKfPffZZZN2at6native31launch_logcumsumexp_cuda_kernelERKNSB_10TensorBaseESF_lENKUlvE_clEvENKUlvE0_clEvEUlffE_fEEDaPvRmT3_T4_T5_mT6_P12ihipStream_tbENKUlT_T0_E_clISt17integral_constantIbLb0EESW_EEDaSR_SS_EUlSR_E_NS1_11comp_targetILNS1_3genE8ELNS1_11target_archE1030ELNS1_3gpuE2ELNS1_3repE0EEENS1_30default_config_static_selectorELNS0_4arch9wavefront6targetE1EEEvT1_
    .private_segment_fixed_size: 0
    .sgpr_count:     4
    .sgpr_spill_count: 0
    .symbol:         _ZN7rocprim17ROCPRIM_400000_NS6detail17trampoline_kernelINS0_14default_configENS1_20scan_config_selectorIfEEZZNS1_9scan_implILNS1_25lookback_scan_determinismE0ELb0ELb0ES3_PKfPffZZZN2at6native31launch_logcumsumexp_cuda_kernelERKNSB_10TensorBaseESF_lENKUlvE_clEvENKUlvE0_clEvEUlffE_fEEDaPvRmT3_T4_T5_mT6_P12ihipStream_tbENKUlT_T0_E_clISt17integral_constantIbLb0EESW_EEDaSR_SS_EUlSR_E_NS1_11comp_targetILNS1_3genE8ELNS1_11target_archE1030ELNS1_3gpuE2ELNS1_3repE0EEENS1_30default_config_static_selectorELNS0_4arch9wavefront6targetE1EEEvT1_.kd
    .uniform_work_group_size: 1
    .uses_dynamic_stack: false
    .vgpr_count:     0
    .vgpr_spill_count: 0
    .wavefront_size: 64
  - .args:
      - .offset:         0
        .size:           40
        .value_kind:     by_value
    .group_segment_fixed_size: 0
    .kernarg_segment_align: 8
    .kernarg_segment_size: 40
    .language:       OpenCL C
    .language_version:
      - 2
      - 0
    .max_flat_workgroup_size: 128
    .name:           _ZN7rocprim17ROCPRIM_400000_NS6detail17trampoline_kernelINS0_14default_configENS1_25transform_config_selectorIfLb1EEEZNS1_14transform_implILb1ES3_S5_PfS7_NS0_8identityIfEEEE10hipError_tT2_T3_mT4_P12ihipStream_tbEUlT_E_NS1_11comp_targetILNS1_3genE0ELNS1_11target_archE4294967295ELNS1_3gpuE0ELNS1_3repE0EEENS1_30default_config_static_selectorELNS0_4arch9wavefront6targetE1EEEvT1_
    .private_segment_fixed_size: 0
    .sgpr_count:     4
    .sgpr_spill_count: 0
    .symbol:         _ZN7rocprim17ROCPRIM_400000_NS6detail17trampoline_kernelINS0_14default_configENS1_25transform_config_selectorIfLb1EEEZNS1_14transform_implILb1ES3_S5_PfS7_NS0_8identityIfEEEE10hipError_tT2_T3_mT4_P12ihipStream_tbEUlT_E_NS1_11comp_targetILNS1_3genE0ELNS1_11target_archE4294967295ELNS1_3gpuE0ELNS1_3repE0EEENS1_30default_config_static_selectorELNS0_4arch9wavefront6targetE1EEEvT1_.kd
    .uniform_work_group_size: 1
    .uses_dynamic_stack: false
    .vgpr_count:     0
    .vgpr_spill_count: 0
    .wavefront_size: 64
  - .args:
      - .offset:         0
        .size:           40
        .value_kind:     by_value
    .group_segment_fixed_size: 0
    .kernarg_segment_align: 8
    .kernarg_segment_size: 40
    .language:       OpenCL C
    .language_version:
      - 2
      - 0
    .max_flat_workgroup_size: 1024
    .name:           _ZN7rocprim17ROCPRIM_400000_NS6detail17trampoline_kernelINS0_14default_configENS1_25transform_config_selectorIfLb1EEEZNS1_14transform_implILb1ES3_S5_PfS7_NS0_8identityIfEEEE10hipError_tT2_T3_mT4_P12ihipStream_tbEUlT_E_NS1_11comp_targetILNS1_3genE10ELNS1_11target_archE1201ELNS1_3gpuE5ELNS1_3repE0EEENS1_30default_config_static_selectorELNS0_4arch9wavefront6targetE1EEEvT1_
    .private_segment_fixed_size: 0
    .sgpr_count:     4
    .sgpr_spill_count: 0
    .symbol:         _ZN7rocprim17ROCPRIM_400000_NS6detail17trampoline_kernelINS0_14default_configENS1_25transform_config_selectorIfLb1EEEZNS1_14transform_implILb1ES3_S5_PfS7_NS0_8identityIfEEEE10hipError_tT2_T3_mT4_P12ihipStream_tbEUlT_E_NS1_11comp_targetILNS1_3genE10ELNS1_11target_archE1201ELNS1_3gpuE5ELNS1_3repE0EEENS1_30default_config_static_selectorELNS0_4arch9wavefront6targetE1EEEvT1_.kd
    .uniform_work_group_size: 1
    .uses_dynamic_stack: false
    .vgpr_count:     0
    .vgpr_spill_count: 0
    .wavefront_size: 64
  - .args:
      - .offset:         0
        .size:           40
        .value_kind:     by_value
    .group_segment_fixed_size: 0
    .kernarg_segment_align: 8
    .kernarg_segment_size: 40
    .language:       OpenCL C
    .language_version:
      - 2
      - 0
    .max_flat_workgroup_size: 256
    .name:           _ZN7rocprim17ROCPRIM_400000_NS6detail17trampoline_kernelINS0_14default_configENS1_25transform_config_selectorIfLb1EEEZNS1_14transform_implILb1ES3_S5_PfS7_NS0_8identityIfEEEE10hipError_tT2_T3_mT4_P12ihipStream_tbEUlT_E_NS1_11comp_targetILNS1_3genE5ELNS1_11target_archE942ELNS1_3gpuE9ELNS1_3repE0EEENS1_30default_config_static_selectorELNS0_4arch9wavefront6targetE1EEEvT1_
    .private_segment_fixed_size: 0
    .sgpr_count:     4
    .sgpr_spill_count: 0
    .symbol:         _ZN7rocprim17ROCPRIM_400000_NS6detail17trampoline_kernelINS0_14default_configENS1_25transform_config_selectorIfLb1EEEZNS1_14transform_implILb1ES3_S5_PfS7_NS0_8identityIfEEEE10hipError_tT2_T3_mT4_P12ihipStream_tbEUlT_E_NS1_11comp_targetILNS1_3genE5ELNS1_11target_archE942ELNS1_3gpuE9ELNS1_3repE0EEENS1_30default_config_static_selectorELNS0_4arch9wavefront6targetE1EEEvT1_.kd
    .uniform_work_group_size: 1
    .uses_dynamic_stack: false
    .vgpr_count:     0
    .vgpr_spill_count: 0
    .wavefront_size: 64
  - .args:
      - .offset:         0
        .size:           40
        .value_kind:     by_value
    .group_segment_fixed_size: 0
    .kernarg_segment_align: 8
    .kernarg_segment_size: 40
    .language:       OpenCL C
    .language_version:
      - 2
      - 0
    .max_flat_workgroup_size: 1024
    .name:           _ZN7rocprim17ROCPRIM_400000_NS6detail17trampoline_kernelINS0_14default_configENS1_25transform_config_selectorIfLb1EEEZNS1_14transform_implILb1ES3_S5_PfS7_NS0_8identityIfEEEE10hipError_tT2_T3_mT4_P12ihipStream_tbEUlT_E_NS1_11comp_targetILNS1_3genE4ELNS1_11target_archE910ELNS1_3gpuE8ELNS1_3repE0EEENS1_30default_config_static_selectorELNS0_4arch9wavefront6targetE1EEEvT1_
    .private_segment_fixed_size: 0
    .sgpr_count:     4
    .sgpr_spill_count: 0
    .symbol:         _ZN7rocprim17ROCPRIM_400000_NS6detail17trampoline_kernelINS0_14default_configENS1_25transform_config_selectorIfLb1EEEZNS1_14transform_implILb1ES3_S5_PfS7_NS0_8identityIfEEEE10hipError_tT2_T3_mT4_P12ihipStream_tbEUlT_E_NS1_11comp_targetILNS1_3genE4ELNS1_11target_archE910ELNS1_3gpuE8ELNS1_3repE0EEENS1_30default_config_static_selectorELNS0_4arch9wavefront6targetE1EEEvT1_.kd
    .uniform_work_group_size: 1
    .uses_dynamic_stack: false
    .vgpr_count:     0
    .vgpr_spill_count: 0
    .wavefront_size: 64
  - .args:
      - .offset:         0
        .size:           40
        .value_kind:     by_value
    .group_segment_fixed_size: 0
    .kernarg_segment_align: 8
    .kernarg_segment_size: 40
    .language:       OpenCL C
    .language_version:
      - 2
      - 0
    .max_flat_workgroup_size: 128
    .name:           _ZN7rocprim17ROCPRIM_400000_NS6detail17trampoline_kernelINS0_14default_configENS1_25transform_config_selectorIfLb1EEEZNS1_14transform_implILb1ES3_S5_PfS7_NS0_8identityIfEEEE10hipError_tT2_T3_mT4_P12ihipStream_tbEUlT_E_NS1_11comp_targetILNS1_3genE3ELNS1_11target_archE908ELNS1_3gpuE7ELNS1_3repE0EEENS1_30default_config_static_selectorELNS0_4arch9wavefront6targetE1EEEvT1_
    .private_segment_fixed_size: 0
    .sgpr_count:     4
    .sgpr_spill_count: 0
    .symbol:         _ZN7rocprim17ROCPRIM_400000_NS6detail17trampoline_kernelINS0_14default_configENS1_25transform_config_selectorIfLb1EEEZNS1_14transform_implILb1ES3_S5_PfS7_NS0_8identityIfEEEE10hipError_tT2_T3_mT4_P12ihipStream_tbEUlT_E_NS1_11comp_targetILNS1_3genE3ELNS1_11target_archE908ELNS1_3gpuE7ELNS1_3repE0EEENS1_30default_config_static_selectorELNS0_4arch9wavefront6targetE1EEEvT1_.kd
    .uniform_work_group_size: 1
    .uses_dynamic_stack: false
    .vgpr_count:     0
    .vgpr_spill_count: 0
    .wavefront_size: 64
  - .args:
      - .offset:         0
        .size:           40
        .value_kind:     by_value
      - .offset:         40
        .size:           4
        .value_kind:     hidden_block_count_x
      - .offset:         44
        .size:           4
        .value_kind:     hidden_block_count_y
      - .offset:         48
        .size:           4
        .value_kind:     hidden_block_count_z
      - .offset:         52
        .size:           2
        .value_kind:     hidden_group_size_x
      - .offset:         54
        .size:           2
        .value_kind:     hidden_group_size_y
      - .offset:         56
        .size:           2
        .value_kind:     hidden_group_size_z
      - .offset:         58
        .size:           2
        .value_kind:     hidden_remainder_x
      - .offset:         60
        .size:           2
        .value_kind:     hidden_remainder_y
      - .offset:         62
        .size:           2
        .value_kind:     hidden_remainder_z
      - .offset:         80
        .size:           8
        .value_kind:     hidden_global_offset_x
      - .offset:         88
        .size:           8
        .value_kind:     hidden_global_offset_y
      - .offset:         96
        .size:           8
        .value_kind:     hidden_global_offset_z
      - .offset:         104
        .size:           2
        .value_kind:     hidden_grid_dims
    .group_segment_fixed_size: 0
    .kernarg_segment_align: 8
    .kernarg_segment_size: 296
    .language:       OpenCL C
    .language_version:
      - 2
      - 0
    .max_flat_workgroup_size: 1024
    .name:           _ZN7rocprim17ROCPRIM_400000_NS6detail17trampoline_kernelINS0_14default_configENS1_25transform_config_selectorIfLb1EEEZNS1_14transform_implILb1ES3_S5_PfS7_NS0_8identityIfEEEE10hipError_tT2_T3_mT4_P12ihipStream_tbEUlT_E_NS1_11comp_targetILNS1_3genE2ELNS1_11target_archE906ELNS1_3gpuE6ELNS1_3repE0EEENS1_30default_config_static_selectorELNS0_4arch9wavefront6targetE1EEEvT1_
    .private_segment_fixed_size: 0
    .sgpr_count:     20
    .sgpr_spill_count: 0
    .symbol:         _ZN7rocprim17ROCPRIM_400000_NS6detail17trampoline_kernelINS0_14default_configENS1_25transform_config_selectorIfLb1EEEZNS1_14transform_implILb1ES3_S5_PfS7_NS0_8identityIfEEEE10hipError_tT2_T3_mT4_P12ihipStream_tbEUlT_E_NS1_11comp_targetILNS1_3genE2ELNS1_11target_archE906ELNS1_3gpuE6ELNS1_3repE0EEENS1_30default_config_static_selectorELNS0_4arch9wavefront6targetE1EEEvT1_.kd
    .uniform_work_group_size: 1
    .uses_dynamic_stack: false
    .vgpr_count:     10
    .vgpr_spill_count: 0
    .wavefront_size: 64
  - .args:
      - .offset:         0
        .size:           40
        .value_kind:     by_value
    .group_segment_fixed_size: 0
    .kernarg_segment_align: 8
    .kernarg_segment_size: 40
    .language:       OpenCL C
    .language_version:
      - 2
      - 0
    .max_flat_workgroup_size: 1024
    .name:           _ZN7rocprim17ROCPRIM_400000_NS6detail17trampoline_kernelINS0_14default_configENS1_25transform_config_selectorIfLb1EEEZNS1_14transform_implILb1ES3_S5_PfS7_NS0_8identityIfEEEE10hipError_tT2_T3_mT4_P12ihipStream_tbEUlT_E_NS1_11comp_targetILNS1_3genE9ELNS1_11target_archE1100ELNS1_3gpuE3ELNS1_3repE0EEENS1_30default_config_static_selectorELNS0_4arch9wavefront6targetE1EEEvT1_
    .private_segment_fixed_size: 0
    .sgpr_count:     4
    .sgpr_spill_count: 0
    .symbol:         _ZN7rocprim17ROCPRIM_400000_NS6detail17trampoline_kernelINS0_14default_configENS1_25transform_config_selectorIfLb1EEEZNS1_14transform_implILb1ES3_S5_PfS7_NS0_8identityIfEEEE10hipError_tT2_T3_mT4_P12ihipStream_tbEUlT_E_NS1_11comp_targetILNS1_3genE9ELNS1_11target_archE1100ELNS1_3gpuE3ELNS1_3repE0EEENS1_30default_config_static_selectorELNS0_4arch9wavefront6targetE1EEEvT1_.kd
    .uniform_work_group_size: 1
    .uses_dynamic_stack: false
    .vgpr_count:     0
    .vgpr_spill_count: 0
    .wavefront_size: 64
  - .args:
      - .offset:         0
        .size:           40
        .value_kind:     by_value
    .group_segment_fixed_size: 0
    .kernarg_segment_align: 8
    .kernarg_segment_size: 40
    .language:       OpenCL C
    .language_version:
      - 2
      - 0
    .max_flat_workgroup_size: 1024
    .name:           _ZN7rocprim17ROCPRIM_400000_NS6detail17trampoline_kernelINS0_14default_configENS1_25transform_config_selectorIfLb1EEEZNS1_14transform_implILb1ES3_S5_PfS7_NS0_8identityIfEEEE10hipError_tT2_T3_mT4_P12ihipStream_tbEUlT_E_NS1_11comp_targetILNS1_3genE8ELNS1_11target_archE1030ELNS1_3gpuE2ELNS1_3repE0EEENS1_30default_config_static_selectorELNS0_4arch9wavefront6targetE1EEEvT1_
    .private_segment_fixed_size: 0
    .sgpr_count:     4
    .sgpr_spill_count: 0
    .symbol:         _ZN7rocprim17ROCPRIM_400000_NS6detail17trampoline_kernelINS0_14default_configENS1_25transform_config_selectorIfLb1EEEZNS1_14transform_implILb1ES3_S5_PfS7_NS0_8identityIfEEEE10hipError_tT2_T3_mT4_P12ihipStream_tbEUlT_E_NS1_11comp_targetILNS1_3genE8ELNS1_11target_archE1030ELNS1_3gpuE2ELNS1_3repE0EEENS1_30default_config_static_selectorELNS0_4arch9wavefront6targetE1EEEvT1_.kd
    .uniform_work_group_size: 1
    .uses_dynamic_stack: false
    .vgpr_count:     0
    .vgpr_spill_count: 0
    .wavefront_size: 64
  - .args:
      - .offset:         0
        .size:           32
        .value_kind:     by_value
    .group_segment_fixed_size: 0
    .kernarg_segment_align: 8
    .kernarg_segment_size: 32
    .language:       OpenCL C
    .language_version:
      - 2
      - 0
    .max_flat_workgroup_size: 256
    .name:           _ZN7rocprim17ROCPRIM_400000_NS6detail17trampoline_kernelINS0_14default_configENS1_20scan_config_selectorIfEEZZNS1_9scan_implILNS1_25lookback_scan_determinismE0ELb0ELb0ES3_PKfPffZZZN2at6native31launch_logcumsumexp_cuda_kernelERKNSB_10TensorBaseESF_lENKUlvE_clEvENKUlvE0_clEvEUlffE_fEEDaPvRmT3_T4_T5_mT6_P12ihipStream_tbENKUlT_T0_E_clISt17integral_constantIbLb0EESW_EEDaSR_SS_EUlSR_E0_NS1_11comp_targetILNS1_3genE0ELNS1_11target_archE4294967295ELNS1_3gpuE0ELNS1_3repE0EEENS1_30default_config_static_selectorELNS0_4arch9wavefront6targetE1EEEvT1_
    .private_segment_fixed_size: 0
    .sgpr_count:     4
    .sgpr_spill_count: 0
    .symbol:         _ZN7rocprim17ROCPRIM_400000_NS6detail17trampoline_kernelINS0_14default_configENS1_20scan_config_selectorIfEEZZNS1_9scan_implILNS1_25lookback_scan_determinismE0ELb0ELb0ES3_PKfPffZZZN2at6native31launch_logcumsumexp_cuda_kernelERKNSB_10TensorBaseESF_lENKUlvE_clEvENKUlvE0_clEvEUlffE_fEEDaPvRmT3_T4_T5_mT6_P12ihipStream_tbENKUlT_T0_E_clISt17integral_constantIbLb0EESW_EEDaSR_SS_EUlSR_E0_NS1_11comp_targetILNS1_3genE0ELNS1_11target_archE4294967295ELNS1_3gpuE0ELNS1_3repE0EEENS1_30default_config_static_selectorELNS0_4arch9wavefront6targetE1EEEvT1_.kd
    .uniform_work_group_size: 1
    .uses_dynamic_stack: false
    .vgpr_count:     0
    .vgpr_spill_count: 0
    .wavefront_size: 64
  - .args:
      - .offset:         0
        .size:           32
        .value_kind:     by_value
    .group_segment_fixed_size: 0
    .kernarg_segment_align: 8
    .kernarg_segment_size: 32
    .language:       OpenCL C
    .language_version:
      - 2
      - 0
    .max_flat_workgroup_size: 256
    .name:           _ZN7rocprim17ROCPRIM_400000_NS6detail17trampoline_kernelINS0_14default_configENS1_20scan_config_selectorIfEEZZNS1_9scan_implILNS1_25lookback_scan_determinismE0ELb0ELb0ES3_PKfPffZZZN2at6native31launch_logcumsumexp_cuda_kernelERKNSB_10TensorBaseESF_lENKUlvE_clEvENKUlvE0_clEvEUlffE_fEEDaPvRmT3_T4_T5_mT6_P12ihipStream_tbENKUlT_T0_E_clISt17integral_constantIbLb0EESW_EEDaSR_SS_EUlSR_E0_NS1_11comp_targetILNS1_3genE5ELNS1_11target_archE942ELNS1_3gpuE9ELNS1_3repE0EEENS1_30default_config_static_selectorELNS0_4arch9wavefront6targetE1EEEvT1_
    .private_segment_fixed_size: 0
    .sgpr_count:     4
    .sgpr_spill_count: 0
    .symbol:         _ZN7rocprim17ROCPRIM_400000_NS6detail17trampoline_kernelINS0_14default_configENS1_20scan_config_selectorIfEEZZNS1_9scan_implILNS1_25lookback_scan_determinismE0ELb0ELb0ES3_PKfPffZZZN2at6native31launch_logcumsumexp_cuda_kernelERKNSB_10TensorBaseESF_lENKUlvE_clEvENKUlvE0_clEvEUlffE_fEEDaPvRmT3_T4_T5_mT6_P12ihipStream_tbENKUlT_T0_E_clISt17integral_constantIbLb0EESW_EEDaSR_SS_EUlSR_E0_NS1_11comp_targetILNS1_3genE5ELNS1_11target_archE942ELNS1_3gpuE9ELNS1_3repE0EEENS1_30default_config_static_selectorELNS0_4arch9wavefront6targetE1EEEvT1_.kd
    .uniform_work_group_size: 1
    .uses_dynamic_stack: false
    .vgpr_count:     0
    .vgpr_spill_count: 0
    .wavefront_size: 64
  - .args:
      - .offset:         0
        .size:           32
        .value_kind:     by_value
    .group_segment_fixed_size: 0
    .kernarg_segment_align: 8
    .kernarg_segment_size: 32
    .language:       OpenCL C
    .language_version:
      - 2
      - 0
    .max_flat_workgroup_size: 128
    .name:           _ZN7rocprim17ROCPRIM_400000_NS6detail17trampoline_kernelINS0_14default_configENS1_20scan_config_selectorIfEEZZNS1_9scan_implILNS1_25lookback_scan_determinismE0ELb0ELb0ES3_PKfPffZZZN2at6native31launch_logcumsumexp_cuda_kernelERKNSB_10TensorBaseESF_lENKUlvE_clEvENKUlvE0_clEvEUlffE_fEEDaPvRmT3_T4_T5_mT6_P12ihipStream_tbENKUlT_T0_E_clISt17integral_constantIbLb0EESW_EEDaSR_SS_EUlSR_E0_NS1_11comp_targetILNS1_3genE4ELNS1_11target_archE910ELNS1_3gpuE8ELNS1_3repE0EEENS1_30default_config_static_selectorELNS0_4arch9wavefront6targetE1EEEvT1_
    .private_segment_fixed_size: 0
    .sgpr_count:     4
    .sgpr_spill_count: 0
    .symbol:         _ZN7rocprim17ROCPRIM_400000_NS6detail17trampoline_kernelINS0_14default_configENS1_20scan_config_selectorIfEEZZNS1_9scan_implILNS1_25lookback_scan_determinismE0ELb0ELb0ES3_PKfPffZZZN2at6native31launch_logcumsumexp_cuda_kernelERKNSB_10TensorBaseESF_lENKUlvE_clEvENKUlvE0_clEvEUlffE_fEEDaPvRmT3_T4_T5_mT6_P12ihipStream_tbENKUlT_T0_E_clISt17integral_constantIbLb0EESW_EEDaSR_SS_EUlSR_E0_NS1_11comp_targetILNS1_3genE4ELNS1_11target_archE910ELNS1_3gpuE8ELNS1_3repE0EEENS1_30default_config_static_selectorELNS0_4arch9wavefront6targetE1EEEvT1_.kd
    .uniform_work_group_size: 1
    .uses_dynamic_stack: false
    .vgpr_count:     0
    .vgpr_spill_count: 0
    .wavefront_size: 64
  - .args:
      - .offset:         0
        .size:           32
        .value_kind:     by_value
    .group_segment_fixed_size: 0
    .kernarg_segment_align: 8
    .kernarg_segment_size: 32
    .language:       OpenCL C
    .language_version:
      - 2
      - 0
    .max_flat_workgroup_size: 256
    .name:           _ZN7rocprim17ROCPRIM_400000_NS6detail17trampoline_kernelINS0_14default_configENS1_20scan_config_selectorIfEEZZNS1_9scan_implILNS1_25lookback_scan_determinismE0ELb0ELb0ES3_PKfPffZZZN2at6native31launch_logcumsumexp_cuda_kernelERKNSB_10TensorBaseESF_lENKUlvE_clEvENKUlvE0_clEvEUlffE_fEEDaPvRmT3_T4_T5_mT6_P12ihipStream_tbENKUlT_T0_E_clISt17integral_constantIbLb0EESW_EEDaSR_SS_EUlSR_E0_NS1_11comp_targetILNS1_3genE3ELNS1_11target_archE908ELNS1_3gpuE7ELNS1_3repE0EEENS1_30default_config_static_selectorELNS0_4arch9wavefront6targetE1EEEvT1_
    .private_segment_fixed_size: 0
    .sgpr_count:     4
    .sgpr_spill_count: 0
    .symbol:         _ZN7rocprim17ROCPRIM_400000_NS6detail17trampoline_kernelINS0_14default_configENS1_20scan_config_selectorIfEEZZNS1_9scan_implILNS1_25lookback_scan_determinismE0ELb0ELb0ES3_PKfPffZZZN2at6native31launch_logcumsumexp_cuda_kernelERKNSB_10TensorBaseESF_lENKUlvE_clEvENKUlvE0_clEvEUlffE_fEEDaPvRmT3_T4_T5_mT6_P12ihipStream_tbENKUlT_T0_E_clISt17integral_constantIbLb0EESW_EEDaSR_SS_EUlSR_E0_NS1_11comp_targetILNS1_3genE3ELNS1_11target_archE908ELNS1_3gpuE7ELNS1_3repE0EEENS1_30default_config_static_selectorELNS0_4arch9wavefront6targetE1EEEvT1_.kd
    .uniform_work_group_size: 1
    .uses_dynamic_stack: false
    .vgpr_count:     0
    .vgpr_spill_count: 0
    .wavefront_size: 64
  - .args:
      - .offset:         0
        .size:           32
        .value_kind:     by_value
    .group_segment_fixed_size: 15360
    .kernarg_segment_align: 8
    .kernarg_segment_size: 32
    .language:       OpenCL C
    .language_version:
      - 2
      - 0
    .max_flat_workgroup_size: 256
    .name:           _ZN7rocprim17ROCPRIM_400000_NS6detail17trampoline_kernelINS0_14default_configENS1_20scan_config_selectorIfEEZZNS1_9scan_implILNS1_25lookback_scan_determinismE0ELb0ELb0ES3_PKfPffZZZN2at6native31launch_logcumsumexp_cuda_kernelERKNSB_10TensorBaseESF_lENKUlvE_clEvENKUlvE0_clEvEUlffE_fEEDaPvRmT3_T4_T5_mT6_P12ihipStream_tbENKUlT_T0_E_clISt17integral_constantIbLb0EESW_EEDaSR_SS_EUlSR_E0_NS1_11comp_targetILNS1_3genE2ELNS1_11target_archE906ELNS1_3gpuE6ELNS1_3repE0EEENS1_30default_config_static_selectorELNS0_4arch9wavefront6targetE1EEEvT1_
    .private_segment_fixed_size: 0
    .sgpr_count:     74
    .sgpr_spill_count: 0
    .symbol:         _ZN7rocprim17ROCPRIM_400000_NS6detail17trampoline_kernelINS0_14default_configENS1_20scan_config_selectorIfEEZZNS1_9scan_implILNS1_25lookback_scan_determinismE0ELb0ELb0ES3_PKfPffZZZN2at6native31launch_logcumsumexp_cuda_kernelERKNSB_10TensorBaseESF_lENKUlvE_clEvENKUlvE0_clEvEUlffE_fEEDaPvRmT3_T4_T5_mT6_P12ihipStream_tbENKUlT_T0_E_clISt17integral_constantIbLb0EESW_EEDaSR_SS_EUlSR_E0_NS1_11comp_targetILNS1_3genE2ELNS1_11target_archE906ELNS1_3gpuE6ELNS1_3repE0EEENS1_30default_config_static_selectorELNS0_4arch9wavefront6targetE1EEEvT1_.kd
    .uniform_work_group_size: 1
    .uses_dynamic_stack: false
    .vgpr_count:     53
    .vgpr_spill_count: 0
    .wavefront_size: 64
  - .args:
      - .offset:         0
        .size:           32
        .value_kind:     by_value
    .group_segment_fixed_size: 0
    .kernarg_segment_align: 8
    .kernarg_segment_size: 32
    .language:       OpenCL C
    .language_version:
      - 2
      - 0
    .max_flat_workgroup_size: 256
    .name:           _ZN7rocprim17ROCPRIM_400000_NS6detail17trampoline_kernelINS0_14default_configENS1_20scan_config_selectorIfEEZZNS1_9scan_implILNS1_25lookback_scan_determinismE0ELb0ELb0ES3_PKfPffZZZN2at6native31launch_logcumsumexp_cuda_kernelERKNSB_10TensorBaseESF_lENKUlvE_clEvENKUlvE0_clEvEUlffE_fEEDaPvRmT3_T4_T5_mT6_P12ihipStream_tbENKUlT_T0_E_clISt17integral_constantIbLb0EESW_EEDaSR_SS_EUlSR_E0_NS1_11comp_targetILNS1_3genE10ELNS1_11target_archE1201ELNS1_3gpuE5ELNS1_3repE0EEENS1_30default_config_static_selectorELNS0_4arch9wavefront6targetE1EEEvT1_
    .private_segment_fixed_size: 0
    .sgpr_count:     4
    .sgpr_spill_count: 0
    .symbol:         _ZN7rocprim17ROCPRIM_400000_NS6detail17trampoline_kernelINS0_14default_configENS1_20scan_config_selectorIfEEZZNS1_9scan_implILNS1_25lookback_scan_determinismE0ELb0ELb0ES3_PKfPffZZZN2at6native31launch_logcumsumexp_cuda_kernelERKNSB_10TensorBaseESF_lENKUlvE_clEvENKUlvE0_clEvEUlffE_fEEDaPvRmT3_T4_T5_mT6_P12ihipStream_tbENKUlT_T0_E_clISt17integral_constantIbLb0EESW_EEDaSR_SS_EUlSR_E0_NS1_11comp_targetILNS1_3genE10ELNS1_11target_archE1201ELNS1_3gpuE5ELNS1_3repE0EEENS1_30default_config_static_selectorELNS0_4arch9wavefront6targetE1EEEvT1_.kd
    .uniform_work_group_size: 1
    .uses_dynamic_stack: false
    .vgpr_count:     0
    .vgpr_spill_count: 0
    .wavefront_size: 64
  - .args:
      - .offset:         0
        .size:           32
        .value_kind:     by_value
    .group_segment_fixed_size: 0
    .kernarg_segment_align: 8
    .kernarg_segment_size: 32
    .language:       OpenCL C
    .language_version:
      - 2
      - 0
    .max_flat_workgroup_size: 256
    .name:           _ZN7rocprim17ROCPRIM_400000_NS6detail17trampoline_kernelINS0_14default_configENS1_20scan_config_selectorIfEEZZNS1_9scan_implILNS1_25lookback_scan_determinismE0ELb0ELb0ES3_PKfPffZZZN2at6native31launch_logcumsumexp_cuda_kernelERKNSB_10TensorBaseESF_lENKUlvE_clEvENKUlvE0_clEvEUlffE_fEEDaPvRmT3_T4_T5_mT6_P12ihipStream_tbENKUlT_T0_E_clISt17integral_constantIbLb0EESW_EEDaSR_SS_EUlSR_E0_NS1_11comp_targetILNS1_3genE10ELNS1_11target_archE1200ELNS1_3gpuE4ELNS1_3repE0EEENS1_30default_config_static_selectorELNS0_4arch9wavefront6targetE1EEEvT1_
    .private_segment_fixed_size: 0
    .sgpr_count:     4
    .sgpr_spill_count: 0
    .symbol:         _ZN7rocprim17ROCPRIM_400000_NS6detail17trampoline_kernelINS0_14default_configENS1_20scan_config_selectorIfEEZZNS1_9scan_implILNS1_25lookback_scan_determinismE0ELb0ELb0ES3_PKfPffZZZN2at6native31launch_logcumsumexp_cuda_kernelERKNSB_10TensorBaseESF_lENKUlvE_clEvENKUlvE0_clEvEUlffE_fEEDaPvRmT3_T4_T5_mT6_P12ihipStream_tbENKUlT_T0_E_clISt17integral_constantIbLb0EESW_EEDaSR_SS_EUlSR_E0_NS1_11comp_targetILNS1_3genE10ELNS1_11target_archE1200ELNS1_3gpuE4ELNS1_3repE0EEENS1_30default_config_static_selectorELNS0_4arch9wavefront6targetE1EEEvT1_.kd
    .uniform_work_group_size: 1
    .uses_dynamic_stack: false
    .vgpr_count:     0
    .vgpr_spill_count: 0
    .wavefront_size: 64
  - .args:
      - .offset:         0
        .size:           32
        .value_kind:     by_value
    .group_segment_fixed_size: 0
    .kernarg_segment_align: 8
    .kernarg_segment_size: 32
    .language:       OpenCL C
    .language_version:
      - 2
      - 0
    .max_flat_workgroup_size: 256
    .name:           _ZN7rocprim17ROCPRIM_400000_NS6detail17trampoline_kernelINS0_14default_configENS1_20scan_config_selectorIfEEZZNS1_9scan_implILNS1_25lookback_scan_determinismE0ELb0ELb0ES3_PKfPffZZZN2at6native31launch_logcumsumexp_cuda_kernelERKNSB_10TensorBaseESF_lENKUlvE_clEvENKUlvE0_clEvEUlffE_fEEDaPvRmT3_T4_T5_mT6_P12ihipStream_tbENKUlT_T0_E_clISt17integral_constantIbLb0EESW_EEDaSR_SS_EUlSR_E0_NS1_11comp_targetILNS1_3genE9ELNS1_11target_archE1100ELNS1_3gpuE3ELNS1_3repE0EEENS1_30default_config_static_selectorELNS0_4arch9wavefront6targetE1EEEvT1_
    .private_segment_fixed_size: 0
    .sgpr_count:     4
    .sgpr_spill_count: 0
    .symbol:         _ZN7rocprim17ROCPRIM_400000_NS6detail17trampoline_kernelINS0_14default_configENS1_20scan_config_selectorIfEEZZNS1_9scan_implILNS1_25lookback_scan_determinismE0ELb0ELb0ES3_PKfPffZZZN2at6native31launch_logcumsumexp_cuda_kernelERKNSB_10TensorBaseESF_lENKUlvE_clEvENKUlvE0_clEvEUlffE_fEEDaPvRmT3_T4_T5_mT6_P12ihipStream_tbENKUlT_T0_E_clISt17integral_constantIbLb0EESW_EEDaSR_SS_EUlSR_E0_NS1_11comp_targetILNS1_3genE9ELNS1_11target_archE1100ELNS1_3gpuE3ELNS1_3repE0EEENS1_30default_config_static_selectorELNS0_4arch9wavefront6targetE1EEEvT1_.kd
    .uniform_work_group_size: 1
    .uses_dynamic_stack: false
    .vgpr_count:     0
    .vgpr_spill_count: 0
    .wavefront_size: 64
  - .args:
      - .offset:         0
        .size:           32
        .value_kind:     by_value
    .group_segment_fixed_size: 0
    .kernarg_segment_align: 8
    .kernarg_segment_size: 32
    .language:       OpenCL C
    .language_version:
      - 2
      - 0
    .max_flat_workgroup_size: 64
    .name:           _ZN7rocprim17ROCPRIM_400000_NS6detail17trampoline_kernelINS0_14default_configENS1_20scan_config_selectorIfEEZZNS1_9scan_implILNS1_25lookback_scan_determinismE0ELb0ELb0ES3_PKfPffZZZN2at6native31launch_logcumsumexp_cuda_kernelERKNSB_10TensorBaseESF_lENKUlvE_clEvENKUlvE0_clEvEUlffE_fEEDaPvRmT3_T4_T5_mT6_P12ihipStream_tbENKUlT_T0_E_clISt17integral_constantIbLb0EESW_EEDaSR_SS_EUlSR_E0_NS1_11comp_targetILNS1_3genE8ELNS1_11target_archE1030ELNS1_3gpuE2ELNS1_3repE0EEENS1_30default_config_static_selectorELNS0_4arch9wavefront6targetE1EEEvT1_
    .private_segment_fixed_size: 0
    .sgpr_count:     4
    .sgpr_spill_count: 0
    .symbol:         _ZN7rocprim17ROCPRIM_400000_NS6detail17trampoline_kernelINS0_14default_configENS1_20scan_config_selectorIfEEZZNS1_9scan_implILNS1_25lookback_scan_determinismE0ELb0ELb0ES3_PKfPffZZZN2at6native31launch_logcumsumexp_cuda_kernelERKNSB_10TensorBaseESF_lENKUlvE_clEvENKUlvE0_clEvEUlffE_fEEDaPvRmT3_T4_T5_mT6_P12ihipStream_tbENKUlT_T0_E_clISt17integral_constantIbLb0EESW_EEDaSR_SS_EUlSR_E0_NS1_11comp_targetILNS1_3genE8ELNS1_11target_archE1030ELNS1_3gpuE2ELNS1_3repE0EEENS1_30default_config_static_selectorELNS0_4arch9wavefront6targetE1EEEvT1_.kd
    .uniform_work_group_size: 1
    .uses_dynamic_stack: false
    .vgpr_count:     0
    .vgpr_spill_count: 0
    .wavefront_size: 64
  - .args:
      - .address_space:  global
        .offset:         0
        .size:           8
        .value_kind:     global_buffer
      - .offset:         8
        .size:           4
        .value_kind:     by_value
      - .address_space:  global
        .offset:         16
        .size:           8
        .value_kind:     global_buffer
      - .offset:         24
        .size:           4
        .value_kind:     by_value
      - .address_space:  global
        .offset:         32
        .size:           8
        .value_kind:     global_buffer
      - .offset:         40
        .size:           4
        .value_kind:     hidden_block_count_x
      - .offset:         44
        .size:           4
        .value_kind:     hidden_block_count_y
      - .offset:         48
        .size:           4
        .value_kind:     hidden_block_count_z
      - .offset:         52
        .size:           2
        .value_kind:     hidden_group_size_x
      - .offset:         54
        .size:           2
        .value_kind:     hidden_group_size_y
      - .offset:         56
        .size:           2
        .value_kind:     hidden_group_size_z
      - .offset:         58
        .size:           2
        .value_kind:     hidden_remainder_x
      - .offset:         60
        .size:           2
        .value_kind:     hidden_remainder_y
      - .offset:         62
        .size:           2
        .value_kind:     hidden_remainder_z
      - .offset:         80
        .size:           8
        .value_kind:     hidden_global_offset_x
      - .offset:         88
        .size:           8
        .value_kind:     hidden_global_offset_y
      - .offset:         96
        .size:           8
        .value_kind:     hidden_global_offset_z
      - .offset:         104
        .size:           2
        .value_kind:     hidden_grid_dims
    .group_segment_fixed_size: 0
    .kernarg_segment_align: 8
    .kernarg_segment_size: 296
    .language:       OpenCL C
    .language_version:
      - 2
      - 0
    .max_flat_workgroup_size: 256
    .name:           _ZN7rocprim17ROCPRIM_400000_NS6detail31init_lookback_scan_state_kernelINS1_19lookback_scan_stateIfLb1ELb1EEENS1_16block_id_wrapperIjLb1EEEEEvT_jT0_jPNS7_10value_typeE
    .private_segment_fixed_size: 0
    .sgpr_count:     18
    .sgpr_spill_count: 0
    .symbol:         _ZN7rocprim17ROCPRIM_400000_NS6detail31init_lookback_scan_state_kernelINS1_19lookback_scan_stateIfLb1ELb1EEENS1_16block_id_wrapperIjLb1EEEEEvT_jT0_jPNS7_10value_typeE.kd
    .uniform_work_group_size: 1
    .uses_dynamic_stack: false
    .vgpr_count:     6
    .vgpr_spill_count: 0
    .wavefront_size: 64
  - .args:
      - .offset:         0
        .size:           96
        .value_kind:     by_value
    .group_segment_fixed_size: 0
    .kernarg_segment_align: 8
    .kernarg_segment_size: 96
    .language:       OpenCL C
    .language_version:
      - 2
      - 0
    .max_flat_workgroup_size: 256
    .name:           _ZN7rocprim17ROCPRIM_400000_NS6detail17trampoline_kernelINS0_14default_configENS1_20scan_config_selectorIfEEZZNS1_9scan_implILNS1_25lookback_scan_determinismE0ELb0ELb0ES3_PKfPffZZZN2at6native31launch_logcumsumexp_cuda_kernelERKNSB_10TensorBaseESF_lENKUlvE_clEvENKUlvE0_clEvEUlffE_fEEDaPvRmT3_T4_T5_mT6_P12ihipStream_tbENKUlT_T0_E_clISt17integral_constantIbLb1EESW_EEDaSR_SS_EUlSR_E_NS1_11comp_targetILNS1_3genE0ELNS1_11target_archE4294967295ELNS1_3gpuE0ELNS1_3repE0EEENS1_30default_config_static_selectorELNS0_4arch9wavefront6targetE1EEEvT1_
    .private_segment_fixed_size: 0
    .sgpr_count:     4
    .sgpr_spill_count: 0
    .symbol:         _ZN7rocprim17ROCPRIM_400000_NS6detail17trampoline_kernelINS0_14default_configENS1_20scan_config_selectorIfEEZZNS1_9scan_implILNS1_25lookback_scan_determinismE0ELb0ELb0ES3_PKfPffZZZN2at6native31launch_logcumsumexp_cuda_kernelERKNSB_10TensorBaseESF_lENKUlvE_clEvENKUlvE0_clEvEUlffE_fEEDaPvRmT3_T4_T5_mT6_P12ihipStream_tbENKUlT_T0_E_clISt17integral_constantIbLb1EESW_EEDaSR_SS_EUlSR_E_NS1_11comp_targetILNS1_3genE0ELNS1_11target_archE4294967295ELNS1_3gpuE0ELNS1_3repE0EEENS1_30default_config_static_selectorELNS0_4arch9wavefront6targetE1EEEvT1_.kd
    .uniform_work_group_size: 1
    .uses_dynamic_stack: false
    .vgpr_count:     0
    .vgpr_spill_count: 0
    .wavefront_size: 64
  - .args:
      - .offset:         0
        .size:           96
        .value_kind:     by_value
    .group_segment_fixed_size: 0
    .kernarg_segment_align: 8
    .kernarg_segment_size: 96
    .language:       OpenCL C
    .language_version:
      - 2
      - 0
    .max_flat_workgroup_size: 256
    .name:           _ZN7rocprim17ROCPRIM_400000_NS6detail17trampoline_kernelINS0_14default_configENS1_20scan_config_selectorIfEEZZNS1_9scan_implILNS1_25lookback_scan_determinismE0ELb0ELb0ES3_PKfPffZZZN2at6native31launch_logcumsumexp_cuda_kernelERKNSB_10TensorBaseESF_lENKUlvE_clEvENKUlvE0_clEvEUlffE_fEEDaPvRmT3_T4_T5_mT6_P12ihipStream_tbENKUlT_T0_E_clISt17integral_constantIbLb1EESW_EEDaSR_SS_EUlSR_E_NS1_11comp_targetILNS1_3genE5ELNS1_11target_archE942ELNS1_3gpuE9ELNS1_3repE0EEENS1_30default_config_static_selectorELNS0_4arch9wavefront6targetE1EEEvT1_
    .private_segment_fixed_size: 0
    .sgpr_count:     4
    .sgpr_spill_count: 0
    .symbol:         _ZN7rocprim17ROCPRIM_400000_NS6detail17trampoline_kernelINS0_14default_configENS1_20scan_config_selectorIfEEZZNS1_9scan_implILNS1_25lookback_scan_determinismE0ELb0ELb0ES3_PKfPffZZZN2at6native31launch_logcumsumexp_cuda_kernelERKNSB_10TensorBaseESF_lENKUlvE_clEvENKUlvE0_clEvEUlffE_fEEDaPvRmT3_T4_T5_mT6_P12ihipStream_tbENKUlT_T0_E_clISt17integral_constantIbLb1EESW_EEDaSR_SS_EUlSR_E_NS1_11comp_targetILNS1_3genE5ELNS1_11target_archE942ELNS1_3gpuE9ELNS1_3repE0EEENS1_30default_config_static_selectorELNS0_4arch9wavefront6targetE1EEEvT1_.kd
    .uniform_work_group_size: 1
    .uses_dynamic_stack: false
    .vgpr_count:     0
    .vgpr_spill_count: 0
    .wavefront_size: 64
  - .args:
      - .offset:         0
        .size:           96
        .value_kind:     by_value
    .group_segment_fixed_size: 0
    .kernarg_segment_align: 8
    .kernarg_segment_size: 96
    .language:       OpenCL C
    .language_version:
      - 2
      - 0
    .max_flat_workgroup_size: 128
    .name:           _ZN7rocprim17ROCPRIM_400000_NS6detail17trampoline_kernelINS0_14default_configENS1_20scan_config_selectorIfEEZZNS1_9scan_implILNS1_25lookback_scan_determinismE0ELb0ELb0ES3_PKfPffZZZN2at6native31launch_logcumsumexp_cuda_kernelERKNSB_10TensorBaseESF_lENKUlvE_clEvENKUlvE0_clEvEUlffE_fEEDaPvRmT3_T4_T5_mT6_P12ihipStream_tbENKUlT_T0_E_clISt17integral_constantIbLb1EESW_EEDaSR_SS_EUlSR_E_NS1_11comp_targetILNS1_3genE4ELNS1_11target_archE910ELNS1_3gpuE8ELNS1_3repE0EEENS1_30default_config_static_selectorELNS0_4arch9wavefront6targetE1EEEvT1_
    .private_segment_fixed_size: 0
    .sgpr_count:     4
    .sgpr_spill_count: 0
    .symbol:         _ZN7rocprim17ROCPRIM_400000_NS6detail17trampoline_kernelINS0_14default_configENS1_20scan_config_selectorIfEEZZNS1_9scan_implILNS1_25lookback_scan_determinismE0ELb0ELb0ES3_PKfPffZZZN2at6native31launch_logcumsumexp_cuda_kernelERKNSB_10TensorBaseESF_lENKUlvE_clEvENKUlvE0_clEvEUlffE_fEEDaPvRmT3_T4_T5_mT6_P12ihipStream_tbENKUlT_T0_E_clISt17integral_constantIbLb1EESW_EEDaSR_SS_EUlSR_E_NS1_11comp_targetILNS1_3genE4ELNS1_11target_archE910ELNS1_3gpuE8ELNS1_3repE0EEENS1_30default_config_static_selectorELNS0_4arch9wavefront6targetE1EEEvT1_.kd
    .uniform_work_group_size: 1
    .uses_dynamic_stack: false
    .vgpr_count:     0
    .vgpr_spill_count: 0
    .wavefront_size: 64
  - .args:
      - .offset:         0
        .size:           96
        .value_kind:     by_value
    .group_segment_fixed_size: 0
    .kernarg_segment_align: 8
    .kernarg_segment_size: 96
    .language:       OpenCL C
    .language_version:
      - 2
      - 0
    .max_flat_workgroup_size: 256
    .name:           _ZN7rocprim17ROCPRIM_400000_NS6detail17trampoline_kernelINS0_14default_configENS1_20scan_config_selectorIfEEZZNS1_9scan_implILNS1_25lookback_scan_determinismE0ELb0ELb0ES3_PKfPffZZZN2at6native31launch_logcumsumexp_cuda_kernelERKNSB_10TensorBaseESF_lENKUlvE_clEvENKUlvE0_clEvEUlffE_fEEDaPvRmT3_T4_T5_mT6_P12ihipStream_tbENKUlT_T0_E_clISt17integral_constantIbLb1EESW_EEDaSR_SS_EUlSR_E_NS1_11comp_targetILNS1_3genE3ELNS1_11target_archE908ELNS1_3gpuE7ELNS1_3repE0EEENS1_30default_config_static_selectorELNS0_4arch9wavefront6targetE1EEEvT1_
    .private_segment_fixed_size: 0
    .sgpr_count:     4
    .sgpr_spill_count: 0
    .symbol:         _ZN7rocprim17ROCPRIM_400000_NS6detail17trampoline_kernelINS0_14default_configENS1_20scan_config_selectorIfEEZZNS1_9scan_implILNS1_25lookback_scan_determinismE0ELb0ELb0ES3_PKfPffZZZN2at6native31launch_logcumsumexp_cuda_kernelERKNSB_10TensorBaseESF_lENKUlvE_clEvENKUlvE0_clEvEUlffE_fEEDaPvRmT3_T4_T5_mT6_P12ihipStream_tbENKUlT_T0_E_clISt17integral_constantIbLb1EESW_EEDaSR_SS_EUlSR_E_NS1_11comp_targetILNS1_3genE3ELNS1_11target_archE908ELNS1_3gpuE7ELNS1_3repE0EEENS1_30default_config_static_selectorELNS0_4arch9wavefront6targetE1EEEvT1_.kd
    .uniform_work_group_size: 1
    .uses_dynamic_stack: false
    .vgpr_count:     0
    .vgpr_spill_count: 0
    .wavefront_size: 64
  - .args:
      - .offset:         0
        .size:           96
        .value_kind:     by_value
    .group_segment_fixed_size: 0
    .kernarg_segment_align: 8
    .kernarg_segment_size: 96
    .language:       OpenCL C
    .language_version:
      - 2
      - 0
    .max_flat_workgroup_size: 256
    .name:           _ZN7rocprim17ROCPRIM_400000_NS6detail17trampoline_kernelINS0_14default_configENS1_20scan_config_selectorIfEEZZNS1_9scan_implILNS1_25lookback_scan_determinismE0ELb0ELb0ES3_PKfPffZZZN2at6native31launch_logcumsumexp_cuda_kernelERKNSB_10TensorBaseESF_lENKUlvE_clEvENKUlvE0_clEvEUlffE_fEEDaPvRmT3_T4_T5_mT6_P12ihipStream_tbENKUlT_T0_E_clISt17integral_constantIbLb1EESW_EEDaSR_SS_EUlSR_E_NS1_11comp_targetILNS1_3genE2ELNS1_11target_archE906ELNS1_3gpuE6ELNS1_3repE0EEENS1_30default_config_static_selectorELNS0_4arch9wavefront6targetE1EEEvT1_
    .private_segment_fixed_size: 0
    .sgpr_count:     4
    .sgpr_spill_count: 0
    .symbol:         _ZN7rocprim17ROCPRIM_400000_NS6detail17trampoline_kernelINS0_14default_configENS1_20scan_config_selectorIfEEZZNS1_9scan_implILNS1_25lookback_scan_determinismE0ELb0ELb0ES3_PKfPffZZZN2at6native31launch_logcumsumexp_cuda_kernelERKNSB_10TensorBaseESF_lENKUlvE_clEvENKUlvE0_clEvEUlffE_fEEDaPvRmT3_T4_T5_mT6_P12ihipStream_tbENKUlT_T0_E_clISt17integral_constantIbLb1EESW_EEDaSR_SS_EUlSR_E_NS1_11comp_targetILNS1_3genE2ELNS1_11target_archE906ELNS1_3gpuE6ELNS1_3repE0EEENS1_30default_config_static_selectorELNS0_4arch9wavefront6targetE1EEEvT1_.kd
    .uniform_work_group_size: 1
    .uses_dynamic_stack: false
    .vgpr_count:     0
    .vgpr_spill_count: 0
    .wavefront_size: 64
  - .args:
      - .offset:         0
        .size:           96
        .value_kind:     by_value
    .group_segment_fixed_size: 0
    .kernarg_segment_align: 8
    .kernarg_segment_size: 96
    .language:       OpenCL C
    .language_version:
      - 2
      - 0
    .max_flat_workgroup_size: 256
    .name:           _ZN7rocprim17ROCPRIM_400000_NS6detail17trampoline_kernelINS0_14default_configENS1_20scan_config_selectorIfEEZZNS1_9scan_implILNS1_25lookback_scan_determinismE0ELb0ELb0ES3_PKfPffZZZN2at6native31launch_logcumsumexp_cuda_kernelERKNSB_10TensorBaseESF_lENKUlvE_clEvENKUlvE0_clEvEUlffE_fEEDaPvRmT3_T4_T5_mT6_P12ihipStream_tbENKUlT_T0_E_clISt17integral_constantIbLb1EESW_EEDaSR_SS_EUlSR_E_NS1_11comp_targetILNS1_3genE10ELNS1_11target_archE1201ELNS1_3gpuE5ELNS1_3repE0EEENS1_30default_config_static_selectorELNS0_4arch9wavefront6targetE1EEEvT1_
    .private_segment_fixed_size: 0
    .sgpr_count:     4
    .sgpr_spill_count: 0
    .symbol:         _ZN7rocprim17ROCPRIM_400000_NS6detail17trampoline_kernelINS0_14default_configENS1_20scan_config_selectorIfEEZZNS1_9scan_implILNS1_25lookback_scan_determinismE0ELb0ELb0ES3_PKfPffZZZN2at6native31launch_logcumsumexp_cuda_kernelERKNSB_10TensorBaseESF_lENKUlvE_clEvENKUlvE0_clEvEUlffE_fEEDaPvRmT3_T4_T5_mT6_P12ihipStream_tbENKUlT_T0_E_clISt17integral_constantIbLb1EESW_EEDaSR_SS_EUlSR_E_NS1_11comp_targetILNS1_3genE10ELNS1_11target_archE1201ELNS1_3gpuE5ELNS1_3repE0EEENS1_30default_config_static_selectorELNS0_4arch9wavefront6targetE1EEEvT1_.kd
    .uniform_work_group_size: 1
    .uses_dynamic_stack: false
    .vgpr_count:     0
    .vgpr_spill_count: 0
    .wavefront_size: 64
  - .args:
      - .offset:         0
        .size:           96
        .value_kind:     by_value
    .group_segment_fixed_size: 0
    .kernarg_segment_align: 8
    .kernarg_segment_size: 96
    .language:       OpenCL C
    .language_version:
      - 2
      - 0
    .max_flat_workgroup_size: 256
    .name:           _ZN7rocprim17ROCPRIM_400000_NS6detail17trampoline_kernelINS0_14default_configENS1_20scan_config_selectorIfEEZZNS1_9scan_implILNS1_25lookback_scan_determinismE0ELb0ELb0ES3_PKfPffZZZN2at6native31launch_logcumsumexp_cuda_kernelERKNSB_10TensorBaseESF_lENKUlvE_clEvENKUlvE0_clEvEUlffE_fEEDaPvRmT3_T4_T5_mT6_P12ihipStream_tbENKUlT_T0_E_clISt17integral_constantIbLb1EESW_EEDaSR_SS_EUlSR_E_NS1_11comp_targetILNS1_3genE10ELNS1_11target_archE1200ELNS1_3gpuE4ELNS1_3repE0EEENS1_30default_config_static_selectorELNS0_4arch9wavefront6targetE1EEEvT1_
    .private_segment_fixed_size: 0
    .sgpr_count:     4
    .sgpr_spill_count: 0
    .symbol:         _ZN7rocprim17ROCPRIM_400000_NS6detail17trampoline_kernelINS0_14default_configENS1_20scan_config_selectorIfEEZZNS1_9scan_implILNS1_25lookback_scan_determinismE0ELb0ELb0ES3_PKfPffZZZN2at6native31launch_logcumsumexp_cuda_kernelERKNSB_10TensorBaseESF_lENKUlvE_clEvENKUlvE0_clEvEUlffE_fEEDaPvRmT3_T4_T5_mT6_P12ihipStream_tbENKUlT_T0_E_clISt17integral_constantIbLb1EESW_EEDaSR_SS_EUlSR_E_NS1_11comp_targetILNS1_3genE10ELNS1_11target_archE1200ELNS1_3gpuE4ELNS1_3repE0EEENS1_30default_config_static_selectorELNS0_4arch9wavefront6targetE1EEEvT1_.kd
    .uniform_work_group_size: 1
    .uses_dynamic_stack: false
    .vgpr_count:     0
    .vgpr_spill_count: 0
    .wavefront_size: 64
  - .args:
      - .offset:         0
        .size:           96
        .value_kind:     by_value
    .group_segment_fixed_size: 0
    .kernarg_segment_align: 8
    .kernarg_segment_size: 96
    .language:       OpenCL C
    .language_version:
      - 2
      - 0
    .max_flat_workgroup_size: 256
    .name:           _ZN7rocprim17ROCPRIM_400000_NS6detail17trampoline_kernelINS0_14default_configENS1_20scan_config_selectorIfEEZZNS1_9scan_implILNS1_25lookback_scan_determinismE0ELb0ELb0ES3_PKfPffZZZN2at6native31launch_logcumsumexp_cuda_kernelERKNSB_10TensorBaseESF_lENKUlvE_clEvENKUlvE0_clEvEUlffE_fEEDaPvRmT3_T4_T5_mT6_P12ihipStream_tbENKUlT_T0_E_clISt17integral_constantIbLb1EESW_EEDaSR_SS_EUlSR_E_NS1_11comp_targetILNS1_3genE9ELNS1_11target_archE1100ELNS1_3gpuE3ELNS1_3repE0EEENS1_30default_config_static_selectorELNS0_4arch9wavefront6targetE1EEEvT1_
    .private_segment_fixed_size: 0
    .sgpr_count:     4
    .sgpr_spill_count: 0
    .symbol:         _ZN7rocprim17ROCPRIM_400000_NS6detail17trampoline_kernelINS0_14default_configENS1_20scan_config_selectorIfEEZZNS1_9scan_implILNS1_25lookback_scan_determinismE0ELb0ELb0ES3_PKfPffZZZN2at6native31launch_logcumsumexp_cuda_kernelERKNSB_10TensorBaseESF_lENKUlvE_clEvENKUlvE0_clEvEUlffE_fEEDaPvRmT3_T4_T5_mT6_P12ihipStream_tbENKUlT_T0_E_clISt17integral_constantIbLb1EESW_EEDaSR_SS_EUlSR_E_NS1_11comp_targetILNS1_3genE9ELNS1_11target_archE1100ELNS1_3gpuE3ELNS1_3repE0EEENS1_30default_config_static_selectorELNS0_4arch9wavefront6targetE1EEEvT1_.kd
    .uniform_work_group_size: 1
    .uses_dynamic_stack: false
    .vgpr_count:     0
    .vgpr_spill_count: 0
    .wavefront_size: 64
  - .args:
      - .offset:         0
        .size:           96
        .value_kind:     by_value
    .group_segment_fixed_size: 0
    .kernarg_segment_align: 8
    .kernarg_segment_size: 96
    .language:       OpenCL C
    .language_version:
      - 2
      - 0
    .max_flat_workgroup_size: 64
    .name:           _ZN7rocprim17ROCPRIM_400000_NS6detail17trampoline_kernelINS0_14default_configENS1_20scan_config_selectorIfEEZZNS1_9scan_implILNS1_25lookback_scan_determinismE0ELb0ELb0ES3_PKfPffZZZN2at6native31launch_logcumsumexp_cuda_kernelERKNSB_10TensorBaseESF_lENKUlvE_clEvENKUlvE0_clEvEUlffE_fEEDaPvRmT3_T4_T5_mT6_P12ihipStream_tbENKUlT_T0_E_clISt17integral_constantIbLb1EESW_EEDaSR_SS_EUlSR_E_NS1_11comp_targetILNS1_3genE8ELNS1_11target_archE1030ELNS1_3gpuE2ELNS1_3repE0EEENS1_30default_config_static_selectorELNS0_4arch9wavefront6targetE1EEEvT1_
    .private_segment_fixed_size: 0
    .sgpr_count:     4
    .sgpr_spill_count: 0
    .symbol:         _ZN7rocprim17ROCPRIM_400000_NS6detail17trampoline_kernelINS0_14default_configENS1_20scan_config_selectorIfEEZZNS1_9scan_implILNS1_25lookback_scan_determinismE0ELb0ELb0ES3_PKfPffZZZN2at6native31launch_logcumsumexp_cuda_kernelERKNSB_10TensorBaseESF_lENKUlvE_clEvENKUlvE0_clEvEUlffE_fEEDaPvRmT3_T4_T5_mT6_P12ihipStream_tbENKUlT_T0_E_clISt17integral_constantIbLb1EESW_EEDaSR_SS_EUlSR_E_NS1_11comp_targetILNS1_3genE8ELNS1_11target_archE1030ELNS1_3gpuE2ELNS1_3repE0EEENS1_30default_config_static_selectorELNS0_4arch9wavefront6targetE1EEEvT1_.kd
    .uniform_work_group_size: 1
    .uses_dynamic_stack: false
    .vgpr_count:     0
    .vgpr_spill_count: 0
    .wavefront_size: 64
  - .args:
      - .offset:         0
        .size:           32
        .value_kind:     by_value
    .group_segment_fixed_size: 0
    .kernarg_segment_align: 8
    .kernarg_segment_size: 32
    .language:       OpenCL C
    .language_version:
      - 2
      - 0
    .max_flat_workgroup_size: 256
    .name:           _ZN7rocprim17ROCPRIM_400000_NS6detail17trampoline_kernelINS0_14default_configENS1_20scan_config_selectorIfEEZZNS1_9scan_implILNS1_25lookback_scan_determinismE0ELb0ELb0ES3_PKfPffZZZN2at6native31launch_logcumsumexp_cuda_kernelERKNSB_10TensorBaseESF_lENKUlvE_clEvENKUlvE0_clEvEUlffE_fEEDaPvRmT3_T4_T5_mT6_P12ihipStream_tbENKUlT_T0_E_clISt17integral_constantIbLb1EESW_EEDaSR_SS_EUlSR_E0_NS1_11comp_targetILNS1_3genE0ELNS1_11target_archE4294967295ELNS1_3gpuE0ELNS1_3repE0EEENS1_30default_config_static_selectorELNS0_4arch9wavefront6targetE1EEEvT1_
    .private_segment_fixed_size: 0
    .sgpr_count:     4
    .sgpr_spill_count: 0
    .symbol:         _ZN7rocprim17ROCPRIM_400000_NS6detail17trampoline_kernelINS0_14default_configENS1_20scan_config_selectorIfEEZZNS1_9scan_implILNS1_25lookback_scan_determinismE0ELb0ELb0ES3_PKfPffZZZN2at6native31launch_logcumsumexp_cuda_kernelERKNSB_10TensorBaseESF_lENKUlvE_clEvENKUlvE0_clEvEUlffE_fEEDaPvRmT3_T4_T5_mT6_P12ihipStream_tbENKUlT_T0_E_clISt17integral_constantIbLb1EESW_EEDaSR_SS_EUlSR_E0_NS1_11comp_targetILNS1_3genE0ELNS1_11target_archE4294967295ELNS1_3gpuE0ELNS1_3repE0EEENS1_30default_config_static_selectorELNS0_4arch9wavefront6targetE1EEEvT1_.kd
    .uniform_work_group_size: 1
    .uses_dynamic_stack: false
    .vgpr_count:     0
    .vgpr_spill_count: 0
    .wavefront_size: 64
  - .args:
      - .offset:         0
        .size:           32
        .value_kind:     by_value
    .group_segment_fixed_size: 0
    .kernarg_segment_align: 8
    .kernarg_segment_size: 32
    .language:       OpenCL C
    .language_version:
      - 2
      - 0
    .max_flat_workgroup_size: 256
    .name:           _ZN7rocprim17ROCPRIM_400000_NS6detail17trampoline_kernelINS0_14default_configENS1_20scan_config_selectorIfEEZZNS1_9scan_implILNS1_25lookback_scan_determinismE0ELb0ELb0ES3_PKfPffZZZN2at6native31launch_logcumsumexp_cuda_kernelERKNSB_10TensorBaseESF_lENKUlvE_clEvENKUlvE0_clEvEUlffE_fEEDaPvRmT3_T4_T5_mT6_P12ihipStream_tbENKUlT_T0_E_clISt17integral_constantIbLb1EESW_EEDaSR_SS_EUlSR_E0_NS1_11comp_targetILNS1_3genE5ELNS1_11target_archE942ELNS1_3gpuE9ELNS1_3repE0EEENS1_30default_config_static_selectorELNS0_4arch9wavefront6targetE1EEEvT1_
    .private_segment_fixed_size: 0
    .sgpr_count:     4
    .sgpr_spill_count: 0
    .symbol:         _ZN7rocprim17ROCPRIM_400000_NS6detail17trampoline_kernelINS0_14default_configENS1_20scan_config_selectorIfEEZZNS1_9scan_implILNS1_25lookback_scan_determinismE0ELb0ELb0ES3_PKfPffZZZN2at6native31launch_logcumsumexp_cuda_kernelERKNSB_10TensorBaseESF_lENKUlvE_clEvENKUlvE0_clEvEUlffE_fEEDaPvRmT3_T4_T5_mT6_P12ihipStream_tbENKUlT_T0_E_clISt17integral_constantIbLb1EESW_EEDaSR_SS_EUlSR_E0_NS1_11comp_targetILNS1_3genE5ELNS1_11target_archE942ELNS1_3gpuE9ELNS1_3repE0EEENS1_30default_config_static_selectorELNS0_4arch9wavefront6targetE1EEEvT1_.kd
    .uniform_work_group_size: 1
    .uses_dynamic_stack: false
    .vgpr_count:     0
    .vgpr_spill_count: 0
    .wavefront_size: 64
  - .args:
      - .offset:         0
        .size:           32
        .value_kind:     by_value
    .group_segment_fixed_size: 0
    .kernarg_segment_align: 8
    .kernarg_segment_size: 32
    .language:       OpenCL C
    .language_version:
      - 2
      - 0
    .max_flat_workgroup_size: 128
    .name:           _ZN7rocprim17ROCPRIM_400000_NS6detail17trampoline_kernelINS0_14default_configENS1_20scan_config_selectorIfEEZZNS1_9scan_implILNS1_25lookback_scan_determinismE0ELb0ELb0ES3_PKfPffZZZN2at6native31launch_logcumsumexp_cuda_kernelERKNSB_10TensorBaseESF_lENKUlvE_clEvENKUlvE0_clEvEUlffE_fEEDaPvRmT3_T4_T5_mT6_P12ihipStream_tbENKUlT_T0_E_clISt17integral_constantIbLb1EESW_EEDaSR_SS_EUlSR_E0_NS1_11comp_targetILNS1_3genE4ELNS1_11target_archE910ELNS1_3gpuE8ELNS1_3repE0EEENS1_30default_config_static_selectorELNS0_4arch9wavefront6targetE1EEEvT1_
    .private_segment_fixed_size: 0
    .sgpr_count:     4
    .sgpr_spill_count: 0
    .symbol:         _ZN7rocprim17ROCPRIM_400000_NS6detail17trampoline_kernelINS0_14default_configENS1_20scan_config_selectorIfEEZZNS1_9scan_implILNS1_25lookback_scan_determinismE0ELb0ELb0ES3_PKfPffZZZN2at6native31launch_logcumsumexp_cuda_kernelERKNSB_10TensorBaseESF_lENKUlvE_clEvENKUlvE0_clEvEUlffE_fEEDaPvRmT3_T4_T5_mT6_P12ihipStream_tbENKUlT_T0_E_clISt17integral_constantIbLb1EESW_EEDaSR_SS_EUlSR_E0_NS1_11comp_targetILNS1_3genE4ELNS1_11target_archE910ELNS1_3gpuE8ELNS1_3repE0EEENS1_30default_config_static_selectorELNS0_4arch9wavefront6targetE1EEEvT1_.kd
    .uniform_work_group_size: 1
    .uses_dynamic_stack: false
    .vgpr_count:     0
    .vgpr_spill_count: 0
    .wavefront_size: 64
  - .args:
      - .offset:         0
        .size:           32
        .value_kind:     by_value
    .group_segment_fixed_size: 0
    .kernarg_segment_align: 8
    .kernarg_segment_size: 32
    .language:       OpenCL C
    .language_version:
      - 2
      - 0
    .max_flat_workgroup_size: 256
    .name:           _ZN7rocprim17ROCPRIM_400000_NS6detail17trampoline_kernelINS0_14default_configENS1_20scan_config_selectorIfEEZZNS1_9scan_implILNS1_25lookback_scan_determinismE0ELb0ELb0ES3_PKfPffZZZN2at6native31launch_logcumsumexp_cuda_kernelERKNSB_10TensorBaseESF_lENKUlvE_clEvENKUlvE0_clEvEUlffE_fEEDaPvRmT3_T4_T5_mT6_P12ihipStream_tbENKUlT_T0_E_clISt17integral_constantIbLb1EESW_EEDaSR_SS_EUlSR_E0_NS1_11comp_targetILNS1_3genE3ELNS1_11target_archE908ELNS1_3gpuE7ELNS1_3repE0EEENS1_30default_config_static_selectorELNS0_4arch9wavefront6targetE1EEEvT1_
    .private_segment_fixed_size: 0
    .sgpr_count:     4
    .sgpr_spill_count: 0
    .symbol:         _ZN7rocprim17ROCPRIM_400000_NS6detail17trampoline_kernelINS0_14default_configENS1_20scan_config_selectorIfEEZZNS1_9scan_implILNS1_25lookback_scan_determinismE0ELb0ELb0ES3_PKfPffZZZN2at6native31launch_logcumsumexp_cuda_kernelERKNSB_10TensorBaseESF_lENKUlvE_clEvENKUlvE0_clEvEUlffE_fEEDaPvRmT3_T4_T5_mT6_P12ihipStream_tbENKUlT_T0_E_clISt17integral_constantIbLb1EESW_EEDaSR_SS_EUlSR_E0_NS1_11comp_targetILNS1_3genE3ELNS1_11target_archE908ELNS1_3gpuE7ELNS1_3repE0EEENS1_30default_config_static_selectorELNS0_4arch9wavefront6targetE1EEEvT1_.kd
    .uniform_work_group_size: 1
    .uses_dynamic_stack: false
    .vgpr_count:     0
    .vgpr_spill_count: 0
    .wavefront_size: 64
  - .args:
      - .offset:         0
        .size:           32
        .value_kind:     by_value
    .group_segment_fixed_size: 15360
    .kernarg_segment_align: 8
    .kernarg_segment_size: 32
    .language:       OpenCL C
    .language_version:
      - 2
      - 0
    .max_flat_workgroup_size: 256
    .name:           _ZN7rocprim17ROCPRIM_400000_NS6detail17trampoline_kernelINS0_14default_configENS1_20scan_config_selectorIfEEZZNS1_9scan_implILNS1_25lookback_scan_determinismE0ELb0ELb0ES3_PKfPffZZZN2at6native31launch_logcumsumexp_cuda_kernelERKNSB_10TensorBaseESF_lENKUlvE_clEvENKUlvE0_clEvEUlffE_fEEDaPvRmT3_T4_T5_mT6_P12ihipStream_tbENKUlT_T0_E_clISt17integral_constantIbLb1EESW_EEDaSR_SS_EUlSR_E0_NS1_11comp_targetILNS1_3genE2ELNS1_11target_archE906ELNS1_3gpuE6ELNS1_3repE0EEENS1_30default_config_static_selectorELNS0_4arch9wavefront6targetE1EEEvT1_
    .private_segment_fixed_size: 0
    .sgpr_count:     74
    .sgpr_spill_count: 0
    .symbol:         _ZN7rocprim17ROCPRIM_400000_NS6detail17trampoline_kernelINS0_14default_configENS1_20scan_config_selectorIfEEZZNS1_9scan_implILNS1_25lookback_scan_determinismE0ELb0ELb0ES3_PKfPffZZZN2at6native31launch_logcumsumexp_cuda_kernelERKNSB_10TensorBaseESF_lENKUlvE_clEvENKUlvE0_clEvEUlffE_fEEDaPvRmT3_T4_T5_mT6_P12ihipStream_tbENKUlT_T0_E_clISt17integral_constantIbLb1EESW_EEDaSR_SS_EUlSR_E0_NS1_11comp_targetILNS1_3genE2ELNS1_11target_archE906ELNS1_3gpuE6ELNS1_3repE0EEENS1_30default_config_static_selectorELNS0_4arch9wavefront6targetE1EEEvT1_.kd
    .uniform_work_group_size: 1
    .uses_dynamic_stack: false
    .vgpr_count:     53
    .vgpr_spill_count: 0
    .wavefront_size: 64
  - .args:
      - .offset:         0
        .size:           32
        .value_kind:     by_value
    .group_segment_fixed_size: 0
    .kernarg_segment_align: 8
    .kernarg_segment_size: 32
    .language:       OpenCL C
    .language_version:
      - 2
      - 0
    .max_flat_workgroup_size: 256
    .name:           _ZN7rocprim17ROCPRIM_400000_NS6detail17trampoline_kernelINS0_14default_configENS1_20scan_config_selectorIfEEZZNS1_9scan_implILNS1_25lookback_scan_determinismE0ELb0ELb0ES3_PKfPffZZZN2at6native31launch_logcumsumexp_cuda_kernelERKNSB_10TensorBaseESF_lENKUlvE_clEvENKUlvE0_clEvEUlffE_fEEDaPvRmT3_T4_T5_mT6_P12ihipStream_tbENKUlT_T0_E_clISt17integral_constantIbLb1EESW_EEDaSR_SS_EUlSR_E0_NS1_11comp_targetILNS1_3genE10ELNS1_11target_archE1201ELNS1_3gpuE5ELNS1_3repE0EEENS1_30default_config_static_selectorELNS0_4arch9wavefront6targetE1EEEvT1_
    .private_segment_fixed_size: 0
    .sgpr_count:     4
    .sgpr_spill_count: 0
    .symbol:         _ZN7rocprim17ROCPRIM_400000_NS6detail17trampoline_kernelINS0_14default_configENS1_20scan_config_selectorIfEEZZNS1_9scan_implILNS1_25lookback_scan_determinismE0ELb0ELb0ES3_PKfPffZZZN2at6native31launch_logcumsumexp_cuda_kernelERKNSB_10TensorBaseESF_lENKUlvE_clEvENKUlvE0_clEvEUlffE_fEEDaPvRmT3_T4_T5_mT6_P12ihipStream_tbENKUlT_T0_E_clISt17integral_constantIbLb1EESW_EEDaSR_SS_EUlSR_E0_NS1_11comp_targetILNS1_3genE10ELNS1_11target_archE1201ELNS1_3gpuE5ELNS1_3repE0EEENS1_30default_config_static_selectorELNS0_4arch9wavefront6targetE1EEEvT1_.kd
    .uniform_work_group_size: 1
    .uses_dynamic_stack: false
    .vgpr_count:     0
    .vgpr_spill_count: 0
    .wavefront_size: 64
  - .args:
      - .offset:         0
        .size:           32
        .value_kind:     by_value
    .group_segment_fixed_size: 0
    .kernarg_segment_align: 8
    .kernarg_segment_size: 32
    .language:       OpenCL C
    .language_version:
      - 2
      - 0
    .max_flat_workgroup_size: 256
    .name:           _ZN7rocprim17ROCPRIM_400000_NS6detail17trampoline_kernelINS0_14default_configENS1_20scan_config_selectorIfEEZZNS1_9scan_implILNS1_25lookback_scan_determinismE0ELb0ELb0ES3_PKfPffZZZN2at6native31launch_logcumsumexp_cuda_kernelERKNSB_10TensorBaseESF_lENKUlvE_clEvENKUlvE0_clEvEUlffE_fEEDaPvRmT3_T4_T5_mT6_P12ihipStream_tbENKUlT_T0_E_clISt17integral_constantIbLb1EESW_EEDaSR_SS_EUlSR_E0_NS1_11comp_targetILNS1_3genE10ELNS1_11target_archE1200ELNS1_3gpuE4ELNS1_3repE0EEENS1_30default_config_static_selectorELNS0_4arch9wavefront6targetE1EEEvT1_
    .private_segment_fixed_size: 0
    .sgpr_count:     4
    .sgpr_spill_count: 0
    .symbol:         _ZN7rocprim17ROCPRIM_400000_NS6detail17trampoline_kernelINS0_14default_configENS1_20scan_config_selectorIfEEZZNS1_9scan_implILNS1_25lookback_scan_determinismE0ELb0ELb0ES3_PKfPffZZZN2at6native31launch_logcumsumexp_cuda_kernelERKNSB_10TensorBaseESF_lENKUlvE_clEvENKUlvE0_clEvEUlffE_fEEDaPvRmT3_T4_T5_mT6_P12ihipStream_tbENKUlT_T0_E_clISt17integral_constantIbLb1EESW_EEDaSR_SS_EUlSR_E0_NS1_11comp_targetILNS1_3genE10ELNS1_11target_archE1200ELNS1_3gpuE4ELNS1_3repE0EEENS1_30default_config_static_selectorELNS0_4arch9wavefront6targetE1EEEvT1_.kd
    .uniform_work_group_size: 1
    .uses_dynamic_stack: false
    .vgpr_count:     0
    .vgpr_spill_count: 0
    .wavefront_size: 64
  - .args:
      - .offset:         0
        .size:           32
        .value_kind:     by_value
    .group_segment_fixed_size: 0
    .kernarg_segment_align: 8
    .kernarg_segment_size: 32
    .language:       OpenCL C
    .language_version:
      - 2
      - 0
    .max_flat_workgroup_size: 256
    .name:           _ZN7rocprim17ROCPRIM_400000_NS6detail17trampoline_kernelINS0_14default_configENS1_20scan_config_selectorIfEEZZNS1_9scan_implILNS1_25lookback_scan_determinismE0ELb0ELb0ES3_PKfPffZZZN2at6native31launch_logcumsumexp_cuda_kernelERKNSB_10TensorBaseESF_lENKUlvE_clEvENKUlvE0_clEvEUlffE_fEEDaPvRmT3_T4_T5_mT6_P12ihipStream_tbENKUlT_T0_E_clISt17integral_constantIbLb1EESW_EEDaSR_SS_EUlSR_E0_NS1_11comp_targetILNS1_3genE9ELNS1_11target_archE1100ELNS1_3gpuE3ELNS1_3repE0EEENS1_30default_config_static_selectorELNS0_4arch9wavefront6targetE1EEEvT1_
    .private_segment_fixed_size: 0
    .sgpr_count:     4
    .sgpr_spill_count: 0
    .symbol:         _ZN7rocprim17ROCPRIM_400000_NS6detail17trampoline_kernelINS0_14default_configENS1_20scan_config_selectorIfEEZZNS1_9scan_implILNS1_25lookback_scan_determinismE0ELb0ELb0ES3_PKfPffZZZN2at6native31launch_logcumsumexp_cuda_kernelERKNSB_10TensorBaseESF_lENKUlvE_clEvENKUlvE0_clEvEUlffE_fEEDaPvRmT3_T4_T5_mT6_P12ihipStream_tbENKUlT_T0_E_clISt17integral_constantIbLb1EESW_EEDaSR_SS_EUlSR_E0_NS1_11comp_targetILNS1_3genE9ELNS1_11target_archE1100ELNS1_3gpuE3ELNS1_3repE0EEENS1_30default_config_static_selectorELNS0_4arch9wavefront6targetE1EEEvT1_.kd
    .uniform_work_group_size: 1
    .uses_dynamic_stack: false
    .vgpr_count:     0
    .vgpr_spill_count: 0
    .wavefront_size: 64
  - .args:
      - .offset:         0
        .size:           32
        .value_kind:     by_value
    .group_segment_fixed_size: 0
    .kernarg_segment_align: 8
    .kernarg_segment_size: 32
    .language:       OpenCL C
    .language_version:
      - 2
      - 0
    .max_flat_workgroup_size: 64
    .name:           _ZN7rocprim17ROCPRIM_400000_NS6detail17trampoline_kernelINS0_14default_configENS1_20scan_config_selectorIfEEZZNS1_9scan_implILNS1_25lookback_scan_determinismE0ELb0ELb0ES3_PKfPffZZZN2at6native31launch_logcumsumexp_cuda_kernelERKNSB_10TensorBaseESF_lENKUlvE_clEvENKUlvE0_clEvEUlffE_fEEDaPvRmT3_T4_T5_mT6_P12ihipStream_tbENKUlT_T0_E_clISt17integral_constantIbLb1EESW_EEDaSR_SS_EUlSR_E0_NS1_11comp_targetILNS1_3genE8ELNS1_11target_archE1030ELNS1_3gpuE2ELNS1_3repE0EEENS1_30default_config_static_selectorELNS0_4arch9wavefront6targetE1EEEvT1_
    .private_segment_fixed_size: 0
    .sgpr_count:     4
    .sgpr_spill_count: 0
    .symbol:         _ZN7rocprim17ROCPRIM_400000_NS6detail17trampoline_kernelINS0_14default_configENS1_20scan_config_selectorIfEEZZNS1_9scan_implILNS1_25lookback_scan_determinismE0ELb0ELb0ES3_PKfPffZZZN2at6native31launch_logcumsumexp_cuda_kernelERKNSB_10TensorBaseESF_lENKUlvE_clEvENKUlvE0_clEvEUlffE_fEEDaPvRmT3_T4_T5_mT6_P12ihipStream_tbENKUlT_T0_E_clISt17integral_constantIbLb1EESW_EEDaSR_SS_EUlSR_E0_NS1_11comp_targetILNS1_3genE8ELNS1_11target_archE1030ELNS1_3gpuE2ELNS1_3repE0EEENS1_30default_config_static_selectorELNS0_4arch9wavefront6targetE1EEEvT1_.kd
    .uniform_work_group_size: 1
    .uses_dynamic_stack: false
    .vgpr_count:     0
    .vgpr_spill_count: 0
    .wavefront_size: 64
  - .args:
      - .address_space:  global
        .offset:         0
        .size:           8
        .value_kind:     global_buffer
      - .offset:         8
        .size:           4
        .value_kind:     by_value
      - .offset:         12
        .size:           1
        .value_kind:     by_value
      - .offset:         16
        .size:           4
        .value_kind:     by_value
      - .address_space:  global
        .offset:         24
        .size:           8
        .value_kind:     global_buffer
      - .offset:         32
        .size:           4
        .value_kind:     hidden_block_count_x
      - .offset:         36
        .size:           4
        .value_kind:     hidden_block_count_y
      - .offset:         40
        .size:           4
        .value_kind:     hidden_block_count_z
      - .offset:         44
        .size:           2
        .value_kind:     hidden_group_size_x
      - .offset:         46
        .size:           2
        .value_kind:     hidden_group_size_y
      - .offset:         48
        .size:           2
        .value_kind:     hidden_group_size_z
      - .offset:         50
        .size:           2
        .value_kind:     hidden_remainder_x
      - .offset:         52
        .size:           2
        .value_kind:     hidden_remainder_y
      - .offset:         54
        .size:           2
        .value_kind:     hidden_remainder_z
      - .offset:         72
        .size:           8
        .value_kind:     hidden_global_offset_x
      - .offset:         80
        .size:           8
        .value_kind:     hidden_global_offset_y
      - .offset:         88
        .size:           8
        .value_kind:     hidden_global_offset_z
      - .offset:         96
        .size:           2
        .value_kind:     hidden_grid_dims
    .group_segment_fixed_size: 0
    .kernarg_segment_align: 8
    .kernarg_segment_size: 288
    .language:       OpenCL C
    .language_version:
      - 2
      - 0
    .max_flat_workgroup_size: 256
    .name:           _ZN7rocprim17ROCPRIM_400000_NS6detail31init_lookback_scan_state_kernelINS1_19lookback_scan_stateIfLb1ELb1EEENS1_16block_id_wrapperIjLb0EEEEEvT_jT0_jPNS7_10value_typeE
    .private_segment_fixed_size: 0
    .sgpr_count:     16
    .sgpr_spill_count: 0
    .symbol:         _ZN7rocprim17ROCPRIM_400000_NS6detail31init_lookback_scan_state_kernelINS1_19lookback_scan_stateIfLb1ELb1EEENS1_16block_id_wrapperIjLb0EEEEEvT_jT0_jPNS7_10value_typeE.kd
    .uniform_work_group_size: 1
    .uses_dynamic_stack: false
    .vgpr_count:     6
    .vgpr_spill_count: 0
    .wavefront_size: 64
  - .args:
      - .offset:         0
        .size:           96
        .value_kind:     by_value
    .group_segment_fixed_size: 0
    .kernarg_segment_align: 8
    .kernarg_segment_size: 96
    .language:       OpenCL C
    .language_version:
      - 2
      - 0
    .max_flat_workgroup_size: 256
    .name:           _ZN7rocprim17ROCPRIM_400000_NS6detail17trampoline_kernelINS0_14default_configENS1_20scan_config_selectorIfEEZZNS1_9scan_implILNS1_25lookback_scan_determinismE0ELb0ELb0ES3_PKfPffZZZN2at6native31launch_logcumsumexp_cuda_kernelERKNSB_10TensorBaseESF_lENKUlvE_clEvENKUlvE0_clEvEUlffE_fEEDaPvRmT3_T4_T5_mT6_P12ihipStream_tbENKUlT_T0_E_clISt17integral_constantIbLb1EESV_IbLb0EEEEDaSR_SS_EUlSR_E_NS1_11comp_targetILNS1_3genE0ELNS1_11target_archE4294967295ELNS1_3gpuE0ELNS1_3repE0EEENS1_30default_config_static_selectorELNS0_4arch9wavefront6targetE1EEEvT1_
    .private_segment_fixed_size: 0
    .sgpr_count:     4
    .sgpr_spill_count: 0
    .symbol:         _ZN7rocprim17ROCPRIM_400000_NS6detail17trampoline_kernelINS0_14default_configENS1_20scan_config_selectorIfEEZZNS1_9scan_implILNS1_25lookback_scan_determinismE0ELb0ELb0ES3_PKfPffZZZN2at6native31launch_logcumsumexp_cuda_kernelERKNSB_10TensorBaseESF_lENKUlvE_clEvENKUlvE0_clEvEUlffE_fEEDaPvRmT3_T4_T5_mT6_P12ihipStream_tbENKUlT_T0_E_clISt17integral_constantIbLb1EESV_IbLb0EEEEDaSR_SS_EUlSR_E_NS1_11comp_targetILNS1_3genE0ELNS1_11target_archE4294967295ELNS1_3gpuE0ELNS1_3repE0EEENS1_30default_config_static_selectorELNS0_4arch9wavefront6targetE1EEEvT1_.kd
    .uniform_work_group_size: 1
    .uses_dynamic_stack: false
    .vgpr_count:     0
    .vgpr_spill_count: 0
    .wavefront_size: 64
  - .args:
      - .offset:         0
        .size:           96
        .value_kind:     by_value
    .group_segment_fixed_size: 0
    .kernarg_segment_align: 8
    .kernarg_segment_size: 96
    .language:       OpenCL C
    .language_version:
      - 2
      - 0
    .max_flat_workgroup_size: 256
    .name:           _ZN7rocprim17ROCPRIM_400000_NS6detail17trampoline_kernelINS0_14default_configENS1_20scan_config_selectorIfEEZZNS1_9scan_implILNS1_25lookback_scan_determinismE0ELb0ELb0ES3_PKfPffZZZN2at6native31launch_logcumsumexp_cuda_kernelERKNSB_10TensorBaseESF_lENKUlvE_clEvENKUlvE0_clEvEUlffE_fEEDaPvRmT3_T4_T5_mT6_P12ihipStream_tbENKUlT_T0_E_clISt17integral_constantIbLb1EESV_IbLb0EEEEDaSR_SS_EUlSR_E_NS1_11comp_targetILNS1_3genE5ELNS1_11target_archE942ELNS1_3gpuE9ELNS1_3repE0EEENS1_30default_config_static_selectorELNS0_4arch9wavefront6targetE1EEEvT1_
    .private_segment_fixed_size: 0
    .sgpr_count:     4
    .sgpr_spill_count: 0
    .symbol:         _ZN7rocprim17ROCPRIM_400000_NS6detail17trampoline_kernelINS0_14default_configENS1_20scan_config_selectorIfEEZZNS1_9scan_implILNS1_25lookback_scan_determinismE0ELb0ELb0ES3_PKfPffZZZN2at6native31launch_logcumsumexp_cuda_kernelERKNSB_10TensorBaseESF_lENKUlvE_clEvENKUlvE0_clEvEUlffE_fEEDaPvRmT3_T4_T5_mT6_P12ihipStream_tbENKUlT_T0_E_clISt17integral_constantIbLb1EESV_IbLb0EEEEDaSR_SS_EUlSR_E_NS1_11comp_targetILNS1_3genE5ELNS1_11target_archE942ELNS1_3gpuE9ELNS1_3repE0EEENS1_30default_config_static_selectorELNS0_4arch9wavefront6targetE1EEEvT1_.kd
    .uniform_work_group_size: 1
    .uses_dynamic_stack: false
    .vgpr_count:     0
    .vgpr_spill_count: 0
    .wavefront_size: 64
  - .args:
      - .offset:         0
        .size:           96
        .value_kind:     by_value
    .group_segment_fixed_size: 0
    .kernarg_segment_align: 8
    .kernarg_segment_size: 96
    .language:       OpenCL C
    .language_version:
      - 2
      - 0
    .max_flat_workgroup_size: 128
    .name:           _ZN7rocprim17ROCPRIM_400000_NS6detail17trampoline_kernelINS0_14default_configENS1_20scan_config_selectorIfEEZZNS1_9scan_implILNS1_25lookback_scan_determinismE0ELb0ELb0ES3_PKfPffZZZN2at6native31launch_logcumsumexp_cuda_kernelERKNSB_10TensorBaseESF_lENKUlvE_clEvENKUlvE0_clEvEUlffE_fEEDaPvRmT3_T4_T5_mT6_P12ihipStream_tbENKUlT_T0_E_clISt17integral_constantIbLb1EESV_IbLb0EEEEDaSR_SS_EUlSR_E_NS1_11comp_targetILNS1_3genE4ELNS1_11target_archE910ELNS1_3gpuE8ELNS1_3repE0EEENS1_30default_config_static_selectorELNS0_4arch9wavefront6targetE1EEEvT1_
    .private_segment_fixed_size: 0
    .sgpr_count:     4
    .sgpr_spill_count: 0
    .symbol:         _ZN7rocprim17ROCPRIM_400000_NS6detail17trampoline_kernelINS0_14default_configENS1_20scan_config_selectorIfEEZZNS1_9scan_implILNS1_25lookback_scan_determinismE0ELb0ELb0ES3_PKfPffZZZN2at6native31launch_logcumsumexp_cuda_kernelERKNSB_10TensorBaseESF_lENKUlvE_clEvENKUlvE0_clEvEUlffE_fEEDaPvRmT3_T4_T5_mT6_P12ihipStream_tbENKUlT_T0_E_clISt17integral_constantIbLb1EESV_IbLb0EEEEDaSR_SS_EUlSR_E_NS1_11comp_targetILNS1_3genE4ELNS1_11target_archE910ELNS1_3gpuE8ELNS1_3repE0EEENS1_30default_config_static_selectorELNS0_4arch9wavefront6targetE1EEEvT1_.kd
    .uniform_work_group_size: 1
    .uses_dynamic_stack: false
    .vgpr_count:     0
    .vgpr_spill_count: 0
    .wavefront_size: 64
  - .args:
      - .offset:         0
        .size:           96
        .value_kind:     by_value
    .group_segment_fixed_size: 0
    .kernarg_segment_align: 8
    .kernarg_segment_size: 96
    .language:       OpenCL C
    .language_version:
      - 2
      - 0
    .max_flat_workgroup_size: 256
    .name:           _ZN7rocprim17ROCPRIM_400000_NS6detail17trampoline_kernelINS0_14default_configENS1_20scan_config_selectorIfEEZZNS1_9scan_implILNS1_25lookback_scan_determinismE0ELb0ELb0ES3_PKfPffZZZN2at6native31launch_logcumsumexp_cuda_kernelERKNSB_10TensorBaseESF_lENKUlvE_clEvENKUlvE0_clEvEUlffE_fEEDaPvRmT3_T4_T5_mT6_P12ihipStream_tbENKUlT_T0_E_clISt17integral_constantIbLb1EESV_IbLb0EEEEDaSR_SS_EUlSR_E_NS1_11comp_targetILNS1_3genE3ELNS1_11target_archE908ELNS1_3gpuE7ELNS1_3repE0EEENS1_30default_config_static_selectorELNS0_4arch9wavefront6targetE1EEEvT1_
    .private_segment_fixed_size: 0
    .sgpr_count:     4
    .sgpr_spill_count: 0
    .symbol:         _ZN7rocprim17ROCPRIM_400000_NS6detail17trampoline_kernelINS0_14default_configENS1_20scan_config_selectorIfEEZZNS1_9scan_implILNS1_25lookback_scan_determinismE0ELb0ELb0ES3_PKfPffZZZN2at6native31launch_logcumsumexp_cuda_kernelERKNSB_10TensorBaseESF_lENKUlvE_clEvENKUlvE0_clEvEUlffE_fEEDaPvRmT3_T4_T5_mT6_P12ihipStream_tbENKUlT_T0_E_clISt17integral_constantIbLb1EESV_IbLb0EEEEDaSR_SS_EUlSR_E_NS1_11comp_targetILNS1_3genE3ELNS1_11target_archE908ELNS1_3gpuE7ELNS1_3repE0EEENS1_30default_config_static_selectorELNS0_4arch9wavefront6targetE1EEEvT1_.kd
    .uniform_work_group_size: 1
    .uses_dynamic_stack: false
    .vgpr_count:     0
    .vgpr_spill_count: 0
    .wavefront_size: 64
  - .args:
      - .offset:         0
        .size:           96
        .value_kind:     by_value
    .group_segment_fixed_size: 0
    .kernarg_segment_align: 8
    .kernarg_segment_size: 96
    .language:       OpenCL C
    .language_version:
      - 2
      - 0
    .max_flat_workgroup_size: 256
    .name:           _ZN7rocprim17ROCPRIM_400000_NS6detail17trampoline_kernelINS0_14default_configENS1_20scan_config_selectorIfEEZZNS1_9scan_implILNS1_25lookback_scan_determinismE0ELb0ELb0ES3_PKfPffZZZN2at6native31launch_logcumsumexp_cuda_kernelERKNSB_10TensorBaseESF_lENKUlvE_clEvENKUlvE0_clEvEUlffE_fEEDaPvRmT3_T4_T5_mT6_P12ihipStream_tbENKUlT_T0_E_clISt17integral_constantIbLb1EESV_IbLb0EEEEDaSR_SS_EUlSR_E_NS1_11comp_targetILNS1_3genE2ELNS1_11target_archE906ELNS1_3gpuE6ELNS1_3repE0EEENS1_30default_config_static_selectorELNS0_4arch9wavefront6targetE1EEEvT1_
    .private_segment_fixed_size: 0
    .sgpr_count:     4
    .sgpr_spill_count: 0
    .symbol:         _ZN7rocprim17ROCPRIM_400000_NS6detail17trampoline_kernelINS0_14default_configENS1_20scan_config_selectorIfEEZZNS1_9scan_implILNS1_25lookback_scan_determinismE0ELb0ELb0ES3_PKfPffZZZN2at6native31launch_logcumsumexp_cuda_kernelERKNSB_10TensorBaseESF_lENKUlvE_clEvENKUlvE0_clEvEUlffE_fEEDaPvRmT3_T4_T5_mT6_P12ihipStream_tbENKUlT_T0_E_clISt17integral_constantIbLb1EESV_IbLb0EEEEDaSR_SS_EUlSR_E_NS1_11comp_targetILNS1_3genE2ELNS1_11target_archE906ELNS1_3gpuE6ELNS1_3repE0EEENS1_30default_config_static_selectorELNS0_4arch9wavefront6targetE1EEEvT1_.kd
    .uniform_work_group_size: 1
    .uses_dynamic_stack: false
    .vgpr_count:     0
    .vgpr_spill_count: 0
    .wavefront_size: 64
  - .args:
      - .offset:         0
        .size:           96
        .value_kind:     by_value
    .group_segment_fixed_size: 0
    .kernarg_segment_align: 8
    .kernarg_segment_size: 96
    .language:       OpenCL C
    .language_version:
      - 2
      - 0
    .max_flat_workgroup_size: 256
    .name:           _ZN7rocprim17ROCPRIM_400000_NS6detail17trampoline_kernelINS0_14default_configENS1_20scan_config_selectorIfEEZZNS1_9scan_implILNS1_25lookback_scan_determinismE0ELb0ELb0ES3_PKfPffZZZN2at6native31launch_logcumsumexp_cuda_kernelERKNSB_10TensorBaseESF_lENKUlvE_clEvENKUlvE0_clEvEUlffE_fEEDaPvRmT3_T4_T5_mT6_P12ihipStream_tbENKUlT_T0_E_clISt17integral_constantIbLb1EESV_IbLb0EEEEDaSR_SS_EUlSR_E_NS1_11comp_targetILNS1_3genE10ELNS1_11target_archE1201ELNS1_3gpuE5ELNS1_3repE0EEENS1_30default_config_static_selectorELNS0_4arch9wavefront6targetE1EEEvT1_
    .private_segment_fixed_size: 0
    .sgpr_count:     4
    .sgpr_spill_count: 0
    .symbol:         _ZN7rocprim17ROCPRIM_400000_NS6detail17trampoline_kernelINS0_14default_configENS1_20scan_config_selectorIfEEZZNS1_9scan_implILNS1_25lookback_scan_determinismE0ELb0ELb0ES3_PKfPffZZZN2at6native31launch_logcumsumexp_cuda_kernelERKNSB_10TensorBaseESF_lENKUlvE_clEvENKUlvE0_clEvEUlffE_fEEDaPvRmT3_T4_T5_mT6_P12ihipStream_tbENKUlT_T0_E_clISt17integral_constantIbLb1EESV_IbLb0EEEEDaSR_SS_EUlSR_E_NS1_11comp_targetILNS1_3genE10ELNS1_11target_archE1201ELNS1_3gpuE5ELNS1_3repE0EEENS1_30default_config_static_selectorELNS0_4arch9wavefront6targetE1EEEvT1_.kd
    .uniform_work_group_size: 1
    .uses_dynamic_stack: false
    .vgpr_count:     0
    .vgpr_spill_count: 0
    .wavefront_size: 64
  - .args:
      - .offset:         0
        .size:           96
        .value_kind:     by_value
    .group_segment_fixed_size: 0
    .kernarg_segment_align: 8
    .kernarg_segment_size: 96
    .language:       OpenCL C
    .language_version:
      - 2
      - 0
    .max_flat_workgroup_size: 256
    .name:           _ZN7rocprim17ROCPRIM_400000_NS6detail17trampoline_kernelINS0_14default_configENS1_20scan_config_selectorIfEEZZNS1_9scan_implILNS1_25lookback_scan_determinismE0ELb0ELb0ES3_PKfPffZZZN2at6native31launch_logcumsumexp_cuda_kernelERKNSB_10TensorBaseESF_lENKUlvE_clEvENKUlvE0_clEvEUlffE_fEEDaPvRmT3_T4_T5_mT6_P12ihipStream_tbENKUlT_T0_E_clISt17integral_constantIbLb1EESV_IbLb0EEEEDaSR_SS_EUlSR_E_NS1_11comp_targetILNS1_3genE10ELNS1_11target_archE1200ELNS1_3gpuE4ELNS1_3repE0EEENS1_30default_config_static_selectorELNS0_4arch9wavefront6targetE1EEEvT1_
    .private_segment_fixed_size: 0
    .sgpr_count:     4
    .sgpr_spill_count: 0
    .symbol:         _ZN7rocprim17ROCPRIM_400000_NS6detail17trampoline_kernelINS0_14default_configENS1_20scan_config_selectorIfEEZZNS1_9scan_implILNS1_25lookback_scan_determinismE0ELb0ELb0ES3_PKfPffZZZN2at6native31launch_logcumsumexp_cuda_kernelERKNSB_10TensorBaseESF_lENKUlvE_clEvENKUlvE0_clEvEUlffE_fEEDaPvRmT3_T4_T5_mT6_P12ihipStream_tbENKUlT_T0_E_clISt17integral_constantIbLb1EESV_IbLb0EEEEDaSR_SS_EUlSR_E_NS1_11comp_targetILNS1_3genE10ELNS1_11target_archE1200ELNS1_3gpuE4ELNS1_3repE0EEENS1_30default_config_static_selectorELNS0_4arch9wavefront6targetE1EEEvT1_.kd
    .uniform_work_group_size: 1
    .uses_dynamic_stack: false
    .vgpr_count:     0
    .vgpr_spill_count: 0
    .wavefront_size: 64
  - .args:
      - .offset:         0
        .size:           96
        .value_kind:     by_value
    .group_segment_fixed_size: 0
    .kernarg_segment_align: 8
    .kernarg_segment_size: 96
    .language:       OpenCL C
    .language_version:
      - 2
      - 0
    .max_flat_workgroup_size: 256
    .name:           _ZN7rocprim17ROCPRIM_400000_NS6detail17trampoline_kernelINS0_14default_configENS1_20scan_config_selectorIfEEZZNS1_9scan_implILNS1_25lookback_scan_determinismE0ELb0ELb0ES3_PKfPffZZZN2at6native31launch_logcumsumexp_cuda_kernelERKNSB_10TensorBaseESF_lENKUlvE_clEvENKUlvE0_clEvEUlffE_fEEDaPvRmT3_T4_T5_mT6_P12ihipStream_tbENKUlT_T0_E_clISt17integral_constantIbLb1EESV_IbLb0EEEEDaSR_SS_EUlSR_E_NS1_11comp_targetILNS1_3genE9ELNS1_11target_archE1100ELNS1_3gpuE3ELNS1_3repE0EEENS1_30default_config_static_selectorELNS0_4arch9wavefront6targetE1EEEvT1_
    .private_segment_fixed_size: 0
    .sgpr_count:     4
    .sgpr_spill_count: 0
    .symbol:         _ZN7rocprim17ROCPRIM_400000_NS6detail17trampoline_kernelINS0_14default_configENS1_20scan_config_selectorIfEEZZNS1_9scan_implILNS1_25lookback_scan_determinismE0ELb0ELb0ES3_PKfPffZZZN2at6native31launch_logcumsumexp_cuda_kernelERKNSB_10TensorBaseESF_lENKUlvE_clEvENKUlvE0_clEvEUlffE_fEEDaPvRmT3_T4_T5_mT6_P12ihipStream_tbENKUlT_T0_E_clISt17integral_constantIbLb1EESV_IbLb0EEEEDaSR_SS_EUlSR_E_NS1_11comp_targetILNS1_3genE9ELNS1_11target_archE1100ELNS1_3gpuE3ELNS1_3repE0EEENS1_30default_config_static_selectorELNS0_4arch9wavefront6targetE1EEEvT1_.kd
    .uniform_work_group_size: 1
    .uses_dynamic_stack: false
    .vgpr_count:     0
    .vgpr_spill_count: 0
    .wavefront_size: 64
  - .args:
      - .offset:         0
        .size:           96
        .value_kind:     by_value
    .group_segment_fixed_size: 0
    .kernarg_segment_align: 8
    .kernarg_segment_size: 96
    .language:       OpenCL C
    .language_version:
      - 2
      - 0
    .max_flat_workgroup_size: 64
    .name:           _ZN7rocprim17ROCPRIM_400000_NS6detail17trampoline_kernelINS0_14default_configENS1_20scan_config_selectorIfEEZZNS1_9scan_implILNS1_25lookback_scan_determinismE0ELb0ELb0ES3_PKfPffZZZN2at6native31launch_logcumsumexp_cuda_kernelERKNSB_10TensorBaseESF_lENKUlvE_clEvENKUlvE0_clEvEUlffE_fEEDaPvRmT3_T4_T5_mT6_P12ihipStream_tbENKUlT_T0_E_clISt17integral_constantIbLb1EESV_IbLb0EEEEDaSR_SS_EUlSR_E_NS1_11comp_targetILNS1_3genE8ELNS1_11target_archE1030ELNS1_3gpuE2ELNS1_3repE0EEENS1_30default_config_static_selectorELNS0_4arch9wavefront6targetE1EEEvT1_
    .private_segment_fixed_size: 0
    .sgpr_count:     4
    .sgpr_spill_count: 0
    .symbol:         _ZN7rocprim17ROCPRIM_400000_NS6detail17trampoline_kernelINS0_14default_configENS1_20scan_config_selectorIfEEZZNS1_9scan_implILNS1_25lookback_scan_determinismE0ELb0ELb0ES3_PKfPffZZZN2at6native31launch_logcumsumexp_cuda_kernelERKNSB_10TensorBaseESF_lENKUlvE_clEvENKUlvE0_clEvEUlffE_fEEDaPvRmT3_T4_T5_mT6_P12ihipStream_tbENKUlT_T0_E_clISt17integral_constantIbLb1EESV_IbLb0EEEEDaSR_SS_EUlSR_E_NS1_11comp_targetILNS1_3genE8ELNS1_11target_archE1030ELNS1_3gpuE2ELNS1_3repE0EEENS1_30default_config_static_selectorELNS0_4arch9wavefront6targetE1EEEvT1_.kd
    .uniform_work_group_size: 1
    .uses_dynamic_stack: false
    .vgpr_count:     0
    .vgpr_spill_count: 0
    .wavefront_size: 64
  - .args:
      - .offset:         0
        .size:           32
        .value_kind:     by_value
    .group_segment_fixed_size: 0
    .kernarg_segment_align: 8
    .kernarg_segment_size: 32
    .language:       OpenCL C
    .language_version:
      - 2
      - 0
    .max_flat_workgroup_size: 256
    .name:           _ZN7rocprim17ROCPRIM_400000_NS6detail17trampoline_kernelINS0_14default_configENS1_20scan_config_selectorIfEEZZNS1_9scan_implILNS1_25lookback_scan_determinismE0ELb0ELb0ES3_PKfPffZZZN2at6native31launch_logcumsumexp_cuda_kernelERKNSB_10TensorBaseESF_lENKUlvE_clEvENKUlvE0_clEvEUlffE_fEEDaPvRmT3_T4_T5_mT6_P12ihipStream_tbENKUlT_T0_E_clISt17integral_constantIbLb1EESV_IbLb0EEEEDaSR_SS_EUlSR_E0_NS1_11comp_targetILNS1_3genE0ELNS1_11target_archE4294967295ELNS1_3gpuE0ELNS1_3repE0EEENS1_30default_config_static_selectorELNS0_4arch9wavefront6targetE1EEEvT1_
    .private_segment_fixed_size: 0
    .sgpr_count:     4
    .sgpr_spill_count: 0
    .symbol:         _ZN7rocprim17ROCPRIM_400000_NS6detail17trampoline_kernelINS0_14default_configENS1_20scan_config_selectorIfEEZZNS1_9scan_implILNS1_25lookback_scan_determinismE0ELb0ELb0ES3_PKfPffZZZN2at6native31launch_logcumsumexp_cuda_kernelERKNSB_10TensorBaseESF_lENKUlvE_clEvENKUlvE0_clEvEUlffE_fEEDaPvRmT3_T4_T5_mT6_P12ihipStream_tbENKUlT_T0_E_clISt17integral_constantIbLb1EESV_IbLb0EEEEDaSR_SS_EUlSR_E0_NS1_11comp_targetILNS1_3genE0ELNS1_11target_archE4294967295ELNS1_3gpuE0ELNS1_3repE0EEENS1_30default_config_static_selectorELNS0_4arch9wavefront6targetE1EEEvT1_.kd
    .uniform_work_group_size: 1
    .uses_dynamic_stack: false
    .vgpr_count:     0
    .vgpr_spill_count: 0
    .wavefront_size: 64
  - .args:
      - .offset:         0
        .size:           32
        .value_kind:     by_value
    .group_segment_fixed_size: 0
    .kernarg_segment_align: 8
    .kernarg_segment_size: 32
    .language:       OpenCL C
    .language_version:
      - 2
      - 0
    .max_flat_workgroup_size: 256
    .name:           _ZN7rocprim17ROCPRIM_400000_NS6detail17trampoline_kernelINS0_14default_configENS1_20scan_config_selectorIfEEZZNS1_9scan_implILNS1_25lookback_scan_determinismE0ELb0ELb0ES3_PKfPffZZZN2at6native31launch_logcumsumexp_cuda_kernelERKNSB_10TensorBaseESF_lENKUlvE_clEvENKUlvE0_clEvEUlffE_fEEDaPvRmT3_T4_T5_mT6_P12ihipStream_tbENKUlT_T0_E_clISt17integral_constantIbLb1EESV_IbLb0EEEEDaSR_SS_EUlSR_E0_NS1_11comp_targetILNS1_3genE5ELNS1_11target_archE942ELNS1_3gpuE9ELNS1_3repE0EEENS1_30default_config_static_selectorELNS0_4arch9wavefront6targetE1EEEvT1_
    .private_segment_fixed_size: 0
    .sgpr_count:     4
    .sgpr_spill_count: 0
    .symbol:         _ZN7rocprim17ROCPRIM_400000_NS6detail17trampoline_kernelINS0_14default_configENS1_20scan_config_selectorIfEEZZNS1_9scan_implILNS1_25lookback_scan_determinismE0ELb0ELb0ES3_PKfPffZZZN2at6native31launch_logcumsumexp_cuda_kernelERKNSB_10TensorBaseESF_lENKUlvE_clEvENKUlvE0_clEvEUlffE_fEEDaPvRmT3_T4_T5_mT6_P12ihipStream_tbENKUlT_T0_E_clISt17integral_constantIbLb1EESV_IbLb0EEEEDaSR_SS_EUlSR_E0_NS1_11comp_targetILNS1_3genE5ELNS1_11target_archE942ELNS1_3gpuE9ELNS1_3repE0EEENS1_30default_config_static_selectorELNS0_4arch9wavefront6targetE1EEEvT1_.kd
    .uniform_work_group_size: 1
    .uses_dynamic_stack: false
    .vgpr_count:     0
    .vgpr_spill_count: 0
    .wavefront_size: 64
  - .args:
      - .offset:         0
        .size:           32
        .value_kind:     by_value
    .group_segment_fixed_size: 0
    .kernarg_segment_align: 8
    .kernarg_segment_size: 32
    .language:       OpenCL C
    .language_version:
      - 2
      - 0
    .max_flat_workgroup_size: 128
    .name:           _ZN7rocprim17ROCPRIM_400000_NS6detail17trampoline_kernelINS0_14default_configENS1_20scan_config_selectorIfEEZZNS1_9scan_implILNS1_25lookback_scan_determinismE0ELb0ELb0ES3_PKfPffZZZN2at6native31launch_logcumsumexp_cuda_kernelERKNSB_10TensorBaseESF_lENKUlvE_clEvENKUlvE0_clEvEUlffE_fEEDaPvRmT3_T4_T5_mT6_P12ihipStream_tbENKUlT_T0_E_clISt17integral_constantIbLb1EESV_IbLb0EEEEDaSR_SS_EUlSR_E0_NS1_11comp_targetILNS1_3genE4ELNS1_11target_archE910ELNS1_3gpuE8ELNS1_3repE0EEENS1_30default_config_static_selectorELNS0_4arch9wavefront6targetE1EEEvT1_
    .private_segment_fixed_size: 0
    .sgpr_count:     4
    .sgpr_spill_count: 0
    .symbol:         _ZN7rocprim17ROCPRIM_400000_NS6detail17trampoline_kernelINS0_14default_configENS1_20scan_config_selectorIfEEZZNS1_9scan_implILNS1_25lookback_scan_determinismE0ELb0ELb0ES3_PKfPffZZZN2at6native31launch_logcumsumexp_cuda_kernelERKNSB_10TensorBaseESF_lENKUlvE_clEvENKUlvE0_clEvEUlffE_fEEDaPvRmT3_T4_T5_mT6_P12ihipStream_tbENKUlT_T0_E_clISt17integral_constantIbLb1EESV_IbLb0EEEEDaSR_SS_EUlSR_E0_NS1_11comp_targetILNS1_3genE4ELNS1_11target_archE910ELNS1_3gpuE8ELNS1_3repE0EEENS1_30default_config_static_selectorELNS0_4arch9wavefront6targetE1EEEvT1_.kd
    .uniform_work_group_size: 1
    .uses_dynamic_stack: false
    .vgpr_count:     0
    .vgpr_spill_count: 0
    .wavefront_size: 64
  - .args:
      - .offset:         0
        .size:           32
        .value_kind:     by_value
    .group_segment_fixed_size: 0
    .kernarg_segment_align: 8
    .kernarg_segment_size: 32
    .language:       OpenCL C
    .language_version:
      - 2
      - 0
    .max_flat_workgroup_size: 256
    .name:           _ZN7rocprim17ROCPRIM_400000_NS6detail17trampoline_kernelINS0_14default_configENS1_20scan_config_selectorIfEEZZNS1_9scan_implILNS1_25lookback_scan_determinismE0ELb0ELb0ES3_PKfPffZZZN2at6native31launch_logcumsumexp_cuda_kernelERKNSB_10TensorBaseESF_lENKUlvE_clEvENKUlvE0_clEvEUlffE_fEEDaPvRmT3_T4_T5_mT6_P12ihipStream_tbENKUlT_T0_E_clISt17integral_constantIbLb1EESV_IbLb0EEEEDaSR_SS_EUlSR_E0_NS1_11comp_targetILNS1_3genE3ELNS1_11target_archE908ELNS1_3gpuE7ELNS1_3repE0EEENS1_30default_config_static_selectorELNS0_4arch9wavefront6targetE1EEEvT1_
    .private_segment_fixed_size: 0
    .sgpr_count:     4
    .sgpr_spill_count: 0
    .symbol:         _ZN7rocprim17ROCPRIM_400000_NS6detail17trampoline_kernelINS0_14default_configENS1_20scan_config_selectorIfEEZZNS1_9scan_implILNS1_25lookback_scan_determinismE0ELb0ELb0ES3_PKfPffZZZN2at6native31launch_logcumsumexp_cuda_kernelERKNSB_10TensorBaseESF_lENKUlvE_clEvENKUlvE0_clEvEUlffE_fEEDaPvRmT3_T4_T5_mT6_P12ihipStream_tbENKUlT_T0_E_clISt17integral_constantIbLb1EESV_IbLb0EEEEDaSR_SS_EUlSR_E0_NS1_11comp_targetILNS1_3genE3ELNS1_11target_archE908ELNS1_3gpuE7ELNS1_3repE0EEENS1_30default_config_static_selectorELNS0_4arch9wavefront6targetE1EEEvT1_.kd
    .uniform_work_group_size: 1
    .uses_dynamic_stack: false
    .vgpr_count:     0
    .vgpr_spill_count: 0
    .wavefront_size: 64
  - .args:
      - .offset:         0
        .size:           32
        .value_kind:     by_value
    .group_segment_fixed_size: 15360
    .kernarg_segment_align: 8
    .kernarg_segment_size: 32
    .language:       OpenCL C
    .language_version:
      - 2
      - 0
    .max_flat_workgroup_size: 256
    .name:           _ZN7rocprim17ROCPRIM_400000_NS6detail17trampoline_kernelINS0_14default_configENS1_20scan_config_selectorIfEEZZNS1_9scan_implILNS1_25lookback_scan_determinismE0ELb0ELb0ES3_PKfPffZZZN2at6native31launch_logcumsumexp_cuda_kernelERKNSB_10TensorBaseESF_lENKUlvE_clEvENKUlvE0_clEvEUlffE_fEEDaPvRmT3_T4_T5_mT6_P12ihipStream_tbENKUlT_T0_E_clISt17integral_constantIbLb1EESV_IbLb0EEEEDaSR_SS_EUlSR_E0_NS1_11comp_targetILNS1_3genE2ELNS1_11target_archE906ELNS1_3gpuE6ELNS1_3repE0EEENS1_30default_config_static_selectorELNS0_4arch9wavefront6targetE1EEEvT1_
    .private_segment_fixed_size: 0
    .sgpr_count:     74
    .sgpr_spill_count: 0
    .symbol:         _ZN7rocprim17ROCPRIM_400000_NS6detail17trampoline_kernelINS0_14default_configENS1_20scan_config_selectorIfEEZZNS1_9scan_implILNS1_25lookback_scan_determinismE0ELb0ELb0ES3_PKfPffZZZN2at6native31launch_logcumsumexp_cuda_kernelERKNSB_10TensorBaseESF_lENKUlvE_clEvENKUlvE0_clEvEUlffE_fEEDaPvRmT3_T4_T5_mT6_P12ihipStream_tbENKUlT_T0_E_clISt17integral_constantIbLb1EESV_IbLb0EEEEDaSR_SS_EUlSR_E0_NS1_11comp_targetILNS1_3genE2ELNS1_11target_archE906ELNS1_3gpuE6ELNS1_3repE0EEENS1_30default_config_static_selectorELNS0_4arch9wavefront6targetE1EEEvT1_.kd
    .uniform_work_group_size: 1
    .uses_dynamic_stack: false
    .vgpr_count:     53
    .vgpr_spill_count: 0
    .wavefront_size: 64
  - .args:
      - .offset:         0
        .size:           32
        .value_kind:     by_value
    .group_segment_fixed_size: 0
    .kernarg_segment_align: 8
    .kernarg_segment_size: 32
    .language:       OpenCL C
    .language_version:
      - 2
      - 0
    .max_flat_workgroup_size: 256
    .name:           _ZN7rocprim17ROCPRIM_400000_NS6detail17trampoline_kernelINS0_14default_configENS1_20scan_config_selectorIfEEZZNS1_9scan_implILNS1_25lookback_scan_determinismE0ELb0ELb0ES3_PKfPffZZZN2at6native31launch_logcumsumexp_cuda_kernelERKNSB_10TensorBaseESF_lENKUlvE_clEvENKUlvE0_clEvEUlffE_fEEDaPvRmT3_T4_T5_mT6_P12ihipStream_tbENKUlT_T0_E_clISt17integral_constantIbLb1EESV_IbLb0EEEEDaSR_SS_EUlSR_E0_NS1_11comp_targetILNS1_3genE10ELNS1_11target_archE1201ELNS1_3gpuE5ELNS1_3repE0EEENS1_30default_config_static_selectorELNS0_4arch9wavefront6targetE1EEEvT1_
    .private_segment_fixed_size: 0
    .sgpr_count:     4
    .sgpr_spill_count: 0
    .symbol:         _ZN7rocprim17ROCPRIM_400000_NS6detail17trampoline_kernelINS0_14default_configENS1_20scan_config_selectorIfEEZZNS1_9scan_implILNS1_25lookback_scan_determinismE0ELb0ELb0ES3_PKfPffZZZN2at6native31launch_logcumsumexp_cuda_kernelERKNSB_10TensorBaseESF_lENKUlvE_clEvENKUlvE0_clEvEUlffE_fEEDaPvRmT3_T4_T5_mT6_P12ihipStream_tbENKUlT_T0_E_clISt17integral_constantIbLb1EESV_IbLb0EEEEDaSR_SS_EUlSR_E0_NS1_11comp_targetILNS1_3genE10ELNS1_11target_archE1201ELNS1_3gpuE5ELNS1_3repE0EEENS1_30default_config_static_selectorELNS0_4arch9wavefront6targetE1EEEvT1_.kd
    .uniform_work_group_size: 1
    .uses_dynamic_stack: false
    .vgpr_count:     0
    .vgpr_spill_count: 0
    .wavefront_size: 64
  - .args:
      - .offset:         0
        .size:           32
        .value_kind:     by_value
    .group_segment_fixed_size: 0
    .kernarg_segment_align: 8
    .kernarg_segment_size: 32
    .language:       OpenCL C
    .language_version:
      - 2
      - 0
    .max_flat_workgroup_size: 256
    .name:           _ZN7rocprim17ROCPRIM_400000_NS6detail17trampoline_kernelINS0_14default_configENS1_20scan_config_selectorIfEEZZNS1_9scan_implILNS1_25lookback_scan_determinismE0ELb0ELb0ES3_PKfPffZZZN2at6native31launch_logcumsumexp_cuda_kernelERKNSB_10TensorBaseESF_lENKUlvE_clEvENKUlvE0_clEvEUlffE_fEEDaPvRmT3_T4_T5_mT6_P12ihipStream_tbENKUlT_T0_E_clISt17integral_constantIbLb1EESV_IbLb0EEEEDaSR_SS_EUlSR_E0_NS1_11comp_targetILNS1_3genE10ELNS1_11target_archE1200ELNS1_3gpuE4ELNS1_3repE0EEENS1_30default_config_static_selectorELNS0_4arch9wavefront6targetE1EEEvT1_
    .private_segment_fixed_size: 0
    .sgpr_count:     4
    .sgpr_spill_count: 0
    .symbol:         _ZN7rocprim17ROCPRIM_400000_NS6detail17trampoline_kernelINS0_14default_configENS1_20scan_config_selectorIfEEZZNS1_9scan_implILNS1_25lookback_scan_determinismE0ELb0ELb0ES3_PKfPffZZZN2at6native31launch_logcumsumexp_cuda_kernelERKNSB_10TensorBaseESF_lENKUlvE_clEvENKUlvE0_clEvEUlffE_fEEDaPvRmT3_T4_T5_mT6_P12ihipStream_tbENKUlT_T0_E_clISt17integral_constantIbLb1EESV_IbLb0EEEEDaSR_SS_EUlSR_E0_NS1_11comp_targetILNS1_3genE10ELNS1_11target_archE1200ELNS1_3gpuE4ELNS1_3repE0EEENS1_30default_config_static_selectorELNS0_4arch9wavefront6targetE1EEEvT1_.kd
    .uniform_work_group_size: 1
    .uses_dynamic_stack: false
    .vgpr_count:     0
    .vgpr_spill_count: 0
    .wavefront_size: 64
  - .args:
      - .offset:         0
        .size:           32
        .value_kind:     by_value
    .group_segment_fixed_size: 0
    .kernarg_segment_align: 8
    .kernarg_segment_size: 32
    .language:       OpenCL C
    .language_version:
      - 2
      - 0
    .max_flat_workgroup_size: 256
    .name:           _ZN7rocprim17ROCPRIM_400000_NS6detail17trampoline_kernelINS0_14default_configENS1_20scan_config_selectorIfEEZZNS1_9scan_implILNS1_25lookback_scan_determinismE0ELb0ELb0ES3_PKfPffZZZN2at6native31launch_logcumsumexp_cuda_kernelERKNSB_10TensorBaseESF_lENKUlvE_clEvENKUlvE0_clEvEUlffE_fEEDaPvRmT3_T4_T5_mT6_P12ihipStream_tbENKUlT_T0_E_clISt17integral_constantIbLb1EESV_IbLb0EEEEDaSR_SS_EUlSR_E0_NS1_11comp_targetILNS1_3genE9ELNS1_11target_archE1100ELNS1_3gpuE3ELNS1_3repE0EEENS1_30default_config_static_selectorELNS0_4arch9wavefront6targetE1EEEvT1_
    .private_segment_fixed_size: 0
    .sgpr_count:     4
    .sgpr_spill_count: 0
    .symbol:         _ZN7rocprim17ROCPRIM_400000_NS6detail17trampoline_kernelINS0_14default_configENS1_20scan_config_selectorIfEEZZNS1_9scan_implILNS1_25lookback_scan_determinismE0ELb0ELb0ES3_PKfPffZZZN2at6native31launch_logcumsumexp_cuda_kernelERKNSB_10TensorBaseESF_lENKUlvE_clEvENKUlvE0_clEvEUlffE_fEEDaPvRmT3_T4_T5_mT6_P12ihipStream_tbENKUlT_T0_E_clISt17integral_constantIbLb1EESV_IbLb0EEEEDaSR_SS_EUlSR_E0_NS1_11comp_targetILNS1_3genE9ELNS1_11target_archE1100ELNS1_3gpuE3ELNS1_3repE0EEENS1_30default_config_static_selectorELNS0_4arch9wavefront6targetE1EEEvT1_.kd
    .uniform_work_group_size: 1
    .uses_dynamic_stack: false
    .vgpr_count:     0
    .vgpr_spill_count: 0
    .wavefront_size: 64
  - .args:
      - .offset:         0
        .size:           32
        .value_kind:     by_value
    .group_segment_fixed_size: 0
    .kernarg_segment_align: 8
    .kernarg_segment_size: 32
    .language:       OpenCL C
    .language_version:
      - 2
      - 0
    .max_flat_workgroup_size: 64
    .name:           _ZN7rocprim17ROCPRIM_400000_NS6detail17trampoline_kernelINS0_14default_configENS1_20scan_config_selectorIfEEZZNS1_9scan_implILNS1_25lookback_scan_determinismE0ELb0ELb0ES3_PKfPffZZZN2at6native31launch_logcumsumexp_cuda_kernelERKNSB_10TensorBaseESF_lENKUlvE_clEvENKUlvE0_clEvEUlffE_fEEDaPvRmT3_T4_T5_mT6_P12ihipStream_tbENKUlT_T0_E_clISt17integral_constantIbLb1EESV_IbLb0EEEEDaSR_SS_EUlSR_E0_NS1_11comp_targetILNS1_3genE8ELNS1_11target_archE1030ELNS1_3gpuE2ELNS1_3repE0EEENS1_30default_config_static_selectorELNS0_4arch9wavefront6targetE1EEEvT1_
    .private_segment_fixed_size: 0
    .sgpr_count:     4
    .sgpr_spill_count: 0
    .symbol:         _ZN7rocprim17ROCPRIM_400000_NS6detail17trampoline_kernelINS0_14default_configENS1_20scan_config_selectorIfEEZZNS1_9scan_implILNS1_25lookback_scan_determinismE0ELb0ELb0ES3_PKfPffZZZN2at6native31launch_logcumsumexp_cuda_kernelERKNSB_10TensorBaseESF_lENKUlvE_clEvENKUlvE0_clEvEUlffE_fEEDaPvRmT3_T4_T5_mT6_P12ihipStream_tbENKUlT_T0_E_clISt17integral_constantIbLb1EESV_IbLb0EEEEDaSR_SS_EUlSR_E0_NS1_11comp_targetILNS1_3genE8ELNS1_11target_archE1030ELNS1_3gpuE2ELNS1_3repE0EEENS1_30default_config_static_selectorELNS0_4arch9wavefront6targetE1EEEvT1_.kd
    .uniform_work_group_size: 1
    .uses_dynamic_stack: false
    .vgpr_count:     0
    .vgpr_spill_count: 0
    .wavefront_size: 64
  - .args:
      - .address_space:  global
        .offset:         0
        .size:           8
        .value_kind:     global_buffer
      - .offset:         8
        .size:           4
        .value_kind:     by_value
      - .address_space:  global
        .offset:         16
        .size:           8
        .value_kind:     global_buffer
      - .offset:         24
        .size:           4
        .value_kind:     by_value
      - .address_space:  global
        .offset:         32
        .size:           8
        .value_kind:     global_buffer
      - .offset:         40
        .size:           4
        .value_kind:     hidden_block_count_x
      - .offset:         44
        .size:           4
        .value_kind:     hidden_block_count_y
      - .offset:         48
        .size:           4
        .value_kind:     hidden_block_count_z
      - .offset:         52
        .size:           2
        .value_kind:     hidden_group_size_x
      - .offset:         54
        .size:           2
        .value_kind:     hidden_group_size_y
      - .offset:         56
        .size:           2
        .value_kind:     hidden_group_size_z
      - .offset:         58
        .size:           2
        .value_kind:     hidden_remainder_x
      - .offset:         60
        .size:           2
        .value_kind:     hidden_remainder_y
      - .offset:         62
        .size:           2
        .value_kind:     hidden_remainder_z
      - .offset:         80
        .size:           8
        .value_kind:     hidden_global_offset_x
      - .offset:         88
        .size:           8
        .value_kind:     hidden_global_offset_y
      - .offset:         96
        .size:           8
        .value_kind:     hidden_global_offset_z
      - .offset:         104
        .size:           2
        .value_kind:     hidden_grid_dims
    .group_segment_fixed_size: 0
    .kernarg_segment_align: 8
    .kernarg_segment_size: 296
    .language:       OpenCL C
    .language_version:
      - 2
      - 0
    .max_flat_workgroup_size: 256
    .name:           _ZN7rocprim17ROCPRIM_400000_NS6detail31init_lookback_scan_state_kernelINS1_19lookback_scan_stateIfLb0ELb1EEENS1_16block_id_wrapperIjLb1EEEEEvT_jT0_jPNS7_10value_typeE
    .private_segment_fixed_size: 0
    .sgpr_count:     15
    .sgpr_spill_count: 0
    .symbol:         _ZN7rocprim17ROCPRIM_400000_NS6detail31init_lookback_scan_state_kernelINS1_19lookback_scan_stateIfLb0ELb1EEENS1_16block_id_wrapperIjLb1EEEEEvT_jT0_jPNS7_10value_typeE.kd
    .uniform_work_group_size: 1
    .uses_dynamic_stack: false
    .vgpr_count:     6
    .vgpr_spill_count: 0
    .wavefront_size: 64
  - .args:
      - .offset:         0
        .size:           96
        .value_kind:     by_value
    .group_segment_fixed_size: 0
    .kernarg_segment_align: 8
    .kernarg_segment_size: 96
    .language:       OpenCL C
    .language_version:
      - 2
      - 0
    .max_flat_workgroup_size: 256
    .name:           _ZN7rocprim17ROCPRIM_400000_NS6detail17trampoline_kernelINS0_14default_configENS1_20scan_config_selectorIfEEZZNS1_9scan_implILNS1_25lookback_scan_determinismE0ELb0ELb0ES3_PKfPffZZZN2at6native31launch_logcumsumexp_cuda_kernelERKNSB_10TensorBaseESF_lENKUlvE_clEvENKUlvE0_clEvEUlffE_fEEDaPvRmT3_T4_T5_mT6_P12ihipStream_tbENKUlT_T0_E_clISt17integral_constantIbLb0EESV_IbLb1EEEEDaSR_SS_EUlSR_E_NS1_11comp_targetILNS1_3genE0ELNS1_11target_archE4294967295ELNS1_3gpuE0ELNS1_3repE0EEENS1_30default_config_static_selectorELNS0_4arch9wavefront6targetE1EEEvT1_
    .private_segment_fixed_size: 0
    .sgpr_count:     4
    .sgpr_spill_count: 0
    .symbol:         _ZN7rocprim17ROCPRIM_400000_NS6detail17trampoline_kernelINS0_14default_configENS1_20scan_config_selectorIfEEZZNS1_9scan_implILNS1_25lookback_scan_determinismE0ELb0ELb0ES3_PKfPffZZZN2at6native31launch_logcumsumexp_cuda_kernelERKNSB_10TensorBaseESF_lENKUlvE_clEvENKUlvE0_clEvEUlffE_fEEDaPvRmT3_T4_T5_mT6_P12ihipStream_tbENKUlT_T0_E_clISt17integral_constantIbLb0EESV_IbLb1EEEEDaSR_SS_EUlSR_E_NS1_11comp_targetILNS1_3genE0ELNS1_11target_archE4294967295ELNS1_3gpuE0ELNS1_3repE0EEENS1_30default_config_static_selectorELNS0_4arch9wavefront6targetE1EEEvT1_.kd
    .uniform_work_group_size: 1
    .uses_dynamic_stack: false
    .vgpr_count:     0
    .vgpr_spill_count: 0
    .wavefront_size: 64
  - .args:
      - .offset:         0
        .size:           96
        .value_kind:     by_value
    .group_segment_fixed_size: 0
    .kernarg_segment_align: 8
    .kernarg_segment_size: 96
    .language:       OpenCL C
    .language_version:
      - 2
      - 0
    .max_flat_workgroup_size: 256
    .name:           _ZN7rocprim17ROCPRIM_400000_NS6detail17trampoline_kernelINS0_14default_configENS1_20scan_config_selectorIfEEZZNS1_9scan_implILNS1_25lookback_scan_determinismE0ELb0ELb0ES3_PKfPffZZZN2at6native31launch_logcumsumexp_cuda_kernelERKNSB_10TensorBaseESF_lENKUlvE_clEvENKUlvE0_clEvEUlffE_fEEDaPvRmT3_T4_T5_mT6_P12ihipStream_tbENKUlT_T0_E_clISt17integral_constantIbLb0EESV_IbLb1EEEEDaSR_SS_EUlSR_E_NS1_11comp_targetILNS1_3genE5ELNS1_11target_archE942ELNS1_3gpuE9ELNS1_3repE0EEENS1_30default_config_static_selectorELNS0_4arch9wavefront6targetE1EEEvT1_
    .private_segment_fixed_size: 0
    .sgpr_count:     4
    .sgpr_spill_count: 0
    .symbol:         _ZN7rocprim17ROCPRIM_400000_NS6detail17trampoline_kernelINS0_14default_configENS1_20scan_config_selectorIfEEZZNS1_9scan_implILNS1_25lookback_scan_determinismE0ELb0ELb0ES3_PKfPffZZZN2at6native31launch_logcumsumexp_cuda_kernelERKNSB_10TensorBaseESF_lENKUlvE_clEvENKUlvE0_clEvEUlffE_fEEDaPvRmT3_T4_T5_mT6_P12ihipStream_tbENKUlT_T0_E_clISt17integral_constantIbLb0EESV_IbLb1EEEEDaSR_SS_EUlSR_E_NS1_11comp_targetILNS1_3genE5ELNS1_11target_archE942ELNS1_3gpuE9ELNS1_3repE0EEENS1_30default_config_static_selectorELNS0_4arch9wavefront6targetE1EEEvT1_.kd
    .uniform_work_group_size: 1
    .uses_dynamic_stack: false
    .vgpr_count:     0
    .vgpr_spill_count: 0
    .wavefront_size: 64
  - .args:
      - .offset:         0
        .size:           96
        .value_kind:     by_value
    .group_segment_fixed_size: 0
    .kernarg_segment_align: 8
    .kernarg_segment_size: 96
    .language:       OpenCL C
    .language_version:
      - 2
      - 0
    .max_flat_workgroup_size: 128
    .name:           _ZN7rocprim17ROCPRIM_400000_NS6detail17trampoline_kernelINS0_14default_configENS1_20scan_config_selectorIfEEZZNS1_9scan_implILNS1_25lookback_scan_determinismE0ELb0ELb0ES3_PKfPffZZZN2at6native31launch_logcumsumexp_cuda_kernelERKNSB_10TensorBaseESF_lENKUlvE_clEvENKUlvE0_clEvEUlffE_fEEDaPvRmT3_T4_T5_mT6_P12ihipStream_tbENKUlT_T0_E_clISt17integral_constantIbLb0EESV_IbLb1EEEEDaSR_SS_EUlSR_E_NS1_11comp_targetILNS1_3genE4ELNS1_11target_archE910ELNS1_3gpuE8ELNS1_3repE0EEENS1_30default_config_static_selectorELNS0_4arch9wavefront6targetE1EEEvT1_
    .private_segment_fixed_size: 0
    .sgpr_count:     4
    .sgpr_spill_count: 0
    .symbol:         _ZN7rocprim17ROCPRIM_400000_NS6detail17trampoline_kernelINS0_14default_configENS1_20scan_config_selectorIfEEZZNS1_9scan_implILNS1_25lookback_scan_determinismE0ELb0ELb0ES3_PKfPffZZZN2at6native31launch_logcumsumexp_cuda_kernelERKNSB_10TensorBaseESF_lENKUlvE_clEvENKUlvE0_clEvEUlffE_fEEDaPvRmT3_T4_T5_mT6_P12ihipStream_tbENKUlT_T0_E_clISt17integral_constantIbLb0EESV_IbLb1EEEEDaSR_SS_EUlSR_E_NS1_11comp_targetILNS1_3genE4ELNS1_11target_archE910ELNS1_3gpuE8ELNS1_3repE0EEENS1_30default_config_static_selectorELNS0_4arch9wavefront6targetE1EEEvT1_.kd
    .uniform_work_group_size: 1
    .uses_dynamic_stack: false
    .vgpr_count:     0
    .vgpr_spill_count: 0
    .wavefront_size: 64
  - .args:
      - .offset:         0
        .size:           96
        .value_kind:     by_value
    .group_segment_fixed_size: 0
    .kernarg_segment_align: 8
    .kernarg_segment_size: 96
    .language:       OpenCL C
    .language_version:
      - 2
      - 0
    .max_flat_workgroup_size: 256
    .name:           _ZN7rocprim17ROCPRIM_400000_NS6detail17trampoline_kernelINS0_14default_configENS1_20scan_config_selectorIfEEZZNS1_9scan_implILNS1_25lookback_scan_determinismE0ELb0ELb0ES3_PKfPffZZZN2at6native31launch_logcumsumexp_cuda_kernelERKNSB_10TensorBaseESF_lENKUlvE_clEvENKUlvE0_clEvEUlffE_fEEDaPvRmT3_T4_T5_mT6_P12ihipStream_tbENKUlT_T0_E_clISt17integral_constantIbLb0EESV_IbLb1EEEEDaSR_SS_EUlSR_E_NS1_11comp_targetILNS1_3genE3ELNS1_11target_archE908ELNS1_3gpuE7ELNS1_3repE0EEENS1_30default_config_static_selectorELNS0_4arch9wavefront6targetE1EEEvT1_
    .private_segment_fixed_size: 0
    .sgpr_count:     4
    .sgpr_spill_count: 0
    .symbol:         _ZN7rocprim17ROCPRIM_400000_NS6detail17trampoline_kernelINS0_14default_configENS1_20scan_config_selectorIfEEZZNS1_9scan_implILNS1_25lookback_scan_determinismE0ELb0ELb0ES3_PKfPffZZZN2at6native31launch_logcumsumexp_cuda_kernelERKNSB_10TensorBaseESF_lENKUlvE_clEvENKUlvE0_clEvEUlffE_fEEDaPvRmT3_T4_T5_mT6_P12ihipStream_tbENKUlT_T0_E_clISt17integral_constantIbLb0EESV_IbLb1EEEEDaSR_SS_EUlSR_E_NS1_11comp_targetILNS1_3genE3ELNS1_11target_archE908ELNS1_3gpuE7ELNS1_3repE0EEENS1_30default_config_static_selectorELNS0_4arch9wavefront6targetE1EEEvT1_.kd
    .uniform_work_group_size: 1
    .uses_dynamic_stack: false
    .vgpr_count:     0
    .vgpr_spill_count: 0
    .wavefront_size: 64
  - .args:
      - .offset:         0
        .size:           96
        .value_kind:     by_value
    .group_segment_fixed_size: 15360
    .kernarg_segment_align: 8
    .kernarg_segment_size: 96
    .language:       OpenCL C
    .language_version:
      - 2
      - 0
    .max_flat_workgroup_size: 256
    .name:           _ZN7rocprim17ROCPRIM_400000_NS6detail17trampoline_kernelINS0_14default_configENS1_20scan_config_selectorIfEEZZNS1_9scan_implILNS1_25lookback_scan_determinismE0ELb0ELb0ES3_PKfPffZZZN2at6native31launch_logcumsumexp_cuda_kernelERKNSB_10TensorBaseESF_lENKUlvE_clEvENKUlvE0_clEvEUlffE_fEEDaPvRmT3_T4_T5_mT6_P12ihipStream_tbENKUlT_T0_E_clISt17integral_constantIbLb0EESV_IbLb1EEEEDaSR_SS_EUlSR_E_NS1_11comp_targetILNS1_3genE2ELNS1_11target_archE906ELNS1_3gpuE6ELNS1_3repE0EEENS1_30default_config_static_selectorELNS0_4arch9wavefront6targetE1EEEvT1_
    .private_segment_fixed_size: 0
    .sgpr_count:     78
    .sgpr_spill_count: 0
    .symbol:         _ZN7rocprim17ROCPRIM_400000_NS6detail17trampoline_kernelINS0_14default_configENS1_20scan_config_selectorIfEEZZNS1_9scan_implILNS1_25lookback_scan_determinismE0ELb0ELb0ES3_PKfPffZZZN2at6native31launch_logcumsumexp_cuda_kernelERKNSB_10TensorBaseESF_lENKUlvE_clEvENKUlvE0_clEvEUlffE_fEEDaPvRmT3_T4_T5_mT6_P12ihipStream_tbENKUlT_T0_E_clISt17integral_constantIbLb0EESV_IbLb1EEEEDaSR_SS_EUlSR_E_NS1_11comp_targetILNS1_3genE2ELNS1_11target_archE906ELNS1_3gpuE6ELNS1_3repE0EEENS1_30default_config_static_selectorELNS0_4arch9wavefront6targetE1EEEvT1_.kd
    .uniform_work_group_size: 1
    .uses_dynamic_stack: false
    .vgpr_count:     71
    .vgpr_spill_count: 0
    .wavefront_size: 64
  - .args:
      - .offset:         0
        .size:           96
        .value_kind:     by_value
    .group_segment_fixed_size: 0
    .kernarg_segment_align: 8
    .kernarg_segment_size: 96
    .language:       OpenCL C
    .language_version:
      - 2
      - 0
    .max_flat_workgroup_size: 256
    .name:           _ZN7rocprim17ROCPRIM_400000_NS6detail17trampoline_kernelINS0_14default_configENS1_20scan_config_selectorIfEEZZNS1_9scan_implILNS1_25lookback_scan_determinismE0ELb0ELb0ES3_PKfPffZZZN2at6native31launch_logcumsumexp_cuda_kernelERKNSB_10TensorBaseESF_lENKUlvE_clEvENKUlvE0_clEvEUlffE_fEEDaPvRmT3_T4_T5_mT6_P12ihipStream_tbENKUlT_T0_E_clISt17integral_constantIbLb0EESV_IbLb1EEEEDaSR_SS_EUlSR_E_NS1_11comp_targetILNS1_3genE10ELNS1_11target_archE1201ELNS1_3gpuE5ELNS1_3repE0EEENS1_30default_config_static_selectorELNS0_4arch9wavefront6targetE1EEEvT1_
    .private_segment_fixed_size: 0
    .sgpr_count:     4
    .sgpr_spill_count: 0
    .symbol:         _ZN7rocprim17ROCPRIM_400000_NS6detail17trampoline_kernelINS0_14default_configENS1_20scan_config_selectorIfEEZZNS1_9scan_implILNS1_25lookback_scan_determinismE0ELb0ELb0ES3_PKfPffZZZN2at6native31launch_logcumsumexp_cuda_kernelERKNSB_10TensorBaseESF_lENKUlvE_clEvENKUlvE0_clEvEUlffE_fEEDaPvRmT3_T4_T5_mT6_P12ihipStream_tbENKUlT_T0_E_clISt17integral_constantIbLb0EESV_IbLb1EEEEDaSR_SS_EUlSR_E_NS1_11comp_targetILNS1_3genE10ELNS1_11target_archE1201ELNS1_3gpuE5ELNS1_3repE0EEENS1_30default_config_static_selectorELNS0_4arch9wavefront6targetE1EEEvT1_.kd
    .uniform_work_group_size: 1
    .uses_dynamic_stack: false
    .vgpr_count:     0
    .vgpr_spill_count: 0
    .wavefront_size: 64
  - .args:
      - .offset:         0
        .size:           96
        .value_kind:     by_value
    .group_segment_fixed_size: 0
    .kernarg_segment_align: 8
    .kernarg_segment_size: 96
    .language:       OpenCL C
    .language_version:
      - 2
      - 0
    .max_flat_workgroup_size: 256
    .name:           _ZN7rocprim17ROCPRIM_400000_NS6detail17trampoline_kernelINS0_14default_configENS1_20scan_config_selectorIfEEZZNS1_9scan_implILNS1_25lookback_scan_determinismE0ELb0ELb0ES3_PKfPffZZZN2at6native31launch_logcumsumexp_cuda_kernelERKNSB_10TensorBaseESF_lENKUlvE_clEvENKUlvE0_clEvEUlffE_fEEDaPvRmT3_T4_T5_mT6_P12ihipStream_tbENKUlT_T0_E_clISt17integral_constantIbLb0EESV_IbLb1EEEEDaSR_SS_EUlSR_E_NS1_11comp_targetILNS1_3genE10ELNS1_11target_archE1200ELNS1_3gpuE4ELNS1_3repE0EEENS1_30default_config_static_selectorELNS0_4arch9wavefront6targetE1EEEvT1_
    .private_segment_fixed_size: 0
    .sgpr_count:     4
    .sgpr_spill_count: 0
    .symbol:         _ZN7rocprim17ROCPRIM_400000_NS6detail17trampoline_kernelINS0_14default_configENS1_20scan_config_selectorIfEEZZNS1_9scan_implILNS1_25lookback_scan_determinismE0ELb0ELb0ES3_PKfPffZZZN2at6native31launch_logcumsumexp_cuda_kernelERKNSB_10TensorBaseESF_lENKUlvE_clEvENKUlvE0_clEvEUlffE_fEEDaPvRmT3_T4_T5_mT6_P12ihipStream_tbENKUlT_T0_E_clISt17integral_constantIbLb0EESV_IbLb1EEEEDaSR_SS_EUlSR_E_NS1_11comp_targetILNS1_3genE10ELNS1_11target_archE1200ELNS1_3gpuE4ELNS1_3repE0EEENS1_30default_config_static_selectorELNS0_4arch9wavefront6targetE1EEEvT1_.kd
    .uniform_work_group_size: 1
    .uses_dynamic_stack: false
    .vgpr_count:     0
    .vgpr_spill_count: 0
    .wavefront_size: 64
  - .args:
      - .offset:         0
        .size:           96
        .value_kind:     by_value
    .group_segment_fixed_size: 0
    .kernarg_segment_align: 8
    .kernarg_segment_size: 96
    .language:       OpenCL C
    .language_version:
      - 2
      - 0
    .max_flat_workgroup_size: 256
    .name:           _ZN7rocprim17ROCPRIM_400000_NS6detail17trampoline_kernelINS0_14default_configENS1_20scan_config_selectorIfEEZZNS1_9scan_implILNS1_25lookback_scan_determinismE0ELb0ELb0ES3_PKfPffZZZN2at6native31launch_logcumsumexp_cuda_kernelERKNSB_10TensorBaseESF_lENKUlvE_clEvENKUlvE0_clEvEUlffE_fEEDaPvRmT3_T4_T5_mT6_P12ihipStream_tbENKUlT_T0_E_clISt17integral_constantIbLb0EESV_IbLb1EEEEDaSR_SS_EUlSR_E_NS1_11comp_targetILNS1_3genE9ELNS1_11target_archE1100ELNS1_3gpuE3ELNS1_3repE0EEENS1_30default_config_static_selectorELNS0_4arch9wavefront6targetE1EEEvT1_
    .private_segment_fixed_size: 0
    .sgpr_count:     4
    .sgpr_spill_count: 0
    .symbol:         _ZN7rocprim17ROCPRIM_400000_NS6detail17trampoline_kernelINS0_14default_configENS1_20scan_config_selectorIfEEZZNS1_9scan_implILNS1_25lookback_scan_determinismE0ELb0ELb0ES3_PKfPffZZZN2at6native31launch_logcumsumexp_cuda_kernelERKNSB_10TensorBaseESF_lENKUlvE_clEvENKUlvE0_clEvEUlffE_fEEDaPvRmT3_T4_T5_mT6_P12ihipStream_tbENKUlT_T0_E_clISt17integral_constantIbLb0EESV_IbLb1EEEEDaSR_SS_EUlSR_E_NS1_11comp_targetILNS1_3genE9ELNS1_11target_archE1100ELNS1_3gpuE3ELNS1_3repE0EEENS1_30default_config_static_selectorELNS0_4arch9wavefront6targetE1EEEvT1_.kd
    .uniform_work_group_size: 1
    .uses_dynamic_stack: false
    .vgpr_count:     0
    .vgpr_spill_count: 0
    .wavefront_size: 64
  - .args:
      - .offset:         0
        .size:           96
        .value_kind:     by_value
    .group_segment_fixed_size: 0
    .kernarg_segment_align: 8
    .kernarg_segment_size: 96
    .language:       OpenCL C
    .language_version:
      - 2
      - 0
    .max_flat_workgroup_size: 64
    .name:           _ZN7rocprim17ROCPRIM_400000_NS6detail17trampoline_kernelINS0_14default_configENS1_20scan_config_selectorIfEEZZNS1_9scan_implILNS1_25lookback_scan_determinismE0ELb0ELb0ES3_PKfPffZZZN2at6native31launch_logcumsumexp_cuda_kernelERKNSB_10TensorBaseESF_lENKUlvE_clEvENKUlvE0_clEvEUlffE_fEEDaPvRmT3_T4_T5_mT6_P12ihipStream_tbENKUlT_T0_E_clISt17integral_constantIbLb0EESV_IbLb1EEEEDaSR_SS_EUlSR_E_NS1_11comp_targetILNS1_3genE8ELNS1_11target_archE1030ELNS1_3gpuE2ELNS1_3repE0EEENS1_30default_config_static_selectorELNS0_4arch9wavefront6targetE1EEEvT1_
    .private_segment_fixed_size: 0
    .sgpr_count:     4
    .sgpr_spill_count: 0
    .symbol:         _ZN7rocprim17ROCPRIM_400000_NS6detail17trampoline_kernelINS0_14default_configENS1_20scan_config_selectorIfEEZZNS1_9scan_implILNS1_25lookback_scan_determinismE0ELb0ELb0ES3_PKfPffZZZN2at6native31launch_logcumsumexp_cuda_kernelERKNSB_10TensorBaseESF_lENKUlvE_clEvENKUlvE0_clEvEUlffE_fEEDaPvRmT3_T4_T5_mT6_P12ihipStream_tbENKUlT_T0_E_clISt17integral_constantIbLb0EESV_IbLb1EEEEDaSR_SS_EUlSR_E_NS1_11comp_targetILNS1_3genE8ELNS1_11target_archE1030ELNS1_3gpuE2ELNS1_3repE0EEENS1_30default_config_static_selectorELNS0_4arch9wavefront6targetE1EEEvT1_.kd
    .uniform_work_group_size: 1
    .uses_dynamic_stack: false
    .vgpr_count:     0
    .vgpr_spill_count: 0
    .wavefront_size: 64
  - .args:
      - .offset:         0
        .size:           32
        .value_kind:     by_value
    .group_segment_fixed_size: 0
    .kernarg_segment_align: 8
    .kernarg_segment_size: 32
    .language:       OpenCL C
    .language_version:
      - 2
      - 0
    .max_flat_workgroup_size: 256
    .name:           _ZN7rocprim17ROCPRIM_400000_NS6detail17trampoline_kernelINS0_14default_configENS1_20scan_config_selectorIfEEZZNS1_9scan_implILNS1_25lookback_scan_determinismE0ELb0ELb0ES3_PKfPffZZZN2at6native31launch_logcumsumexp_cuda_kernelERKNSB_10TensorBaseESF_lENKUlvE_clEvENKUlvE0_clEvEUlffE_fEEDaPvRmT3_T4_T5_mT6_P12ihipStream_tbENKUlT_T0_E_clISt17integral_constantIbLb0EESV_IbLb1EEEEDaSR_SS_EUlSR_E0_NS1_11comp_targetILNS1_3genE0ELNS1_11target_archE4294967295ELNS1_3gpuE0ELNS1_3repE0EEENS1_30default_config_static_selectorELNS0_4arch9wavefront6targetE1EEEvT1_
    .private_segment_fixed_size: 0
    .sgpr_count:     4
    .sgpr_spill_count: 0
    .symbol:         _ZN7rocprim17ROCPRIM_400000_NS6detail17trampoline_kernelINS0_14default_configENS1_20scan_config_selectorIfEEZZNS1_9scan_implILNS1_25lookback_scan_determinismE0ELb0ELb0ES3_PKfPffZZZN2at6native31launch_logcumsumexp_cuda_kernelERKNSB_10TensorBaseESF_lENKUlvE_clEvENKUlvE0_clEvEUlffE_fEEDaPvRmT3_T4_T5_mT6_P12ihipStream_tbENKUlT_T0_E_clISt17integral_constantIbLb0EESV_IbLb1EEEEDaSR_SS_EUlSR_E0_NS1_11comp_targetILNS1_3genE0ELNS1_11target_archE4294967295ELNS1_3gpuE0ELNS1_3repE0EEENS1_30default_config_static_selectorELNS0_4arch9wavefront6targetE1EEEvT1_.kd
    .uniform_work_group_size: 1
    .uses_dynamic_stack: false
    .vgpr_count:     0
    .vgpr_spill_count: 0
    .wavefront_size: 64
  - .args:
      - .offset:         0
        .size:           32
        .value_kind:     by_value
    .group_segment_fixed_size: 0
    .kernarg_segment_align: 8
    .kernarg_segment_size: 32
    .language:       OpenCL C
    .language_version:
      - 2
      - 0
    .max_flat_workgroup_size: 256
    .name:           _ZN7rocprim17ROCPRIM_400000_NS6detail17trampoline_kernelINS0_14default_configENS1_20scan_config_selectorIfEEZZNS1_9scan_implILNS1_25lookback_scan_determinismE0ELb0ELb0ES3_PKfPffZZZN2at6native31launch_logcumsumexp_cuda_kernelERKNSB_10TensorBaseESF_lENKUlvE_clEvENKUlvE0_clEvEUlffE_fEEDaPvRmT3_T4_T5_mT6_P12ihipStream_tbENKUlT_T0_E_clISt17integral_constantIbLb0EESV_IbLb1EEEEDaSR_SS_EUlSR_E0_NS1_11comp_targetILNS1_3genE5ELNS1_11target_archE942ELNS1_3gpuE9ELNS1_3repE0EEENS1_30default_config_static_selectorELNS0_4arch9wavefront6targetE1EEEvT1_
    .private_segment_fixed_size: 0
    .sgpr_count:     4
    .sgpr_spill_count: 0
    .symbol:         _ZN7rocprim17ROCPRIM_400000_NS6detail17trampoline_kernelINS0_14default_configENS1_20scan_config_selectorIfEEZZNS1_9scan_implILNS1_25lookback_scan_determinismE0ELb0ELb0ES3_PKfPffZZZN2at6native31launch_logcumsumexp_cuda_kernelERKNSB_10TensorBaseESF_lENKUlvE_clEvENKUlvE0_clEvEUlffE_fEEDaPvRmT3_T4_T5_mT6_P12ihipStream_tbENKUlT_T0_E_clISt17integral_constantIbLb0EESV_IbLb1EEEEDaSR_SS_EUlSR_E0_NS1_11comp_targetILNS1_3genE5ELNS1_11target_archE942ELNS1_3gpuE9ELNS1_3repE0EEENS1_30default_config_static_selectorELNS0_4arch9wavefront6targetE1EEEvT1_.kd
    .uniform_work_group_size: 1
    .uses_dynamic_stack: false
    .vgpr_count:     0
    .vgpr_spill_count: 0
    .wavefront_size: 64
  - .args:
      - .offset:         0
        .size:           32
        .value_kind:     by_value
    .group_segment_fixed_size: 0
    .kernarg_segment_align: 8
    .kernarg_segment_size: 32
    .language:       OpenCL C
    .language_version:
      - 2
      - 0
    .max_flat_workgroup_size: 128
    .name:           _ZN7rocprim17ROCPRIM_400000_NS6detail17trampoline_kernelINS0_14default_configENS1_20scan_config_selectorIfEEZZNS1_9scan_implILNS1_25lookback_scan_determinismE0ELb0ELb0ES3_PKfPffZZZN2at6native31launch_logcumsumexp_cuda_kernelERKNSB_10TensorBaseESF_lENKUlvE_clEvENKUlvE0_clEvEUlffE_fEEDaPvRmT3_T4_T5_mT6_P12ihipStream_tbENKUlT_T0_E_clISt17integral_constantIbLb0EESV_IbLb1EEEEDaSR_SS_EUlSR_E0_NS1_11comp_targetILNS1_3genE4ELNS1_11target_archE910ELNS1_3gpuE8ELNS1_3repE0EEENS1_30default_config_static_selectorELNS0_4arch9wavefront6targetE1EEEvT1_
    .private_segment_fixed_size: 0
    .sgpr_count:     4
    .sgpr_spill_count: 0
    .symbol:         _ZN7rocprim17ROCPRIM_400000_NS6detail17trampoline_kernelINS0_14default_configENS1_20scan_config_selectorIfEEZZNS1_9scan_implILNS1_25lookback_scan_determinismE0ELb0ELb0ES3_PKfPffZZZN2at6native31launch_logcumsumexp_cuda_kernelERKNSB_10TensorBaseESF_lENKUlvE_clEvENKUlvE0_clEvEUlffE_fEEDaPvRmT3_T4_T5_mT6_P12ihipStream_tbENKUlT_T0_E_clISt17integral_constantIbLb0EESV_IbLb1EEEEDaSR_SS_EUlSR_E0_NS1_11comp_targetILNS1_3genE4ELNS1_11target_archE910ELNS1_3gpuE8ELNS1_3repE0EEENS1_30default_config_static_selectorELNS0_4arch9wavefront6targetE1EEEvT1_.kd
    .uniform_work_group_size: 1
    .uses_dynamic_stack: false
    .vgpr_count:     0
    .vgpr_spill_count: 0
    .wavefront_size: 64
  - .args:
      - .offset:         0
        .size:           32
        .value_kind:     by_value
    .group_segment_fixed_size: 0
    .kernarg_segment_align: 8
    .kernarg_segment_size: 32
    .language:       OpenCL C
    .language_version:
      - 2
      - 0
    .max_flat_workgroup_size: 256
    .name:           _ZN7rocprim17ROCPRIM_400000_NS6detail17trampoline_kernelINS0_14default_configENS1_20scan_config_selectorIfEEZZNS1_9scan_implILNS1_25lookback_scan_determinismE0ELb0ELb0ES3_PKfPffZZZN2at6native31launch_logcumsumexp_cuda_kernelERKNSB_10TensorBaseESF_lENKUlvE_clEvENKUlvE0_clEvEUlffE_fEEDaPvRmT3_T4_T5_mT6_P12ihipStream_tbENKUlT_T0_E_clISt17integral_constantIbLb0EESV_IbLb1EEEEDaSR_SS_EUlSR_E0_NS1_11comp_targetILNS1_3genE3ELNS1_11target_archE908ELNS1_3gpuE7ELNS1_3repE0EEENS1_30default_config_static_selectorELNS0_4arch9wavefront6targetE1EEEvT1_
    .private_segment_fixed_size: 0
    .sgpr_count:     4
    .sgpr_spill_count: 0
    .symbol:         _ZN7rocprim17ROCPRIM_400000_NS6detail17trampoline_kernelINS0_14default_configENS1_20scan_config_selectorIfEEZZNS1_9scan_implILNS1_25lookback_scan_determinismE0ELb0ELb0ES3_PKfPffZZZN2at6native31launch_logcumsumexp_cuda_kernelERKNSB_10TensorBaseESF_lENKUlvE_clEvENKUlvE0_clEvEUlffE_fEEDaPvRmT3_T4_T5_mT6_P12ihipStream_tbENKUlT_T0_E_clISt17integral_constantIbLb0EESV_IbLb1EEEEDaSR_SS_EUlSR_E0_NS1_11comp_targetILNS1_3genE3ELNS1_11target_archE908ELNS1_3gpuE7ELNS1_3repE0EEENS1_30default_config_static_selectorELNS0_4arch9wavefront6targetE1EEEvT1_.kd
    .uniform_work_group_size: 1
    .uses_dynamic_stack: false
    .vgpr_count:     0
    .vgpr_spill_count: 0
    .wavefront_size: 64
  - .args:
      - .offset:         0
        .size:           32
        .value_kind:     by_value
    .group_segment_fixed_size: 15360
    .kernarg_segment_align: 8
    .kernarg_segment_size: 32
    .language:       OpenCL C
    .language_version:
      - 2
      - 0
    .max_flat_workgroup_size: 256
    .name:           _ZN7rocprim17ROCPRIM_400000_NS6detail17trampoline_kernelINS0_14default_configENS1_20scan_config_selectorIfEEZZNS1_9scan_implILNS1_25lookback_scan_determinismE0ELb0ELb0ES3_PKfPffZZZN2at6native31launch_logcumsumexp_cuda_kernelERKNSB_10TensorBaseESF_lENKUlvE_clEvENKUlvE0_clEvEUlffE_fEEDaPvRmT3_T4_T5_mT6_P12ihipStream_tbENKUlT_T0_E_clISt17integral_constantIbLb0EESV_IbLb1EEEEDaSR_SS_EUlSR_E0_NS1_11comp_targetILNS1_3genE2ELNS1_11target_archE906ELNS1_3gpuE6ELNS1_3repE0EEENS1_30default_config_static_selectorELNS0_4arch9wavefront6targetE1EEEvT1_
    .private_segment_fixed_size: 0
    .sgpr_count:     74
    .sgpr_spill_count: 0
    .symbol:         _ZN7rocprim17ROCPRIM_400000_NS6detail17trampoline_kernelINS0_14default_configENS1_20scan_config_selectorIfEEZZNS1_9scan_implILNS1_25lookback_scan_determinismE0ELb0ELb0ES3_PKfPffZZZN2at6native31launch_logcumsumexp_cuda_kernelERKNSB_10TensorBaseESF_lENKUlvE_clEvENKUlvE0_clEvEUlffE_fEEDaPvRmT3_T4_T5_mT6_P12ihipStream_tbENKUlT_T0_E_clISt17integral_constantIbLb0EESV_IbLb1EEEEDaSR_SS_EUlSR_E0_NS1_11comp_targetILNS1_3genE2ELNS1_11target_archE906ELNS1_3gpuE6ELNS1_3repE0EEENS1_30default_config_static_selectorELNS0_4arch9wavefront6targetE1EEEvT1_.kd
    .uniform_work_group_size: 1
    .uses_dynamic_stack: false
    .vgpr_count:     53
    .vgpr_spill_count: 0
    .wavefront_size: 64
  - .args:
      - .offset:         0
        .size:           32
        .value_kind:     by_value
    .group_segment_fixed_size: 0
    .kernarg_segment_align: 8
    .kernarg_segment_size: 32
    .language:       OpenCL C
    .language_version:
      - 2
      - 0
    .max_flat_workgroup_size: 256
    .name:           _ZN7rocprim17ROCPRIM_400000_NS6detail17trampoline_kernelINS0_14default_configENS1_20scan_config_selectorIfEEZZNS1_9scan_implILNS1_25lookback_scan_determinismE0ELb0ELb0ES3_PKfPffZZZN2at6native31launch_logcumsumexp_cuda_kernelERKNSB_10TensorBaseESF_lENKUlvE_clEvENKUlvE0_clEvEUlffE_fEEDaPvRmT3_T4_T5_mT6_P12ihipStream_tbENKUlT_T0_E_clISt17integral_constantIbLb0EESV_IbLb1EEEEDaSR_SS_EUlSR_E0_NS1_11comp_targetILNS1_3genE10ELNS1_11target_archE1201ELNS1_3gpuE5ELNS1_3repE0EEENS1_30default_config_static_selectorELNS0_4arch9wavefront6targetE1EEEvT1_
    .private_segment_fixed_size: 0
    .sgpr_count:     4
    .sgpr_spill_count: 0
    .symbol:         _ZN7rocprim17ROCPRIM_400000_NS6detail17trampoline_kernelINS0_14default_configENS1_20scan_config_selectorIfEEZZNS1_9scan_implILNS1_25lookback_scan_determinismE0ELb0ELb0ES3_PKfPffZZZN2at6native31launch_logcumsumexp_cuda_kernelERKNSB_10TensorBaseESF_lENKUlvE_clEvENKUlvE0_clEvEUlffE_fEEDaPvRmT3_T4_T5_mT6_P12ihipStream_tbENKUlT_T0_E_clISt17integral_constantIbLb0EESV_IbLb1EEEEDaSR_SS_EUlSR_E0_NS1_11comp_targetILNS1_3genE10ELNS1_11target_archE1201ELNS1_3gpuE5ELNS1_3repE0EEENS1_30default_config_static_selectorELNS0_4arch9wavefront6targetE1EEEvT1_.kd
    .uniform_work_group_size: 1
    .uses_dynamic_stack: false
    .vgpr_count:     0
    .vgpr_spill_count: 0
    .wavefront_size: 64
  - .args:
      - .offset:         0
        .size:           32
        .value_kind:     by_value
    .group_segment_fixed_size: 0
    .kernarg_segment_align: 8
    .kernarg_segment_size: 32
    .language:       OpenCL C
    .language_version:
      - 2
      - 0
    .max_flat_workgroup_size: 256
    .name:           _ZN7rocprim17ROCPRIM_400000_NS6detail17trampoline_kernelINS0_14default_configENS1_20scan_config_selectorIfEEZZNS1_9scan_implILNS1_25lookback_scan_determinismE0ELb0ELb0ES3_PKfPffZZZN2at6native31launch_logcumsumexp_cuda_kernelERKNSB_10TensorBaseESF_lENKUlvE_clEvENKUlvE0_clEvEUlffE_fEEDaPvRmT3_T4_T5_mT6_P12ihipStream_tbENKUlT_T0_E_clISt17integral_constantIbLb0EESV_IbLb1EEEEDaSR_SS_EUlSR_E0_NS1_11comp_targetILNS1_3genE10ELNS1_11target_archE1200ELNS1_3gpuE4ELNS1_3repE0EEENS1_30default_config_static_selectorELNS0_4arch9wavefront6targetE1EEEvT1_
    .private_segment_fixed_size: 0
    .sgpr_count:     4
    .sgpr_spill_count: 0
    .symbol:         _ZN7rocprim17ROCPRIM_400000_NS6detail17trampoline_kernelINS0_14default_configENS1_20scan_config_selectorIfEEZZNS1_9scan_implILNS1_25lookback_scan_determinismE0ELb0ELb0ES3_PKfPffZZZN2at6native31launch_logcumsumexp_cuda_kernelERKNSB_10TensorBaseESF_lENKUlvE_clEvENKUlvE0_clEvEUlffE_fEEDaPvRmT3_T4_T5_mT6_P12ihipStream_tbENKUlT_T0_E_clISt17integral_constantIbLb0EESV_IbLb1EEEEDaSR_SS_EUlSR_E0_NS1_11comp_targetILNS1_3genE10ELNS1_11target_archE1200ELNS1_3gpuE4ELNS1_3repE0EEENS1_30default_config_static_selectorELNS0_4arch9wavefront6targetE1EEEvT1_.kd
    .uniform_work_group_size: 1
    .uses_dynamic_stack: false
    .vgpr_count:     0
    .vgpr_spill_count: 0
    .wavefront_size: 64
  - .args:
      - .offset:         0
        .size:           32
        .value_kind:     by_value
    .group_segment_fixed_size: 0
    .kernarg_segment_align: 8
    .kernarg_segment_size: 32
    .language:       OpenCL C
    .language_version:
      - 2
      - 0
    .max_flat_workgroup_size: 256
    .name:           _ZN7rocprim17ROCPRIM_400000_NS6detail17trampoline_kernelINS0_14default_configENS1_20scan_config_selectorIfEEZZNS1_9scan_implILNS1_25lookback_scan_determinismE0ELb0ELb0ES3_PKfPffZZZN2at6native31launch_logcumsumexp_cuda_kernelERKNSB_10TensorBaseESF_lENKUlvE_clEvENKUlvE0_clEvEUlffE_fEEDaPvRmT3_T4_T5_mT6_P12ihipStream_tbENKUlT_T0_E_clISt17integral_constantIbLb0EESV_IbLb1EEEEDaSR_SS_EUlSR_E0_NS1_11comp_targetILNS1_3genE9ELNS1_11target_archE1100ELNS1_3gpuE3ELNS1_3repE0EEENS1_30default_config_static_selectorELNS0_4arch9wavefront6targetE1EEEvT1_
    .private_segment_fixed_size: 0
    .sgpr_count:     4
    .sgpr_spill_count: 0
    .symbol:         _ZN7rocprim17ROCPRIM_400000_NS6detail17trampoline_kernelINS0_14default_configENS1_20scan_config_selectorIfEEZZNS1_9scan_implILNS1_25lookback_scan_determinismE0ELb0ELb0ES3_PKfPffZZZN2at6native31launch_logcumsumexp_cuda_kernelERKNSB_10TensorBaseESF_lENKUlvE_clEvENKUlvE0_clEvEUlffE_fEEDaPvRmT3_T4_T5_mT6_P12ihipStream_tbENKUlT_T0_E_clISt17integral_constantIbLb0EESV_IbLb1EEEEDaSR_SS_EUlSR_E0_NS1_11comp_targetILNS1_3genE9ELNS1_11target_archE1100ELNS1_3gpuE3ELNS1_3repE0EEENS1_30default_config_static_selectorELNS0_4arch9wavefront6targetE1EEEvT1_.kd
    .uniform_work_group_size: 1
    .uses_dynamic_stack: false
    .vgpr_count:     0
    .vgpr_spill_count: 0
    .wavefront_size: 64
  - .args:
      - .offset:         0
        .size:           32
        .value_kind:     by_value
    .group_segment_fixed_size: 0
    .kernarg_segment_align: 8
    .kernarg_segment_size: 32
    .language:       OpenCL C
    .language_version:
      - 2
      - 0
    .max_flat_workgroup_size: 64
    .name:           _ZN7rocprim17ROCPRIM_400000_NS6detail17trampoline_kernelINS0_14default_configENS1_20scan_config_selectorIfEEZZNS1_9scan_implILNS1_25lookback_scan_determinismE0ELb0ELb0ES3_PKfPffZZZN2at6native31launch_logcumsumexp_cuda_kernelERKNSB_10TensorBaseESF_lENKUlvE_clEvENKUlvE0_clEvEUlffE_fEEDaPvRmT3_T4_T5_mT6_P12ihipStream_tbENKUlT_T0_E_clISt17integral_constantIbLb0EESV_IbLb1EEEEDaSR_SS_EUlSR_E0_NS1_11comp_targetILNS1_3genE8ELNS1_11target_archE1030ELNS1_3gpuE2ELNS1_3repE0EEENS1_30default_config_static_selectorELNS0_4arch9wavefront6targetE1EEEvT1_
    .private_segment_fixed_size: 0
    .sgpr_count:     4
    .sgpr_spill_count: 0
    .symbol:         _ZN7rocprim17ROCPRIM_400000_NS6detail17trampoline_kernelINS0_14default_configENS1_20scan_config_selectorIfEEZZNS1_9scan_implILNS1_25lookback_scan_determinismE0ELb0ELb0ES3_PKfPffZZZN2at6native31launch_logcumsumexp_cuda_kernelERKNSB_10TensorBaseESF_lENKUlvE_clEvENKUlvE0_clEvEUlffE_fEEDaPvRmT3_T4_T5_mT6_P12ihipStream_tbENKUlT_T0_E_clISt17integral_constantIbLb0EESV_IbLb1EEEEDaSR_SS_EUlSR_E0_NS1_11comp_targetILNS1_3genE8ELNS1_11target_archE1030ELNS1_3gpuE2ELNS1_3repE0EEENS1_30default_config_static_selectorELNS0_4arch9wavefront6targetE1EEEvT1_.kd
    .uniform_work_group_size: 1
    .uses_dynamic_stack: false
    .vgpr_count:     0
    .vgpr_spill_count: 0
    .wavefront_size: 64
  - .args:
      - .address_space:  global
        .offset:         0
        .size:           8
        .value_kind:     global_buffer
      - .address_space:  global
        .offset:         8
        .size:           8
        .value_kind:     global_buffer
      - .offset:         16
        .size:           4
        .value_kind:     by_value
      - .offset:         20
        .size:           4
        .value_kind:     by_value
      - .offset:         24
        .size:           4
        .value_kind:     by_value
      - .offset:         28
        .size:           4
        .value_kind:     by_value
      - .offset:         32
        .size:           1
        .value_kind:     by_value
      - .offset:         40
        .size:           4
        .value_kind:     hidden_block_count_x
      - .offset:         44
        .size:           4
        .value_kind:     hidden_block_count_y
      - .offset:         48
        .size:           4
        .value_kind:     hidden_block_count_z
      - .offset:         52
        .size:           2
        .value_kind:     hidden_group_size_x
      - .offset:         54
        .size:           2
        .value_kind:     hidden_group_size_y
      - .offset:         56
        .size:           2
        .value_kind:     hidden_group_size_z
      - .offset:         58
        .size:           2
        .value_kind:     hidden_remainder_x
      - .offset:         60
        .size:           2
        .value_kind:     hidden_remainder_y
      - .offset:         62
        .size:           2
        .value_kind:     hidden_remainder_z
      - .offset:         80
        .size:           8
        .value_kind:     hidden_global_offset_x
      - .offset:         88
        .size:           8
        .value_kind:     hidden_global_offset_y
      - .offset:         96
        .size:           8
        .value_kind:     hidden_global_offset_z
      - .offset:         104
        .size:           2
        .value_kind:     hidden_grid_dims
      - .offset:         160
        .size:           4
        .value_kind:     hidden_dynamic_lds_size
    .group_segment_fixed_size: 0
    .kernarg_segment_align: 8
    .kernarg_segment_size: 296
    .language:       OpenCL C
    .language_version:
      - 2
      - 0
    .max_flat_workgroup_size: 1024
    .name:           _ZN2at6native32tensor_kernel_scan_innermost_dimIfZZZNS0_31launch_logcumsumexp_cuda_kernelERKNS_10TensorBaseES4_lENKUlvE_clEvENKUlvE0_clEvEUlffE_EEvPT_PKS8_jjjS8_T0_
    .private_segment_fixed_size: 0
    .sgpr_count:     48
    .sgpr_spill_count: 0
    .symbol:         _ZN2at6native32tensor_kernel_scan_innermost_dimIfZZZNS0_31launch_logcumsumexp_cuda_kernelERKNS_10TensorBaseES4_lENKUlvE_clEvENKUlvE0_clEvEUlffE_EEvPT_PKS8_jjjS8_T0_.kd
    .uniform_work_group_size: 1
    .uses_dynamic_stack: false
    .vgpr_count:     32
    .vgpr_spill_count: 0
    .wavefront_size: 64
  - .args:
      - .address_space:  global
        .offset:         0
        .size:           8
        .value_kind:     global_buffer
      - .address_space:  global
        .offset:         8
        .size:           8
        .value_kind:     global_buffer
      - .offset:         16
        .size:           4
        .value_kind:     by_value
      - .offset:         20
        .size:           4
        .value_kind:     by_value
      - .offset:         24
        .size:           4
        .value_kind:     by_value
      - .offset:         28
        .size:           4
        .value_kind:     by_value
      - .offset:         32
        .size:           1
        .value_kind:     by_value
      - .offset:         40
        .size:           4
        .value_kind:     hidden_block_count_x
      - .offset:         44
        .size:           4
        .value_kind:     hidden_block_count_y
      - .offset:         48
        .size:           4
        .value_kind:     hidden_block_count_z
      - .offset:         52
        .size:           2
        .value_kind:     hidden_group_size_x
      - .offset:         54
        .size:           2
        .value_kind:     hidden_group_size_y
      - .offset:         56
        .size:           2
        .value_kind:     hidden_group_size_z
      - .offset:         58
        .size:           2
        .value_kind:     hidden_remainder_x
      - .offset:         60
        .size:           2
        .value_kind:     hidden_remainder_y
      - .offset:         62
        .size:           2
        .value_kind:     hidden_remainder_z
      - .offset:         80
        .size:           8
        .value_kind:     hidden_global_offset_x
      - .offset:         88
        .size:           8
        .value_kind:     hidden_global_offset_y
      - .offset:         96
        .size:           8
        .value_kind:     hidden_global_offset_z
      - .offset:         104
        .size:           2
        .value_kind:     hidden_grid_dims
    .group_segment_fixed_size: 0
    .kernarg_segment_align: 8
    .kernarg_segment_size: 296
    .language:       OpenCL C
    .language_version:
      - 2
      - 0
    .max_flat_workgroup_size: 1024
    .name:           _ZN2at6native28tensor_kernel_scan_outer_dimIfjZZZNS0_31launch_logcumsumexp_cuda_kernelERKNS_10TensorBaseES4_lENKUlvE_clEvENKUlvE0_clEvEUlffE_EEvPT_PKS8_jjjS8_T1_
    .private_segment_fixed_size: 0
    .sgpr_count:     48
    .sgpr_spill_count: 0
    .symbol:         _ZN2at6native28tensor_kernel_scan_outer_dimIfjZZZNS0_31launch_logcumsumexp_cuda_kernelERKNS_10TensorBaseES4_lENKUlvE_clEvENKUlvE0_clEvEUlffE_EEvPT_PKS8_jjjS8_T1_.kd
    .uniform_work_group_size: 1
    .uses_dynamic_stack: false
    .vgpr_count:     20
    .vgpr_spill_count: 0
    .wavefront_size: 64
  - .args:
      - .address_space:  global
        .offset:         0
        .size:           8
        .value_kind:     global_buffer
      - .address_space:  global
        .offset:         8
        .size:           8
        .value_kind:     global_buffer
      - .offset:         16
        .size:           4
        .value_kind:     by_value
      - .offset:         20
        .size:           4
        .value_kind:     by_value
      - .offset:         24
        .size:           4
        .value_kind:     by_value
      - .offset:         28
        .size:           4
        .value_kind:     by_value
      - .offset:         32
        .size:           1
        .value_kind:     by_value
      - .offset:         40
        .size:           4
        .value_kind:     hidden_block_count_x
      - .offset:         44
        .size:           4
        .value_kind:     hidden_block_count_y
      - .offset:         48
        .size:           4
        .value_kind:     hidden_block_count_z
      - .offset:         52
        .size:           2
        .value_kind:     hidden_group_size_x
      - .offset:         54
        .size:           2
        .value_kind:     hidden_group_size_y
      - .offset:         56
        .size:           2
        .value_kind:     hidden_group_size_z
      - .offset:         58
        .size:           2
        .value_kind:     hidden_remainder_x
      - .offset:         60
        .size:           2
        .value_kind:     hidden_remainder_y
      - .offset:         62
        .size:           2
        .value_kind:     hidden_remainder_z
      - .offset:         80
        .size:           8
        .value_kind:     hidden_global_offset_x
      - .offset:         88
        .size:           8
        .value_kind:     hidden_global_offset_y
      - .offset:         96
        .size:           8
        .value_kind:     hidden_global_offset_z
      - .offset:         104
        .size:           2
        .value_kind:     hidden_grid_dims
    .group_segment_fixed_size: 0
    .kernarg_segment_align: 8
    .kernarg_segment_size: 296
    .language:       OpenCL C
    .language_version:
      - 2
      - 0
    .max_flat_workgroup_size: 1024
    .name:           _ZN2at6native28tensor_kernel_scan_outer_dimIfmZZZNS0_31launch_logcumsumexp_cuda_kernelERKNS_10TensorBaseES4_lENKUlvE_clEvENKUlvE0_clEvEUlffE_EEvPT_PKS8_jjjS8_T1_
    .private_segment_fixed_size: 0
    .sgpr_count:     46
    .sgpr_spill_count: 0
    .symbol:         _ZN2at6native28tensor_kernel_scan_outer_dimIfmZZZNS0_31launch_logcumsumexp_cuda_kernelERKNS_10TensorBaseES4_lENKUlvE_clEvENKUlvE0_clEvEUlffE_EEvPT_PKS8_jjjS8_T1_.kd
    .uniform_work_group_size: 1
    .uses_dynamic_stack: false
    .vgpr_count:     20
    .vgpr_spill_count: 0
    .wavefront_size: 64
  - .args:
      - .offset:         0
        .size:           24
        .value_kind:     by_value
      - .offset:         24
        .size:           4
        .value_kind:     by_value
      - .offset:         28
        .size:           1
        .value_kind:     by_value
      - .offset:         32
        .size:           4
        .value_kind:     by_value
      - .address_space:  global
        .offset:         40
        .size:           8
        .value_kind:     global_buffer
      - .offset:         48
        .size:           4
        .value_kind:     hidden_block_count_x
      - .offset:         52
        .size:           4
        .value_kind:     hidden_block_count_y
      - .offset:         56
        .size:           4
        .value_kind:     hidden_block_count_z
      - .offset:         60
        .size:           2
        .value_kind:     hidden_group_size_x
      - .offset:         62
        .size:           2
        .value_kind:     hidden_group_size_y
      - .offset:         64
        .size:           2
        .value_kind:     hidden_group_size_z
      - .offset:         66
        .size:           2
        .value_kind:     hidden_remainder_x
      - .offset:         68
        .size:           2
        .value_kind:     hidden_remainder_y
      - .offset:         70
        .size:           2
        .value_kind:     hidden_remainder_z
      - .offset:         88
        .size:           8
        .value_kind:     hidden_global_offset_x
      - .offset:         96
        .size:           8
        .value_kind:     hidden_global_offset_y
      - .offset:         104
        .size:           8
        .value_kind:     hidden_global_offset_z
      - .offset:         112
        .size:           2
        .value_kind:     hidden_grid_dims
    .group_segment_fixed_size: 0
    .kernarg_segment_align: 8
    .kernarg_segment_size: 304
    .language:       OpenCL C
    .language_version:
      - 2
      - 0
    .max_flat_workgroup_size: 256
    .name:           _ZN7rocprim17ROCPRIM_400000_NS6detail31init_lookback_scan_state_kernelINS1_19lookback_scan_stateIN3c107complexIdEELb0ELb0EEENS1_16block_id_wrapperIjLb0EEEEEvT_jT0_jPNSA_10value_typeE
    .private_segment_fixed_size: 0
    .sgpr_count:     22
    .sgpr_spill_count: 0
    .symbol:         _ZN7rocprim17ROCPRIM_400000_NS6detail31init_lookback_scan_state_kernelINS1_19lookback_scan_stateIN3c107complexIdEELb0ELb0EEENS1_16block_id_wrapperIjLb0EEEEEvT_jT0_jPNSA_10value_typeE.kd
    .uniform_work_group_size: 1
    .uses_dynamic_stack: false
    .vgpr_count:     6
    .vgpr_spill_count: 0
    .wavefront_size: 64
  - .args:
      - .offset:         0
        .size:           128
        .value_kind:     by_value
    .group_segment_fixed_size: 0
    .kernarg_segment_align: 16
    .kernarg_segment_size: 128
    .language:       OpenCL C
    .language_version:
      - 2
      - 0
    .max_flat_workgroup_size: 128
    .name:           _ZN7rocprim17ROCPRIM_400000_NS6detail17trampoline_kernelINS0_14default_configENS1_20scan_config_selectorIN3c107complexIdEEEEZZNS1_9scan_implILNS1_25lookback_scan_determinismE0ELb0ELb0ES3_PKS7_PS7_S7_ZZZN2at6native31launch_logcumsumexp_cuda_kernelERKNSE_10TensorBaseESI_lENKUlvE_clEvENKUlvE1_clEvEUlS7_S7_E_S7_EEDaPvRmT3_T4_T5_mT6_P12ihipStream_tbENKUlT_T0_E_clISt17integral_constantIbLb0EESZ_EEDaSU_SV_EUlSU_E_NS1_11comp_targetILNS1_3genE0ELNS1_11target_archE4294967295ELNS1_3gpuE0ELNS1_3repE0EEENS1_30default_config_static_selectorELNS0_4arch9wavefront6targetE1EEEvT1_
    .private_segment_fixed_size: 0
    .sgpr_count:     4
    .sgpr_spill_count: 0
    .symbol:         _ZN7rocprim17ROCPRIM_400000_NS6detail17trampoline_kernelINS0_14default_configENS1_20scan_config_selectorIN3c107complexIdEEEEZZNS1_9scan_implILNS1_25lookback_scan_determinismE0ELb0ELb0ES3_PKS7_PS7_S7_ZZZN2at6native31launch_logcumsumexp_cuda_kernelERKNSE_10TensorBaseESI_lENKUlvE_clEvENKUlvE1_clEvEUlS7_S7_E_S7_EEDaPvRmT3_T4_T5_mT6_P12ihipStream_tbENKUlT_T0_E_clISt17integral_constantIbLb0EESZ_EEDaSU_SV_EUlSU_E_NS1_11comp_targetILNS1_3genE0ELNS1_11target_archE4294967295ELNS1_3gpuE0ELNS1_3repE0EEENS1_30default_config_static_selectorELNS0_4arch9wavefront6targetE1EEEvT1_.kd
    .uniform_work_group_size: 1
    .uses_dynamic_stack: false
    .vgpr_count:     0
    .vgpr_spill_count: 0
    .wavefront_size: 64
  - .args:
      - .offset:         0
        .size:           128
        .value_kind:     by_value
    .group_segment_fixed_size: 0
    .kernarg_segment_align: 16
    .kernarg_segment_size: 128
    .language:       OpenCL C
    .language_version:
      - 2
      - 0
    .max_flat_workgroup_size: 256
    .name:           _ZN7rocprim17ROCPRIM_400000_NS6detail17trampoline_kernelINS0_14default_configENS1_20scan_config_selectorIN3c107complexIdEEEEZZNS1_9scan_implILNS1_25lookback_scan_determinismE0ELb0ELb0ES3_PKS7_PS7_S7_ZZZN2at6native31launch_logcumsumexp_cuda_kernelERKNSE_10TensorBaseESI_lENKUlvE_clEvENKUlvE1_clEvEUlS7_S7_E_S7_EEDaPvRmT3_T4_T5_mT6_P12ihipStream_tbENKUlT_T0_E_clISt17integral_constantIbLb0EESZ_EEDaSU_SV_EUlSU_E_NS1_11comp_targetILNS1_3genE5ELNS1_11target_archE942ELNS1_3gpuE9ELNS1_3repE0EEENS1_30default_config_static_selectorELNS0_4arch9wavefront6targetE1EEEvT1_
    .private_segment_fixed_size: 0
    .sgpr_count:     4
    .sgpr_spill_count: 0
    .symbol:         _ZN7rocprim17ROCPRIM_400000_NS6detail17trampoline_kernelINS0_14default_configENS1_20scan_config_selectorIN3c107complexIdEEEEZZNS1_9scan_implILNS1_25lookback_scan_determinismE0ELb0ELb0ES3_PKS7_PS7_S7_ZZZN2at6native31launch_logcumsumexp_cuda_kernelERKNSE_10TensorBaseESI_lENKUlvE_clEvENKUlvE1_clEvEUlS7_S7_E_S7_EEDaPvRmT3_T4_T5_mT6_P12ihipStream_tbENKUlT_T0_E_clISt17integral_constantIbLb0EESZ_EEDaSU_SV_EUlSU_E_NS1_11comp_targetILNS1_3genE5ELNS1_11target_archE942ELNS1_3gpuE9ELNS1_3repE0EEENS1_30default_config_static_selectorELNS0_4arch9wavefront6targetE1EEEvT1_.kd
    .uniform_work_group_size: 1
    .uses_dynamic_stack: false
    .vgpr_count:     0
    .vgpr_spill_count: 0
    .wavefront_size: 64
  - .args:
      - .offset:         0
        .size:           128
        .value_kind:     by_value
    .group_segment_fixed_size: 0
    .kernarg_segment_align: 16
    .kernarg_segment_size: 128
    .language:       OpenCL C
    .language_version:
      - 2
      - 0
    .max_flat_workgroup_size: 64
    .name:           _ZN7rocprim17ROCPRIM_400000_NS6detail17trampoline_kernelINS0_14default_configENS1_20scan_config_selectorIN3c107complexIdEEEEZZNS1_9scan_implILNS1_25lookback_scan_determinismE0ELb0ELb0ES3_PKS7_PS7_S7_ZZZN2at6native31launch_logcumsumexp_cuda_kernelERKNSE_10TensorBaseESI_lENKUlvE_clEvENKUlvE1_clEvEUlS7_S7_E_S7_EEDaPvRmT3_T4_T5_mT6_P12ihipStream_tbENKUlT_T0_E_clISt17integral_constantIbLb0EESZ_EEDaSU_SV_EUlSU_E_NS1_11comp_targetILNS1_3genE4ELNS1_11target_archE910ELNS1_3gpuE8ELNS1_3repE0EEENS1_30default_config_static_selectorELNS0_4arch9wavefront6targetE1EEEvT1_
    .private_segment_fixed_size: 0
    .sgpr_count:     4
    .sgpr_spill_count: 0
    .symbol:         _ZN7rocprim17ROCPRIM_400000_NS6detail17trampoline_kernelINS0_14default_configENS1_20scan_config_selectorIN3c107complexIdEEEEZZNS1_9scan_implILNS1_25lookback_scan_determinismE0ELb0ELb0ES3_PKS7_PS7_S7_ZZZN2at6native31launch_logcumsumexp_cuda_kernelERKNSE_10TensorBaseESI_lENKUlvE_clEvENKUlvE1_clEvEUlS7_S7_E_S7_EEDaPvRmT3_T4_T5_mT6_P12ihipStream_tbENKUlT_T0_E_clISt17integral_constantIbLb0EESZ_EEDaSU_SV_EUlSU_E_NS1_11comp_targetILNS1_3genE4ELNS1_11target_archE910ELNS1_3gpuE8ELNS1_3repE0EEENS1_30default_config_static_selectorELNS0_4arch9wavefront6targetE1EEEvT1_.kd
    .uniform_work_group_size: 1
    .uses_dynamic_stack: false
    .vgpr_count:     0
    .vgpr_spill_count: 0
    .wavefront_size: 64
  - .args:
      - .offset:         0
        .size:           128
        .value_kind:     by_value
    .group_segment_fixed_size: 0
    .kernarg_segment_align: 16
    .kernarg_segment_size: 128
    .language:       OpenCL C
    .language_version:
      - 2
      - 0
    .max_flat_workgroup_size: 128
    .name:           _ZN7rocprim17ROCPRIM_400000_NS6detail17trampoline_kernelINS0_14default_configENS1_20scan_config_selectorIN3c107complexIdEEEEZZNS1_9scan_implILNS1_25lookback_scan_determinismE0ELb0ELb0ES3_PKS7_PS7_S7_ZZZN2at6native31launch_logcumsumexp_cuda_kernelERKNSE_10TensorBaseESI_lENKUlvE_clEvENKUlvE1_clEvEUlS7_S7_E_S7_EEDaPvRmT3_T4_T5_mT6_P12ihipStream_tbENKUlT_T0_E_clISt17integral_constantIbLb0EESZ_EEDaSU_SV_EUlSU_E_NS1_11comp_targetILNS1_3genE3ELNS1_11target_archE908ELNS1_3gpuE7ELNS1_3repE0EEENS1_30default_config_static_selectorELNS0_4arch9wavefront6targetE1EEEvT1_
    .private_segment_fixed_size: 0
    .sgpr_count:     4
    .sgpr_spill_count: 0
    .symbol:         _ZN7rocprim17ROCPRIM_400000_NS6detail17trampoline_kernelINS0_14default_configENS1_20scan_config_selectorIN3c107complexIdEEEEZZNS1_9scan_implILNS1_25lookback_scan_determinismE0ELb0ELb0ES3_PKS7_PS7_S7_ZZZN2at6native31launch_logcumsumexp_cuda_kernelERKNSE_10TensorBaseESI_lENKUlvE_clEvENKUlvE1_clEvEUlS7_S7_E_S7_EEDaPvRmT3_T4_T5_mT6_P12ihipStream_tbENKUlT_T0_E_clISt17integral_constantIbLb0EESZ_EEDaSU_SV_EUlSU_E_NS1_11comp_targetILNS1_3genE3ELNS1_11target_archE908ELNS1_3gpuE7ELNS1_3repE0EEENS1_30default_config_static_selectorELNS0_4arch9wavefront6targetE1EEEvT1_.kd
    .uniform_work_group_size: 1
    .uses_dynamic_stack: false
    .vgpr_count:     0
    .vgpr_spill_count: 0
    .wavefront_size: 64
  - .args:
      - .offset:         0
        .size:           128
        .value_kind:     by_value
    .group_segment_fixed_size: 15360
    .kernarg_segment_align: 16
    .kernarg_segment_size: 128
    .language:       OpenCL C
    .language_version:
      - 2
      - 0
    .max_flat_workgroup_size: 64
    .name:           _ZN7rocprim17ROCPRIM_400000_NS6detail17trampoline_kernelINS0_14default_configENS1_20scan_config_selectorIN3c107complexIdEEEEZZNS1_9scan_implILNS1_25lookback_scan_determinismE0ELb0ELb0ES3_PKS7_PS7_S7_ZZZN2at6native31launch_logcumsumexp_cuda_kernelERKNSE_10TensorBaseESI_lENKUlvE_clEvENKUlvE1_clEvEUlS7_S7_E_S7_EEDaPvRmT3_T4_T5_mT6_P12ihipStream_tbENKUlT_T0_E_clISt17integral_constantIbLb0EESZ_EEDaSU_SV_EUlSU_E_NS1_11comp_targetILNS1_3genE2ELNS1_11target_archE906ELNS1_3gpuE6ELNS1_3repE0EEENS1_30default_config_static_selectorELNS0_4arch9wavefront6targetE1EEEvT1_
    .private_segment_fixed_size: 0
    .sgpr_count:     70
    .sgpr_spill_count: 0
    .symbol:         _ZN7rocprim17ROCPRIM_400000_NS6detail17trampoline_kernelINS0_14default_configENS1_20scan_config_selectorIN3c107complexIdEEEEZZNS1_9scan_implILNS1_25lookback_scan_determinismE0ELb0ELb0ES3_PKS7_PS7_S7_ZZZN2at6native31launch_logcumsumexp_cuda_kernelERKNSE_10TensorBaseESI_lENKUlvE_clEvENKUlvE1_clEvEUlS7_S7_E_S7_EEDaPvRmT3_T4_T5_mT6_P12ihipStream_tbENKUlT_T0_E_clISt17integral_constantIbLb0EESZ_EEDaSU_SV_EUlSU_E_NS1_11comp_targetILNS1_3genE2ELNS1_11target_archE906ELNS1_3gpuE6ELNS1_3repE0EEENS1_30default_config_static_selectorELNS0_4arch9wavefront6targetE1EEEvT1_.kd
    .uniform_work_group_size: 1
    .uses_dynamic_stack: false
    .vgpr_count:     171
    .vgpr_spill_count: 0
    .wavefront_size: 64
  - .args:
      - .offset:         0
        .size:           128
        .value_kind:     by_value
    .group_segment_fixed_size: 0
    .kernarg_segment_align: 16
    .kernarg_segment_size: 128
    .language:       OpenCL C
    .language_version:
      - 2
      - 0
    .max_flat_workgroup_size: 256
    .name:           _ZN7rocprim17ROCPRIM_400000_NS6detail17trampoline_kernelINS0_14default_configENS1_20scan_config_selectorIN3c107complexIdEEEEZZNS1_9scan_implILNS1_25lookback_scan_determinismE0ELb0ELb0ES3_PKS7_PS7_S7_ZZZN2at6native31launch_logcumsumexp_cuda_kernelERKNSE_10TensorBaseESI_lENKUlvE_clEvENKUlvE1_clEvEUlS7_S7_E_S7_EEDaPvRmT3_T4_T5_mT6_P12ihipStream_tbENKUlT_T0_E_clISt17integral_constantIbLb0EESZ_EEDaSU_SV_EUlSU_E_NS1_11comp_targetILNS1_3genE10ELNS1_11target_archE1201ELNS1_3gpuE5ELNS1_3repE0EEENS1_30default_config_static_selectorELNS0_4arch9wavefront6targetE1EEEvT1_
    .private_segment_fixed_size: 0
    .sgpr_count:     4
    .sgpr_spill_count: 0
    .symbol:         _ZN7rocprim17ROCPRIM_400000_NS6detail17trampoline_kernelINS0_14default_configENS1_20scan_config_selectorIN3c107complexIdEEEEZZNS1_9scan_implILNS1_25lookback_scan_determinismE0ELb0ELb0ES3_PKS7_PS7_S7_ZZZN2at6native31launch_logcumsumexp_cuda_kernelERKNSE_10TensorBaseESI_lENKUlvE_clEvENKUlvE1_clEvEUlS7_S7_E_S7_EEDaPvRmT3_T4_T5_mT6_P12ihipStream_tbENKUlT_T0_E_clISt17integral_constantIbLb0EESZ_EEDaSU_SV_EUlSU_E_NS1_11comp_targetILNS1_3genE10ELNS1_11target_archE1201ELNS1_3gpuE5ELNS1_3repE0EEENS1_30default_config_static_selectorELNS0_4arch9wavefront6targetE1EEEvT1_.kd
    .uniform_work_group_size: 1
    .uses_dynamic_stack: false
    .vgpr_count:     0
    .vgpr_spill_count: 0
    .wavefront_size: 64
  - .args:
      - .offset:         0
        .size:           128
        .value_kind:     by_value
    .group_segment_fixed_size: 0
    .kernarg_segment_align: 16
    .kernarg_segment_size: 128
    .language:       OpenCL C
    .language_version:
      - 2
      - 0
    .max_flat_workgroup_size: 256
    .name:           _ZN7rocprim17ROCPRIM_400000_NS6detail17trampoline_kernelINS0_14default_configENS1_20scan_config_selectorIN3c107complexIdEEEEZZNS1_9scan_implILNS1_25lookback_scan_determinismE0ELb0ELb0ES3_PKS7_PS7_S7_ZZZN2at6native31launch_logcumsumexp_cuda_kernelERKNSE_10TensorBaseESI_lENKUlvE_clEvENKUlvE1_clEvEUlS7_S7_E_S7_EEDaPvRmT3_T4_T5_mT6_P12ihipStream_tbENKUlT_T0_E_clISt17integral_constantIbLb0EESZ_EEDaSU_SV_EUlSU_E_NS1_11comp_targetILNS1_3genE10ELNS1_11target_archE1200ELNS1_3gpuE4ELNS1_3repE0EEENS1_30default_config_static_selectorELNS0_4arch9wavefront6targetE1EEEvT1_
    .private_segment_fixed_size: 0
    .sgpr_count:     4
    .sgpr_spill_count: 0
    .symbol:         _ZN7rocprim17ROCPRIM_400000_NS6detail17trampoline_kernelINS0_14default_configENS1_20scan_config_selectorIN3c107complexIdEEEEZZNS1_9scan_implILNS1_25lookback_scan_determinismE0ELb0ELb0ES3_PKS7_PS7_S7_ZZZN2at6native31launch_logcumsumexp_cuda_kernelERKNSE_10TensorBaseESI_lENKUlvE_clEvENKUlvE1_clEvEUlS7_S7_E_S7_EEDaPvRmT3_T4_T5_mT6_P12ihipStream_tbENKUlT_T0_E_clISt17integral_constantIbLb0EESZ_EEDaSU_SV_EUlSU_E_NS1_11comp_targetILNS1_3genE10ELNS1_11target_archE1200ELNS1_3gpuE4ELNS1_3repE0EEENS1_30default_config_static_selectorELNS0_4arch9wavefront6targetE1EEEvT1_.kd
    .uniform_work_group_size: 1
    .uses_dynamic_stack: false
    .vgpr_count:     0
    .vgpr_spill_count: 0
    .wavefront_size: 64
  - .args:
      - .offset:         0
        .size:           128
        .value_kind:     by_value
    .group_segment_fixed_size: 0
    .kernarg_segment_align: 16
    .kernarg_segment_size: 128
    .language:       OpenCL C
    .language_version:
      - 2
      - 0
    .max_flat_workgroup_size: 256
    .name:           _ZN7rocprim17ROCPRIM_400000_NS6detail17trampoline_kernelINS0_14default_configENS1_20scan_config_selectorIN3c107complexIdEEEEZZNS1_9scan_implILNS1_25lookback_scan_determinismE0ELb0ELb0ES3_PKS7_PS7_S7_ZZZN2at6native31launch_logcumsumexp_cuda_kernelERKNSE_10TensorBaseESI_lENKUlvE_clEvENKUlvE1_clEvEUlS7_S7_E_S7_EEDaPvRmT3_T4_T5_mT6_P12ihipStream_tbENKUlT_T0_E_clISt17integral_constantIbLb0EESZ_EEDaSU_SV_EUlSU_E_NS1_11comp_targetILNS1_3genE9ELNS1_11target_archE1100ELNS1_3gpuE3ELNS1_3repE0EEENS1_30default_config_static_selectorELNS0_4arch9wavefront6targetE1EEEvT1_
    .private_segment_fixed_size: 0
    .sgpr_count:     4
    .sgpr_spill_count: 0
    .symbol:         _ZN7rocprim17ROCPRIM_400000_NS6detail17trampoline_kernelINS0_14default_configENS1_20scan_config_selectorIN3c107complexIdEEEEZZNS1_9scan_implILNS1_25lookback_scan_determinismE0ELb0ELb0ES3_PKS7_PS7_S7_ZZZN2at6native31launch_logcumsumexp_cuda_kernelERKNSE_10TensorBaseESI_lENKUlvE_clEvENKUlvE1_clEvEUlS7_S7_E_S7_EEDaPvRmT3_T4_T5_mT6_P12ihipStream_tbENKUlT_T0_E_clISt17integral_constantIbLb0EESZ_EEDaSU_SV_EUlSU_E_NS1_11comp_targetILNS1_3genE9ELNS1_11target_archE1100ELNS1_3gpuE3ELNS1_3repE0EEENS1_30default_config_static_selectorELNS0_4arch9wavefront6targetE1EEEvT1_.kd
    .uniform_work_group_size: 1
    .uses_dynamic_stack: false
    .vgpr_count:     0
    .vgpr_spill_count: 0
    .wavefront_size: 64
  - .args:
      - .offset:         0
        .size:           128
        .value_kind:     by_value
    .group_segment_fixed_size: 0
    .kernarg_segment_align: 16
    .kernarg_segment_size: 128
    .language:       OpenCL C
    .language_version:
      - 2
      - 0
    .max_flat_workgroup_size: 256
    .name:           _ZN7rocprim17ROCPRIM_400000_NS6detail17trampoline_kernelINS0_14default_configENS1_20scan_config_selectorIN3c107complexIdEEEEZZNS1_9scan_implILNS1_25lookback_scan_determinismE0ELb0ELb0ES3_PKS7_PS7_S7_ZZZN2at6native31launch_logcumsumexp_cuda_kernelERKNSE_10TensorBaseESI_lENKUlvE_clEvENKUlvE1_clEvEUlS7_S7_E_S7_EEDaPvRmT3_T4_T5_mT6_P12ihipStream_tbENKUlT_T0_E_clISt17integral_constantIbLb0EESZ_EEDaSU_SV_EUlSU_E_NS1_11comp_targetILNS1_3genE8ELNS1_11target_archE1030ELNS1_3gpuE2ELNS1_3repE0EEENS1_30default_config_static_selectorELNS0_4arch9wavefront6targetE1EEEvT1_
    .private_segment_fixed_size: 0
    .sgpr_count:     4
    .sgpr_spill_count: 0
    .symbol:         _ZN7rocprim17ROCPRIM_400000_NS6detail17trampoline_kernelINS0_14default_configENS1_20scan_config_selectorIN3c107complexIdEEEEZZNS1_9scan_implILNS1_25lookback_scan_determinismE0ELb0ELb0ES3_PKS7_PS7_S7_ZZZN2at6native31launch_logcumsumexp_cuda_kernelERKNSE_10TensorBaseESI_lENKUlvE_clEvENKUlvE1_clEvEUlS7_S7_E_S7_EEDaPvRmT3_T4_T5_mT6_P12ihipStream_tbENKUlT_T0_E_clISt17integral_constantIbLb0EESZ_EEDaSU_SV_EUlSU_E_NS1_11comp_targetILNS1_3genE8ELNS1_11target_archE1030ELNS1_3gpuE2ELNS1_3repE0EEENS1_30default_config_static_selectorELNS0_4arch9wavefront6targetE1EEEvT1_.kd
    .uniform_work_group_size: 1
    .uses_dynamic_stack: false
    .vgpr_count:     0
    .vgpr_spill_count: 0
    .wavefront_size: 64
  - .args:
      - .offset:         0
        .size:           40
        .value_kind:     by_value
    .group_segment_fixed_size: 0
    .kernarg_segment_align: 8
    .kernarg_segment_size: 40
    .language:       OpenCL C
    .language_version:
      - 2
      - 0
    .max_flat_workgroup_size: 128
    .name:           _ZN7rocprim17ROCPRIM_400000_NS6detail17trampoline_kernelINS0_14default_configENS1_25transform_config_selectorIN3c107complexIdEELb1EEEZNS1_14transform_implILb1ES3_S8_PS7_SA_NS0_8identityIS7_EEEE10hipError_tT2_T3_mT4_P12ihipStream_tbEUlT_E_NS1_11comp_targetILNS1_3genE0ELNS1_11target_archE4294967295ELNS1_3gpuE0ELNS1_3repE0EEENS1_30default_config_static_selectorELNS0_4arch9wavefront6targetE1EEEvT1_
    .private_segment_fixed_size: 0
    .sgpr_count:     4
    .sgpr_spill_count: 0
    .symbol:         _ZN7rocprim17ROCPRIM_400000_NS6detail17trampoline_kernelINS0_14default_configENS1_25transform_config_selectorIN3c107complexIdEELb1EEEZNS1_14transform_implILb1ES3_S8_PS7_SA_NS0_8identityIS7_EEEE10hipError_tT2_T3_mT4_P12ihipStream_tbEUlT_E_NS1_11comp_targetILNS1_3genE0ELNS1_11target_archE4294967295ELNS1_3gpuE0ELNS1_3repE0EEENS1_30default_config_static_selectorELNS0_4arch9wavefront6targetE1EEEvT1_.kd
    .uniform_work_group_size: 1
    .uses_dynamic_stack: false
    .vgpr_count:     0
    .vgpr_spill_count: 0
    .wavefront_size: 64
  - .args:
      - .offset:         0
        .size:           40
        .value_kind:     by_value
    .group_segment_fixed_size: 0
    .kernarg_segment_align: 8
    .kernarg_segment_size: 40
    .language:       OpenCL C
    .language_version:
      - 2
      - 0
    .max_flat_workgroup_size: 64
    .name:           _ZN7rocprim17ROCPRIM_400000_NS6detail17trampoline_kernelINS0_14default_configENS1_25transform_config_selectorIN3c107complexIdEELb1EEEZNS1_14transform_implILb1ES3_S8_PS7_SA_NS0_8identityIS7_EEEE10hipError_tT2_T3_mT4_P12ihipStream_tbEUlT_E_NS1_11comp_targetILNS1_3genE10ELNS1_11target_archE1201ELNS1_3gpuE5ELNS1_3repE0EEENS1_30default_config_static_selectorELNS0_4arch9wavefront6targetE1EEEvT1_
    .private_segment_fixed_size: 0
    .sgpr_count:     4
    .sgpr_spill_count: 0
    .symbol:         _ZN7rocprim17ROCPRIM_400000_NS6detail17trampoline_kernelINS0_14default_configENS1_25transform_config_selectorIN3c107complexIdEELb1EEEZNS1_14transform_implILb1ES3_S8_PS7_SA_NS0_8identityIS7_EEEE10hipError_tT2_T3_mT4_P12ihipStream_tbEUlT_E_NS1_11comp_targetILNS1_3genE10ELNS1_11target_archE1201ELNS1_3gpuE5ELNS1_3repE0EEENS1_30default_config_static_selectorELNS0_4arch9wavefront6targetE1EEEvT1_.kd
    .uniform_work_group_size: 1
    .uses_dynamic_stack: false
    .vgpr_count:     0
    .vgpr_spill_count: 0
    .wavefront_size: 64
  - .args:
      - .offset:         0
        .size:           40
        .value_kind:     by_value
    .group_segment_fixed_size: 0
    .kernarg_segment_align: 8
    .kernarg_segment_size: 40
    .language:       OpenCL C
    .language_version:
      - 2
      - 0
    .max_flat_workgroup_size: 256
    .name:           _ZN7rocprim17ROCPRIM_400000_NS6detail17trampoline_kernelINS0_14default_configENS1_25transform_config_selectorIN3c107complexIdEELb1EEEZNS1_14transform_implILb1ES3_S8_PS7_SA_NS0_8identityIS7_EEEE10hipError_tT2_T3_mT4_P12ihipStream_tbEUlT_E_NS1_11comp_targetILNS1_3genE5ELNS1_11target_archE942ELNS1_3gpuE9ELNS1_3repE0EEENS1_30default_config_static_selectorELNS0_4arch9wavefront6targetE1EEEvT1_
    .private_segment_fixed_size: 0
    .sgpr_count:     4
    .sgpr_spill_count: 0
    .symbol:         _ZN7rocprim17ROCPRIM_400000_NS6detail17trampoline_kernelINS0_14default_configENS1_25transform_config_selectorIN3c107complexIdEELb1EEEZNS1_14transform_implILb1ES3_S8_PS7_SA_NS0_8identityIS7_EEEE10hipError_tT2_T3_mT4_P12ihipStream_tbEUlT_E_NS1_11comp_targetILNS1_3genE5ELNS1_11target_archE942ELNS1_3gpuE9ELNS1_3repE0EEENS1_30default_config_static_selectorELNS0_4arch9wavefront6targetE1EEEvT1_.kd
    .uniform_work_group_size: 1
    .uses_dynamic_stack: false
    .vgpr_count:     0
    .vgpr_spill_count: 0
    .wavefront_size: 64
  - .args:
      - .offset:         0
        .size:           40
        .value_kind:     by_value
    .group_segment_fixed_size: 0
    .kernarg_segment_align: 8
    .kernarg_segment_size: 40
    .language:       OpenCL C
    .language_version:
      - 2
      - 0
    .max_flat_workgroup_size: 1024
    .name:           _ZN7rocprim17ROCPRIM_400000_NS6detail17trampoline_kernelINS0_14default_configENS1_25transform_config_selectorIN3c107complexIdEELb1EEEZNS1_14transform_implILb1ES3_S8_PS7_SA_NS0_8identityIS7_EEEE10hipError_tT2_T3_mT4_P12ihipStream_tbEUlT_E_NS1_11comp_targetILNS1_3genE4ELNS1_11target_archE910ELNS1_3gpuE8ELNS1_3repE0EEENS1_30default_config_static_selectorELNS0_4arch9wavefront6targetE1EEEvT1_
    .private_segment_fixed_size: 0
    .sgpr_count:     4
    .sgpr_spill_count: 0
    .symbol:         _ZN7rocprim17ROCPRIM_400000_NS6detail17trampoline_kernelINS0_14default_configENS1_25transform_config_selectorIN3c107complexIdEELb1EEEZNS1_14transform_implILb1ES3_S8_PS7_SA_NS0_8identityIS7_EEEE10hipError_tT2_T3_mT4_P12ihipStream_tbEUlT_E_NS1_11comp_targetILNS1_3genE4ELNS1_11target_archE910ELNS1_3gpuE8ELNS1_3repE0EEENS1_30default_config_static_selectorELNS0_4arch9wavefront6targetE1EEEvT1_.kd
    .uniform_work_group_size: 1
    .uses_dynamic_stack: false
    .vgpr_count:     0
    .vgpr_spill_count: 0
    .wavefront_size: 64
  - .args:
      - .offset:         0
        .size:           40
        .value_kind:     by_value
    .group_segment_fixed_size: 0
    .kernarg_segment_align: 8
    .kernarg_segment_size: 40
    .language:       OpenCL C
    .language_version:
      - 2
      - 0
    .max_flat_workgroup_size: 128
    .name:           _ZN7rocprim17ROCPRIM_400000_NS6detail17trampoline_kernelINS0_14default_configENS1_25transform_config_selectorIN3c107complexIdEELb1EEEZNS1_14transform_implILb1ES3_S8_PS7_SA_NS0_8identityIS7_EEEE10hipError_tT2_T3_mT4_P12ihipStream_tbEUlT_E_NS1_11comp_targetILNS1_3genE3ELNS1_11target_archE908ELNS1_3gpuE7ELNS1_3repE0EEENS1_30default_config_static_selectorELNS0_4arch9wavefront6targetE1EEEvT1_
    .private_segment_fixed_size: 0
    .sgpr_count:     4
    .sgpr_spill_count: 0
    .symbol:         _ZN7rocprim17ROCPRIM_400000_NS6detail17trampoline_kernelINS0_14default_configENS1_25transform_config_selectorIN3c107complexIdEELb1EEEZNS1_14transform_implILb1ES3_S8_PS7_SA_NS0_8identityIS7_EEEE10hipError_tT2_T3_mT4_P12ihipStream_tbEUlT_E_NS1_11comp_targetILNS1_3genE3ELNS1_11target_archE908ELNS1_3gpuE7ELNS1_3repE0EEENS1_30default_config_static_selectorELNS0_4arch9wavefront6targetE1EEEvT1_.kd
    .uniform_work_group_size: 1
    .uses_dynamic_stack: false
    .vgpr_count:     0
    .vgpr_spill_count: 0
    .wavefront_size: 64
  - .args:
      - .offset:         0
        .size:           40
        .value_kind:     by_value
      - .offset:         40
        .size:           4
        .value_kind:     hidden_block_count_x
      - .offset:         44
        .size:           4
        .value_kind:     hidden_block_count_y
      - .offset:         48
        .size:           4
        .value_kind:     hidden_block_count_z
      - .offset:         52
        .size:           2
        .value_kind:     hidden_group_size_x
      - .offset:         54
        .size:           2
        .value_kind:     hidden_group_size_y
      - .offset:         56
        .size:           2
        .value_kind:     hidden_group_size_z
      - .offset:         58
        .size:           2
        .value_kind:     hidden_remainder_x
      - .offset:         60
        .size:           2
        .value_kind:     hidden_remainder_y
      - .offset:         62
        .size:           2
        .value_kind:     hidden_remainder_z
      - .offset:         80
        .size:           8
        .value_kind:     hidden_global_offset_x
      - .offset:         88
        .size:           8
        .value_kind:     hidden_global_offset_y
      - .offset:         96
        .size:           8
        .value_kind:     hidden_global_offset_z
      - .offset:         104
        .size:           2
        .value_kind:     hidden_grid_dims
    .group_segment_fixed_size: 0
    .kernarg_segment_align: 8
    .kernarg_segment_size: 296
    .language:       OpenCL C
    .language_version:
      - 2
      - 0
    .max_flat_workgroup_size: 1024
    .name:           _ZN7rocprim17ROCPRIM_400000_NS6detail17trampoline_kernelINS0_14default_configENS1_25transform_config_selectorIN3c107complexIdEELb1EEEZNS1_14transform_implILb1ES3_S8_PS7_SA_NS0_8identityIS7_EEEE10hipError_tT2_T3_mT4_P12ihipStream_tbEUlT_E_NS1_11comp_targetILNS1_3genE2ELNS1_11target_archE906ELNS1_3gpuE6ELNS1_3repE0EEENS1_30default_config_static_selectorELNS0_4arch9wavefront6targetE1EEEvT1_
    .private_segment_fixed_size: 0
    .sgpr_count:     16
    .sgpr_spill_count: 0
    .symbol:         _ZN7rocprim17ROCPRIM_400000_NS6detail17trampoline_kernelINS0_14default_configENS1_25transform_config_selectorIN3c107complexIdEELb1EEEZNS1_14transform_implILb1ES3_S8_PS7_SA_NS0_8identityIS7_EEEE10hipError_tT2_T3_mT4_P12ihipStream_tbEUlT_E_NS1_11comp_targetILNS1_3genE2ELNS1_11target_archE906ELNS1_3gpuE6ELNS1_3repE0EEENS1_30default_config_static_selectorELNS0_4arch9wavefront6targetE1EEEvT1_.kd
    .uniform_work_group_size: 1
    .uses_dynamic_stack: false
    .vgpr_count:     5
    .vgpr_spill_count: 0
    .wavefront_size: 64
  - .args:
      - .offset:         0
        .size:           40
        .value_kind:     by_value
    .group_segment_fixed_size: 0
    .kernarg_segment_align: 8
    .kernarg_segment_size: 40
    .language:       OpenCL C
    .language_version:
      - 2
      - 0
    .max_flat_workgroup_size: 1024
    .name:           _ZN7rocprim17ROCPRIM_400000_NS6detail17trampoline_kernelINS0_14default_configENS1_25transform_config_selectorIN3c107complexIdEELb1EEEZNS1_14transform_implILb1ES3_S8_PS7_SA_NS0_8identityIS7_EEEE10hipError_tT2_T3_mT4_P12ihipStream_tbEUlT_E_NS1_11comp_targetILNS1_3genE9ELNS1_11target_archE1100ELNS1_3gpuE3ELNS1_3repE0EEENS1_30default_config_static_selectorELNS0_4arch9wavefront6targetE1EEEvT1_
    .private_segment_fixed_size: 0
    .sgpr_count:     4
    .sgpr_spill_count: 0
    .symbol:         _ZN7rocprim17ROCPRIM_400000_NS6detail17trampoline_kernelINS0_14default_configENS1_25transform_config_selectorIN3c107complexIdEELb1EEEZNS1_14transform_implILb1ES3_S8_PS7_SA_NS0_8identityIS7_EEEE10hipError_tT2_T3_mT4_P12ihipStream_tbEUlT_E_NS1_11comp_targetILNS1_3genE9ELNS1_11target_archE1100ELNS1_3gpuE3ELNS1_3repE0EEENS1_30default_config_static_selectorELNS0_4arch9wavefront6targetE1EEEvT1_.kd
    .uniform_work_group_size: 1
    .uses_dynamic_stack: false
    .vgpr_count:     0
    .vgpr_spill_count: 0
    .wavefront_size: 64
  - .args:
      - .offset:         0
        .size:           40
        .value_kind:     by_value
    .group_segment_fixed_size: 0
    .kernarg_segment_align: 8
    .kernarg_segment_size: 40
    .language:       OpenCL C
    .language_version:
      - 2
      - 0
    .max_flat_workgroup_size: 1024
    .name:           _ZN7rocprim17ROCPRIM_400000_NS6detail17trampoline_kernelINS0_14default_configENS1_25transform_config_selectorIN3c107complexIdEELb1EEEZNS1_14transform_implILb1ES3_S8_PS7_SA_NS0_8identityIS7_EEEE10hipError_tT2_T3_mT4_P12ihipStream_tbEUlT_E_NS1_11comp_targetILNS1_3genE8ELNS1_11target_archE1030ELNS1_3gpuE2ELNS1_3repE0EEENS1_30default_config_static_selectorELNS0_4arch9wavefront6targetE1EEEvT1_
    .private_segment_fixed_size: 0
    .sgpr_count:     4
    .sgpr_spill_count: 0
    .symbol:         _ZN7rocprim17ROCPRIM_400000_NS6detail17trampoline_kernelINS0_14default_configENS1_25transform_config_selectorIN3c107complexIdEELb1EEEZNS1_14transform_implILb1ES3_S8_PS7_SA_NS0_8identityIS7_EEEE10hipError_tT2_T3_mT4_P12ihipStream_tbEUlT_E_NS1_11comp_targetILNS1_3genE8ELNS1_11target_archE1030ELNS1_3gpuE2ELNS1_3repE0EEENS1_30default_config_static_selectorELNS0_4arch9wavefront6targetE1EEEvT1_.kd
    .uniform_work_group_size: 1
    .uses_dynamic_stack: false
    .vgpr_count:     0
    .vgpr_spill_count: 0
    .wavefront_size: 64
  - .args:
      - .offset:         0
        .size:           48
        .value_kind:     by_value
    .group_segment_fixed_size: 0
    .kernarg_segment_align: 16
    .kernarg_segment_size: 48
    .language:       OpenCL C
    .language_version:
      - 2
      - 0
    .max_flat_workgroup_size: 128
    .name:           _ZN7rocprim17ROCPRIM_400000_NS6detail17trampoline_kernelINS0_14default_configENS1_20scan_config_selectorIN3c107complexIdEEEEZZNS1_9scan_implILNS1_25lookback_scan_determinismE0ELb0ELb0ES3_PKS7_PS7_S7_ZZZN2at6native31launch_logcumsumexp_cuda_kernelERKNSE_10TensorBaseESI_lENKUlvE_clEvENKUlvE1_clEvEUlS7_S7_E_S7_EEDaPvRmT3_T4_T5_mT6_P12ihipStream_tbENKUlT_T0_E_clISt17integral_constantIbLb0EESZ_EEDaSU_SV_EUlSU_E0_NS1_11comp_targetILNS1_3genE0ELNS1_11target_archE4294967295ELNS1_3gpuE0ELNS1_3repE0EEENS1_30default_config_static_selectorELNS0_4arch9wavefront6targetE1EEEvT1_
    .private_segment_fixed_size: 0
    .sgpr_count:     4
    .sgpr_spill_count: 0
    .symbol:         _ZN7rocprim17ROCPRIM_400000_NS6detail17trampoline_kernelINS0_14default_configENS1_20scan_config_selectorIN3c107complexIdEEEEZZNS1_9scan_implILNS1_25lookback_scan_determinismE0ELb0ELb0ES3_PKS7_PS7_S7_ZZZN2at6native31launch_logcumsumexp_cuda_kernelERKNSE_10TensorBaseESI_lENKUlvE_clEvENKUlvE1_clEvEUlS7_S7_E_S7_EEDaPvRmT3_T4_T5_mT6_P12ihipStream_tbENKUlT_T0_E_clISt17integral_constantIbLb0EESZ_EEDaSU_SV_EUlSU_E0_NS1_11comp_targetILNS1_3genE0ELNS1_11target_archE4294967295ELNS1_3gpuE0ELNS1_3repE0EEENS1_30default_config_static_selectorELNS0_4arch9wavefront6targetE1EEEvT1_.kd
    .uniform_work_group_size: 1
    .uses_dynamic_stack: false
    .vgpr_count:     0
    .vgpr_spill_count: 0
    .wavefront_size: 64
  - .args:
      - .offset:         0
        .size:           48
        .value_kind:     by_value
    .group_segment_fixed_size: 0
    .kernarg_segment_align: 16
    .kernarg_segment_size: 48
    .language:       OpenCL C
    .language_version:
      - 2
      - 0
    .max_flat_workgroup_size: 256
    .name:           _ZN7rocprim17ROCPRIM_400000_NS6detail17trampoline_kernelINS0_14default_configENS1_20scan_config_selectorIN3c107complexIdEEEEZZNS1_9scan_implILNS1_25lookback_scan_determinismE0ELb0ELb0ES3_PKS7_PS7_S7_ZZZN2at6native31launch_logcumsumexp_cuda_kernelERKNSE_10TensorBaseESI_lENKUlvE_clEvENKUlvE1_clEvEUlS7_S7_E_S7_EEDaPvRmT3_T4_T5_mT6_P12ihipStream_tbENKUlT_T0_E_clISt17integral_constantIbLb0EESZ_EEDaSU_SV_EUlSU_E0_NS1_11comp_targetILNS1_3genE5ELNS1_11target_archE942ELNS1_3gpuE9ELNS1_3repE0EEENS1_30default_config_static_selectorELNS0_4arch9wavefront6targetE1EEEvT1_
    .private_segment_fixed_size: 0
    .sgpr_count:     4
    .sgpr_spill_count: 0
    .symbol:         _ZN7rocprim17ROCPRIM_400000_NS6detail17trampoline_kernelINS0_14default_configENS1_20scan_config_selectorIN3c107complexIdEEEEZZNS1_9scan_implILNS1_25lookback_scan_determinismE0ELb0ELb0ES3_PKS7_PS7_S7_ZZZN2at6native31launch_logcumsumexp_cuda_kernelERKNSE_10TensorBaseESI_lENKUlvE_clEvENKUlvE1_clEvEUlS7_S7_E_S7_EEDaPvRmT3_T4_T5_mT6_P12ihipStream_tbENKUlT_T0_E_clISt17integral_constantIbLb0EESZ_EEDaSU_SV_EUlSU_E0_NS1_11comp_targetILNS1_3genE5ELNS1_11target_archE942ELNS1_3gpuE9ELNS1_3repE0EEENS1_30default_config_static_selectorELNS0_4arch9wavefront6targetE1EEEvT1_.kd
    .uniform_work_group_size: 1
    .uses_dynamic_stack: false
    .vgpr_count:     0
    .vgpr_spill_count: 0
    .wavefront_size: 64
  - .args:
      - .offset:         0
        .size:           48
        .value_kind:     by_value
    .group_segment_fixed_size: 0
    .kernarg_segment_align: 16
    .kernarg_segment_size: 48
    .language:       OpenCL C
    .language_version:
      - 2
      - 0
    .max_flat_workgroup_size: 64
    .name:           _ZN7rocprim17ROCPRIM_400000_NS6detail17trampoline_kernelINS0_14default_configENS1_20scan_config_selectorIN3c107complexIdEEEEZZNS1_9scan_implILNS1_25lookback_scan_determinismE0ELb0ELb0ES3_PKS7_PS7_S7_ZZZN2at6native31launch_logcumsumexp_cuda_kernelERKNSE_10TensorBaseESI_lENKUlvE_clEvENKUlvE1_clEvEUlS7_S7_E_S7_EEDaPvRmT3_T4_T5_mT6_P12ihipStream_tbENKUlT_T0_E_clISt17integral_constantIbLb0EESZ_EEDaSU_SV_EUlSU_E0_NS1_11comp_targetILNS1_3genE4ELNS1_11target_archE910ELNS1_3gpuE8ELNS1_3repE0EEENS1_30default_config_static_selectorELNS0_4arch9wavefront6targetE1EEEvT1_
    .private_segment_fixed_size: 0
    .sgpr_count:     4
    .sgpr_spill_count: 0
    .symbol:         _ZN7rocprim17ROCPRIM_400000_NS6detail17trampoline_kernelINS0_14default_configENS1_20scan_config_selectorIN3c107complexIdEEEEZZNS1_9scan_implILNS1_25lookback_scan_determinismE0ELb0ELb0ES3_PKS7_PS7_S7_ZZZN2at6native31launch_logcumsumexp_cuda_kernelERKNSE_10TensorBaseESI_lENKUlvE_clEvENKUlvE1_clEvEUlS7_S7_E_S7_EEDaPvRmT3_T4_T5_mT6_P12ihipStream_tbENKUlT_T0_E_clISt17integral_constantIbLb0EESZ_EEDaSU_SV_EUlSU_E0_NS1_11comp_targetILNS1_3genE4ELNS1_11target_archE910ELNS1_3gpuE8ELNS1_3repE0EEENS1_30default_config_static_selectorELNS0_4arch9wavefront6targetE1EEEvT1_.kd
    .uniform_work_group_size: 1
    .uses_dynamic_stack: false
    .vgpr_count:     0
    .vgpr_spill_count: 0
    .wavefront_size: 64
  - .args:
      - .offset:         0
        .size:           48
        .value_kind:     by_value
    .group_segment_fixed_size: 0
    .kernarg_segment_align: 16
    .kernarg_segment_size: 48
    .language:       OpenCL C
    .language_version:
      - 2
      - 0
    .max_flat_workgroup_size: 128
    .name:           _ZN7rocprim17ROCPRIM_400000_NS6detail17trampoline_kernelINS0_14default_configENS1_20scan_config_selectorIN3c107complexIdEEEEZZNS1_9scan_implILNS1_25lookback_scan_determinismE0ELb0ELb0ES3_PKS7_PS7_S7_ZZZN2at6native31launch_logcumsumexp_cuda_kernelERKNSE_10TensorBaseESI_lENKUlvE_clEvENKUlvE1_clEvEUlS7_S7_E_S7_EEDaPvRmT3_T4_T5_mT6_P12ihipStream_tbENKUlT_T0_E_clISt17integral_constantIbLb0EESZ_EEDaSU_SV_EUlSU_E0_NS1_11comp_targetILNS1_3genE3ELNS1_11target_archE908ELNS1_3gpuE7ELNS1_3repE0EEENS1_30default_config_static_selectorELNS0_4arch9wavefront6targetE1EEEvT1_
    .private_segment_fixed_size: 0
    .sgpr_count:     4
    .sgpr_spill_count: 0
    .symbol:         _ZN7rocprim17ROCPRIM_400000_NS6detail17trampoline_kernelINS0_14default_configENS1_20scan_config_selectorIN3c107complexIdEEEEZZNS1_9scan_implILNS1_25lookback_scan_determinismE0ELb0ELb0ES3_PKS7_PS7_S7_ZZZN2at6native31launch_logcumsumexp_cuda_kernelERKNSE_10TensorBaseESI_lENKUlvE_clEvENKUlvE1_clEvEUlS7_S7_E_S7_EEDaPvRmT3_T4_T5_mT6_P12ihipStream_tbENKUlT_T0_E_clISt17integral_constantIbLb0EESZ_EEDaSU_SV_EUlSU_E0_NS1_11comp_targetILNS1_3genE3ELNS1_11target_archE908ELNS1_3gpuE7ELNS1_3repE0EEENS1_30default_config_static_selectorELNS0_4arch9wavefront6targetE1EEEvT1_.kd
    .uniform_work_group_size: 1
    .uses_dynamic_stack: false
    .vgpr_count:     0
    .vgpr_spill_count: 0
    .wavefront_size: 64
  - .args:
      - .offset:         0
        .size:           48
        .value_kind:     by_value
    .group_segment_fixed_size: 15360
    .kernarg_segment_align: 16
    .kernarg_segment_size: 48
    .language:       OpenCL C
    .language_version:
      - 2
      - 0
    .max_flat_workgroup_size: 64
    .name:           _ZN7rocprim17ROCPRIM_400000_NS6detail17trampoline_kernelINS0_14default_configENS1_20scan_config_selectorIN3c107complexIdEEEEZZNS1_9scan_implILNS1_25lookback_scan_determinismE0ELb0ELb0ES3_PKS7_PS7_S7_ZZZN2at6native31launch_logcumsumexp_cuda_kernelERKNSE_10TensorBaseESI_lENKUlvE_clEvENKUlvE1_clEvEUlS7_S7_E_S7_EEDaPvRmT3_T4_T5_mT6_P12ihipStream_tbENKUlT_T0_E_clISt17integral_constantIbLb0EESZ_EEDaSU_SV_EUlSU_E0_NS1_11comp_targetILNS1_3genE2ELNS1_11target_archE906ELNS1_3gpuE6ELNS1_3repE0EEENS1_30default_config_static_selectorELNS0_4arch9wavefront6targetE1EEEvT1_
    .private_segment_fixed_size: 0
    .sgpr_count:     76
    .sgpr_spill_count: 0
    .symbol:         _ZN7rocprim17ROCPRIM_400000_NS6detail17trampoline_kernelINS0_14default_configENS1_20scan_config_selectorIN3c107complexIdEEEEZZNS1_9scan_implILNS1_25lookback_scan_determinismE0ELb0ELb0ES3_PKS7_PS7_S7_ZZZN2at6native31launch_logcumsumexp_cuda_kernelERKNSE_10TensorBaseESI_lENKUlvE_clEvENKUlvE1_clEvEUlS7_S7_E_S7_EEDaPvRmT3_T4_T5_mT6_P12ihipStream_tbENKUlT_T0_E_clISt17integral_constantIbLb0EESZ_EEDaSU_SV_EUlSU_E0_NS1_11comp_targetILNS1_3genE2ELNS1_11target_archE906ELNS1_3gpuE6ELNS1_3repE0EEENS1_30default_config_static_selectorELNS0_4arch9wavefront6targetE1EEEvT1_.kd
    .uniform_work_group_size: 1
    .uses_dynamic_stack: false
    .vgpr_count:     167
    .vgpr_spill_count: 0
    .wavefront_size: 64
  - .args:
      - .offset:         0
        .size:           48
        .value_kind:     by_value
    .group_segment_fixed_size: 0
    .kernarg_segment_align: 16
    .kernarg_segment_size: 48
    .language:       OpenCL C
    .language_version:
      - 2
      - 0
    .max_flat_workgroup_size: 256
    .name:           _ZN7rocprim17ROCPRIM_400000_NS6detail17trampoline_kernelINS0_14default_configENS1_20scan_config_selectorIN3c107complexIdEEEEZZNS1_9scan_implILNS1_25lookback_scan_determinismE0ELb0ELb0ES3_PKS7_PS7_S7_ZZZN2at6native31launch_logcumsumexp_cuda_kernelERKNSE_10TensorBaseESI_lENKUlvE_clEvENKUlvE1_clEvEUlS7_S7_E_S7_EEDaPvRmT3_T4_T5_mT6_P12ihipStream_tbENKUlT_T0_E_clISt17integral_constantIbLb0EESZ_EEDaSU_SV_EUlSU_E0_NS1_11comp_targetILNS1_3genE10ELNS1_11target_archE1201ELNS1_3gpuE5ELNS1_3repE0EEENS1_30default_config_static_selectorELNS0_4arch9wavefront6targetE1EEEvT1_
    .private_segment_fixed_size: 0
    .sgpr_count:     4
    .sgpr_spill_count: 0
    .symbol:         _ZN7rocprim17ROCPRIM_400000_NS6detail17trampoline_kernelINS0_14default_configENS1_20scan_config_selectorIN3c107complexIdEEEEZZNS1_9scan_implILNS1_25lookback_scan_determinismE0ELb0ELb0ES3_PKS7_PS7_S7_ZZZN2at6native31launch_logcumsumexp_cuda_kernelERKNSE_10TensorBaseESI_lENKUlvE_clEvENKUlvE1_clEvEUlS7_S7_E_S7_EEDaPvRmT3_T4_T5_mT6_P12ihipStream_tbENKUlT_T0_E_clISt17integral_constantIbLb0EESZ_EEDaSU_SV_EUlSU_E0_NS1_11comp_targetILNS1_3genE10ELNS1_11target_archE1201ELNS1_3gpuE5ELNS1_3repE0EEENS1_30default_config_static_selectorELNS0_4arch9wavefront6targetE1EEEvT1_.kd
    .uniform_work_group_size: 1
    .uses_dynamic_stack: false
    .vgpr_count:     0
    .vgpr_spill_count: 0
    .wavefront_size: 64
  - .args:
      - .offset:         0
        .size:           48
        .value_kind:     by_value
    .group_segment_fixed_size: 0
    .kernarg_segment_align: 16
    .kernarg_segment_size: 48
    .language:       OpenCL C
    .language_version:
      - 2
      - 0
    .max_flat_workgroup_size: 256
    .name:           _ZN7rocprim17ROCPRIM_400000_NS6detail17trampoline_kernelINS0_14default_configENS1_20scan_config_selectorIN3c107complexIdEEEEZZNS1_9scan_implILNS1_25lookback_scan_determinismE0ELb0ELb0ES3_PKS7_PS7_S7_ZZZN2at6native31launch_logcumsumexp_cuda_kernelERKNSE_10TensorBaseESI_lENKUlvE_clEvENKUlvE1_clEvEUlS7_S7_E_S7_EEDaPvRmT3_T4_T5_mT6_P12ihipStream_tbENKUlT_T0_E_clISt17integral_constantIbLb0EESZ_EEDaSU_SV_EUlSU_E0_NS1_11comp_targetILNS1_3genE10ELNS1_11target_archE1200ELNS1_3gpuE4ELNS1_3repE0EEENS1_30default_config_static_selectorELNS0_4arch9wavefront6targetE1EEEvT1_
    .private_segment_fixed_size: 0
    .sgpr_count:     4
    .sgpr_spill_count: 0
    .symbol:         _ZN7rocprim17ROCPRIM_400000_NS6detail17trampoline_kernelINS0_14default_configENS1_20scan_config_selectorIN3c107complexIdEEEEZZNS1_9scan_implILNS1_25lookback_scan_determinismE0ELb0ELb0ES3_PKS7_PS7_S7_ZZZN2at6native31launch_logcumsumexp_cuda_kernelERKNSE_10TensorBaseESI_lENKUlvE_clEvENKUlvE1_clEvEUlS7_S7_E_S7_EEDaPvRmT3_T4_T5_mT6_P12ihipStream_tbENKUlT_T0_E_clISt17integral_constantIbLb0EESZ_EEDaSU_SV_EUlSU_E0_NS1_11comp_targetILNS1_3genE10ELNS1_11target_archE1200ELNS1_3gpuE4ELNS1_3repE0EEENS1_30default_config_static_selectorELNS0_4arch9wavefront6targetE1EEEvT1_.kd
    .uniform_work_group_size: 1
    .uses_dynamic_stack: false
    .vgpr_count:     0
    .vgpr_spill_count: 0
    .wavefront_size: 64
  - .args:
      - .offset:         0
        .size:           48
        .value_kind:     by_value
    .group_segment_fixed_size: 0
    .kernarg_segment_align: 16
    .kernarg_segment_size: 48
    .language:       OpenCL C
    .language_version:
      - 2
      - 0
    .max_flat_workgroup_size: 256
    .name:           _ZN7rocprim17ROCPRIM_400000_NS6detail17trampoline_kernelINS0_14default_configENS1_20scan_config_selectorIN3c107complexIdEEEEZZNS1_9scan_implILNS1_25lookback_scan_determinismE0ELb0ELb0ES3_PKS7_PS7_S7_ZZZN2at6native31launch_logcumsumexp_cuda_kernelERKNSE_10TensorBaseESI_lENKUlvE_clEvENKUlvE1_clEvEUlS7_S7_E_S7_EEDaPvRmT3_T4_T5_mT6_P12ihipStream_tbENKUlT_T0_E_clISt17integral_constantIbLb0EESZ_EEDaSU_SV_EUlSU_E0_NS1_11comp_targetILNS1_3genE9ELNS1_11target_archE1100ELNS1_3gpuE3ELNS1_3repE0EEENS1_30default_config_static_selectorELNS0_4arch9wavefront6targetE1EEEvT1_
    .private_segment_fixed_size: 0
    .sgpr_count:     4
    .sgpr_spill_count: 0
    .symbol:         _ZN7rocprim17ROCPRIM_400000_NS6detail17trampoline_kernelINS0_14default_configENS1_20scan_config_selectorIN3c107complexIdEEEEZZNS1_9scan_implILNS1_25lookback_scan_determinismE0ELb0ELb0ES3_PKS7_PS7_S7_ZZZN2at6native31launch_logcumsumexp_cuda_kernelERKNSE_10TensorBaseESI_lENKUlvE_clEvENKUlvE1_clEvEUlS7_S7_E_S7_EEDaPvRmT3_T4_T5_mT6_P12ihipStream_tbENKUlT_T0_E_clISt17integral_constantIbLb0EESZ_EEDaSU_SV_EUlSU_E0_NS1_11comp_targetILNS1_3genE9ELNS1_11target_archE1100ELNS1_3gpuE3ELNS1_3repE0EEENS1_30default_config_static_selectorELNS0_4arch9wavefront6targetE1EEEvT1_.kd
    .uniform_work_group_size: 1
    .uses_dynamic_stack: false
    .vgpr_count:     0
    .vgpr_spill_count: 0
    .wavefront_size: 64
  - .args:
      - .offset:         0
        .size:           48
        .value_kind:     by_value
    .group_segment_fixed_size: 0
    .kernarg_segment_align: 16
    .kernarg_segment_size: 48
    .language:       OpenCL C
    .language_version:
      - 2
      - 0
    .max_flat_workgroup_size: 256
    .name:           _ZN7rocprim17ROCPRIM_400000_NS6detail17trampoline_kernelINS0_14default_configENS1_20scan_config_selectorIN3c107complexIdEEEEZZNS1_9scan_implILNS1_25lookback_scan_determinismE0ELb0ELb0ES3_PKS7_PS7_S7_ZZZN2at6native31launch_logcumsumexp_cuda_kernelERKNSE_10TensorBaseESI_lENKUlvE_clEvENKUlvE1_clEvEUlS7_S7_E_S7_EEDaPvRmT3_T4_T5_mT6_P12ihipStream_tbENKUlT_T0_E_clISt17integral_constantIbLb0EESZ_EEDaSU_SV_EUlSU_E0_NS1_11comp_targetILNS1_3genE8ELNS1_11target_archE1030ELNS1_3gpuE2ELNS1_3repE0EEENS1_30default_config_static_selectorELNS0_4arch9wavefront6targetE1EEEvT1_
    .private_segment_fixed_size: 0
    .sgpr_count:     4
    .sgpr_spill_count: 0
    .symbol:         _ZN7rocprim17ROCPRIM_400000_NS6detail17trampoline_kernelINS0_14default_configENS1_20scan_config_selectorIN3c107complexIdEEEEZZNS1_9scan_implILNS1_25lookback_scan_determinismE0ELb0ELb0ES3_PKS7_PS7_S7_ZZZN2at6native31launch_logcumsumexp_cuda_kernelERKNSE_10TensorBaseESI_lENKUlvE_clEvENKUlvE1_clEvEUlS7_S7_E_S7_EEDaPvRmT3_T4_T5_mT6_P12ihipStream_tbENKUlT_T0_E_clISt17integral_constantIbLb0EESZ_EEDaSU_SV_EUlSU_E0_NS1_11comp_targetILNS1_3genE8ELNS1_11target_archE1030ELNS1_3gpuE2ELNS1_3repE0EEENS1_30default_config_static_selectorELNS0_4arch9wavefront6targetE1EEEvT1_.kd
    .uniform_work_group_size: 1
    .uses_dynamic_stack: false
    .vgpr_count:     0
    .vgpr_spill_count: 0
    .wavefront_size: 64
  - .args:
      - .offset:         0
        .size:           24
        .value_kind:     by_value
      - .offset:         24
        .size:           4
        .value_kind:     by_value
      - .address_space:  global
        .offset:         32
        .size:           8
        .value_kind:     global_buffer
      - .offset:         40
        .size:           4
        .value_kind:     by_value
      - .address_space:  global
        .offset:         48
        .size:           8
        .value_kind:     global_buffer
      - .offset:         56
        .size:           4
        .value_kind:     hidden_block_count_x
      - .offset:         60
        .size:           4
        .value_kind:     hidden_block_count_y
      - .offset:         64
        .size:           4
        .value_kind:     hidden_block_count_z
      - .offset:         68
        .size:           2
        .value_kind:     hidden_group_size_x
      - .offset:         70
        .size:           2
        .value_kind:     hidden_group_size_y
      - .offset:         72
        .size:           2
        .value_kind:     hidden_group_size_z
      - .offset:         74
        .size:           2
        .value_kind:     hidden_remainder_x
      - .offset:         76
        .size:           2
        .value_kind:     hidden_remainder_y
      - .offset:         78
        .size:           2
        .value_kind:     hidden_remainder_z
      - .offset:         96
        .size:           8
        .value_kind:     hidden_global_offset_x
      - .offset:         104
        .size:           8
        .value_kind:     hidden_global_offset_y
      - .offset:         112
        .size:           8
        .value_kind:     hidden_global_offset_z
      - .offset:         120
        .size:           2
        .value_kind:     hidden_grid_dims
    .group_segment_fixed_size: 0
    .kernarg_segment_align: 8
    .kernarg_segment_size: 312
    .language:       OpenCL C
    .language_version:
      - 2
      - 0
    .max_flat_workgroup_size: 256
    .name:           _ZN7rocprim17ROCPRIM_400000_NS6detail31init_lookback_scan_state_kernelINS1_19lookback_scan_stateIN3c107complexIdEELb1ELb0EEENS1_16block_id_wrapperIjLb1EEEEEvT_jT0_jPNSA_10value_typeE
    .private_segment_fixed_size: 0
    .sgpr_count:     24
    .sgpr_spill_count: 0
    .symbol:         _ZN7rocprim17ROCPRIM_400000_NS6detail31init_lookback_scan_state_kernelINS1_19lookback_scan_stateIN3c107complexIdEELb1ELb0EEENS1_16block_id_wrapperIjLb1EEEEEvT_jT0_jPNSA_10value_typeE.kd
    .uniform_work_group_size: 1
    .uses_dynamic_stack: false
    .vgpr_count:     6
    .vgpr_spill_count: 0
    .wavefront_size: 64
  - .args:
      - .offset:         0
        .size:           128
        .value_kind:     by_value
    .group_segment_fixed_size: 0
    .kernarg_segment_align: 16
    .kernarg_segment_size: 128
    .language:       OpenCL C
    .language_version:
      - 2
      - 0
    .max_flat_workgroup_size: 128
    .name:           _ZN7rocprim17ROCPRIM_400000_NS6detail17trampoline_kernelINS0_14default_configENS1_20scan_config_selectorIN3c107complexIdEEEEZZNS1_9scan_implILNS1_25lookback_scan_determinismE0ELb0ELb0ES3_PKS7_PS7_S7_ZZZN2at6native31launch_logcumsumexp_cuda_kernelERKNSE_10TensorBaseESI_lENKUlvE_clEvENKUlvE1_clEvEUlS7_S7_E_S7_EEDaPvRmT3_T4_T5_mT6_P12ihipStream_tbENKUlT_T0_E_clISt17integral_constantIbLb1EESZ_EEDaSU_SV_EUlSU_E_NS1_11comp_targetILNS1_3genE0ELNS1_11target_archE4294967295ELNS1_3gpuE0ELNS1_3repE0EEENS1_30default_config_static_selectorELNS0_4arch9wavefront6targetE1EEEvT1_
    .private_segment_fixed_size: 0
    .sgpr_count:     4
    .sgpr_spill_count: 0
    .symbol:         _ZN7rocprim17ROCPRIM_400000_NS6detail17trampoline_kernelINS0_14default_configENS1_20scan_config_selectorIN3c107complexIdEEEEZZNS1_9scan_implILNS1_25lookback_scan_determinismE0ELb0ELb0ES3_PKS7_PS7_S7_ZZZN2at6native31launch_logcumsumexp_cuda_kernelERKNSE_10TensorBaseESI_lENKUlvE_clEvENKUlvE1_clEvEUlS7_S7_E_S7_EEDaPvRmT3_T4_T5_mT6_P12ihipStream_tbENKUlT_T0_E_clISt17integral_constantIbLb1EESZ_EEDaSU_SV_EUlSU_E_NS1_11comp_targetILNS1_3genE0ELNS1_11target_archE4294967295ELNS1_3gpuE0ELNS1_3repE0EEENS1_30default_config_static_selectorELNS0_4arch9wavefront6targetE1EEEvT1_.kd
    .uniform_work_group_size: 1
    .uses_dynamic_stack: false
    .vgpr_count:     0
    .vgpr_spill_count: 0
    .wavefront_size: 64
  - .args:
      - .offset:         0
        .size:           128
        .value_kind:     by_value
    .group_segment_fixed_size: 0
    .kernarg_segment_align: 16
    .kernarg_segment_size: 128
    .language:       OpenCL C
    .language_version:
      - 2
      - 0
    .max_flat_workgroup_size: 256
    .name:           _ZN7rocprim17ROCPRIM_400000_NS6detail17trampoline_kernelINS0_14default_configENS1_20scan_config_selectorIN3c107complexIdEEEEZZNS1_9scan_implILNS1_25lookback_scan_determinismE0ELb0ELb0ES3_PKS7_PS7_S7_ZZZN2at6native31launch_logcumsumexp_cuda_kernelERKNSE_10TensorBaseESI_lENKUlvE_clEvENKUlvE1_clEvEUlS7_S7_E_S7_EEDaPvRmT3_T4_T5_mT6_P12ihipStream_tbENKUlT_T0_E_clISt17integral_constantIbLb1EESZ_EEDaSU_SV_EUlSU_E_NS1_11comp_targetILNS1_3genE5ELNS1_11target_archE942ELNS1_3gpuE9ELNS1_3repE0EEENS1_30default_config_static_selectorELNS0_4arch9wavefront6targetE1EEEvT1_
    .private_segment_fixed_size: 0
    .sgpr_count:     4
    .sgpr_spill_count: 0
    .symbol:         _ZN7rocprim17ROCPRIM_400000_NS6detail17trampoline_kernelINS0_14default_configENS1_20scan_config_selectorIN3c107complexIdEEEEZZNS1_9scan_implILNS1_25lookback_scan_determinismE0ELb0ELb0ES3_PKS7_PS7_S7_ZZZN2at6native31launch_logcumsumexp_cuda_kernelERKNSE_10TensorBaseESI_lENKUlvE_clEvENKUlvE1_clEvEUlS7_S7_E_S7_EEDaPvRmT3_T4_T5_mT6_P12ihipStream_tbENKUlT_T0_E_clISt17integral_constantIbLb1EESZ_EEDaSU_SV_EUlSU_E_NS1_11comp_targetILNS1_3genE5ELNS1_11target_archE942ELNS1_3gpuE9ELNS1_3repE0EEENS1_30default_config_static_selectorELNS0_4arch9wavefront6targetE1EEEvT1_.kd
    .uniform_work_group_size: 1
    .uses_dynamic_stack: false
    .vgpr_count:     0
    .vgpr_spill_count: 0
    .wavefront_size: 64
  - .args:
      - .offset:         0
        .size:           128
        .value_kind:     by_value
    .group_segment_fixed_size: 0
    .kernarg_segment_align: 16
    .kernarg_segment_size: 128
    .language:       OpenCL C
    .language_version:
      - 2
      - 0
    .max_flat_workgroup_size: 64
    .name:           _ZN7rocprim17ROCPRIM_400000_NS6detail17trampoline_kernelINS0_14default_configENS1_20scan_config_selectorIN3c107complexIdEEEEZZNS1_9scan_implILNS1_25lookback_scan_determinismE0ELb0ELb0ES3_PKS7_PS7_S7_ZZZN2at6native31launch_logcumsumexp_cuda_kernelERKNSE_10TensorBaseESI_lENKUlvE_clEvENKUlvE1_clEvEUlS7_S7_E_S7_EEDaPvRmT3_T4_T5_mT6_P12ihipStream_tbENKUlT_T0_E_clISt17integral_constantIbLb1EESZ_EEDaSU_SV_EUlSU_E_NS1_11comp_targetILNS1_3genE4ELNS1_11target_archE910ELNS1_3gpuE8ELNS1_3repE0EEENS1_30default_config_static_selectorELNS0_4arch9wavefront6targetE1EEEvT1_
    .private_segment_fixed_size: 0
    .sgpr_count:     4
    .sgpr_spill_count: 0
    .symbol:         _ZN7rocprim17ROCPRIM_400000_NS6detail17trampoline_kernelINS0_14default_configENS1_20scan_config_selectorIN3c107complexIdEEEEZZNS1_9scan_implILNS1_25lookback_scan_determinismE0ELb0ELb0ES3_PKS7_PS7_S7_ZZZN2at6native31launch_logcumsumexp_cuda_kernelERKNSE_10TensorBaseESI_lENKUlvE_clEvENKUlvE1_clEvEUlS7_S7_E_S7_EEDaPvRmT3_T4_T5_mT6_P12ihipStream_tbENKUlT_T0_E_clISt17integral_constantIbLb1EESZ_EEDaSU_SV_EUlSU_E_NS1_11comp_targetILNS1_3genE4ELNS1_11target_archE910ELNS1_3gpuE8ELNS1_3repE0EEENS1_30default_config_static_selectorELNS0_4arch9wavefront6targetE1EEEvT1_.kd
    .uniform_work_group_size: 1
    .uses_dynamic_stack: false
    .vgpr_count:     0
    .vgpr_spill_count: 0
    .wavefront_size: 64
  - .args:
      - .offset:         0
        .size:           128
        .value_kind:     by_value
    .group_segment_fixed_size: 0
    .kernarg_segment_align: 16
    .kernarg_segment_size: 128
    .language:       OpenCL C
    .language_version:
      - 2
      - 0
    .max_flat_workgroup_size: 128
    .name:           _ZN7rocprim17ROCPRIM_400000_NS6detail17trampoline_kernelINS0_14default_configENS1_20scan_config_selectorIN3c107complexIdEEEEZZNS1_9scan_implILNS1_25lookback_scan_determinismE0ELb0ELb0ES3_PKS7_PS7_S7_ZZZN2at6native31launch_logcumsumexp_cuda_kernelERKNSE_10TensorBaseESI_lENKUlvE_clEvENKUlvE1_clEvEUlS7_S7_E_S7_EEDaPvRmT3_T4_T5_mT6_P12ihipStream_tbENKUlT_T0_E_clISt17integral_constantIbLb1EESZ_EEDaSU_SV_EUlSU_E_NS1_11comp_targetILNS1_3genE3ELNS1_11target_archE908ELNS1_3gpuE7ELNS1_3repE0EEENS1_30default_config_static_selectorELNS0_4arch9wavefront6targetE1EEEvT1_
    .private_segment_fixed_size: 0
    .sgpr_count:     4
    .sgpr_spill_count: 0
    .symbol:         _ZN7rocprim17ROCPRIM_400000_NS6detail17trampoline_kernelINS0_14default_configENS1_20scan_config_selectorIN3c107complexIdEEEEZZNS1_9scan_implILNS1_25lookback_scan_determinismE0ELb0ELb0ES3_PKS7_PS7_S7_ZZZN2at6native31launch_logcumsumexp_cuda_kernelERKNSE_10TensorBaseESI_lENKUlvE_clEvENKUlvE1_clEvEUlS7_S7_E_S7_EEDaPvRmT3_T4_T5_mT6_P12ihipStream_tbENKUlT_T0_E_clISt17integral_constantIbLb1EESZ_EEDaSU_SV_EUlSU_E_NS1_11comp_targetILNS1_3genE3ELNS1_11target_archE908ELNS1_3gpuE7ELNS1_3repE0EEENS1_30default_config_static_selectorELNS0_4arch9wavefront6targetE1EEEvT1_.kd
    .uniform_work_group_size: 1
    .uses_dynamic_stack: false
    .vgpr_count:     0
    .vgpr_spill_count: 0
    .wavefront_size: 64
  - .args:
      - .offset:         0
        .size:           128
        .value_kind:     by_value
    .group_segment_fixed_size: 0
    .kernarg_segment_align: 16
    .kernarg_segment_size: 128
    .language:       OpenCL C
    .language_version:
      - 2
      - 0
    .max_flat_workgroup_size: 64
    .name:           _ZN7rocprim17ROCPRIM_400000_NS6detail17trampoline_kernelINS0_14default_configENS1_20scan_config_selectorIN3c107complexIdEEEEZZNS1_9scan_implILNS1_25lookback_scan_determinismE0ELb0ELb0ES3_PKS7_PS7_S7_ZZZN2at6native31launch_logcumsumexp_cuda_kernelERKNSE_10TensorBaseESI_lENKUlvE_clEvENKUlvE1_clEvEUlS7_S7_E_S7_EEDaPvRmT3_T4_T5_mT6_P12ihipStream_tbENKUlT_T0_E_clISt17integral_constantIbLb1EESZ_EEDaSU_SV_EUlSU_E_NS1_11comp_targetILNS1_3genE2ELNS1_11target_archE906ELNS1_3gpuE6ELNS1_3repE0EEENS1_30default_config_static_selectorELNS0_4arch9wavefront6targetE1EEEvT1_
    .private_segment_fixed_size: 0
    .sgpr_count:     4
    .sgpr_spill_count: 0
    .symbol:         _ZN7rocprim17ROCPRIM_400000_NS6detail17trampoline_kernelINS0_14default_configENS1_20scan_config_selectorIN3c107complexIdEEEEZZNS1_9scan_implILNS1_25lookback_scan_determinismE0ELb0ELb0ES3_PKS7_PS7_S7_ZZZN2at6native31launch_logcumsumexp_cuda_kernelERKNSE_10TensorBaseESI_lENKUlvE_clEvENKUlvE1_clEvEUlS7_S7_E_S7_EEDaPvRmT3_T4_T5_mT6_P12ihipStream_tbENKUlT_T0_E_clISt17integral_constantIbLb1EESZ_EEDaSU_SV_EUlSU_E_NS1_11comp_targetILNS1_3genE2ELNS1_11target_archE906ELNS1_3gpuE6ELNS1_3repE0EEENS1_30default_config_static_selectorELNS0_4arch9wavefront6targetE1EEEvT1_.kd
    .uniform_work_group_size: 1
    .uses_dynamic_stack: false
    .vgpr_count:     0
    .vgpr_spill_count: 0
    .wavefront_size: 64
  - .args:
      - .offset:         0
        .size:           128
        .value_kind:     by_value
    .group_segment_fixed_size: 0
    .kernarg_segment_align: 16
    .kernarg_segment_size: 128
    .language:       OpenCL C
    .language_version:
      - 2
      - 0
    .max_flat_workgroup_size: 256
    .name:           _ZN7rocprim17ROCPRIM_400000_NS6detail17trampoline_kernelINS0_14default_configENS1_20scan_config_selectorIN3c107complexIdEEEEZZNS1_9scan_implILNS1_25lookback_scan_determinismE0ELb0ELb0ES3_PKS7_PS7_S7_ZZZN2at6native31launch_logcumsumexp_cuda_kernelERKNSE_10TensorBaseESI_lENKUlvE_clEvENKUlvE1_clEvEUlS7_S7_E_S7_EEDaPvRmT3_T4_T5_mT6_P12ihipStream_tbENKUlT_T0_E_clISt17integral_constantIbLb1EESZ_EEDaSU_SV_EUlSU_E_NS1_11comp_targetILNS1_3genE10ELNS1_11target_archE1201ELNS1_3gpuE5ELNS1_3repE0EEENS1_30default_config_static_selectorELNS0_4arch9wavefront6targetE1EEEvT1_
    .private_segment_fixed_size: 0
    .sgpr_count:     4
    .sgpr_spill_count: 0
    .symbol:         _ZN7rocprim17ROCPRIM_400000_NS6detail17trampoline_kernelINS0_14default_configENS1_20scan_config_selectorIN3c107complexIdEEEEZZNS1_9scan_implILNS1_25lookback_scan_determinismE0ELb0ELb0ES3_PKS7_PS7_S7_ZZZN2at6native31launch_logcumsumexp_cuda_kernelERKNSE_10TensorBaseESI_lENKUlvE_clEvENKUlvE1_clEvEUlS7_S7_E_S7_EEDaPvRmT3_T4_T5_mT6_P12ihipStream_tbENKUlT_T0_E_clISt17integral_constantIbLb1EESZ_EEDaSU_SV_EUlSU_E_NS1_11comp_targetILNS1_3genE10ELNS1_11target_archE1201ELNS1_3gpuE5ELNS1_3repE0EEENS1_30default_config_static_selectorELNS0_4arch9wavefront6targetE1EEEvT1_.kd
    .uniform_work_group_size: 1
    .uses_dynamic_stack: false
    .vgpr_count:     0
    .vgpr_spill_count: 0
    .wavefront_size: 64
  - .args:
      - .offset:         0
        .size:           128
        .value_kind:     by_value
    .group_segment_fixed_size: 0
    .kernarg_segment_align: 16
    .kernarg_segment_size: 128
    .language:       OpenCL C
    .language_version:
      - 2
      - 0
    .max_flat_workgroup_size: 256
    .name:           _ZN7rocprim17ROCPRIM_400000_NS6detail17trampoline_kernelINS0_14default_configENS1_20scan_config_selectorIN3c107complexIdEEEEZZNS1_9scan_implILNS1_25lookback_scan_determinismE0ELb0ELb0ES3_PKS7_PS7_S7_ZZZN2at6native31launch_logcumsumexp_cuda_kernelERKNSE_10TensorBaseESI_lENKUlvE_clEvENKUlvE1_clEvEUlS7_S7_E_S7_EEDaPvRmT3_T4_T5_mT6_P12ihipStream_tbENKUlT_T0_E_clISt17integral_constantIbLb1EESZ_EEDaSU_SV_EUlSU_E_NS1_11comp_targetILNS1_3genE10ELNS1_11target_archE1200ELNS1_3gpuE4ELNS1_3repE0EEENS1_30default_config_static_selectorELNS0_4arch9wavefront6targetE1EEEvT1_
    .private_segment_fixed_size: 0
    .sgpr_count:     4
    .sgpr_spill_count: 0
    .symbol:         _ZN7rocprim17ROCPRIM_400000_NS6detail17trampoline_kernelINS0_14default_configENS1_20scan_config_selectorIN3c107complexIdEEEEZZNS1_9scan_implILNS1_25lookback_scan_determinismE0ELb0ELb0ES3_PKS7_PS7_S7_ZZZN2at6native31launch_logcumsumexp_cuda_kernelERKNSE_10TensorBaseESI_lENKUlvE_clEvENKUlvE1_clEvEUlS7_S7_E_S7_EEDaPvRmT3_T4_T5_mT6_P12ihipStream_tbENKUlT_T0_E_clISt17integral_constantIbLb1EESZ_EEDaSU_SV_EUlSU_E_NS1_11comp_targetILNS1_3genE10ELNS1_11target_archE1200ELNS1_3gpuE4ELNS1_3repE0EEENS1_30default_config_static_selectorELNS0_4arch9wavefront6targetE1EEEvT1_.kd
    .uniform_work_group_size: 1
    .uses_dynamic_stack: false
    .vgpr_count:     0
    .vgpr_spill_count: 0
    .wavefront_size: 64
  - .args:
      - .offset:         0
        .size:           128
        .value_kind:     by_value
    .group_segment_fixed_size: 0
    .kernarg_segment_align: 16
    .kernarg_segment_size: 128
    .language:       OpenCL C
    .language_version:
      - 2
      - 0
    .max_flat_workgroup_size: 256
    .name:           _ZN7rocprim17ROCPRIM_400000_NS6detail17trampoline_kernelINS0_14default_configENS1_20scan_config_selectorIN3c107complexIdEEEEZZNS1_9scan_implILNS1_25lookback_scan_determinismE0ELb0ELb0ES3_PKS7_PS7_S7_ZZZN2at6native31launch_logcumsumexp_cuda_kernelERKNSE_10TensorBaseESI_lENKUlvE_clEvENKUlvE1_clEvEUlS7_S7_E_S7_EEDaPvRmT3_T4_T5_mT6_P12ihipStream_tbENKUlT_T0_E_clISt17integral_constantIbLb1EESZ_EEDaSU_SV_EUlSU_E_NS1_11comp_targetILNS1_3genE9ELNS1_11target_archE1100ELNS1_3gpuE3ELNS1_3repE0EEENS1_30default_config_static_selectorELNS0_4arch9wavefront6targetE1EEEvT1_
    .private_segment_fixed_size: 0
    .sgpr_count:     4
    .sgpr_spill_count: 0
    .symbol:         _ZN7rocprim17ROCPRIM_400000_NS6detail17trampoline_kernelINS0_14default_configENS1_20scan_config_selectorIN3c107complexIdEEEEZZNS1_9scan_implILNS1_25lookback_scan_determinismE0ELb0ELb0ES3_PKS7_PS7_S7_ZZZN2at6native31launch_logcumsumexp_cuda_kernelERKNSE_10TensorBaseESI_lENKUlvE_clEvENKUlvE1_clEvEUlS7_S7_E_S7_EEDaPvRmT3_T4_T5_mT6_P12ihipStream_tbENKUlT_T0_E_clISt17integral_constantIbLb1EESZ_EEDaSU_SV_EUlSU_E_NS1_11comp_targetILNS1_3genE9ELNS1_11target_archE1100ELNS1_3gpuE3ELNS1_3repE0EEENS1_30default_config_static_selectorELNS0_4arch9wavefront6targetE1EEEvT1_.kd
    .uniform_work_group_size: 1
    .uses_dynamic_stack: false
    .vgpr_count:     0
    .vgpr_spill_count: 0
    .wavefront_size: 64
  - .args:
      - .offset:         0
        .size:           128
        .value_kind:     by_value
    .group_segment_fixed_size: 0
    .kernarg_segment_align: 16
    .kernarg_segment_size: 128
    .language:       OpenCL C
    .language_version:
      - 2
      - 0
    .max_flat_workgroup_size: 256
    .name:           _ZN7rocprim17ROCPRIM_400000_NS6detail17trampoline_kernelINS0_14default_configENS1_20scan_config_selectorIN3c107complexIdEEEEZZNS1_9scan_implILNS1_25lookback_scan_determinismE0ELb0ELb0ES3_PKS7_PS7_S7_ZZZN2at6native31launch_logcumsumexp_cuda_kernelERKNSE_10TensorBaseESI_lENKUlvE_clEvENKUlvE1_clEvEUlS7_S7_E_S7_EEDaPvRmT3_T4_T5_mT6_P12ihipStream_tbENKUlT_T0_E_clISt17integral_constantIbLb1EESZ_EEDaSU_SV_EUlSU_E_NS1_11comp_targetILNS1_3genE8ELNS1_11target_archE1030ELNS1_3gpuE2ELNS1_3repE0EEENS1_30default_config_static_selectorELNS0_4arch9wavefront6targetE1EEEvT1_
    .private_segment_fixed_size: 0
    .sgpr_count:     4
    .sgpr_spill_count: 0
    .symbol:         _ZN7rocprim17ROCPRIM_400000_NS6detail17trampoline_kernelINS0_14default_configENS1_20scan_config_selectorIN3c107complexIdEEEEZZNS1_9scan_implILNS1_25lookback_scan_determinismE0ELb0ELb0ES3_PKS7_PS7_S7_ZZZN2at6native31launch_logcumsumexp_cuda_kernelERKNSE_10TensorBaseESI_lENKUlvE_clEvENKUlvE1_clEvEUlS7_S7_E_S7_EEDaPvRmT3_T4_T5_mT6_P12ihipStream_tbENKUlT_T0_E_clISt17integral_constantIbLb1EESZ_EEDaSU_SV_EUlSU_E_NS1_11comp_targetILNS1_3genE8ELNS1_11target_archE1030ELNS1_3gpuE2ELNS1_3repE0EEENS1_30default_config_static_selectorELNS0_4arch9wavefront6targetE1EEEvT1_.kd
    .uniform_work_group_size: 1
    .uses_dynamic_stack: false
    .vgpr_count:     0
    .vgpr_spill_count: 0
    .wavefront_size: 64
  - .args:
      - .offset:         0
        .size:           48
        .value_kind:     by_value
    .group_segment_fixed_size: 0
    .kernarg_segment_align: 16
    .kernarg_segment_size: 48
    .language:       OpenCL C
    .language_version:
      - 2
      - 0
    .max_flat_workgroup_size: 128
    .name:           _ZN7rocprim17ROCPRIM_400000_NS6detail17trampoline_kernelINS0_14default_configENS1_20scan_config_selectorIN3c107complexIdEEEEZZNS1_9scan_implILNS1_25lookback_scan_determinismE0ELb0ELb0ES3_PKS7_PS7_S7_ZZZN2at6native31launch_logcumsumexp_cuda_kernelERKNSE_10TensorBaseESI_lENKUlvE_clEvENKUlvE1_clEvEUlS7_S7_E_S7_EEDaPvRmT3_T4_T5_mT6_P12ihipStream_tbENKUlT_T0_E_clISt17integral_constantIbLb1EESZ_EEDaSU_SV_EUlSU_E0_NS1_11comp_targetILNS1_3genE0ELNS1_11target_archE4294967295ELNS1_3gpuE0ELNS1_3repE0EEENS1_30default_config_static_selectorELNS0_4arch9wavefront6targetE1EEEvT1_
    .private_segment_fixed_size: 0
    .sgpr_count:     4
    .sgpr_spill_count: 0
    .symbol:         _ZN7rocprim17ROCPRIM_400000_NS6detail17trampoline_kernelINS0_14default_configENS1_20scan_config_selectorIN3c107complexIdEEEEZZNS1_9scan_implILNS1_25lookback_scan_determinismE0ELb0ELb0ES3_PKS7_PS7_S7_ZZZN2at6native31launch_logcumsumexp_cuda_kernelERKNSE_10TensorBaseESI_lENKUlvE_clEvENKUlvE1_clEvEUlS7_S7_E_S7_EEDaPvRmT3_T4_T5_mT6_P12ihipStream_tbENKUlT_T0_E_clISt17integral_constantIbLb1EESZ_EEDaSU_SV_EUlSU_E0_NS1_11comp_targetILNS1_3genE0ELNS1_11target_archE4294967295ELNS1_3gpuE0ELNS1_3repE0EEENS1_30default_config_static_selectorELNS0_4arch9wavefront6targetE1EEEvT1_.kd
    .uniform_work_group_size: 1
    .uses_dynamic_stack: false
    .vgpr_count:     0
    .vgpr_spill_count: 0
    .wavefront_size: 64
  - .args:
      - .offset:         0
        .size:           48
        .value_kind:     by_value
    .group_segment_fixed_size: 0
    .kernarg_segment_align: 16
    .kernarg_segment_size: 48
    .language:       OpenCL C
    .language_version:
      - 2
      - 0
    .max_flat_workgroup_size: 256
    .name:           _ZN7rocprim17ROCPRIM_400000_NS6detail17trampoline_kernelINS0_14default_configENS1_20scan_config_selectorIN3c107complexIdEEEEZZNS1_9scan_implILNS1_25lookback_scan_determinismE0ELb0ELb0ES3_PKS7_PS7_S7_ZZZN2at6native31launch_logcumsumexp_cuda_kernelERKNSE_10TensorBaseESI_lENKUlvE_clEvENKUlvE1_clEvEUlS7_S7_E_S7_EEDaPvRmT3_T4_T5_mT6_P12ihipStream_tbENKUlT_T0_E_clISt17integral_constantIbLb1EESZ_EEDaSU_SV_EUlSU_E0_NS1_11comp_targetILNS1_3genE5ELNS1_11target_archE942ELNS1_3gpuE9ELNS1_3repE0EEENS1_30default_config_static_selectorELNS0_4arch9wavefront6targetE1EEEvT1_
    .private_segment_fixed_size: 0
    .sgpr_count:     4
    .sgpr_spill_count: 0
    .symbol:         _ZN7rocprim17ROCPRIM_400000_NS6detail17trampoline_kernelINS0_14default_configENS1_20scan_config_selectorIN3c107complexIdEEEEZZNS1_9scan_implILNS1_25lookback_scan_determinismE0ELb0ELb0ES3_PKS7_PS7_S7_ZZZN2at6native31launch_logcumsumexp_cuda_kernelERKNSE_10TensorBaseESI_lENKUlvE_clEvENKUlvE1_clEvEUlS7_S7_E_S7_EEDaPvRmT3_T4_T5_mT6_P12ihipStream_tbENKUlT_T0_E_clISt17integral_constantIbLb1EESZ_EEDaSU_SV_EUlSU_E0_NS1_11comp_targetILNS1_3genE5ELNS1_11target_archE942ELNS1_3gpuE9ELNS1_3repE0EEENS1_30default_config_static_selectorELNS0_4arch9wavefront6targetE1EEEvT1_.kd
    .uniform_work_group_size: 1
    .uses_dynamic_stack: false
    .vgpr_count:     0
    .vgpr_spill_count: 0
    .wavefront_size: 64
  - .args:
      - .offset:         0
        .size:           48
        .value_kind:     by_value
    .group_segment_fixed_size: 0
    .kernarg_segment_align: 16
    .kernarg_segment_size: 48
    .language:       OpenCL C
    .language_version:
      - 2
      - 0
    .max_flat_workgroup_size: 64
    .name:           _ZN7rocprim17ROCPRIM_400000_NS6detail17trampoline_kernelINS0_14default_configENS1_20scan_config_selectorIN3c107complexIdEEEEZZNS1_9scan_implILNS1_25lookback_scan_determinismE0ELb0ELb0ES3_PKS7_PS7_S7_ZZZN2at6native31launch_logcumsumexp_cuda_kernelERKNSE_10TensorBaseESI_lENKUlvE_clEvENKUlvE1_clEvEUlS7_S7_E_S7_EEDaPvRmT3_T4_T5_mT6_P12ihipStream_tbENKUlT_T0_E_clISt17integral_constantIbLb1EESZ_EEDaSU_SV_EUlSU_E0_NS1_11comp_targetILNS1_3genE4ELNS1_11target_archE910ELNS1_3gpuE8ELNS1_3repE0EEENS1_30default_config_static_selectorELNS0_4arch9wavefront6targetE1EEEvT1_
    .private_segment_fixed_size: 0
    .sgpr_count:     4
    .sgpr_spill_count: 0
    .symbol:         _ZN7rocprim17ROCPRIM_400000_NS6detail17trampoline_kernelINS0_14default_configENS1_20scan_config_selectorIN3c107complexIdEEEEZZNS1_9scan_implILNS1_25lookback_scan_determinismE0ELb0ELb0ES3_PKS7_PS7_S7_ZZZN2at6native31launch_logcumsumexp_cuda_kernelERKNSE_10TensorBaseESI_lENKUlvE_clEvENKUlvE1_clEvEUlS7_S7_E_S7_EEDaPvRmT3_T4_T5_mT6_P12ihipStream_tbENKUlT_T0_E_clISt17integral_constantIbLb1EESZ_EEDaSU_SV_EUlSU_E0_NS1_11comp_targetILNS1_3genE4ELNS1_11target_archE910ELNS1_3gpuE8ELNS1_3repE0EEENS1_30default_config_static_selectorELNS0_4arch9wavefront6targetE1EEEvT1_.kd
    .uniform_work_group_size: 1
    .uses_dynamic_stack: false
    .vgpr_count:     0
    .vgpr_spill_count: 0
    .wavefront_size: 64
  - .args:
      - .offset:         0
        .size:           48
        .value_kind:     by_value
    .group_segment_fixed_size: 0
    .kernarg_segment_align: 16
    .kernarg_segment_size: 48
    .language:       OpenCL C
    .language_version:
      - 2
      - 0
    .max_flat_workgroup_size: 128
    .name:           _ZN7rocprim17ROCPRIM_400000_NS6detail17trampoline_kernelINS0_14default_configENS1_20scan_config_selectorIN3c107complexIdEEEEZZNS1_9scan_implILNS1_25lookback_scan_determinismE0ELb0ELb0ES3_PKS7_PS7_S7_ZZZN2at6native31launch_logcumsumexp_cuda_kernelERKNSE_10TensorBaseESI_lENKUlvE_clEvENKUlvE1_clEvEUlS7_S7_E_S7_EEDaPvRmT3_T4_T5_mT6_P12ihipStream_tbENKUlT_T0_E_clISt17integral_constantIbLb1EESZ_EEDaSU_SV_EUlSU_E0_NS1_11comp_targetILNS1_3genE3ELNS1_11target_archE908ELNS1_3gpuE7ELNS1_3repE0EEENS1_30default_config_static_selectorELNS0_4arch9wavefront6targetE1EEEvT1_
    .private_segment_fixed_size: 0
    .sgpr_count:     4
    .sgpr_spill_count: 0
    .symbol:         _ZN7rocprim17ROCPRIM_400000_NS6detail17trampoline_kernelINS0_14default_configENS1_20scan_config_selectorIN3c107complexIdEEEEZZNS1_9scan_implILNS1_25lookback_scan_determinismE0ELb0ELb0ES3_PKS7_PS7_S7_ZZZN2at6native31launch_logcumsumexp_cuda_kernelERKNSE_10TensorBaseESI_lENKUlvE_clEvENKUlvE1_clEvEUlS7_S7_E_S7_EEDaPvRmT3_T4_T5_mT6_P12ihipStream_tbENKUlT_T0_E_clISt17integral_constantIbLb1EESZ_EEDaSU_SV_EUlSU_E0_NS1_11comp_targetILNS1_3genE3ELNS1_11target_archE908ELNS1_3gpuE7ELNS1_3repE0EEENS1_30default_config_static_selectorELNS0_4arch9wavefront6targetE1EEEvT1_.kd
    .uniform_work_group_size: 1
    .uses_dynamic_stack: false
    .vgpr_count:     0
    .vgpr_spill_count: 0
    .wavefront_size: 64
  - .args:
      - .offset:         0
        .size:           48
        .value_kind:     by_value
    .group_segment_fixed_size: 15360
    .kernarg_segment_align: 16
    .kernarg_segment_size: 48
    .language:       OpenCL C
    .language_version:
      - 2
      - 0
    .max_flat_workgroup_size: 64
    .name:           _ZN7rocprim17ROCPRIM_400000_NS6detail17trampoline_kernelINS0_14default_configENS1_20scan_config_selectorIN3c107complexIdEEEEZZNS1_9scan_implILNS1_25lookback_scan_determinismE0ELb0ELb0ES3_PKS7_PS7_S7_ZZZN2at6native31launch_logcumsumexp_cuda_kernelERKNSE_10TensorBaseESI_lENKUlvE_clEvENKUlvE1_clEvEUlS7_S7_E_S7_EEDaPvRmT3_T4_T5_mT6_P12ihipStream_tbENKUlT_T0_E_clISt17integral_constantIbLb1EESZ_EEDaSU_SV_EUlSU_E0_NS1_11comp_targetILNS1_3genE2ELNS1_11target_archE906ELNS1_3gpuE6ELNS1_3repE0EEENS1_30default_config_static_selectorELNS0_4arch9wavefront6targetE1EEEvT1_
    .private_segment_fixed_size: 0
    .sgpr_count:     76
    .sgpr_spill_count: 0
    .symbol:         _ZN7rocprim17ROCPRIM_400000_NS6detail17trampoline_kernelINS0_14default_configENS1_20scan_config_selectorIN3c107complexIdEEEEZZNS1_9scan_implILNS1_25lookback_scan_determinismE0ELb0ELb0ES3_PKS7_PS7_S7_ZZZN2at6native31launch_logcumsumexp_cuda_kernelERKNSE_10TensorBaseESI_lENKUlvE_clEvENKUlvE1_clEvEUlS7_S7_E_S7_EEDaPvRmT3_T4_T5_mT6_P12ihipStream_tbENKUlT_T0_E_clISt17integral_constantIbLb1EESZ_EEDaSU_SV_EUlSU_E0_NS1_11comp_targetILNS1_3genE2ELNS1_11target_archE906ELNS1_3gpuE6ELNS1_3repE0EEENS1_30default_config_static_selectorELNS0_4arch9wavefront6targetE1EEEvT1_.kd
    .uniform_work_group_size: 1
    .uses_dynamic_stack: false
    .vgpr_count:     167
    .vgpr_spill_count: 0
    .wavefront_size: 64
  - .args:
      - .offset:         0
        .size:           48
        .value_kind:     by_value
    .group_segment_fixed_size: 0
    .kernarg_segment_align: 16
    .kernarg_segment_size: 48
    .language:       OpenCL C
    .language_version:
      - 2
      - 0
    .max_flat_workgroup_size: 256
    .name:           _ZN7rocprim17ROCPRIM_400000_NS6detail17trampoline_kernelINS0_14default_configENS1_20scan_config_selectorIN3c107complexIdEEEEZZNS1_9scan_implILNS1_25lookback_scan_determinismE0ELb0ELb0ES3_PKS7_PS7_S7_ZZZN2at6native31launch_logcumsumexp_cuda_kernelERKNSE_10TensorBaseESI_lENKUlvE_clEvENKUlvE1_clEvEUlS7_S7_E_S7_EEDaPvRmT3_T4_T5_mT6_P12ihipStream_tbENKUlT_T0_E_clISt17integral_constantIbLb1EESZ_EEDaSU_SV_EUlSU_E0_NS1_11comp_targetILNS1_3genE10ELNS1_11target_archE1201ELNS1_3gpuE5ELNS1_3repE0EEENS1_30default_config_static_selectorELNS0_4arch9wavefront6targetE1EEEvT1_
    .private_segment_fixed_size: 0
    .sgpr_count:     4
    .sgpr_spill_count: 0
    .symbol:         _ZN7rocprim17ROCPRIM_400000_NS6detail17trampoline_kernelINS0_14default_configENS1_20scan_config_selectorIN3c107complexIdEEEEZZNS1_9scan_implILNS1_25lookback_scan_determinismE0ELb0ELb0ES3_PKS7_PS7_S7_ZZZN2at6native31launch_logcumsumexp_cuda_kernelERKNSE_10TensorBaseESI_lENKUlvE_clEvENKUlvE1_clEvEUlS7_S7_E_S7_EEDaPvRmT3_T4_T5_mT6_P12ihipStream_tbENKUlT_T0_E_clISt17integral_constantIbLb1EESZ_EEDaSU_SV_EUlSU_E0_NS1_11comp_targetILNS1_3genE10ELNS1_11target_archE1201ELNS1_3gpuE5ELNS1_3repE0EEENS1_30default_config_static_selectorELNS0_4arch9wavefront6targetE1EEEvT1_.kd
    .uniform_work_group_size: 1
    .uses_dynamic_stack: false
    .vgpr_count:     0
    .vgpr_spill_count: 0
    .wavefront_size: 64
  - .args:
      - .offset:         0
        .size:           48
        .value_kind:     by_value
    .group_segment_fixed_size: 0
    .kernarg_segment_align: 16
    .kernarg_segment_size: 48
    .language:       OpenCL C
    .language_version:
      - 2
      - 0
    .max_flat_workgroup_size: 256
    .name:           _ZN7rocprim17ROCPRIM_400000_NS6detail17trampoline_kernelINS0_14default_configENS1_20scan_config_selectorIN3c107complexIdEEEEZZNS1_9scan_implILNS1_25lookback_scan_determinismE0ELb0ELb0ES3_PKS7_PS7_S7_ZZZN2at6native31launch_logcumsumexp_cuda_kernelERKNSE_10TensorBaseESI_lENKUlvE_clEvENKUlvE1_clEvEUlS7_S7_E_S7_EEDaPvRmT3_T4_T5_mT6_P12ihipStream_tbENKUlT_T0_E_clISt17integral_constantIbLb1EESZ_EEDaSU_SV_EUlSU_E0_NS1_11comp_targetILNS1_3genE10ELNS1_11target_archE1200ELNS1_3gpuE4ELNS1_3repE0EEENS1_30default_config_static_selectorELNS0_4arch9wavefront6targetE1EEEvT1_
    .private_segment_fixed_size: 0
    .sgpr_count:     4
    .sgpr_spill_count: 0
    .symbol:         _ZN7rocprim17ROCPRIM_400000_NS6detail17trampoline_kernelINS0_14default_configENS1_20scan_config_selectorIN3c107complexIdEEEEZZNS1_9scan_implILNS1_25lookback_scan_determinismE0ELb0ELb0ES3_PKS7_PS7_S7_ZZZN2at6native31launch_logcumsumexp_cuda_kernelERKNSE_10TensorBaseESI_lENKUlvE_clEvENKUlvE1_clEvEUlS7_S7_E_S7_EEDaPvRmT3_T4_T5_mT6_P12ihipStream_tbENKUlT_T0_E_clISt17integral_constantIbLb1EESZ_EEDaSU_SV_EUlSU_E0_NS1_11comp_targetILNS1_3genE10ELNS1_11target_archE1200ELNS1_3gpuE4ELNS1_3repE0EEENS1_30default_config_static_selectorELNS0_4arch9wavefront6targetE1EEEvT1_.kd
    .uniform_work_group_size: 1
    .uses_dynamic_stack: false
    .vgpr_count:     0
    .vgpr_spill_count: 0
    .wavefront_size: 64
  - .args:
      - .offset:         0
        .size:           48
        .value_kind:     by_value
    .group_segment_fixed_size: 0
    .kernarg_segment_align: 16
    .kernarg_segment_size: 48
    .language:       OpenCL C
    .language_version:
      - 2
      - 0
    .max_flat_workgroup_size: 256
    .name:           _ZN7rocprim17ROCPRIM_400000_NS6detail17trampoline_kernelINS0_14default_configENS1_20scan_config_selectorIN3c107complexIdEEEEZZNS1_9scan_implILNS1_25lookback_scan_determinismE0ELb0ELb0ES3_PKS7_PS7_S7_ZZZN2at6native31launch_logcumsumexp_cuda_kernelERKNSE_10TensorBaseESI_lENKUlvE_clEvENKUlvE1_clEvEUlS7_S7_E_S7_EEDaPvRmT3_T4_T5_mT6_P12ihipStream_tbENKUlT_T0_E_clISt17integral_constantIbLb1EESZ_EEDaSU_SV_EUlSU_E0_NS1_11comp_targetILNS1_3genE9ELNS1_11target_archE1100ELNS1_3gpuE3ELNS1_3repE0EEENS1_30default_config_static_selectorELNS0_4arch9wavefront6targetE1EEEvT1_
    .private_segment_fixed_size: 0
    .sgpr_count:     4
    .sgpr_spill_count: 0
    .symbol:         _ZN7rocprim17ROCPRIM_400000_NS6detail17trampoline_kernelINS0_14default_configENS1_20scan_config_selectorIN3c107complexIdEEEEZZNS1_9scan_implILNS1_25lookback_scan_determinismE0ELb0ELb0ES3_PKS7_PS7_S7_ZZZN2at6native31launch_logcumsumexp_cuda_kernelERKNSE_10TensorBaseESI_lENKUlvE_clEvENKUlvE1_clEvEUlS7_S7_E_S7_EEDaPvRmT3_T4_T5_mT6_P12ihipStream_tbENKUlT_T0_E_clISt17integral_constantIbLb1EESZ_EEDaSU_SV_EUlSU_E0_NS1_11comp_targetILNS1_3genE9ELNS1_11target_archE1100ELNS1_3gpuE3ELNS1_3repE0EEENS1_30default_config_static_selectorELNS0_4arch9wavefront6targetE1EEEvT1_.kd
    .uniform_work_group_size: 1
    .uses_dynamic_stack: false
    .vgpr_count:     0
    .vgpr_spill_count: 0
    .wavefront_size: 64
  - .args:
      - .offset:         0
        .size:           48
        .value_kind:     by_value
    .group_segment_fixed_size: 0
    .kernarg_segment_align: 16
    .kernarg_segment_size: 48
    .language:       OpenCL C
    .language_version:
      - 2
      - 0
    .max_flat_workgroup_size: 256
    .name:           _ZN7rocprim17ROCPRIM_400000_NS6detail17trampoline_kernelINS0_14default_configENS1_20scan_config_selectorIN3c107complexIdEEEEZZNS1_9scan_implILNS1_25lookback_scan_determinismE0ELb0ELb0ES3_PKS7_PS7_S7_ZZZN2at6native31launch_logcumsumexp_cuda_kernelERKNSE_10TensorBaseESI_lENKUlvE_clEvENKUlvE1_clEvEUlS7_S7_E_S7_EEDaPvRmT3_T4_T5_mT6_P12ihipStream_tbENKUlT_T0_E_clISt17integral_constantIbLb1EESZ_EEDaSU_SV_EUlSU_E0_NS1_11comp_targetILNS1_3genE8ELNS1_11target_archE1030ELNS1_3gpuE2ELNS1_3repE0EEENS1_30default_config_static_selectorELNS0_4arch9wavefront6targetE1EEEvT1_
    .private_segment_fixed_size: 0
    .sgpr_count:     4
    .sgpr_spill_count: 0
    .symbol:         _ZN7rocprim17ROCPRIM_400000_NS6detail17trampoline_kernelINS0_14default_configENS1_20scan_config_selectorIN3c107complexIdEEEEZZNS1_9scan_implILNS1_25lookback_scan_determinismE0ELb0ELb0ES3_PKS7_PS7_S7_ZZZN2at6native31launch_logcumsumexp_cuda_kernelERKNSE_10TensorBaseESI_lENKUlvE_clEvENKUlvE1_clEvEUlS7_S7_E_S7_EEDaPvRmT3_T4_T5_mT6_P12ihipStream_tbENKUlT_T0_E_clISt17integral_constantIbLb1EESZ_EEDaSU_SV_EUlSU_E0_NS1_11comp_targetILNS1_3genE8ELNS1_11target_archE1030ELNS1_3gpuE2ELNS1_3repE0EEENS1_30default_config_static_selectorELNS0_4arch9wavefront6targetE1EEEvT1_.kd
    .uniform_work_group_size: 1
    .uses_dynamic_stack: false
    .vgpr_count:     0
    .vgpr_spill_count: 0
    .wavefront_size: 64
  - .args:
      - .offset:         0
        .size:           24
        .value_kind:     by_value
      - .offset:         24
        .size:           4
        .value_kind:     by_value
      - .offset:         28
        .size:           1
        .value_kind:     by_value
      - .offset:         32
        .size:           4
        .value_kind:     by_value
      - .address_space:  global
        .offset:         40
        .size:           8
        .value_kind:     global_buffer
      - .offset:         48
        .size:           4
        .value_kind:     hidden_block_count_x
      - .offset:         52
        .size:           4
        .value_kind:     hidden_block_count_y
      - .offset:         56
        .size:           4
        .value_kind:     hidden_block_count_z
      - .offset:         60
        .size:           2
        .value_kind:     hidden_group_size_x
      - .offset:         62
        .size:           2
        .value_kind:     hidden_group_size_y
      - .offset:         64
        .size:           2
        .value_kind:     hidden_group_size_z
      - .offset:         66
        .size:           2
        .value_kind:     hidden_remainder_x
      - .offset:         68
        .size:           2
        .value_kind:     hidden_remainder_y
      - .offset:         70
        .size:           2
        .value_kind:     hidden_remainder_z
      - .offset:         88
        .size:           8
        .value_kind:     hidden_global_offset_x
      - .offset:         96
        .size:           8
        .value_kind:     hidden_global_offset_y
      - .offset:         104
        .size:           8
        .value_kind:     hidden_global_offset_z
      - .offset:         112
        .size:           2
        .value_kind:     hidden_grid_dims
    .group_segment_fixed_size: 0
    .kernarg_segment_align: 8
    .kernarg_segment_size: 304
    .language:       OpenCL C
    .language_version:
      - 2
      - 0
    .max_flat_workgroup_size: 256
    .name:           _ZN7rocprim17ROCPRIM_400000_NS6detail31init_lookback_scan_state_kernelINS1_19lookback_scan_stateIN3c107complexIdEELb1ELb0EEENS1_16block_id_wrapperIjLb0EEEEEvT_jT0_jPNSA_10value_typeE
    .private_segment_fixed_size: 0
    .sgpr_count:     22
    .sgpr_spill_count: 0
    .symbol:         _ZN7rocprim17ROCPRIM_400000_NS6detail31init_lookback_scan_state_kernelINS1_19lookback_scan_stateIN3c107complexIdEELb1ELb0EEENS1_16block_id_wrapperIjLb0EEEEEvT_jT0_jPNSA_10value_typeE.kd
    .uniform_work_group_size: 1
    .uses_dynamic_stack: false
    .vgpr_count:     6
    .vgpr_spill_count: 0
    .wavefront_size: 64
  - .args:
      - .offset:         0
        .size:           128
        .value_kind:     by_value
    .group_segment_fixed_size: 0
    .kernarg_segment_align: 16
    .kernarg_segment_size: 128
    .language:       OpenCL C
    .language_version:
      - 2
      - 0
    .max_flat_workgroup_size: 128
    .name:           _ZN7rocprim17ROCPRIM_400000_NS6detail17trampoline_kernelINS0_14default_configENS1_20scan_config_selectorIN3c107complexIdEEEEZZNS1_9scan_implILNS1_25lookback_scan_determinismE0ELb0ELb0ES3_PKS7_PS7_S7_ZZZN2at6native31launch_logcumsumexp_cuda_kernelERKNSE_10TensorBaseESI_lENKUlvE_clEvENKUlvE1_clEvEUlS7_S7_E_S7_EEDaPvRmT3_T4_T5_mT6_P12ihipStream_tbENKUlT_T0_E_clISt17integral_constantIbLb1EESY_IbLb0EEEEDaSU_SV_EUlSU_E_NS1_11comp_targetILNS1_3genE0ELNS1_11target_archE4294967295ELNS1_3gpuE0ELNS1_3repE0EEENS1_30default_config_static_selectorELNS0_4arch9wavefront6targetE1EEEvT1_
    .private_segment_fixed_size: 0
    .sgpr_count:     4
    .sgpr_spill_count: 0
    .symbol:         _ZN7rocprim17ROCPRIM_400000_NS6detail17trampoline_kernelINS0_14default_configENS1_20scan_config_selectorIN3c107complexIdEEEEZZNS1_9scan_implILNS1_25lookback_scan_determinismE0ELb0ELb0ES3_PKS7_PS7_S7_ZZZN2at6native31launch_logcumsumexp_cuda_kernelERKNSE_10TensorBaseESI_lENKUlvE_clEvENKUlvE1_clEvEUlS7_S7_E_S7_EEDaPvRmT3_T4_T5_mT6_P12ihipStream_tbENKUlT_T0_E_clISt17integral_constantIbLb1EESY_IbLb0EEEEDaSU_SV_EUlSU_E_NS1_11comp_targetILNS1_3genE0ELNS1_11target_archE4294967295ELNS1_3gpuE0ELNS1_3repE0EEENS1_30default_config_static_selectorELNS0_4arch9wavefront6targetE1EEEvT1_.kd
    .uniform_work_group_size: 1
    .uses_dynamic_stack: false
    .vgpr_count:     0
    .vgpr_spill_count: 0
    .wavefront_size: 64
  - .args:
      - .offset:         0
        .size:           128
        .value_kind:     by_value
    .group_segment_fixed_size: 0
    .kernarg_segment_align: 16
    .kernarg_segment_size: 128
    .language:       OpenCL C
    .language_version:
      - 2
      - 0
    .max_flat_workgroup_size: 256
    .name:           _ZN7rocprim17ROCPRIM_400000_NS6detail17trampoline_kernelINS0_14default_configENS1_20scan_config_selectorIN3c107complexIdEEEEZZNS1_9scan_implILNS1_25lookback_scan_determinismE0ELb0ELb0ES3_PKS7_PS7_S7_ZZZN2at6native31launch_logcumsumexp_cuda_kernelERKNSE_10TensorBaseESI_lENKUlvE_clEvENKUlvE1_clEvEUlS7_S7_E_S7_EEDaPvRmT3_T4_T5_mT6_P12ihipStream_tbENKUlT_T0_E_clISt17integral_constantIbLb1EESY_IbLb0EEEEDaSU_SV_EUlSU_E_NS1_11comp_targetILNS1_3genE5ELNS1_11target_archE942ELNS1_3gpuE9ELNS1_3repE0EEENS1_30default_config_static_selectorELNS0_4arch9wavefront6targetE1EEEvT1_
    .private_segment_fixed_size: 0
    .sgpr_count:     4
    .sgpr_spill_count: 0
    .symbol:         _ZN7rocprim17ROCPRIM_400000_NS6detail17trampoline_kernelINS0_14default_configENS1_20scan_config_selectorIN3c107complexIdEEEEZZNS1_9scan_implILNS1_25lookback_scan_determinismE0ELb0ELb0ES3_PKS7_PS7_S7_ZZZN2at6native31launch_logcumsumexp_cuda_kernelERKNSE_10TensorBaseESI_lENKUlvE_clEvENKUlvE1_clEvEUlS7_S7_E_S7_EEDaPvRmT3_T4_T5_mT6_P12ihipStream_tbENKUlT_T0_E_clISt17integral_constantIbLb1EESY_IbLb0EEEEDaSU_SV_EUlSU_E_NS1_11comp_targetILNS1_3genE5ELNS1_11target_archE942ELNS1_3gpuE9ELNS1_3repE0EEENS1_30default_config_static_selectorELNS0_4arch9wavefront6targetE1EEEvT1_.kd
    .uniform_work_group_size: 1
    .uses_dynamic_stack: false
    .vgpr_count:     0
    .vgpr_spill_count: 0
    .wavefront_size: 64
  - .args:
      - .offset:         0
        .size:           128
        .value_kind:     by_value
    .group_segment_fixed_size: 0
    .kernarg_segment_align: 16
    .kernarg_segment_size: 128
    .language:       OpenCL C
    .language_version:
      - 2
      - 0
    .max_flat_workgroup_size: 64
    .name:           _ZN7rocprim17ROCPRIM_400000_NS6detail17trampoline_kernelINS0_14default_configENS1_20scan_config_selectorIN3c107complexIdEEEEZZNS1_9scan_implILNS1_25lookback_scan_determinismE0ELb0ELb0ES3_PKS7_PS7_S7_ZZZN2at6native31launch_logcumsumexp_cuda_kernelERKNSE_10TensorBaseESI_lENKUlvE_clEvENKUlvE1_clEvEUlS7_S7_E_S7_EEDaPvRmT3_T4_T5_mT6_P12ihipStream_tbENKUlT_T0_E_clISt17integral_constantIbLb1EESY_IbLb0EEEEDaSU_SV_EUlSU_E_NS1_11comp_targetILNS1_3genE4ELNS1_11target_archE910ELNS1_3gpuE8ELNS1_3repE0EEENS1_30default_config_static_selectorELNS0_4arch9wavefront6targetE1EEEvT1_
    .private_segment_fixed_size: 0
    .sgpr_count:     4
    .sgpr_spill_count: 0
    .symbol:         _ZN7rocprim17ROCPRIM_400000_NS6detail17trampoline_kernelINS0_14default_configENS1_20scan_config_selectorIN3c107complexIdEEEEZZNS1_9scan_implILNS1_25lookback_scan_determinismE0ELb0ELb0ES3_PKS7_PS7_S7_ZZZN2at6native31launch_logcumsumexp_cuda_kernelERKNSE_10TensorBaseESI_lENKUlvE_clEvENKUlvE1_clEvEUlS7_S7_E_S7_EEDaPvRmT3_T4_T5_mT6_P12ihipStream_tbENKUlT_T0_E_clISt17integral_constantIbLb1EESY_IbLb0EEEEDaSU_SV_EUlSU_E_NS1_11comp_targetILNS1_3genE4ELNS1_11target_archE910ELNS1_3gpuE8ELNS1_3repE0EEENS1_30default_config_static_selectorELNS0_4arch9wavefront6targetE1EEEvT1_.kd
    .uniform_work_group_size: 1
    .uses_dynamic_stack: false
    .vgpr_count:     0
    .vgpr_spill_count: 0
    .wavefront_size: 64
  - .args:
      - .offset:         0
        .size:           128
        .value_kind:     by_value
    .group_segment_fixed_size: 0
    .kernarg_segment_align: 16
    .kernarg_segment_size: 128
    .language:       OpenCL C
    .language_version:
      - 2
      - 0
    .max_flat_workgroup_size: 128
    .name:           _ZN7rocprim17ROCPRIM_400000_NS6detail17trampoline_kernelINS0_14default_configENS1_20scan_config_selectorIN3c107complexIdEEEEZZNS1_9scan_implILNS1_25lookback_scan_determinismE0ELb0ELb0ES3_PKS7_PS7_S7_ZZZN2at6native31launch_logcumsumexp_cuda_kernelERKNSE_10TensorBaseESI_lENKUlvE_clEvENKUlvE1_clEvEUlS7_S7_E_S7_EEDaPvRmT3_T4_T5_mT6_P12ihipStream_tbENKUlT_T0_E_clISt17integral_constantIbLb1EESY_IbLb0EEEEDaSU_SV_EUlSU_E_NS1_11comp_targetILNS1_3genE3ELNS1_11target_archE908ELNS1_3gpuE7ELNS1_3repE0EEENS1_30default_config_static_selectorELNS0_4arch9wavefront6targetE1EEEvT1_
    .private_segment_fixed_size: 0
    .sgpr_count:     4
    .sgpr_spill_count: 0
    .symbol:         _ZN7rocprim17ROCPRIM_400000_NS6detail17trampoline_kernelINS0_14default_configENS1_20scan_config_selectorIN3c107complexIdEEEEZZNS1_9scan_implILNS1_25lookback_scan_determinismE0ELb0ELb0ES3_PKS7_PS7_S7_ZZZN2at6native31launch_logcumsumexp_cuda_kernelERKNSE_10TensorBaseESI_lENKUlvE_clEvENKUlvE1_clEvEUlS7_S7_E_S7_EEDaPvRmT3_T4_T5_mT6_P12ihipStream_tbENKUlT_T0_E_clISt17integral_constantIbLb1EESY_IbLb0EEEEDaSU_SV_EUlSU_E_NS1_11comp_targetILNS1_3genE3ELNS1_11target_archE908ELNS1_3gpuE7ELNS1_3repE0EEENS1_30default_config_static_selectorELNS0_4arch9wavefront6targetE1EEEvT1_.kd
    .uniform_work_group_size: 1
    .uses_dynamic_stack: false
    .vgpr_count:     0
    .vgpr_spill_count: 0
    .wavefront_size: 64
  - .args:
      - .offset:         0
        .size:           128
        .value_kind:     by_value
    .group_segment_fixed_size: 0
    .kernarg_segment_align: 16
    .kernarg_segment_size: 128
    .language:       OpenCL C
    .language_version:
      - 2
      - 0
    .max_flat_workgroup_size: 64
    .name:           _ZN7rocprim17ROCPRIM_400000_NS6detail17trampoline_kernelINS0_14default_configENS1_20scan_config_selectorIN3c107complexIdEEEEZZNS1_9scan_implILNS1_25lookback_scan_determinismE0ELb0ELb0ES3_PKS7_PS7_S7_ZZZN2at6native31launch_logcumsumexp_cuda_kernelERKNSE_10TensorBaseESI_lENKUlvE_clEvENKUlvE1_clEvEUlS7_S7_E_S7_EEDaPvRmT3_T4_T5_mT6_P12ihipStream_tbENKUlT_T0_E_clISt17integral_constantIbLb1EESY_IbLb0EEEEDaSU_SV_EUlSU_E_NS1_11comp_targetILNS1_3genE2ELNS1_11target_archE906ELNS1_3gpuE6ELNS1_3repE0EEENS1_30default_config_static_selectorELNS0_4arch9wavefront6targetE1EEEvT1_
    .private_segment_fixed_size: 0
    .sgpr_count:     4
    .sgpr_spill_count: 0
    .symbol:         _ZN7rocprim17ROCPRIM_400000_NS6detail17trampoline_kernelINS0_14default_configENS1_20scan_config_selectorIN3c107complexIdEEEEZZNS1_9scan_implILNS1_25lookback_scan_determinismE0ELb0ELb0ES3_PKS7_PS7_S7_ZZZN2at6native31launch_logcumsumexp_cuda_kernelERKNSE_10TensorBaseESI_lENKUlvE_clEvENKUlvE1_clEvEUlS7_S7_E_S7_EEDaPvRmT3_T4_T5_mT6_P12ihipStream_tbENKUlT_T0_E_clISt17integral_constantIbLb1EESY_IbLb0EEEEDaSU_SV_EUlSU_E_NS1_11comp_targetILNS1_3genE2ELNS1_11target_archE906ELNS1_3gpuE6ELNS1_3repE0EEENS1_30default_config_static_selectorELNS0_4arch9wavefront6targetE1EEEvT1_.kd
    .uniform_work_group_size: 1
    .uses_dynamic_stack: false
    .vgpr_count:     0
    .vgpr_spill_count: 0
    .wavefront_size: 64
  - .args:
      - .offset:         0
        .size:           128
        .value_kind:     by_value
    .group_segment_fixed_size: 0
    .kernarg_segment_align: 16
    .kernarg_segment_size: 128
    .language:       OpenCL C
    .language_version:
      - 2
      - 0
    .max_flat_workgroup_size: 256
    .name:           _ZN7rocprim17ROCPRIM_400000_NS6detail17trampoline_kernelINS0_14default_configENS1_20scan_config_selectorIN3c107complexIdEEEEZZNS1_9scan_implILNS1_25lookback_scan_determinismE0ELb0ELb0ES3_PKS7_PS7_S7_ZZZN2at6native31launch_logcumsumexp_cuda_kernelERKNSE_10TensorBaseESI_lENKUlvE_clEvENKUlvE1_clEvEUlS7_S7_E_S7_EEDaPvRmT3_T4_T5_mT6_P12ihipStream_tbENKUlT_T0_E_clISt17integral_constantIbLb1EESY_IbLb0EEEEDaSU_SV_EUlSU_E_NS1_11comp_targetILNS1_3genE10ELNS1_11target_archE1201ELNS1_3gpuE5ELNS1_3repE0EEENS1_30default_config_static_selectorELNS0_4arch9wavefront6targetE1EEEvT1_
    .private_segment_fixed_size: 0
    .sgpr_count:     4
    .sgpr_spill_count: 0
    .symbol:         _ZN7rocprim17ROCPRIM_400000_NS6detail17trampoline_kernelINS0_14default_configENS1_20scan_config_selectorIN3c107complexIdEEEEZZNS1_9scan_implILNS1_25lookback_scan_determinismE0ELb0ELb0ES3_PKS7_PS7_S7_ZZZN2at6native31launch_logcumsumexp_cuda_kernelERKNSE_10TensorBaseESI_lENKUlvE_clEvENKUlvE1_clEvEUlS7_S7_E_S7_EEDaPvRmT3_T4_T5_mT6_P12ihipStream_tbENKUlT_T0_E_clISt17integral_constantIbLb1EESY_IbLb0EEEEDaSU_SV_EUlSU_E_NS1_11comp_targetILNS1_3genE10ELNS1_11target_archE1201ELNS1_3gpuE5ELNS1_3repE0EEENS1_30default_config_static_selectorELNS0_4arch9wavefront6targetE1EEEvT1_.kd
    .uniform_work_group_size: 1
    .uses_dynamic_stack: false
    .vgpr_count:     0
    .vgpr_spill_count: 0
    .wavefront_size: 64
  - .args:
      - .offset:         0
        .size:           128
        .value_kind:     by_value
    .group_segment_fixed_size: 0
    .kernarg_segment_align: 16
    .kernarg_segment_size: 128
    .language:       OpenCL C
    .language_version:
      - 2
      - 0
    .max_flat_workgroup_size: 256
    .name:           _ZN7rocprim17ROCPRIM_400000_NS6detail17trampoline_kernelINS0_14default_configENS1_20scan_config_selectorIN3c107complexIdEEEEZZNS1_9scan_implILNS1_25lookback_scan_determinismE0ELb0ELb0ES3_PKS7_PS7_S7_ZZZN2at6native31launch_logcumsumexp_cuda_kernelERKNSE_10TensorBaseESI_lENKUlvE_clEvENKUlvE1_clEvEUlS7_S7_E_S7_EEDaPvRmT3_T4_T5_mT6_P12ihipStream_tbENKUlT_T0_E_clISt17integral_constantIbLb1EESY_IbLb0EEEEDaSU_SV_EUlSU_E_NS1_11comp_targetILNS1_3genE10ELNS1_11target_archE1200ELNS1_3gpuE4ELNS1_3repE0EEENS1_30default_config_static_selectorELNS0_4arch9wavefront6targetE1EEEvT1_
    .private_segment_fixed_size: 0
    .sgpr_count:     4
    .sgpr_spill_count: 0
    .symbol:         _ZN7rocprim17ROCPRIM_400000_NS6detail17trampoline_kernelINS0_14default_configENS1_20scan_config_selectorIN3c107complexIdEEEEZZNS1_9scan_implILNS1_25lookback_scan_determinismE0ELb0ELb0ES3_PKS7_PS7_S7_ZZZN2at6native31launch_logcumsumexp_cuda_kernelERKNSE_10TensorBaseESI_lENKUlvE_clEvENKUlvE1_clEvEUlS7_S7_E_S7_EEDaPvRmT3_T4_T5_mT6_P12ihipStream_tbENKUlT_T0_E_clISt17integral_constantIbLb1EESY_IbLb0EEEEDaSU_SV_EUlSU_E_NS1_11comp_targetILNS1_3genE10ELNS1_11target_archE1200ELNS1_3gpuE4ELNS1_3repE0EEENS1_30default_config_static_selectorELNS0_4arch9wavefront6targetE1EEEvT1_.kd
    .uniform_work_group_size: 1
    .uses_dynamic_stack: false
    .vgpr_count:     0
    .vgpr_spill_count: 0
    .wavefront_size: 64
  - .args:
      - .offset:         0
        .size:           128
        .value_kind:     by_value
    .group_segment_fixed_size: 0
    .kernarg_segment_align: 16
    .kernarg_segment_size: 128
    .language:       OpenCL C
    .language_version:
      - 2
      - 0
    .max_flat_workgroup_size: 256
    .name:           _ZN7rocprim17ROCPRIM_400000_NS6detail17trampoline_kernelINS0_14default_configENS1_20scan_config_selectorIN3c107complexIdEEEEZZNS1_9scan_implILNS1_25lookback_scan_determinismE0ELb0ELb0ES3_PKS7_PS7_S7_ZZZN2at6native31launch_logcumsumexp_cuda_kernelERKNSE_10TensorBaseESI_lENKUlvE_clEvENKUlvE1_clEvEUlS7_S7_E_S7_EEDaPvRmT3_T4_T5_mT6_P12ihipStream_tbENKUlT_T0_E_clISt17integral_constantIbLb1EESY_IbLb0EEEEDaSU_SV_EUlSU_E_NS1_11comp_targetILNS1_3genE9ELNS1_11target_archE1100ELNS1_3gpuE3ELNS1_3repE0EEENS1_30default_config_static_selectorELNS0_4arch9wavefront6targetE1EEEvT1_
    .private_segment_fixed_size: 0
    .sgpr_count:     4
    .sgpr_spill_count: 0
    .symbol:         _ZN7rocprim17ROCPRIM_400000_NS6detail17trampoline_kernelINS0_14default_configENS1_20scan_config_selectorIN3c107complexIdEEEEZZNS1_9scan_implILNS1_25lookback_scan_determinismE0ELb0ELb0ES3_PKS7_PS7_S7_ZZZN2at6native31launch_logcumsumexp_cuda_kernelERKNSE_10TensorBaseESI_lENKUlvE_clEvENKUlvE1_clEvEUlS7_S7_E_S7_EEDaPvRmT3_T4_T5_mT6_P12ihipStream_tbENKUlT_T0_E_clISt17integral_constantIbLb1EESY_IbLb0EEEEDaSU_SV_EUlSU_E_NS1_11comp_targetILNS1_3genE9ELNS1_11target_archE1100ELNS1_3gpuE3ELNS1_3repE0EEENS1_30default_config_static_selectorELNS0_4arch9wavefront6targetE1EEEvT1_.kd
    .uniform_work_group_size: 1
    .uses_dynamic_stack: false
    .vgpr_count:     0
    .vgpr_spill_count: 0
    .wavefront_size: 64
  - .args:
      - .offset:         0
        .size:           128
        .value_kind:     by_value
    .group_segment_fixed_size: 0
    .kernarg_segment_align: 16
    .kernarg_segment_size: 128
    .language:       OpenCL C
    .language_version:
      - 2
      - 0
    .max_flat_workgroup_size: 256
    .name:           _ZN7rocprim17ROCPRIM_400000_NS6detail17trampoline_kernelINS0_14default_configENS1_20scan_config_selectorIN3c107complexIdEEEEZZNS1_9scan_implILNS1_25lookback_scan_determinismE0ELb0ELb0ES3_PKS7_PS7_S7_ZZZN2at6native31launch_logcumsumexp_cuda_kernelERKNSE_10TensorBaseESI_lENKUlvE_clEvENKUlvE1_clEvEUlS7_S7_E_S7_EEDaPvRmT3_T4_T5_mT6_P12ihipStream_tbENKUlT_T0_E_clISt17integral_constantIbLb1EESY_IbLb0EEEEDaSU_SV_EUlSU_E_NS1_11comp_targetILNS1_3genE8ELNS1_11target_archE1030ELNS1_3gpuE2ELNS1_3repE0EEENS1_30default_config_static_selectorELNS0_4arch9wavefront6targetE1EEEvT1_
    .private_segment_fixed_size: 0
    .sgpr_count:     4
    .sgpr_spill_count: 0
    .symbol:         _ZN7rocprim17ROCPRIM_400000_NS6detail17trampoline_kernelINS0_14default_configENS1_20scan_config_selectorIN3c107complexIdEEEEZZNS1_9scan_implILNS1_25lookback_scan_determinismE0ELb0ELb0ES3_PKS7_PS7_S7_ZZZN2at6native31launch_logcumsumexp_cuda_kernelERKNSE_10TensorBaseESI_lENKUlvE_clEvENKUlvE1_clEvEUlS7_S7_E_S7_EEDaPvRmT3_T4_T5_mT6_P12ihipStream_tbENKUlT_T0_E_clISt17integral_constantIbLb1EESY_IbLb0EEEEDaSU_SV_EUlSU_E_NS1_11comp_targetILNS1_3genE8ELNS1_11target_archE1030ELNS1_3gpuE2ELNS1_3repE0EEENS1_30default_config_static_selectorELNS0_4arch9wavefront6targetE1EEEvT1_.kd
    .uniform_work_group_size: 1
    .uses_dynamic_stack: false
    .vgpr_count:     0
    .vgpr_spill_count: 0
    .wavefront_size: 64
  - .args:
      - .offset:         0
        .size:           48
        .value_kind:     by_value
    .group_segment_fixed_size: 0
    .kernarg_segment_align: 16
    .kernarg_segment_size: 48
    .language:       OpenCL C
    .language_version:
      - 2
      - 0
    .max_flat_workgroup_size: 128
    .name:           _ZN7rocprim17ROCPRIM_400000_NS6detail17trampoline_kernelINS0_14default_configENS1_20scan_config_selectorIN3c107complexIdEEEEZZNS1_9scan_implILNS1_25lookback_scan_determinismE0ELb0ELb0ES3_PKS7_PS7_S7_ZZZN2at6native31launch_logcumsumexp_cuda_kernelERKNSE_10TensorBaseESI_lENKUlvE_clEvENKUlvE1_clEvEUlS7_S7_E_S7_EEDaPvRmT3_T4_T5_mT6_P12ihipStream_tbENKUlT_T0_E_clISt17integral_constantIbLb1EESY_IbLb0EEEEDaSU_SV_EUlSU_E0_NS1_11comp_targetILNS1_3genE0ELNS1_11target_archE4294967295ELNS1_3gpuE0ELNS1_3repE0EEENS1_30default_config_static_selectorELNS0_4arch9wavefront6targetE1EEEvT1_
    .private_segment_fixed_size: 0
    .sgpr_count:     4
    .sgpr_spill_count: 0
    .symbol:         _ZN7rocprim17ROCPRIM_400000_NS6detail17trampoline_kernelINS0_14default_configENS1_20scan_config_selectorIN3c107complexIdEEEEZZNS1_9scan_implILNS1_25lookback_scan_determinismE0ELb0ELb0ES3_PKS7_PS7_S7_ZZZN2at6native31launch_logcumsumexp_cuda_kernelERKNSE_10TensorBaseESI_lENKUlvE_clEvENKUlvE1_clEvEUlS7_S7_E_S7_EEDaPvRmT3_T4_T5_mT6_P12ihipStream_tbENKUlT_T0_E_clISt17integral_constantIbLb1EESY_IbLb0EEEEDaSU_SV_EUlSU_E0_NS1_11comp_targetILNS1_3genE0ELNS1_11target_archE4294967295ELNS1_3gpuE0ELNS1_3repE0EEENS1_30default_config_static_selectorELNS0_4arch9wavefront6targetE1EEEvT1_.kd
    .uniform_work_group_size: 1
    .uses_dynamic_stack: false
    .vgpr_count:     0
    .vgpr_spill_count: 0
    .wavefront_size: 64
  - .args:
      - .offset:         0
        .size:           48
        .value_kind:     by_value
    .group_segment_fixed_size: 0
    .kernarg_segment_align: 16
    .kernarg_segment_size: 48
    .language:       OpenCL C
    .language_version:
      - 2
      - 0
    .max_flat_workgroup_size: 256
    .name:           _ZN7rocprim17ROCPRIM_400000_NS6detail17trampoline_kernelINS0_14default_configENS1_20scan_config_selectorIN3c107complexIdEEEEZZNS1_9scan_implILNS1_25lookback_scan_determinismE0ELb0ELb0ES3_PKS7_PS7_S7_ZZZN2at6native31launch_logcumsumexp_cuda_kernelERKNSE_10TensorBaseESI_lENKUlvE_clEvENKUlvE1_clEvEUlS7_S7_E_S7_EEDaPvRmT3_T4_T5_mT6_P12ihipStream_tbENKUlT_T0_E_clISt17integral_constantIbLb1EESY_IbLb0EEEEDaSU_SV_EUlSU_E0_NS1_11comp_targetILNS1_3genE5ELNS1_11target_archE942ELNS1_3gpuE9ELNS1_3repE0EEENS1_30default_config_static_selectorELNS0_4arch9wavefront6targetE1EEEvT1_
    .private_segment_fixed_size: 0
    .sgpr_count:     4
    .sgpr_spill_count: 0
    .symbol:         _ZN7rocprim17ROCPRIM_400000_NS6detail17trampoline_kernelINS0_14default_configENS1_20scan_config_selectorIN3c107complexIdEEEEZZNS1_9scan_implILNS1_25lookback_scan_determinismE0ELb0ELb0ES3_PKS7_PS7_S7_ZZZN2at6native31launch_logcumsumexp_cuda_kernelERKNSE_10TensorBaseESI_lENKUlvE_clEvENKUlvE1_clEvEUlS7_S7_E_S7_EEDaPvRmT3_T4_T5_mT6_P12ihipStream_tbENKUlT_T0_E_clISt17integral_constantIbLb1EESY_IbLb0EEEEDaSU_SV_EUlSU_E0_NS1_11comp_targetILNS1_3genE5ELNS1_11target_archE942ELNS1_3gpuE9ELNS1_3repE0EEENS1_30default_config_static_selectorELNS0_4arch9wavefront6targetE1EEEvT1_.kd
    .uniform_work_group_size: 1
    .uses_dynamic_stack: false
    .vgpr_count:     0
    .vgpr_spill_count: 0
    .wavefront_size: 64
  - .args:
      - .offset:         0
        .size:           48
        .value_kind:     by_value
    .group_segment_fixed_size: 0
    .kernarg_segment_align: 16
    .kernarg_segment_size: 48
    .language:       OpenCL C
    .language_version:
      - 2
      - 0
    .max_flat_workgroup_size: 64
    .name:           _ZN7rocprim17ROCPRIM_400000_NS6detail17trampoline_kernelINS0_14default_configENS1_20scan_config_selectorIN3c107complexIdEEEEZZNS1_9scan_implILNS1_25lookback_scan_determinismE0ELb0ELb0ES3_PKS7_PS7_S7_ZZZN2at6native31launch_logcumsumexp_cuda_kernelERKNSE_10TensorBaseESI_lENKUlvE_clEvENKUlvE1_clEvEUlS7_S7_E_S7_EEDaPvRmT3_T4_T5_mT6_P12ihipStream_tbENKUlT_T0_E_clISt17integral_constantIbLb1EESY_IbLb0EEEEDaSU_SV_EUlSU_E0_NS1_11comp_targetILNS1_3genE4ELNS1_11target_archE910ELNS1_3gpuE8ELNS1_3repE0EEENS1_30default_config_static_selectorELNS0_4arch9wavefront6targetE1EEEvT1_
    .private_segment_fixed_size: 0
    .sgpr_count:     4
    .sgpr_spill_count: 0
    .symbol:         _ZN7rocprim17ROCPRIM_400000_NS6detail17trampoline_kernelINS0_14default_configENS1_20scan_config_selectorIN3c107complexIdEEEEZZNS1_9scan_implILNS1_25lookback_scan_determinismE0ELb0ELb0ES3_PKS7_PS7_S7_ZZZN2at6native31launch_logcumsumexp_cuda_kernelERKNSE_10TensorBaseESI_lENKUlvE_clEvENKUlvE1_clEvEUlS7_S7_E_S7_EEDaPvRmT3_T4_T5_mT6_P12ihipStream_tbENKUlT_T0_E_clISt17integral_constantIbLb1EESY_IbLb0EEEEDaSU_SV_EUlSU_E0_NS1_11comp_targetILNS1_3genE4ELNS1_11target_archE910ELNS1_3gpuE8ELNS1_3repE0EEENS1_30default_config_static_selectorELNS0_4arch9wavefront6targetE1EEEvT1_.kd
    .uniform_work_group_size: 1
    .uses_dynamic_stack: false
    .vgpr_count:     0
    .vgpr_spill_count: 0
    .wavefront_size: 64
  - .args:
      - .offset:         0
        .size:           48
        .value_kind:     by_value
    .group_segment_fixed_size: 0
    .kernarg_segment_align: 16
    .kernarg_segment_size: 48
    .language:       OpenCL C
    .language_version:
      - 2
      - 0
    .max_flat_workgroup_size: 128
    .name:           _ZN7rocprim17ROCPRIM_400000_NS6detail17trampoline_kernelINS0_14default_configENS1_20scan_config_selectorIN3c107complexIdEEEEZZNS1_9scan_implILNS1_25lookback_scan_determinismE0ELb0ELb0ES3_PKS7_PS7_S7_ZZZN2at6native31launch_logcumsumexp_cuda_kernelERKNSE_10TensorBaseESI_lENKUlvE_clEvENKUlvE1_clEvEUlS7_S7_E_S7_EEDaPvRmT3_T4_T5_mT6_P12ihipStream_tbENKUlT_T0_E_clISt17integral_constantIbLb1EESY_IbLb0EEEEDaSU_SV_EUlSU_E0_NS1_11comp_targetILNS1_3genE3ELNS1_11target_archE908ELNS1_3gpuE7ELNS1_3repE0EEENS1_30default_config_static_selectorELNS0_4arch9wavefront6targetE1EEEvT1_
    .private_segment_fixed_size: 0
    .sgpr_count:     4
    .sgpr_spill_count: 0
    .symbol:         _ZN7rocprim17ROCPRIM_400000_NS6detail17trampoline_kernelINS0_14default_configENS1_20scan_config_selectorIN3c107complexIdEEEEZZNS1_9scan_implILNS1_25lookback_scan_determinismE0ELb0ELb0ES3_PKS7_PS7_S7_ZZZN2at6native31launch_logcumsumexp_cuda_kernelERKNSE_10TensorBaseESI_lENKUlvE_clEvENKUlvE1_clEvEUlS7_S7_E_S7_EEDaPvRmT3_T4_T5_mT6_P12ihipStream_tbENKUlT_T0_E_clISt17integral_constantIbLb1EESY_IbLb0EEEEDaSU_SV_EUlSU_E0_NS1_11comp_targetILNS1_3genE3ELNS1_11target_archE908ELNS1_3gpuE7ELNS1_3repE0EEENS1_30default_config_static_selectorELNS0_4arch9wavefront6targetE1EEEvT1_.kd
    .uniform_work_group_size: 1
    .uses_dynamic_stack: false
    .vgpr_count:     0
    .vgpr_spill_count: 0
    .wavefront_size: 64
  - .args:
      - .offset:         0
        .size:           48
        .value_kind:     by_value
    .group_segment_fixed_size: 15360
    .kernarg_segment_align: 16
    .kernarg_segment_size: 48
    .language:       OpenCL C
    .language_version:
      - 2
      - 0
    .max_flat_workgroup_size: 64
    .name:           _ZN7rocprim17ROCPRIM_400000_NS6detail17trampoline_kernelINS0_14default_configENS1_20scan_config_selectorIN3c107complexIdEEEEZZNS1_9scan_implILNS1_25lookback_scan_determinismE0ELb0ELb0ES3_PKS7_PS7_S7_ZZZN2at6native31launch_logcumsumexp_cuda_kernelERKNSE_10TensorBaseESI_lENKUlvE_clEvENKUlvE1_clEvEUlS7_S7_E_S7_EEDaPvRmT3_T4_T5_mT6_P12ihipStream_tbENKUlT_T0_E_clISt17integral_constantIbLb1EESY_IbLb0EEEEDaSU_SV_EUlSU_E0_NS1_11comp_targetILNS1_3genE2ELNS1_11target_archE906ELNS1_3gpuE6ELNS1_3repE0EEENS1_30default_config_static_selectorELNS0_4arch9wavefront6targetE1EEEvT1_
    .private_segment_fixed_size: 0
    .sgpr_count:     76
    .sgpr_spill_count: 0
    .symbol:         _ZN7rocprim17ROCPRIM_400000_NS6detail17trampoline_kernelINS0_14default_configENS1_20scan_config_selectorIN3c107complexIdEEEEZZNS1_9scan_implILNS1_25lookback_scan_determinismE0ELb0ELb0ES3_PKS7_PS7_S7_ZZZN2at6native31launch_logcumsumexp_cuda_kernelERKNSE_10TensorBaseESI_lENKUlvE_clEvENKUlvE1_clEvEUlS7_S7_E_S7_EEDaPvRmT3_T4_T5_mT6_P12ihipStream_tbENKUlT_T0_E_clISt17integral_constantIbLb1EESY_IbLb0EEEEDaSU_SV_EUlSU_E0_NS1_11comp_targetILNS1_3genE2ELNS1_11target_archE906ELNS1_3gpuE6ELNS1_3repE0EEENS1_30default_config_static_selectorELNS0_4arch9wavefront6targetE1EEEvT1_.kd
    .uniform_work_group_size: 1
    .uses_dynamic_stack: false
    .vgpr_count:     167
    .vgpr_spill_count: 0
    .wavefront_size: 64
  - .args:
      - .offset:         0
        .size:           48
        .value_kind:     by_value
    .group_segment_fixed_size: 0
    .kernarg_segment_align: 16
    .kernarg_segment_size: 48
    .language:       OpenCL C
    .language_version:
      - 2
      - 0
    .max_flat_workgroup_size: 256
    .name:           _ZN7rocprim17ROCPRIM_400000_NS6detail17trampoline_kernelINS0_14default_configENS1_20scan_config_selectorIN3c107complexIdEEEEZZNS1_9scan_implILNS1_25lookback_scan_determinismE0ELb0ELb0ES3_PKS7_PS7_S7_ZZZN2at6native31launch_logcumsumexp_cuda_kernelERKNSE_10TensorBaseESI_lENKUlvE_clEvENKUlvE1_clEvEUlS7_S7_E_S7_EEDaPvRmT3_T4_T5_mT6_P12ihipStream_tbENKUlT_T0_E_clISt17integral_constantIbLb1EESY_IbLb0EEEEDaSU_SV_EUlSU_E0_NS1_11comp_targetILNS1_3genE10ELNS1_11target_archE1201ELNS1_3gpuE5ELNS1_3repE0EEENS1_30default_config_static_selectorELNS0_4arch9wavefront6targetE1EEEvT1_
    .private_segment_fixed_size: 0
    .sgpr_count:     4
    .sgpr_spill_count: 0
    .symbol:         _ZN7rocprim17ROCPRIM_400000_NS6detail17trampoline_kernelINS0_14default_configENS1_20scan_config_selectorIN3c107complexIdEEEEZZNS1_9scan_implILNS1_25lookback_scan_determinismE0ELb0ELb0ES3_PKS7_PS7_S7_ZZZN2at6native31launch_logcumsumexp_cuda_kernelERKNSE_10TensorBaseESI_lENKUlvE_clEvENKUlvE1_clEvEUlS7_S7_E_S7_EEDaPvRmT3_T4_T5_mT6_P12ihipStream_tbENKUlT_T0_E_clISt17integral_constantIbLb1EESY_IbLb0EEEEDaSU_SV_EUlSU_E0_NS1_11comp_targetILNS1_3genE10ELNS1_11target_archE1201ELNS1_3gpuE5ELNS1_3repE0EEENS1_30default_config_static_selectorELNS0_4arch9wavefront6targetE1EEEvT1_.kd
    .uniform_work_group_size: 1
    .uses_dynamic_stack: false
    .vgpr_count:     0
    .vgpr_spill_count: 0
    .wavefront_size: 64
  - .args:
      - .offset:         0
        .size:           48
        .value_kind:     by_value
    .group_segment_fixed_size: 0
    .kernarg_segment_align: 16
    .kernarg_segment_size: 48
    .language:       OpenCL C
    .language_version:
      - 2
      - 0
    .max_flat_workgroup_size: 256
    .name:           _ZN7rocprim17ROCPRIM_400000_NS6detail17trampoline_kernelINS0_14default_configENS1_20scan_config_selectorIN3c107complexIdEEEEZZNS1_9scan_implILNS1_25lookback_scan_determinismE0ELb0ELb0ES3_PKS7_PS7_S7_ZZZN2at6native31launch_logcumsumexp_cuda_kernelERKNSE_10TensorBaseESI_lENKUlvE_clEvENKUlvE1_clEvEUlS7_S7_E_S7_EEDaPvRmT3_T4_T5_mT6_P12ihipStream_tbENKUlT_T0_E_clISt17integral_constantIbLb1EESY_IbLb0EEEEDaSU_SV_EUlSU_E0_NS1_11comp_targetILNS1_3genE10ELNS1_11target_archE1200ELNS1_3gpuE4ELNS1_3repE0EEENS1_30default_config_static_selectorELNS0_4arch9wavefront6targetE1EEEvT1_
    .private_segment_fixed_size: 0
    .sgpr_count:     4
    .sgpr_spill_count: 0
    .symbol:         _ZN7rocprim17ROCPRIM_400000_NS6detail17trampoline_kernelINS0_14default_configENS1_20scan_config_selectorIN3c107complexIdEEEEZZNS1_9scan_implILNS1_25lookback_scan_determinismE0ELb0ELb0ES3_PKS7_PS7_S7_ZZZN2at6native31launch_logcumsumexp_cuda_kernelERKNSE_10TensorBaseESI_lENKUlvE_clEvENKUlvE1_clEvEUlS7_S7_E_S7_EEDaPvRmT3_T4_T5_mT6_P12ihipStream_tbENKUlT_T0_E_clISt17integral_constantIbLb1EESY_IbLb0EEEEDaSU_SV_EUlSU_E0_NS1_11comp_targetILNS1_3genE10ELNS1_11target_archE1200ELNS1_3gpuE4ELNS1_3repE0EEENS1_30default_config_static_selectorELNS0_4arch9wavefront6targetE1EEEvT1_.kd
    .uniform_work_group_size: 1
    .uses_dynamic_stack: false
    .vgpr_count:     0
    .vgpr_spill_count: 0
    .wavefront_size: 64
  - .args:
      - .offset:         0
        .size:           48
        .value_kind:     by_value
    .group_segment_fixed_size: 0
    .kernarg_segment_align: 16
    .kernarg_segment_size: 48
    .language:       OpenCL C
    .language_version:
      - 2
      - 0
    .max_flat_workgroup_size: 256
    .name:           _ZN7rocprim17ROCPRIM_400000_NS6detail17trampoline_kernelINS0_14default_configENS1_20scan_config_selectorIN3c107complexIdEEEEZZNS1_9scan_implILNS1_25lookback_scan_determinismE0ELb0ELb0ES3_PKS7_PS7_S7_ZZZN2at6native31launch_logcumsumexp_cuda_kernelERKNSE_10TensorBaseESI_lENKUlvE_clEvENKUlvE1_clEvEUlS7_S7_E_S7_EEDaPvRmT3_T4_T5_mT6_P12ihipStream_tbENKUlT_T0_E_clISt17integral_constantIbLb1EESY_IbLb0EEEEDaSU_SV_EUlSU_E0_NS1_11comp_targetILNS1_3genE9ELNS1_11target_archE1100ELNS1_3gpuE3ELNS1_3repE0EEENS1_30default_config_static_selectorELNS0_4arch9wavefront6targetE1EEEvT1_
    .private_segment_fixed_size: 0
    .sgpr_count:     4
    .sgpr_spill_count: 0
    .symbol:         _ZN7rocprim17ROCPRIM_400000_NS6detail17trampoline_kernelINS0_14default_configENS1_20scan_config_selectorIN3c107complexIdEEEEZZNS1_9scan_implILNS1_25lookback_scan_determinismE0ELb0ELb0ES3_PKS7_PS7_S7_ZZZN2at6native31launch_logcumsumexp_cuda_kernelERKNSE_10TensorBaseESI_lENKUlvE_clEvENKUlvE1_clEvEUlS7_S7_E_S7_EEDaPvRmT3_T4_T5_mT6_P12ihipStream_tbENKUlT_T0_E_clISt17integral_constantIbLb1EESY_IbLb0EEEEDaSU_SV_EUlSU_E0_NS1_11comp_targetILNS1_3genE9ELNS1_11target_archE1100ELNS1_3gpuE3ELNS1_3repE0EEENS1_30default_config_static_selectorELNS0_4arch9wavefront6targetE1EEEvT1_.kd
    .uniform_work_group_size: 1
    .uses_dynamic_stack: false
    .vgpr_count:     0
    .vgpr_spill_count: 0
    .wavefront_size: 64
  - .args:
      - .offset:         0
        .size:           48
        .value_kind:     by_value
    .group_segment_fixed_size: 0
    .kernarg_segment_align: 16
    .kernarg_segment_size: 48
    .language:       OpenCL C
    .language_version:
      - 2
      - 0
    .max_flat_workgroup_size: 256
    .name:           _ZN7rocprim17ROCPRIM_400000_NS6detail17trampoline_kernelINS0_14default_configENS1_20scan_config_selectorIN3c107complexIdEEEEZZNS1_9scan_implILNS1_25lookback_scan_determinismE0ELb0ELb0ES3_PKS7_PS7_S7_ZZZN2at6native31launch_logcumsumexp_cuda_kernelERKNSE_10TensorBaseESI_lENKUlvE_clEvENKUlvE1_clEvEUlS7_S7_E_S7_EEDaPvRmT3_T4_T5_mT6_P12ihipStream_tbENKUlT_T0_E_clISt17integral_constantIbLb1EESY_IbLb0EEEEDaSU_SV_EUlSU_E0_NS1_11comp_targetILNS1_3genE8ELNS1_11target_archE1030ELNS1_3gpuE2ELNS1_3repE0EEENS1_30default_config_static_selectorELNS0_4arch9wavefront6targetE1EEEvT1_
    .private_segment_fixed_size: 0
    .sgpr_count:     4
    .sgpr_spill_count: 0
    .symbol:         _ZN7rocprim17ROCPRIM_400000_NS6detail17trampoline_kernelINS0_14default_configENS1_20scan_config_selectorIN3c107complexIdEEEEZZNS1_9scan_implILNS1_25lookback_scan_determinismE0ELb0ELb0ES3_PKS7_PS7_S7_ZZZN2at6native31launch_logcumsumexp_cuda_kernelERKNSE_10TensorBaseESI_lENKUlvE_clEvENKUlvE1_clEvEUlS7_S7_E_S7_EEDaPvRmT3_T4_T5_mT6_P12ihipStream_tbENKUlT_T0_E_clISt17integral_constantIbLb1EESY_IbLb0EEEEDaSU_SV_EUlSU_E0_NS1_11comp_targetILNS1_3genE8ELNS1_11target_archE1030ELNS1_3gpuE2ELNS1_3repE0EEENS1_30default_config_static_selectorELNS0_4arch9wavefront6targetE1EEEvT1_.kd
    .uniform_work_group_size: 1
    .uses_dynamic_stack: false
    .vgpr_count:     0
    .vgpr_spill_count: 0
    .wavefront_size: 64
  - .args:
      - .offset:         0
        .size:           24
        .value_kind:     by_value
      - .offset:         24
        .size:           4
        .value_kind:     by_value
      - .address_space:  global
        .offset:         32
        .size:           8
        .value_kind:     global_buffer
      - .offset:         40
        .size:           4
        .value_kind:     by_value
      - .address_space:  global
        .offset:         48
        .size:           8
        .value_kind:     global_buffer
      - .offset:         56
        .size:           4
        .value_kind:     hidden_block_count_x
      - .offset:         60
        .size:           4
        .value_kind:     hidden_block_count_y
      - .offset:         64
        .size:           4
        .value_kind:     hidden_block_count_z
      - .offset:         68
        .size:           2
        .value_kind:     hidden_group_size_x
      - .offset:         70
        .size:           2
        .value_kind:     hidden_group_size_y
      - .offset:         72
        .size:           2
        .value_kind:     hidden_group_size_z
      - .offset:         74
        .size:           2
        .value_kind:     hidden_remainder_x
      - .offset:         76
        .size:           2
        .value_kind:     hidden_remainder_y
      - .offset:         78
        .size:           2
        .value_kind:     hidden_remainder_z
      - .offset:         96
        .size:           8
        .value_kind:     hidden_global_offset_x
      - .offset:         104
        .size:           8
        .value_kind:     hidden_global_offset_y
      - .offset:         112
        .size:           8
        .value_kind:     hidden_global_offset_z
      - .offset:         120
        .size:           2
        .value_kind:     hidden_grid_dims
    .group_segment_fixed_size: 0
    .kernarg_segment_align: 8
    .kernarg_segment_size: 312
    .language:       OpenCL C
    .language_version:
      - 2
      - 0
    .max_flat_workgroup_size: 256
    .name:           _ZN7rocprim17ROCPRIM_400000_NS6detail31init_lookback_scan_state_kernelINS1_19lookback_scan_stateIN3c107complexIdEELb0ELb0EEENS1_16block_id_wrapperIjLb1EEEEEvT_jT0_jPNSA_10value_typeE
    .private_segment_fixed_size: 0
    .sgpr_count:     24
    .sgpr_spill_count: 0
    .symbol:         _ZN7rocprim17ROCPRIM_400000_NS6detail31init_lookback_scan_state_kernelINS1_19lookback_scan_stateIN3c107complexIdEELb0ELb0EEENS1_16block_id_wrapperIjLb1EEEEEvT_jT0_jPNSA_10value_typeE.kd
    .uniform_work_group_size: 1
    .uses_dynamic_stack: false
    .vgpr_count:     6
    .vgpr_spill_count: 0
    .wavefront_size: 64
  - .args:
      - .offset:         0
        .size:           128
        .value_kind:     by_value
    .group_segment_fixed_size: 0
    .kernarg_segment_align: 16
    .kernarg_segment_size: 128
    .language:       OpenCL C
    .language_version:
      - 2
      - 0
    .max_flat_workgroup_size: 128
    .name:           _ZN7rocprim17ROCPRIM_400000_NS6detail17trampoline_kernelINS0_14default_configENS1_20scan_config_selectorIN3c107complexIdEEEEZZNS1_9scan_implILNS1_25lookback_scan_determinismE0ELb0ELb0ES3_PKS7_PS7_S7_ZZZN2at6native31launch_logcumsumexp_cuda_kernelERKNSE_10TensorBaseESI_lENKUlvE_clEvENKUlvE1_clEvEUlS7_S7_E_S7_EEDaPvRmT3_T4_T5_mT6_P12ihipStream_tbENKUlT_T0_E_clISt17integral_constantIbLb0EESY_IbLb1EEEEDaSU_SV_EUlSU_E_NS1_11comp_targetILNS1_3genE0ELNS1_11target_archE4294967295ELNS1_3gpuE0ELNS1_3repE0EEENS1_30default_config_static_selectorELNS0_4arch9wavefront6targetE1EEEvT1_
    .private_segment_fixed_size: 0
    .sgpr_count:     4
    .sgpr_spill_count: 0
    .symbol:         _ZN7rocprim17ROCPRIM_400000_NS6detail17trampoline_kernelINS0_14default_configENS1_20scan_config_selectorIN3c107complexIdEEEEZZNS1_9scan_implILNS1_25lookback_scan_determinismE0ELb0ELb0ES3_PKS7_PS7_S7_ZZZN2at6native31launch_logcumsumexp_cuda_kernelERKNSE_10TensorBaseESI_lENKUlvE_clEvENKUlvE1_clEvEUlS7_S7_E_S7_EEDaPvRmT3_T4_T5_mT6_P12ihipStream_tbENKUlT_T0_E_clISt17integral_constantIbLb0EESY_IbLb1EEEEDaSU_SV_EUlSU_E_NS1_11comp_targetILNS1_3genE0ELNS1_11target_archE4294967295ELNS1_3gpuE0ELNS1_3repE0EEENS1_30default_config_static_selectorELNS0_4arch9wavefront6targetE1EEEvT1_.kd
    .uniform_work_group_size: 1
    .uses_dynamic_stack: false
    .vgpr_count:     0
    .vgpr_spill_count: 0
    .wavefront_size: 64
  - .args:
      - .offset:         0
        .size:           128
        .value_kind:     by_value
    .group_segment_fixed_size: 0
    .kernarg_segment_align: 16
    .kernarg_segment_size: 128
    .language:       OpenCL C
    .language_version:
      - 2
      - 0
    .max_flat_workgroup_size: 256
    .name:           _ZN7rocprim17ROCPRIM_400000_NS6detail17trampoline_kernelINS0_14default_configENS1_20scan_config_selectorIN3c107complexIdEEEEZZNS1_9scan_implILNS1_25lookback_scan_determinismE0ELb0ELb0ES3_PKS7_PS7_S7_ZZZN2at6native31launch_logcumsumexp_cuda_kernelERKNSE_10TensorBaseESI_lENKUlvE_clEvENKUlvE1_clEvEUlS7_S7_E_S7_EEDaPvRmT3_T4_T5_mT6_P12ihipStream_tbENKUlT_T0_E_clISt17integral_constantIbLb0EESY_IbLb1EEEEDaSU_SV_EUlSU_E_NS1_11comp_targetILNS1_3genE5ELNS1_11target_archE942ELNS1_3gpuE9ELNS1_3repE0EEENS1_30default_config_static_selectorELNS0_4arch9wavefront6targetE1EEEvT1_
    .private_segment_fixed_size: 0
    .sgpr_count:     4
    .sgpr_spill_count: 0
    .symbol:         _ZN7rocprim17ROCPRIM_400000_NS6detail17trampoline_kernelINS0_14default_configENS1_20scan_config_selectorIN3c107complexIdEEEEZZNS1_9scan_implILNS1_25lookback_scan_determinismE0ELb0ELb0ES3_PKS7_PS7_S7_ZZZN2at6native31launch_logcumsumexp_cuda_kernelERKNSE_10TensorBaseESI_lENKUlvE_clEvENKUlvE1_clEvEUlS7_S7_E_S7_EEDaPvRmT3_T4_T5_mT6_P12ihipStream_tbENKUlT_T0_E_clISt17integral_constantIbLb0EESY_IbLb1EEEEDaSU_SV_EUlSU_E_NS1_11comp_targetILNS1_3genE5ELNS1_11target_archE942ELNS1_3gpuE9ELNS1_3repE0EEENS1_30default_config_static_selectorELNS0_4arch9wavefront6targetE1EEEvT1_.kd
    .uniform_work_group_size: 1
    .uses_dynamic_stack: false
    .vgpr_count:     0
    .vgpr_spill_count: 0
    .wavefront_size: 64
  - .args:
      - .offset:         0
        .size:           128
        .value_kind:     by_value
    .group_segment_fixed_size: 0
    .kernarg_segment_align: 16
    .kernarg_segment_size: 128
    .language:       OpenCL C
    .language_version:
      - 2
      - 0
    .max_flat_workgroup_size: 64
    .name:           _ZN7rocprim17ROCPRIM_400000_NS6detail17trampoline_kernelINS0_14default_configENS1_20scan_config_selectorIN3c107complexIdEEEEZZNS1_9scan_implILNS1_25lookback_scan_determinismE0ELb0ELb0ES3_PKS7_PS7_S7_ZZZN2at6native31launch_logcumsumexp_cuda_kernelERKNSE_10TensorBaseESI_lENKUlvE_clEvENKUlvE1_clEvEUlS7_S7_E_S7_EEDaPvRmT3_T4_T5_mT6_P12ihipStream_tbENKUlT_T0_E_clISt17integral_constantIbLb0EESY_IbLb1EEEEDaSU_SV_EUlSU_E_NS1_11comp_targetILNS1_3genE4ELNS1_11target_archE910ELNS1_3gpuE8ELNS1_3repE0EEENS1_30default_config_static_selectorELNS0_4arch9wavefront6targetE1EEEvT1_
    .private_segment_fixed_size: 0
    .sgpr_count:     4
    .sgpr_spill_count: 0
    .symbol:         _ZN7rocprim17ROCPRIM_400000_NS6detail17trampoline_kernelINS0_14default_configENS1_20scan_config_selectorIN3c107complexIdEEEEZZNS1_9scan_implILNS1_25lookback_scan_determinismE0ELb0ELb0ES3_PKS7_PS7_S7_ZZZN2at6native31launch_logcumsumexp_cuda_kernelERKNSE_10TensorBaseESI_lENKUlvE_clEvENKUlvE1_clEvEUlS7_S7_E_S7_EEDaPvRmT3_T4_T5_mT6_P12ihipStream_tbENKUlT_T0_E_clISt17integral_constantIbLb0EESY_IbLb1EEEEDaSU_SV_EUlSU_E_NS1_11comp_targetILNS1_3genE4ELNS1_11target_archE910ELNS1_3gpuE8ELNS1_3repE0EEENS1_30default_config_static_selectorELNS0_4arch9wavefront6targetE1EEEvT1_.kd
    .uniform_work_group_size: 1
    .uses_dynamic_stack: false
    .vgpr_count:     0
    .vgpr_spill_count: 0
    .wavefront_size: 64
  - .args:
      - .offset:         0
        .size:           128
        .value_kind:     by_value
    .group_segment_fixed_size: 0
    .kernarg_segment_align: 16
    .kernarg_segment_size: 128
    .language:       OpenCL C
    .language_version:
      - 2
      - 0
    .max_flat_workgroup_size: 128
    .name:           _ZN7rocprim17ROCPRIM_400000_NS6detail17trampoline_kernelINS0_14default_configENS1_20scan_config_selectorIN3c107complexIdEEEEZZNS1_9scan_implILNS1_25lookback_scan_determinismE0ELb0ELb0ES3_PKS7_PS7_S7_ZZZN2at6native31launch_logcumsumexp_cuda_kernelERKNSE_10TensorBaseESI_lENKUlvE_clEvENKUlvE1_clEvEUlS7_S7_E_S7_EEDaPvRmT3_T4_T5_mT6_P12ihipStream_tbENKUlT_T0_E_clISt17integral_constantIbLb0EESY_IbLb1EEEEDaSU_SV_EUlSU_E_NS1_11comp_targetILNS1_3genE3ELNS1_11target_archE908ELNS1_3gpuE7ELNS1_3repE0EEENS1_30default_config_static_selectorELNS0_4arch9wavefront6targetE1EEEvT1_
    .private_segment_fixed_size: 0
    .sgpr_count:     4
    .sgpr_spill_count: 0
    .symbol:         _ZN7rocprim17ROCPRIM_400000_NS6detail17trampoline_kernelINS0_14default_configENS1_20scan_config_selectorIN3c107complexIdEEEEZZNS1_9scan_implILNS1_25lookback_scan_determinismE0ELb0ELb0ES3_PKS7_PS7_S7_ZZZN2at6native31launch_logcumsumexp_cuda_kernelERKNSE_10TensorBaseESI_lENKUlvE_clEvENKUlvE1_clEvEUlS7_S7_E_S7_EEDaPvRmT3_T4_T5_mT6_P12ihipStream_tbENKUlT_T0_E_clISt17integral_constantIbLb0EESY_IbLb1EEEEDaSU_SV_EUlSU_E_NS1_11comp_targetILNS1_3genE3ELNS1_11target_archE908ELNS1_3gpuE7ELNS1_3repE0EEENS1_30default_config_static_selectorELNS0_4arch9wavefront6targetE1EEEvT1_.kd
    .uniform_work_group_size: 1
    .uses_dynamic_stack: false
    .vgpr_count:     0
    .vgpr_spill_count: 0
    .wavefront_size: 64
  - .args:
      - .offset:         0
        .size:           128
        .value_kind:     by_value
    .group_segment_fixed_size: 15360
    .kernarg_segment_align: 16
    .kernarg_segment_size: 128
    .language:       OpenCL C
    .language_version:
      - 2
      - 0
    .max_flat_workgroup_size: 64
    .name:           _ZN7rocprim17ROCPRIM_400000_NS6detail17trampoline_kernelINS0_14default_configENS1_20scan_config_selectorIN3c107complexIdEEEEZZNS1_9scan_implILNS1_25lookback_scan_determinismE0ELb0ELb0ES3_PKS7_PS7_S7_ZZZN2at6native31launch_logcumsumexp_cuda_kernelERKNSE_10TensorBaseESI_lENKUlvE_clEvENKUlvE1_clEvEUlS7_S7_E_S7_EEDaPvRmT3_T4_T5_mT6_P12ihipStream_tbENKUlT_T0_E_clISt17integral_constantIbLb0EESY_IbLb1EEEEDaSU_SV_EUlSU_E_NS1_11comp_targetILNS1_3genE2ELNS1_11target_archE906ELNS1_3gpuE6ELNS1_3repE0EEENS1_30default_config_static_selectorELNS0_4arch9wavefront6targetE1EEEvT1_
    .private_segment_fixed_size: 0
    .sgpr_count:     71
    .sgpr_spill_count: 0
    .symbol:         _ZN7rocprim17ROCPRIM_400000_NS6detail17trampoline_kernelINS0_14default_configENS1_20scan_config_selectorIN3c107complexIdEEEEZZNS1_9scan_implILNS1_25lookback_scan_determinismE0ELb0ELb0ES3_PKS7_PS7_S7_ZZZN2at6native31launch_logcumsumexp_cuda_kernelERKNSE_10TensorBaseESI_lENKUlvE_clEvENKUlvE1_clEvEUlS7_S7_E_S7_EEDaPvRmT3_T4_T5_mT6_P12ihipStream_tbENKUlT_T0_E_clISt17integral_constantIbLb0EESY_IbLb1EEEEDaSU_SV_EUlSU_E_NS1_11comp_targetILNS1_3genE2ELNS1_11target_archE906ELNS1_3gpuE6ELNS1_3repE0EEENS1_30default_config_static_selectorELNS0_4arch9wavefront6targetE1EEEvT1_.kd
    .uniform_work_group_size: 1
    .uses_dynamic_stack: false
    .vgpr_count:     171
    .vgpr_spill_count: 0
    .wavefront_size: 64
  - .args:
      - .offset:         0
        .size:           128
        .value_kind:     by_value
    .group_segment_fixed_size: 0
    .kernarg_segment_align: 16
    .kernarg_segment_size: 128
    .language:       OpenCL C
    .language_version:
      - 2
      - 0
    .max_flat_workgroup_size: 256
    .name:           _ZN7rocprim17ROCPRIM_400000_NS6detail17trampoline_kernelINS0_14default_configENS1_20scan_config_selectorIN3c107complexIdEEEEZZNS1_9scan_implILNS1_25lookback_scan_determinismE0ELb0ELb0ES3_PKS7_PS7_S7_ZZZN2at6native31launch_logcumsumexp_cuda_kernelERKNSE_10TensorBaseESI_lENKUlvE_clEvENKUlvE1_clEvEUlS7_S7_E_S7_EEDaPvRmT3_T4_T5_mT6_P12ihipStream_tbENKUlT_T0_E_clISt17integral_constantIbLb0EESY_IbLb1EEEEDaSU_SV_EUlSU_E_NS1_11comp_targetILNS1_3genE10ELNS1_11target_archE1201ELNS1_3gpuE5ELNS1_3repE0EEENS1_30default_config_static_selectorELNS0_4arch9wavefront6targetE1EEEvT1_
    .private_segment_fixed_size: 0
    .sgpr_count:     4
    .sgpr_spill_count: 0
    .symbol:         _ZN7rocprim17ROCPRIM_400000_NS6detail17trampoline_kernelINS0_14default_configENS1_20scan_config_selectorIN3c107complexIdEEEEZZNS1_9scan_implILNS1_25lookback_scan_determinismE0ELb0ELb0ES3_PKS7_PS7_S7_ZZZN2at6native31launch_logcumsumexp_cuda_kernelERKNSE_10TensorBaseESI_lENKUlvE_clEvENKUlvE1_clEvEUlS7_S7_E_S7_EEDaPvRmT3_T4_T5_mT6_P12ihipStream_tbENKUlT_T0_E_clISt17integral_constantIbLb0EESY_IbLb1EEEEDaSU_SV_EUlSU_E_NS1_11comp_targetILNS1_3genE10ELNS1_11target_archE1201ELNS1_3gpuE5ELNS1_3repE0EEENS1_30default_config_static_selectorELNS0_4arch9wavefront6targetE1EEEvT1_.kd
    .uniform_work_group_size: 1
    .uses_dynamic_stack: false
    .vgpr_count:     0
    .vgpr_spill_count: 0
    .wavefront_size: 64
  - .args:
      - .offset:         0
        .size:           128
        .value_kind:     by_value
    .group_segment_fixed_size: 0
    .kernarg_segment_align: 16
    .kernarg_segment_size: 128
    .language:       OpenCL C
    .language_version:
      - 2
      - 0
    .max_flat_workgroup_size: 256
    .name:           _ZN7rocprim17ROCPRIM_400000_NS6detail17trampoline_kernelINS0_14default_configENS1_20scan_config_selectorIN3c107complexIdEEEEZZNS1_9scan_implILNS1_25lookback_scan_determinismE0ELb0ELb0ES3_PKS7_PS7_S7_ZZZN2at6native31launch_logcumsumexp_cuda_kernelERKNSE_10TensorBaseESI_lENKUlvE_clEvENKUlvE1_clEvEUlS7_S7_E_S7_EEDaPvRmT3_T4_T5_mT6_P12ihipStream_tbENKUlT_T0_E_clISt17integral_constantIbLb0EESY_IbLb1EEEEDaSU_SV_EUlSU_E_NS1_11comp_targetILNS1_3genE10ELNS1_11target_archE1200ELNS1_3gpuE4ELNS1_3repE0EEENS1_30default_config_static_selectorELNS0_4arch9wavefront6targetE1EEEvT1_
    .private_segment_fixed_size: 0
    .sgpr_count:     4
    .sgpr_spill_count: 0
    .symbol:         _ZN7rocprim17ROCPRIM_400000_NS6detail17trampoline_kernelINS0_14default_configENS1_20scan_config_selectorIN3c107complexIdEEEEZZNS1_9scan_implILNS1_25lookback_scan_determinismE0ELb0ELb0ES3_PKS7_PS7_S7_ZZZN2at6native31launch_logcumsumexp_cuda_kernelERKNSE_10TensorBaseESI_lENKUlvE_clEvENKUlvE1_clEvEUlS7_S7_E_S7_EEDaPvRmT3_T4_T5_mT6_P12ihipStream_tbENKUlT_T0_E_clISt17integral_constantIbLb0EESY_IbLb1EEEEDaSU_SV_EUlSU_E_NS1_11comp_targetILNS1_3genE10ELNS1_11target_archE1200ELNS1_3gpuE4ELNS1_3repE0EEENS1_30default_config_static_selectorELNS0_4arch9wavefront6targetE1EEEvT1_.kd
    .uniform_work_group_size: 1
    .uses_dynamic_stack: false
    .vgpr_count:     0
    .vgpr_spill_count: 0
    .wavefront_size: 64
  - .args:
      - .offset:         0
        .size:           128
        .value_kind:     by_value
    .group_segment_fixed_size: 0
    .kernarg_segment_align: 16
    .kernarg_segment_size: 128
    .language:       OpenCL C
    .language_version:
      - 2
      - 0
    .max_flat_workgroup_size: 256
    .name:           _ZN7rocprim17ROCPRIM_400000_NS6detail17trampoline_kernelINS0_14default_configENS1_20scan_config_selectorIN3c107complexIdEEEEZZNS1_9scan_implILNS1_25lookback_scan_determinismE0ELb0ELb0ES3_PKS7_PS7_S7_ZZZN2at6native31launch_logcumsumexp_cuda_kernelERKNSE_10TensorBaseESI_lENKUlvE_clEvENKUlvE1_clEvEUlS7_S7_E_S7_EEDaPvRmT3_T4_T5_mT6_P12ihipStream_tbENKUlT_T0_E_clISt17integral_constantIbLb0EESY_IbLb1EEEEDaSU_SV_EUlSU_E_NS1_11comp_targetILNS1_3genE9ELNS1_11target_archE1100ELNS1_3gpuE3ELNS1_3repE0EEENS1_30default_config_static_selectorELNS0_4arch9wavefront6targetE1EEEvT1_
    .private_segment_fixed_size: 0
    .sgpr_count:     4
    .sgpr_spill_count: 0
    .symbol:         _ZN7rocprim17ROCPRIM_400000_NS6detail17trampoline_kernelINS0_14default_configENS1_20scan_config_selectorIN3c107complexIdEEEEZZNS1_9scan_implILNS1_25lookback_scan_determinismE0ELb0ELb0ES3_PKS7_PS7_S7_ZZZN2at6native31launch_logcumsumexp_cuda_kernelERKNSE_10TensorBaseESI_lENKUlvE_clEvENKUlvE1_clEvEUlS7_S7_E_S7_EEDaPvRmT3_T4_T5_mT6_P12ihipStream_tbENKUlT_T0_E_clISt17integral_constantIbLb0EESY_IbLb1EEEEDaSU_SV_EUlSU_E_NS1_11comp_targetILNS1_3genE9ELNS1_11target_archE1100ELNS1_3gpuE3ELNS1_3repE0EEENS1_30default_config_static_selectorELNS0_4arch9wavefront6targetE1EEEvT1_.kd
    .uniform_work_group_size: 1
    .uses_dynamic_stack: false
    .vgpr_count:     0
    .vgpr_spill_count: 0
    .wavefront_size: 64
  - .args:
      - .offset:         0
        .size:           128
        .value_kind:     by_value
    .group_segment_fixed_size: 0
    .kernarg_segment_align: 16
    .kernarg_segment_size: 128
    .language:       OpenCL C
    .language_version:
      - 2
      - 0
    .max_flat_workgroup_size: 256
    .name:           _ZN7rocprim17ROCPRIM_400000_NS6detail17trampoline_kernelINS0_14default_configENS1_20scan_config_selectorIN3c107complexIdEEEEZZNS1_9scan_implILNS1_25lookback_scan_determinismE0ELb0ELb0ES3_PKS7_PS7_S7_ZZZN2at6native31launch_logcumsumexp_cuda_kernelERKNSE_10TensorBaseESI_lENKUlvE_clEvENKUlvE1_clEvEUlS7_S7_E_S7_EEDaPvRmT3_T4_T5_mT6_P12ihipStream_tbENKUlT_T0_E_clISt17integral_constantIbLb0EESY_IbLb1EEEEDaSU_SV_EUlSU_E_NS1_11comp_targetILNS1_3genE8ELNS1_11target_archE1030ELNS1_3gpuE2ELNS1_3repE0EEENS1_30default_config_static_selectorELNS0_4arch9wavefront6targetE1EEEvT1_
    .private_segment_fixed_size: 0
    .sgpr_count:     4
    .sgpr_spill_count: 0
    .symbol:         _ZN7rocprim17ROCPRIM_400000_NS6detail17trampoline_kernelINS0_14default_configENS1_20scan_config_selectorIN3c107complexIdEEEEZZNS1_9scan_implILNS1_25lookback_scan_determinismE0ELb0ELb0ES3_PKS7_PS7_S7_ZZZN2at6native31launch_logcumsumexp_cuda_kernelERKNSE_10TensorBaseESI_lENKUlvE_clEvENKUlvE1_clEvEUlS7_S7_E_S7_EEDaPvRmT3_T4_T5_mT6_P12ihipStream_tbENKUlT_T0_E_clISt17integral_constantIbLb0EESY_IbLb1EEEEDaSU_SV_EUlSU_E_NS1_11comp_targetILNS1_3genE8ELNS1_11target_archE1030ELNS1_3gpuE2ELNS1_3repE0EEENS1_30default_config_static_selectorELNS0_4arch9wavefront6targetE1EEEvT1_.kd
    .uniform_work_group_size: 1
    .uses_dynamic_stack: false
    .vgpr_count:     0
    .vgpr_spill_count: 0
    .wavefront_size: 64
  - .args:
      - .offset:         0
        .size:           48
        .value_kind:     by_value
    .group_segment_fixed_size: 0
    .kernarg_segment_align: 16
    .kernarg_segment_size: 48
    .language:       OpenCL C
    .language_version:
      - 2
      - 0
    .max_flat_workgroup_size: 128
    .name:           _ZN7rocprim17ROCPRIM_400000_NS6detail17trampoline_kernelINS0_14default_configENS1_20scan_config_selectorIN3c107complexIdEEEEZZNS1_9scan_implILNS1_25lookback_scan_determinismE0ELb0ELb0ES3_PKS7_PS7_S7_ZZZN2at6native31launch_logcumsumexp_cuda_kernelERKNSE_10TensorBaseESI_lENKUlvE_clEvENKUlvE1_clEvEUlS7_S7_E_S7_EEDaPvRmT3_T4_T5_mT6_P12ihipStream_tbENKUlT_T0_E_clISt17integral_constantIbLb0EESY_IbLb1EEEEDaSU_SV_EUlSU_E0_NS1_11comp_targetILNS1_3genE0ELNS1_11target_archE4294967295ELNS1_3gpuE0ELNS1_3repE0EEENS1_30default_config_static_selectorELNS0_4arch9wavefront6targetE1EEEvT1_
    .private_segment_fixed_size: 0
    .sgpr_count:     4
    .sgpr_spill_count: 0
    .symbol:         _ZN7rocprim17ROCPRIM_400000_NS6detail17trampoline_kernelINS0_14default_configENS1_20scan_config_selectorIN3c107complexIdEEEEZZNS1_9scan_implILNS1_25lookback_scan_determinismE0ELb0ELb0ES3_PKS7_PS7_S7_ZZZN2at6native31launch_logcumsumexp_cuda_kernelERKNSE_10TensorBaseESI_lENKUlvE_clEvENKUlvE1_clEvEUlS7_S7_E_S7_EEDaPvRmT3_T4_T5_mT6_P12ihipStream_tbENKUlT_T0_E_clISt17integral_constantIbLb0EESY_IbLb1EEEEDaSU_SV_EUlSU_E0_NS1_11comp_targetILNS1_3genE0ELNS1_11target_archE4294967295ELNS1_3gpuE0ELNS1_3repE0EEENS1_30default_config_static_selectorELNS0_4arch9wavefront6targetE1EEEvT1_.kd
    .uniform_work_group_size: 1
    .uses_dynamic_stack: false
    .vgpr_count:     0
    .vgpr_spill_count: 0
    .wavefront_size: 64
  - .args:
      - .offset:         0
        .size:           48
        .value_kind:     by_value
    .group_segment_fixed_size: 0
    .kernarg_segment_align: 16
    .kernarg_segment_size: 48
    .language:       OpenCL C
    .language_version:
      - 2
      - 0
    .max_flat_workgroup_size: 256
    .name:           _ZN7rocprim17ROCPRIM_400000_NS6detail17trampoline_kernelINS0_14default_configENS1_20scan_config_selectorIN3c107complexIdEEEEZZNS1_9scan_implILNS1_25lookback_scan_determinismE0ELb0ELb0ES3_PKS7_PS7_S7_ZZZN2at6native31launch_logcumsumexp_cuda_kernelERKNSE_10TensorBaseESI_lENKUlvE_clEvENKUlvE1_clEvEUlS7_S7_E_S7_EEDaPvRmT3_T4_T5_mT6_P12ihipStream_tbENKUlT_T0_E_clISt17integral_constantIbLb0EESY_IbLb1EEEEDaSU_SV_EUlSU_E0_NS1_11comp_targetILNS1_3genE5ELNS1_11target_archE942ELNS1_3gpuE9ELNS1_3repE0EEENS1_30default_config_static_selectorELNS0_4arch9wavefront6targetE1EEEvT1_
    .private_segment_fixed_size: 0
    .sgpr_count:     4
    .sgpr_spill_count: 0
    .symbol:         _ZN7rocprim17ROCPRIM_400000_NS6detail17trampoline_kernelINS0_14default_configENS1_20scan_config_selectorIN3c107complexIdEEEEZZNS1_9scan_implILNS1_25lookback_scan_determinismE0ELb0ELb0ES3_PKS7_PS7_S7_ZZZN2at6native31launch_logcumsumexp_cuda_kernelERKNSE_10TensorBaseESI_lENKUlvE_clEvENKUlvE1_clEvEUlS7_S7_E_S7_EEDaPvRmT3_T4_T5_mT6_P12ihipStream_tbENKUlT_T0_E_clISt17integral_constantIbLb0EESY_IbLb1EEEEDaSU_SV_EUlSU_E0_NS1_11comp_targetILNS1_3genE5ELNS1_11target_archE942ELNS1_3gpuE9ELNS1_3repE0EEENS1_30default_config_static_selectorELNS0_4arch9wavefront6targetE1EEEvT1_.kd
    .uniform_work_group_size: 1
    .uses_dynamic_stack: false
    .vgpr_count:     0
    .vgpr_spill_count: 0
    .wavefront_size: 64
  - .args:
      - .offset:         0
        .size:           48
        .value_kind:     by_value
    .group_segment_fixed_size: 0
    .kernarg_segment_align: 16
    .kernarg_segment_size: 48
    .language:       OpenCL C
    .language_version:
      - 2
      - 0
    .max_flat_workgroup_size: 64
    .name:           _ZN7rocprim17ROCPRIM_400000_NS6detail17trampoline_kernelINS0_14default_configENS1_20scan_config_selectorIN3c107complexIdEEEEZZNS1_9scan_implILNS1_25lookback_scan_determinismE0ELb0ELb0ES3_PKS7_PS7_S7_ZZZN2at6native31launch_logcumsumexp_cuda_kernelERKNSE_10TensorBaseESI_lENKUlvE_clEvENKUlvE1_clEvEUlS7_S7_E_S7_EEDaPvRmT3_T4_T5_mT6_P12ihipStream_tbENKUlT_T0_E_clISt17integral_constantIbLb0EESY_IbLb1EEEEDaSU_SV_EUlSU_E0_NS1_11comp_targetILNS1_3genE4ELNS1_11target_archE910ELNS1_3gpuE8ELNS1_3repE0EEENS1_30default_config_static_selectorELNS0_4arch9wavefront6targetE1EEEvT1_
    .private_segment_fixed_size: 0
    .sgpr_count:     4
    .sgpr_spill_count: 0
    .symbol:         _ZN7rocprim17ROCPRIM_400000_NS6detail17trampoline_kernelINS0_14default_configENS1_20scan_config_selectorIN3c107complexIdEEEEZZNS1_9scan_implILNS1_25lookback_scan_determinismE0ELb0ELb0ES3_PKS7_PS7_S7_ZZZN2at6native31launch_logcumsumexp_cuda_kernelERKNSE_10TensorBaseESI_lENKUlvE_clEvENKUlvE1_clEvEUlS7_S7_E_S7_EEDaPvRmT3_T4_T5_mT6_P12ihipStream_tbENKUlT_T0_E_clISt17integral_constantIbLb0EESY_IbLb1EEEEDaSU_SV_EUlSU_E0_NS1_11comp_targetILNS1_3genE4ELNS1_11target_archE910ELNS1_3gpuE8ELNS1_3repE0EEENS1_30default_config_static_selectorELNS0_4arch9wavefront6targetE1EEEvT1_.kd
    .uniform_work_group_size: 1
    .uses_dynamic_stack: false
    .vgpr_count:     0
    .vgpr_spill_count: 0
    .wavefront_size: 64
  - .args:
      - .offset:         0
        .size:           48
        .value_kind:     by_value
    .group_segment_fixed_size: 0
    .kernarg_segment_align: 16
    .kernarg_segment_size: 48
    .language:       OpenCL C
    .language_version:
      - 2
      - 0
    .max_flat_workgroup_size: 128
    .name:           _ZN7rocprim17ROCPRIM_400000_NS6detail17trampoline_kernelINS0_14default_configENS1_20scan_config_selectorIN3c107complexIdEEEEZZNS1_9scan_implILNS1_25lookback_scan_determinismE0ELb0ELb0ES3_PKS7_PS7_S7_ZZZN2at6native31launch_logcumsumexp_cuda_kernelERKNSE_10TensorBaseESI_lENKUlvE_clEvENKUlvE1_clEvEUlS7_S7_E_S7_EEDaPvRmT3_T4_T5_mT6_P12ihipStream_tbENKUlT_T0_E_clISt17integral_constantIbLb0EESY_IbLb1EEEEDaSU_SV_EUlSU_E0_NS1_11comp_targetILNS1_3genE3ELNS1_11target_archE908ELNS1_3gpuE7ELNS1_3repE0EEENS1_30default_config_static_selectorELNS0_4arch9wavefront6targetE1EEEvT1_
    .private_segment_fixed_size: 0
    .sgpr_count:     4
    .sgpr_spill_count: 0
    .symbol:         _ZN7rocprim17ROCPRIM_400000_NS6detail17trampoline_kernelINS0_14default_configENS1_20scan_config_selectorIN3c107complexIdEEEEZZNS1_9scan_implILNS1_25lookback_scan_determinismE0ELb0ELb0ES3_PKS7_PS7_S7_ZZZN2at6native31launch_logcumsumexp_cuda_kernelERKNSE_10TensorBaseESI_lENKUlvE_clEvENKUlvE1_clEvEUlS7_S7_E_S7_EEDaPvRmT3_T4_T5_mT6_P12ihipStream_tbENKUlT_T0_E_clISt17integral_constantIbLb0EESY_IbLb1EEEEDaSU_SV_EUlSU_E0_NS1_11comp_targetILNS1_3genE3ELNS1_11target_archE908ELNS1_3gpuE7ELNS1_3repE0EEENS1_30default_config_static_selectorELNS0_4arch9wavefront6targetE1EEEvT1_.kd
    .uniform_work_group_size: 1
    .uses_dynamic_stack: false
    .vgpr_count:     0
    .vgpr_spill_count: 0
    .wavefront_size: 64
  - .args:
      - .offset:         0
        .size:           48
        .value_kind:     by_value
    .group_segment_fixed_size: 15360
    .kernarg_segment_align: 16
    .kernarg_segment_size: 48
    .language:       OpenCL C
    .language_version:
      - 2
      - 0
    .max_flat_workgroup_size: 64
    .name:           _ZN7rocprim17ROCPRIM_400000_NS6detail17trampoline_kernelINS0_14default_configENS1_20scan_config_selectorIN3c107complexIdEEEEZZNS1_9scan_implILNS1_25lookback_scan_determinismE0ELb0ELb0ES3_PKS7_PS7_S7_ZZZN2at6native31launch_logcumsumexp_cuda_kernelERKNSE_10TensorBaseESI_lENKUlvE_clEvENKUlvE1_clEvEUlS7_S7_E_S7_EEDaPvRmT3_T4_T5_mT6_P12ihipStream_tbENKUlT_T0_E_clISt17integral_constantIbLb0EESY_IbLb1EEEEDaSU_SV_EUlSU_E0_NS1_11comp_targetILNS1_3genE2ELNS1_11target_archE906ELNS1_3gpuE6ELNS1_3repE0EEENS1_30default_config_static_selectorELNS0_4arch9wavefront6targetE1EEEvT1_
    .private_segment_fixed_size: 0
    .sgpr_count:     76
    .sgpr_spill_count: 0
    .symbol:         _ZN7rocprim17ROCPRIM_400000_NS6detail17trampoline_kernelINS0_14default_configENS1_20scan_config_selectorIN3c107complexIdEEEEZZNS1_9scan_implILNS1_25lookback_scan_determinismE0ELb0ELb0ES3_PKS7_PS7_S7_ZZZN2at6native31launch_logcumsumexp_cuda_kernelERKNSE_10TensorBaseESI_lENKUlvE_clEvENKUlvE1_clEvEUlS7_S7_E_S7_EEDaPvRmT3_T4_T5_mT6_P12ihipStream_tbENKUlT_T0_E_clISt17integral_constantIbLb0EESY_IbLb1EEEEDaSU_SV_EUlSU_E0_NS1_11comp_targetILNS1_3genE2ELNS1_11target_archE906ELNS1_3gpuE6ELNS1_3repE0EEENS1_30default_config_static_selectorELNS0_4arch9wavefront6targetE1EEEvT1_.kd
    .uniform_work_group_size: 1
    .uses_dynamic_stack: false
    .vgpr_count:     167
    .vgpr_spill_count: 0
    .wavefront_size: 64
  - .args:
      - .offset:         0
        .size:           48
        .value_kind:     by_value
    .group_segment_fixed_size: 0
    .kernarg_segment_align: 16
    .kernarg_segment_size: 48
    .language:       OpenCL C
    .language_version:
      - 2
      - 0
    .max_flat_workgroup_size: 256
    .name:           _ZN7rocprim17ROCPRIM_400000_NS6detail17trampoline_kernelINS0_14default_configENS1_20scan_config_selectorIN3c107complexIdEEEEZZNS1_9scan_implILNS1_25lookback_scan_determinismE0ELb0ELb0ES3_PKS7_PS7_S7_ZZZN2at6native31launch_logcumsumexp_cuda_kernelERKNSE_10TensorBaseESI_lENKUlvE_clEvENKUlvE1_clEvEUlS7_S7_E_S7_EEDaPvRmT3_T4_T5_mT6_P12ihipStream_tbENKUlT_T0_E_clISt17integral_constantIbLb0EESY_IbLb1EEEEDaSU_SV_EUlSU_E0_NS1_11comp_targetILNS1_3genE10ELNS1_11target_archE1201ELNS1_3gpuE5ELNS1_3repE0EEENS1_30default_config_static_selectorELNS0_4arch9wavefront6targetE1EEEvT1_
    .private_segment_fixed_size: 0
    .sgpr_count:     4
    .sgpr_spill_count: 0
    .symbol:         _ZN7rocprim17ROCPRIM_400000_NS6detail17trampoline_kernelINS0_14default_configENS1_20scan_config_selectorIN3c107complexIdEEEEZZNS1_9scan_implILNS1_25lookback_scan_determinismE0ELb0ELb0ES3_PKS7_PS7_S7_ZZZN2at6native31launch_logcumsumexp_cuda_kernelERKNSE_10TensorBaseESI_lENKUlvE_clEvENKUlvE1_clEvEUlS7_S7_E_S7_EEDaPvRmT3_T4_T5_mT6_P12ihipStream_tbENKUlT_T0_E_clISt17integral_constantIbLb0EESY_IbLb1EEEEDaSU_SV_EUlSU_E0_NS1_11comp_targetILNS1_3genE10ELNS1_11target_archE1201ELNS1_3gpuE5ELNS1_3repE0EEENS1_30default_config_static_selectorELNS0_4arch9wavefront6targetE1EEEvT1_.kd
    .uniform_work_group_size: 1
    .uses_dynamic_stack: false
    .vgpr_count:     0
    .vgpr_spill_count: 0
    .wavefront_size: 64
  - .args:
      - .offset:         0
        .size:           48
        .value_kind:     by_value
    .group_segment_fixed_size: 0
    .kernarg_segment_align: 16
    .kernarg_segment_size: 48
    .language:       OpenCL C
    .language_version:
      - 2
      - 0
    .max_flat_workgroup_size: 256
    .name:           _ZN7rocprim17ROCPRIM_400000_NS6detail17trampoline_kernelINS0_14default_configENS1_20scan_config_selectorIN3c107complexIdEEEEZZNS1_9scan_implILNS1_25lookback_scan_determinismE0ELb0ELb0ES3_PKS7_PS7_S7_ZZZN2at6native31launch_logcumsumexp_cuda_kernelERKNSE_10TensorBaseESI_lENKUlvE_clEvENKUlvE1_clEvEUlS7_S7_E_S7_EEDaPvRmT3_T4_T5_mT6_P12ihipStream_tbENKUlT_T0_E_clISt17integral_constantIbLb0EESY_IbLb1EEEEDaSU_SV_EUlSU_E0_NS1_11comp_targetILNS1_3genE10ELNS1_11target_archE1200ELNS1_3gpuE4ELNS1_3repE0EEENS1_30default_config_static_selectorELNS0_4arch9wavefront6targetE1EEEvT1_
    .private_segment_fixed_size: 0
    .sgpr_count:     4
    .sgpr_spill_count: 0
    .symbol:         _ZN7rocprim17ROCPRIM_400000_NS6detail17trampoline_kernelINS0_14default_configENS1_20scan_config_selectorIN3c107complexIdEEEEZZNS1_9scan_implILNS1_25lookback_scan_determinismE0ELb0ELb0ES3_PKS7_PS7_S7_ZZZN2at6native31launch_logcumsumexp_cuda_kernelERKNSE_10TensorBaseESI_lENKUlvE_clEvENKUlvE1_clEvEUlS7_S7_E_S7_EEDaPvRmT3_T4_T5_mT6_P12ihipStream_tbENKUlT_T0_E_clISt17integral_constantIbLb0EESY_IbLb1EEEEDaSU_SV_EUlSU_E0_NS1_11comp_targetILNS1_3genE10ELNS1_11target_archE1200ELNS1_3gpuE4ELNS1_3repE0EEENS1_30default_config_static_selectorELNS0_4arch9wavefront6targetE1EEEvT1_.kd
    .uniform_work_group_size: 1
    .uses_dynamic_stack: false
    .vgpr_count:     0
    .vgpr_spill_count: 0
    .wavefront_size: 64
  - .args:
      - .offset:         0
        .size:           48
        .value_kind:     by_value
    .group_segment_fixed_size: 0
    .kernarg_segment_align: 16
    .kernarg_segment_size: 48
    .language:       OpenCL C
    .language_version:
      - 2
      - 0
    .max_flat_workgroup_size: 256
    .name:           _ZN7rocprim17ROCPRIM_400000_NS6detail17trampoline_kernelINS0_14default_configENS1_20scan_config_selectorIN3c107complexIdEEEEZZNS1_9scan_implILNS1_25lookback_scan_determinismE0ELb0ELb0ES3_PKS7_PS7_S7_ZZZN2at6native31launch_logcumsumexp_cuda_kernelERKNSE_10TensorBaseESI_lENKUlvE_clEvENKUlvE1_clEvEUlS7_S7_E_S7_EEDaPvRmT3_T4_T5_mT6_P12ihipStream_tbENKUlT_T0_E_clISt17integral_constantIbLb0EESY_IbLb1EEEEDaSU_SV_EUlSU_E0_NS1_11comp_targetILNS1_3genE9ELNS1_11target_archE1100ELNS1_3gpuE3ELNS1_3repE0EEENS1_30default_config_static_selectorELNS0_4arch9wavefront6targetE1EEEvT1_
    .private_segment_fixed_size: 0
    .sgpr_count:     4
    .sgpr_spill_count: 0
    .symbol:         _ZN7rocprim17ROCPRIM_400000_NS6detail17trampoline_kernelINS0_14default_configENS1_20scan_config_selectorIN3c107complexIdEEEEZZNS1_9scan_implILNS1_25lookback_scan_determinismE0ELb0ELb0ES3_PKS7_PS7_S7_ZZZN2at6native31launch_logcumsumexp_cuda_kernelERKNSE_10TensorBaseESI_lENKUlvE_clEvENKUlvE1_clEvEUlS7_S7_E_S7_EEDaPvRmT3_T4_T5_mT6_P12ihipStream_tbENKUlT_T0_E_clISt17integral_constantIbLb0EESY_IbLb1EEEEDaSU_SV_EUlSU_E0_NS1_11comp_targetILNS1_3genE9ELNS1_11target_archE1100ELNS1_3gpuE3ELNS1_3repE0EEENS1_30default_config_static_selectorELNS0_4arch9wavefront6targetE1EEEvT1_.kd
    .uniform_work_group_size: 1
    .uses_dynamic_stack: false
    .vgpr_count:     0
    .vgpr_spill_count: 0
    .wavefront_size: 64
  - .args:
      - .offset:         0
        .size:           48
        .value_kind:     by_value
    .group_segment_fixed_size: 0
    .kernarg_segment_align: 16
    .kernarg_segment_size: 48
    .language:       OpenCL C
    .language_version:
      - 2
      - 0
    .max_flat_workgroup_size: 256
    .name:           _ZN7rocprim17ROCPRIM_400000_NS6detail17trampoline_kernelINS0_14default_configENS1_20scan_config_selectorIN3c107complexIdEEEEZZNS1_9scan_implILNS1_25lookback_scan_determinismE0ELb0ELb0ES3_PKS7_PS7_S7_ZZZN2at6native31launch_logcumsumexp_cuda_kernelERKNSE_10TensorBaseESI_lENKUlvE_clEvENKUlvE1_clEvEUlS7_S7_E_S7_EEDaPvRmT3_T4_T5_mT6_P12ihipStream_tbENKUlT_T0_E_clISt17integral_constantIbLb0EESY_IbLb1EEEEDaSU_SV_EUlSU_E0_NS1_11comp_targetILNS1_3genE8ELNS1_11target_archE1030ELNS1_3gpuE2ELNS1_3repE0EEENS1_30default_config_static_selectorELNS0_4arch9wavefront6targetE1EEEvT1_
    .private_segment_fixed_size: 0
    .sgpr_count:     4
    .sgpr_spill_count: 0
    .symbol:         _ZN7rocprim17ROCPRIM_400000_NS6detail17trampoline_kernelINS0_14default_configENS1_20scan_config_selectorIN3c107complexIdEEEEZZNS1_9scan_implILNS1_25lookback_scan_determinismE0ELb0ELb0ES3_PKS7_PS7_S7_ZZZN2at6native31launch_logcumsumexp_cuda_kernelERKNSE_10TensorBaseESI_lENKUlvE_clEvENKUlvE1_clEvEUlS7_S7_E_S7_EEDaPvRmT3_T4_T5_mT6_P12ihipStream_tbENKUlT_T0_E_clISt17integral_constantIbLb0EESY_IbLb1EEEEDaSU_SV_EUlSU_E0_NS1_11comp_targetILNS1_3genE8ELNS1_11target_archE1030ELNS1_3gpuE2ELNS1_3repE0EEENS1_30default_config_static_selectorELNS0_4arch9wavefront6targetE1EEEvT1_.kd
    .uniform_work_group_size: 1
    .uses_dynamic_stack: false
    .vgpr_count:     0
    .vgpr_spill_count: 0
    .wavefront_size: 64
  - .args:
      - .address_space:  global
        .offset:         0
        .size:           8
        .value_kind:     global_buffer
      - .address_space:  global
        .offset:         8
        .size:           8
        .value_kind:     global_buffer
      - .offset:         16
        .size:           4
        .value_kind:     by_value
      - .offset:         20
        .size:           4
        .value_kind:     by_value
      - .offset:         24
        .size:           4
        .value_kind:     by_value
      - .offset:         32
        .size:           16
        .value_kind:     by_value
      - .offset:         48
        .size:           1
        .value_kind:     by_value
      - .offset:         56
        .size:           4
        .value_kind:     hidden_block_count_x
      - .offset:         60
        .size:           4
        .value_kind:     hidden_block_count_y
      - .offset:         64
        .size:           4
        .value_kind:     hidden_block_count_z
      - .offset:         68
        .size:           2
        .value_kind:     hidden_group_size_x
      - .offset:         70
        .size:           2
        .value_kind:     hidden_group_size_y
      - .offset:         72
        .size:           2
        .value_kind:     hidden_group_size_z
      - .offset:         74
        .size:           2
        .value_kind:     hidden_remainder_x
      - .offset:         76
        .size:           2
        .value_kind:     hidden_remainder_y
      - .offset:         78
        .size:           2
        .value_kind:     hidden_remainder_z
      - .offset:         96
        .size:           8
        .value_kind:     hidden_global_offset_x
      - .offset:         104
        .size:           8
        .value_kind:     hidden_global_offset_y
      - .offset:         112
        .size:           8
        .value_kind:     hidden_global_offset_z
      - .offset:         120
        .size:           2
        .value_kind:     hidden_grid_dims
      - .offset:         176
        .size:           4
        .value_kind:     hidden_dynamic_lds_size
    .group_segment_fixed_size: 0
    .kernarg_segment_align: 16
    .kernarg_segment_size: 312
    .language:       OpenCL C
    .language_version:
      - 2
      - 0
    .max_flat_workgroup_size: 1024
    .name:           _ZN2at6native32tensor_kernel_scan_innermost_dimIN3c107complexIdEEZZZNS0_31launch_logcumsumexp_cuda_kernelERKNS_10TensorBaseES7_lENKUlvE_clEvENKUlvE1_clEvEUlS4_S4_E_EEvPT_PKSB_jjjSB_T0_
    .private_segment_fixed_size: 0
    .sgpr_count:     72
    .sgpr_spill_count: 0
    .symbol:         _ZN2at6native32tensor_kernel_scan_innermost_dimIN3c107complexIdEEZZZNS0_31launch_logcumsumexp_cuda_kernelERKNS_10TensorBaseES7_lENKUlvE_clEvENKUlvE1_clEvEUlS4_S4_E_EEvPT_PKSB_jjjSB_T0_.kd
    .uniform_work_group_size: 1
    .uses_dynamic_stack: false
    .vgpr_count:     64
    .vgpr_spill_count: 0
    .wavefront_size: 64
  - .args:
      - .address_space:  global
        .offset:         0
        .size:           8
        .value_kind:     global_buffer
      - .address_space:  global
        .offset:         8
        .size:           8
        .value_kind:     global_buffer
      - .offset:         16
        .size:           4
        .value_kind:     by_value
      - .offset:         20
        .size:           4
        .value_kind:     by_value
      - .offset:         24
        .size:           4
        .value_kind:     by_value
      - .offset:         32
        .size:           16
        .value_kind:     by_value
      - .offset:         48
        .size:           1
        .value_kind:     by_value
      - .offset:         56
        .size:           4
        .value_kind:     hidden_block_count_x
      - .offset:         60
        .size:           4
        .value_kind:     hidden_block_count_y
      - .offset:         64
        .size:           4
        .value_kind:     hidden_block_count_z
      - .offset:         68
        .size:           2
        .value_kind:     hidden_group_size_x
      - .offset:         70
        .size:           2
        .value_kind:     hidden_group_size_y
      - .offset:         72
        .size:           2
        .value_kind:     hidden_group_size_z
      - .offset:         74
        .size:           2
        .value_kind:     hidden_remainder_x
      - .offset:         76
        .size:           2
        .value_kind:     hidden_remainder_y
      - .offset:         78
        .size:           2
        .value_kind:     hidden_remainder_z
      - .offset:         96
        .size:           8
        .value_kind:     hidden_global_offset_x
      - .offset:         104
        .size:           8
        .value_kind:     hidden_global_offset_y
      - .offset:         112
        .size:           8
        .value_kind:     hidden_global_offset_z
      - .offset:         120
        .size:           2
        .value_kind:     hidden_grid_dims
    .group_segment_fixed_size: 0
    .kernarg_segment_align: 16
    .kernarg_segment_size: 312
    .language:       OpenCL C
    .language_version:
      - 2
      - 0
    .max_flat_workgroup_size: 1024
    .name:           _ZN2at6native28tensor_kernel_scan_outer_dimIN3c107complexIdEEjZZZNS0_31launch_logcumsumexp_cuda_kernelERKNS_10TensorBaseES7_lENKUlvE_clEvENKUlvE1_clEvEUlS4_S4_E_EEvPT_PKSB_jjjSB_T1_
    .private_segment_fixed_size: 0
    .sgpr_count:     71
    .sgpr_spill_count: 0
    .symbol:         _ZN2at6native28tensor_kernel_scan_outer_dimIN3c107complexIdEEjZZZNS0_31launch_logcumsumexp_cuda_kernelERKNS_10TensorBaseES7_lENKUlvE_clEvENKUlvE1_clEvEUlS4_S4_E_EEvPT_PKSB_jjjSB_T1_.kd
    .uniform_work_group_size: 1
    .uses_dynamic_stack: false
    .vgpr_count:     55
    .vgpr_spill_count: 0
    .wavefront_size: 64
  - .args:
      - .address_space:  global
        .offset:         0
        .size:           8
        .value_kind:     global_buffer
      - .address_space:  global
        .offset:         8
        .size:           8
        .value_kind:     global_buffer
      - .offset:         16
        .size:           4
        .value_kind:     by_value
      - .offset:         20
        .size:           4
        .value_kind:     by_value
      - .offset:         24
        .size:           4
        .value_kind:     by_value
      - .offset:         32
        .size:           16
        .value_kind:     by_value
      - .offset:         48
        .size:           1
        .value_kind:     by_value
      - .offset:         56
        .size:           4
        .value_kind:     hidden_block_count_x
      - .offset:         60
        .size:           4
        .value_kind:     hidden_block_count_y
      - .offset:         64
        .size:           4
        .value_kind:     hidden_block_count_z
      - .offset:         68
        .size:           2
        .value_kind:     hidden_group_size_x
      - .offset:         70
        .size:           2
        .value_kind:     hidden_group_size_y
      - .offset:         72
        .size:           2
        .value_kind:     hidden_group_size_z
      - .offset:         74
        .size:           2
        .value_kind:     hidden_remainder_x
      - .offset:         76
        .size:           2
        .value_kind:     hidden_remainder_y
      - .offset:         78
        .size:           2
        .value_kind:     hidden_remainder_z
      - .offset:         96
        .size:           8
        .value_kind:     hidden_global_offset_x
      - .offset:         104
        .size:           8
        .value_kind:     hidden_global_offset_y
      - .offset:         112
        .size:           8
        .value_kind:     hidden_global_offset_z
      - .offset:         120
        .size:           2
        .value_kind:     hidden_grid_dims
    .group_segment_fixed_size: 0
    .kernarg_segment_align: 16
    .kernarg_segment_size: 312
    .language:       OpenCL C
    .language_version:
      - 2
      - 0
    .max_flat_workgroup_size: 1024
    .name:           _ZN2at6native28tensor_kernel_scan_outer_dimIN3c107complexIdEEmZZZNS0_31launch_logcumsumexp_cuda_kernelERKNS_10TensorBaseES7_lENKUlvE_clEvENKUlvE1_clEvEUlS4_S4_E_EEvPT_PKSB_jjjSB_T1_
    .private_segment_fixed_size: 0
    .sgpr_count:     70
    .sgpr_spill_count: 0
    .symbol:         _ZN2at6native28tensor_kernel_scan_outer_dimIN3c107complexIdEEmZZZNS0_31launch_logcumsumexp_cuda_kernelERKNS_10TensorBaseES7_lENKUlvE_clEvENKUlvE1_clEvEUlS4_S4_E_EEvPT_PKSB_jjjSB_T1_.kd
    .uniform_work_group_size: 1
    .uses_dynamic_stack: false
    .vgpr_count:     55
    .vgpr_spill_count: 0
    .wavefront_size: 64
  - .args:
      - .address_space:  global
        .offset:         0
        .size:           8
        .value_kind:     global_buffer
      - .offset:         8
        .size:           4
        .value_kind:     by_value
      - .offset:         12
        .size:           1
        .value_kind:     by_value
      - .offset:         16
        .size:           4
        .value_kind:     by_value
      - .address_space:  global
        .offset:         24
        .size:           8
        .value_kind:     global_buffer
      - .offset:         32
        .size:           4
        .value_kind:     hidden_block_count_x
      - .offset:         36
        .size:           4
        .value_kind:     hidden_block_count_y
      - .offset:         40
        .size:           4
        .value_kind:     hidden_block_count_z
      - .offset:         44
        .size:           2
        .value_kind:     hidden_group_size_x
      - .offset:         46
        .size:           2
        .value_kind:     hidden_group_size_y
      - .offset:         48
        .size:           2
        .value_kind:     hidden_group_size_z
      - .offset:         50
        .size:           2
        .value_kind:     hidden_remainder_x
      - .offset:         52
        .size:           2
        .value_kind:     hidden_remainder_y
      - .offset:         54
        .size:           2
        .value_kind:     hidden_remainder_z
      - .offset:         72
        .size:           8
        .value_kind:     hidden_global_offset_x
      - .offset:         80
        .size:           8
        .value_kind:     hidden_global_offset_y
      - .offset:         88
        .size:           8
        .value_kind:     hidden_global_offset_z
      - .offset:         96
        .size:           2
        .value_kind:     hidden_grid_dims
    .group_segment_fixed_size: 0
    .kernarg_segment_align: 8
    .kernarg_segment_size: 288
    .language:       OpenCL C
    .language_version:
      - 2
      - 0
    .max_flat_workgroup_size: 256
    .name:           _ZN7rocprim17ROCPRIM_400000_NS6detail31init_lookback_scan_state_kernelINS1_19lookback_scan_stateIN3c107complexIfEELb0ELb1EEENS1_16block_id_wrapperIjLb0EEEEEvT_jT0_jPNSA_10value_typeE
    .private_segment_fixed_size: 0
    .sgpr_count:     17
    .sgpr_spill_count: 0
    .symbol:         _ZN7rocprim17ROCPRIM_400000_NS6detail31init_lookback_scan_state_kernelINS1_19lookback_scan_stateIN3c107complexIfEELb0ELb1EEENS1_16block_id_wrapperIjLb0EEEEEvT_jT0_jPNSA_10value_typeE.kd
    .uniform_work_group_size: 1
    .uses_dynamic_stack: false
    .vgpr_count:     8
    .vgpr_spill_count: 0
    .wavefront_size: 64
  - .args:
      - .offset:         0
        .size:           104
        .value_kind:     by_value
    .group_segment_fixed_size: 0
    .kernarg_segment_align: 8
    .kernarg_segment_size: 104
    .language:       OpenCL C
    .language_version:
      - 2
      - 0
    .max_flat_workgroup_size: 256
    .name:           _ZN7rocprim17ROCPRIM_400000_NS6detail17trampoline_kernelINS0_14default_configENS1_20scan_config_selectorIN3c107complexIfEEEEZZNS1_9scan_implILNS1_25lookback_scan_determinismE0ELb0ELb0ES3_PKS7_PS7_S7_ZZZN2at6native31launch_logcumsumexp_cuda_kernelERKNSE_10TensorBaseESI_lENKUlvE_clEvENKUlvE2_clEvEUlS7_S7_E_S7_EEDaPvRmT3_T4_T5_mT6_P12ihipStream_tbENKUlT_T0_E_clISt17integral_constantIbLb0EESZ_EEDaSU_SV_EUlSU_E_NS1_11comp_targetILNS1_3genE0ELNS1_11target_archE4294967295ELNS1_3gpuE0ELNS1_3repE0EEENS1_30default_config_static_selectorELNS0_4arch9wavefront6targetE1EEEvT1_
    .private_segment_fixed_size: 0
    .sgpr_count:     4
    .sgpr_spill_count: 0
    .symbol:         _ZN7rocprim17ROCPRIM_400000_NS6detail17trampoline_kernelINS0_14default_configENS1_20scan_config_selectorIN3c107complexIfEEEEZZNS1_9scan_implILNS1_25lookback_scan_determinismE0ELb0ELb0ES3_PKS7_PS7_S7_ZZZN2at6native31launch_logcumsumexp_cuda_kernelERKNSE_10TensorBaseESI_lENKUlvE_clEvENKUlvE2_clEvEUlS7_S7_E_S7_EEDaPvRmT3_T4_T5_mT6_P12ihipStream_tbENKUlT_T0_E_clISt17integral_constantIbLb0EESZ_EEDaSU_SV_EUlSU_E_NS1_11comp_targetILNS1_3genE0ELNS1_11target_archE4294967295ELNS1_3gpuE0ELNS1_3repE0EEENS1_30default_config_static_selectorELNS0_4arch9wavefront6targetE1EEEvT1_.kd
    .uniform_work_group_size: 1
    .uses_dynamic_stack: false
    .vgpr_count:     0
    .vgpr_spill_count: 0
    .wavefront_size: 64
  - .args:
      - .offset:         0
        .size:           104
        .value_kind:     by_value
    .group_segment_fixed_size: 0
    .kernarg_segment_align: 8
    .kernarg_segment_size: 104
    .language:       OpenCL C
    .language_version:
      - 2
      - 0
    .max_flat_workgroup_size: 256
    .name:           _ZN7rocprim17ROCPRIM_400000_NS6detail17trampoline_kernelINS0_14default_configENS1_20scan_config_selectorIN3c107complexIfEEEEZZNS1_9scan_implILNS1_25lookback_scan_determinismE0ELb0ELb0ES3_PKS7_PS7_S7_ZZZN2at6native31launch_logcumsumexp_cuda_kernelERKNSE_10TensorBaseESI_lENKUlvE_clEvENKUlvE2_clEvEUlS7_S7_E_S7_EEDaPvRmT3_T4_T5_mT6_P12ihipStream_tbENKUlT_T0_E_clISt17integral_constantIbLb0EESZ_EEDaSU_SV_EUlSU_E_NS1_11comp_targetILNS1_3genE5ELNS1_11target_archE942ELNS1_3gpuE9ELNS1_3repE0EEENS1_30default_config_static_selectorELNS0_4arch9wavefront6targetE1EEEvT1_
    .private_segment_fixed_size: 0
    .sgpr_count:     4
    .sgpr_spill_count: 0
    .symbol:         _ZN7rocprim17ROCPRIM_400000_NS6detail17trampoline_kernelINS0_14default_configENS1_20scan_config_selectorIN3c107complexIfEEEEZZNS1_9scan_implILNS1_25lookback_scan_determinismE0ELb0ELb0ES3_PKS7_PS7_S7_ZZZN2at6native31launch_logcumsumexp_cuda_kernelERKNSE_10TensorBaseESI_lENKUlvE_clEvENKUlvE2_clEvEUlS7_S7_E_S7_EEDaPvRmT3_T4_T5_mT6_P12ihipStream_tbENKUlT_T0_E_clISt17integral_constantIbLb0EESZ_EEDaSU_SV_EUlSU_E_NS1_11comp_targetILNS1_3genE5ELNS1_11target_archE942ELNS1_3gpuE9ELNS1_3repE0EEENS1_30default_config_static_selectorELNS0_4arch9wavefront6targetE1EEEvT1_.kd
    .uniform_work_group_size: 1
    .uses_dynamic_stack: false
    .vgpr_count:     0
    .vgpr_spill_count: 0
    .wavefront_size: 64
  - .args:
      - .offset:         0
        .size:           104
        .value_kind:     by_value
    .group_segment_fixed_size: 0
    .kernarg_segment_align: 8
    .kernarg_segment_size: 104
    .language:       OpenCL C
    .language_version:
      - 2
      - 0
    .max_flat_workgroup_size: 128
    .name:           _ZN7rocprim17ROCPRIM_400000_NS6detail17trampoline_kernelINS0_14default_configENS1_20scan_config_selectorIN3c107complexIfEEEEZZNS1_9scan_implILNS1_25lookback_scan_determinismE0ELb0ELb0ES3_PKS7_PS7_S7_ZZZN2at6native31launch_logcumsumexp_cuda_kernelERKNSE_10TensorBaseESI_lENKUlvE_clEvENKUlvE2_clEvEUlS7_S7_E_S7_EEDaPvRmT3_T4_T5_mT6_P12ihipStream_tbENKUlT_T0_E_clISt17integral_constantIbLb0EESZ_EEDaSU_SV_EUlSU_E_NS1_11comp_targetILNS1_3genE4ELNS1_11target_archE910ELNS1_3gpuE8ELNS1_3repE0EEENS1_30default_config_static_selectorELNS0_4arch9wavefront6targetE1EEEvT1_
    .private_segment_fixed_size: 0
    .sgpr_count:     4
    .sgpr_spill_count: 0
    .symbol:         _ZN7rocprim17ROCPRIM_400000_NS6detail17trampoline_kernelINS0_14default_configENS1_20scan_config_selectorIN3c107complexIfEEEEZZNS1_9scan_implILNS1_25lookback_scan_determinismE0ELb0ELb0ES3_PKS7_PS7_S7_ZZZN2at6native31launch_logcumsumexp_cuda_kernelERKNSE_10TensorBaseESI_lENKUlvE_clEvENKUlvE2_clEvEUlS7_S7_E_S7_EEDaPvRmT3_T4_T5_mT6_P12ihipStream_tbENKUlT_T0_E_clISt17integral_constantIbLb0EESZ_EEDaSU_SV_EUlSU_E_NS1_11comp_targetILNS1_3genE4ELNS1_11target_archE910ELNS1_3gpuE8ELNS1_3repE0EEENS1_30default_config_static_selectorELNS0_4arch9wavefront6targetE1EEEvT1_.kd
    .uniform_work_group_size: 1
    .uses_dynamic_stack: false
    .vgpr_count:     0
    .vgpr_spill_count: 0
    .wavefront_size: 64
  - .args:
      - .offset:         0
        .size:           104
        .value_kind:     by_value
    .group_segment_fixed_size: 0
    .kernarg_segment_align: 8
    .kernarg_segment_size: 104
    .language:       OpenCL C
    .language_version:
      - 2
      - 0
    .max_flat_workgroup_size: 256
    .name:           _ZN7rocprim17ROCPRIM_400000_NS6detail17trampoline_kernelINS0_14default_configENS1_20scan_config_selectorIN3c107complexIfEEEEZZNS1_9scan_implILNS1_25lookback_scan_determinismE0ELb0ELb0ES3_PKS7_PS7_S7_ZZZN2at6native31launch_logcumsumexp_cuda_kernelERKNSE_10TensorBaseESI_lENKUlvE_clEvENKUlvE2_clEvEUlS7_S7_E_S7_EEDaPvRmT3_T4_T5_mT6_P12ihipStream_tbENKUlT_T0_E_clISt17integral_constantIbLb0EESZ_EEDaSU_SV_EUlSU_E_NS1_11comp_targetILNS1_3genE3ELNS1_11target_archE908ELNS1_3gpuE7ELNS1_3repE0EEENS1_30default_config_static_selectorELNS0_4arch9wavefront6targetE1EEEvT1_
    .private_segment_fixed_size: 0
    .sgpr_count:     4
    .sgpr_spill_count: 0
    .symbol:         _ZN7rocprim17ROCPRIM_400000_NS6detail17trampoline_kernelINS0_14default_configENS1_20scan_config_selectorIN3c107complexIfEEEEZZNS1_9scan_implILNS1_25lookback_scan_determinismE0ELb0ELb0ES3_PKS7_PS7_S7_ZZZN2at6native31launch_logcumsumexp_cuda_kernelERKNSE_10TensorBaseESI_lENKUlvE_clEvENKUlvE2_clEvEUlS7_S7_E_S7_EEDaPvRmT3_T4_T5_mT6_P12ihipStream_tbENKUlT_T0_E_clISt17integral_constantIbLb0EESZ_EEDaSU_SV_EUlSU_E_NS1_11comp_targetILNS1_3genE3ELNS1_11target_archE908ELNS1_3gpuE7ELNS1_3repE0EEENS1_30default_config_static_selectorELNS0_4arch9wavefront6targetE1EEEvT1_.kd
    .uniform_work_group_size: 1
    .uses_dynamic_stack: false
    .vgpr_count:     0
    .vgpr_spill_count: 0
    .wavefront_size: 64
  - .args:
      - .offset:         0
        .size:           104
        .value_kind:     by_value
    .group_segment_fixed_size: 7168
    .kernarg_segment_align: 8
    .kernarg_segment_size: 104
    .language:       OpenCL C
    .language_version:
      - 2
      - 0
    .max_flat_workgroup_size: 64
    .name:           _ZN7rocprim17ROCPRIM_400000_NS6detail17trampoline_kernelINS0_14default_configENS1_20scan_config_selectorIN3c107complexIfEEEEZZNS1_9scan_implILNS1_25lookback_scan_determinismE0ELb0ELb0ES3_PKS7_PS7_S7_ZZZN2at6native31launch_logcumsumexp_cuda_kernelERKNSE_10TensorBaseESI_lENKUlvE_clEvENKUlvE2_clEvEUlS7_S7_E_S7_EEDaPvRmT3_T4_T5_mT6_P12ihipStream_tbENKUlT_T0_E_clISt17integral_constantIbLb0EESZ_EEDaSU_SV_EUlSU_E_NS1_11comp_targetILNS1_3genE2ELNS1_11target_archE906ELNS1_3gpuE6ELNS1_3repE0EEENS1_30default_config_static_selectorELNS0_4arch9wavefront6targetE1EEEvT1_
    .private_segment_fixed_size: 0
    .sgpr_count:     57
    .sgpr_spill_count: 0
    .symbol:         _ZN7rocprim17ROCPRIM_400000_NS6detail17trampoline_kernelINS0_14default_configENS1_20scan_config_selectorIN3c107complexIfEEEEZZNS1_9scan_implILNS1_25lookback_scan_determinismE0ELb0ELb0ES3_PKS7_PS7_S7_ZZZN2at6native31launch_logcumsumexp_cuda_kernelERKNSE_10TensorBaseESI_lENKUlvE_clEvENKUlvE2_clEvEUlS7_S7_E_S7_EEDaPvRmT3_T4_T5_mT6_P12ihipStream_tbENKUlT_T0_E_clISt17integral_constantIbLb0EESZ_EEDaSU_SV_EUlSU_E_NS1_11comp_targetILNS1_3genE2ELNS1_11target_archE906ELNS1_3gpuE6ELNS1_3repE0EEENS1_30default_config_static_selectorELNS0_4arch9wavefront6targetE1EEEvT1_.kd
    .uniform_work_group_size: 1
    .uses_dynamic_stack: false
    .vgpr_count:     86
    .vgpr_spill_count: 0
    .wavefront_size: 64
  - .args:
      - .offset:         0
        .size:           104
        .value_kind:     by_value
    .group_segment_fixed_size: 0
    .kernarg_segment_align: 8
    .kernarg_segment_size: 104
    .language:       OpenCL C
    .language_version:
      - 2
      - 0
    .max_flat_workgroup_size: 256
    .name:           _ZN7rocprim17ROCPRIM_400000_NS6detail17trampoline_kernelINS0_14default_configENS1_20scan_config_selectorIN3c107complexIfEEEEZZNS1_9scan_implILNS1_25lookback_scan_determinismE0ELb0ELb0ES3_PKS7_PS7_S7_ZZZN2at6native31launch_logcumsumexp_cuda_kernelERKNSE_10TensorBaseESI_lENKUlvE_clEvENKUlvE2_clEvEUlS7_S7_E_S7_EEDaPvRmT3_T4_T5_mT6_P12ihipStream_tbENKUlT_T0_E_clISt17integral_constantIbLb0EESZ_EEDaSU_SV_EUlSU_E_NS1_11comp_targetILNS1_3genE10ELNS1_11target_archE1201ELNS1_3gpuE5ELNS1_3repE0EEENS1_30default_config_static_selectorELNS0_4arch9wavefront6targetE1EEEvT1_
    .private_segment_fixed_size: 0
    .sgpr_count:     4
    .sgpr_spill_count: 0
    .symbol:         _ZN7rocprim17ROCPRIM_400000_NS6detail17trampoline_kernelINS0_14default_configENS1_20scan_config_selectorIN3c107complexIfEEEEZZNS1_9scan_implILNS1_25lookback_scan_determinismE0ELb0ELb0ES3_PKS7_PS7_S7_ZZZN2at6native31launch_logcumsumexp_cuda_kernelERKNSE_10TensorBaseESI_lENKUlvE_clEvENKUlvE2_clEvEUlS7_S7_E_S7_EEDaPvRmT3_T4_T5_mT6_P12ihipStream_tbENKUlT_T0_E_clISt17integral_constantIbLb0EESZ_EEDaSU_SV_EUlSU_E_NS1_11comp_targetILNS1_3genE10ELNS1_11target_archE1201ELNS1_3gpuE5ELNS1_3repE0EEENS1_30default_config_static_selectorELNS0_4arch9wavefront6targetE1EEEvT1_.kd
    .uniform_work_group_size: 1
    .uses_dynamic_stack: false
    .vgpr_count:     0
    .vgpr_spill_count: 0
    .wavefront_size: 64
  - .args:
      - .offset:         0
        .size:           104
        .value_kind:     by_value
    .group_segment_fixed_size: 0
    .kernarg_segment_align: 8
    .kernarg_segment_size: 104
    .language:       OpenCL C
    .language_version:
      - 2
      - 0
    .max_flat_workgroup_size: 256
    .name:           _ZN7rocprim17ROCPRIM_400000_NS6detail17trampoline_kernelINS0_14default_configENS1_20scan_config_selectorIN3c107complexIfEEEEZZNS1_9scan_implILNS1_25lookback_scan_determinismE0ELb0ELb0ES3_PKS7_PS7_S7_ZZZN2at6native31launch_logcumsumexp_cuda_kernelERKNSE_10TensorBaseESI_lENKUlvE_clEvENKUlvE2_clEvEUlS7_S7_E_S7_EEDaPvRmT3_T4_T5_mT6_P12ihipStream_tbENKUlT_T0_E_clISt17integral_constantIbLb0EESZ_EEDaSU_SV_EUlSU_E_NS1_11comp_targetILNS1_3genE10ELNS1_11target_archE1200ELNS1_3gpuE4ELNS1_3repE0EEENS1_30default_config_static_selectorELNS0_4arch9wavefront6targetE1EEEvT1_
    .private_segment_fixed_size: 0
    .sgpr_count:     4
    .sgpr_spill_count: 0
    .symbol:         _ZN7rocprim17ROCPRIM_400000_NS6detail17trampoline_kernelINS0_14default_configENS1_20scan_config_selectorIN3c107complexIfEEEEZZNS1_9scan_implILNS1_25lookback_scan_determinismE0ELb0ELb0ES3_PKS7_PS7_S7_ZZZN2at6native31launch_logcumsumexp_cuda_kernelERKNSE_10TensorBaseESI_lENKUlvE_clEvENKUlvE2_clEvEUlS7_S7_E_S7_EEDaPvRmT3_T4_T5_mT6_P12ihipStream_tbENKUlT_T0_E_clISt17integral_constantIbLb0EESZ_EEDaSU_SV_EUlSU_E_NS1_11comp_targetILNS1_3genE10ELNS1_11target_archE1200ELNS1_3gpuE4ELNS1_3repE0EEENS1_30default_config_static_selectorELNS0_4arch9wavefront6targetE1EEEvT1_.kd
    .uniform_work_group_size: 1
    .uses_dynamic_stack: false
    .vgpr_count:     0
    .vgpr_spill_count: 0
    .wavefront_size: 64
  - .args:
      - .offset:         0
        .size:           104
        .value_kind:     by_value
    .group_segment_fixed_size: 0
    .kernarg_segment_align: 8
    .kernarg_segment_size: 104
    .language:       OpenCL C
    .language_version:
      - 2
      - 0
    .max_flat_workgroup_size: 256
    .name:           _ZN7rocprim17ROCPRIM_400000_NS6detail17trampoline_kernelINS0_14default_configENS1_20scan_config_selectorIN3c107complexIfEEEEZZNS1_9scan_implILNS1_25lookback_scan_determinismE0ELb0ELb0ES3_PKS7_PS7_S7_ZZZN2at6native31launch_logcumsumexp_cuda_kernelERKNSE_10TensorBaseESI_lENKUlvE_clEvENKUlvE2_clEvEUlS7_S7_E_S7_EEDaPvRmT3_T4_T5_mT6_P12ihipStream_tbENKUlT_T0_E_clISt17integral_constantIbLb0EESZ_EEDaSU_SV_EUlSU_E_NS1_11comp_targetILNS1_3genE9ELNS1_11target_archE1100ELNS1_3gpuE3ELNS1_3repE0EEENS1_30default_config_static_selectorELNS0_4arch9wavefront6targetE1EEEvT1_
    .private_segment_fixed_size: 0
    .sgpr_count:     4
    .sgpr_spill_count: 0
    .symbol:         _ZN7rocprim17ROCPRIM_400000_NS6detail17trampoline_kernelINS0_14default_configENS1_20scan_config_selectorIN3c107complexIfEEEEZZNS1_9scan_implILNS1_25lookback_scan_determinismE0ELb0ELb0ES3_PKS7_PS7_S7_ZZZN2at6native31launch_logcumsumexp_cuda_kernelERKNSE_10TensorBaseESI_lENKUlvE_clEvENKUlvE2_clEvEUlS7_S7_E_S7_EEDaPvRmT3_T4_T5_mT6_P12ihipStream_tbENKUlT_T0_E_clISt17integral_constantIbLb0EESZ_EEDaSU_SV_EUlSU_E_NS1_11comp_targetILNS1_3genE9ELNS1_11target_archE1100ELNS1_3gpuE3ELNS1_3repE0EEENS1_30default_config_static_selectorELNS0_4arch9wavefront6targetE1EEEvT1_.kd
    .uniform_work_group_size: 1
    .uses_dynamic_stack: false
    .vgpr_count:     0
    .vgpr_spill_count: 0
    .wavefront_size: 64
  - .args:
      - .offset:         0
        .size:           104
        .value_kind:     by_value
    .group_segment_fixed_size: 0
    .kernarg_segment_align: 8
    .kernarg_segment_size: 104
    .language:       OpenCL C
    .language_version:
      - 2
      - 0
    .max_flat_workgroup_size: 256
    .name:           _ZN7rocprim17ROCPRIM_400000_NS6detail17trampoline_kernelINS0_14default_configENS1_20scan_config_selectorIN3c107complexIfEEEEZZNS1_9scan_implILNS1_25lookback_scan_determinismE0ELb0ELb0ES3_PKS7_PS7_S7_ZZZN2at6native31launch_logcumsumexp_cuda_kernelERKNSE_10TensorBaseESI_lENKUlvE_clEvENKUlvE2_clEvEUlS7_S7_E_S7_EEDaPvRmT3_T4_T5_mT6_P12ihipStream_tbENKUlT_T0_E_clISt17integral_constantIbLb0EESZ_EEDaSU_SV_EUlSU_E_NS1_11comp_targetILNS1_3genE8ELNS1_11target_archE1030ELNS1_3gpuE2ELNS1_3repE0EEENS1_30default_config_static_selectorELNS0_4arch9wavefront6targetE1EEEvT1_
    .private_segment_fixed_size: 0
    .sgpr_count:     4
    .sgpr_spill_count: 0
    .symbol:         _ZN7rocprim17ROCPRIM_400000_NS6detail17trampoline_kernelINS0_14default_configENS1_20scan_config_selectorIN3c107complexIfEEEEZZNS1_9scan_implILNS1_25lookback_scan_determinismE0ELb0ELb0ES3_PKS7_PS7_S7_ZZZN2at6native31launch_logcumsumexp_cuda_kernelERKNSE_10TensorBaseESI_lENKUlvE_clEvENKUlvE2_clEvEUlS7_S7_E_S7_EEDaPvRmT3_T4_T5_mT6_P12ihipStream_tbENKUlT_T0_E_clISt17integral_constantIbLb0EESZ_EEDaSU_SV_EUlSU_E_NS1_11comp_targetILNS1_3genE8ELNS1_11target_archE1030ELNS1_3gpuE2ELNS1_3repE0EEENS1_30default_config_static_selectorELNS0_4arch9wavefront6targetE1EEEvT1_.kd
    .uniform_work_group_size: 1
    .uses_dynamic_stack: false
    .vgpr_count:     0
    .vgpr_spill_count: 0
    .wavefront_size: 64
  - .args:
      - .offset:         0
        .size:           40
        .value_kind:     by_value
    .group_segment_fixed_size: 0
    .kernarg_segment_align: 8
    .kernarg_segment_size: 40
    .language:       OpenCL C
    .language_version:
      - 2
      - 0
    .max_flat_workgroup_size: 128
    .name:           _ZN7rocprim17ROCPRIM_400000_NS6detail17trampoline_kernelINS0_14default_configENS1_25transform_config_selectorIN3c107complexIfEELb1EEEZNS1_14transform_implILb1ES3_S8_PS7_SA_NS0_8identityIS7_EEEE10hipError_tT2_T3_mT4_P12ihipStream_tbEUlT_E_NS1_11comp_targetILNS1_3genE0ELNS1_11target_archE4294967295ELNS1_3gpuE0ELNS1_3repE0EEENS1_30default_config_static_selectorELNS0_4arch9wavefront6targetE1EEEvT1_
    .private_segment_fixed_size: 0
    .sgpr_count:     4
    .sgpr_spill_count: 0
    .symbol:         _ZN7rocprim17ROCPRIM_400000_NS6detail17trampoline_kernelINS0_14default_configENS1_25transform_config_selectorIN3c107complexIfEELb1EEEZNS1_14transform_implILb1ES3_S8_PS7_SA_NS0_8identityIS7_EEEE10hipError_tT2_T3_mT4_P12ihipStream_tbEUlT_E_NS1_11comp_targetILNS1_3genE0ELNS1_11target_archE4294967295ELNS1_3gpuE0ELNS1_3repE0EEENS1_30default_config_static_selectorELNS0_4arch9wavefront6targetE1EEEvT1_.kd
    .uniform_work_group_size: 1
    .uses_dynamic_stack: false
    .vgpr_count:     0
    .vgpr_spill_count: 0
    .wavefront_size: 64
  - .args:
      - .offset:         0
        .size:           40
        .value_kind:     by_value
    .group_segment_fixed_size: 0
    .kernarg_segment_align: 8
    .kernarg_segment_size: 40
    .language:       OpenCL C
    .language_version:
      - 2
      - 0
    .max_flat_workgroup_size: 1024
    .name:           _ZN7rocprim17ROCPRIM_400000_NS6detail17trampoline_kernelINS0_14default_configENS1_25transform_config_selectorIN3c107complexIfEELb1EEEZNS1_14transform_implILb1ES3_S8_PS7_SA_NS0_8identityIS7_EEEE10hipError_tT2_T3_mT4_P12ihipStream_tbEUlT_E_NS1_11comp_targetILNS1_3genE10ELNS1_11target_archE1201ELNS1_3gpuE5ELNS1_3repE0EEENS1_30default_config_static_selectorELNS0_4arch9wavefront6targetE1EEEvT1_
    .private_segment_fixed_size: 0
    .sgpr_count:     4
    .sgpr_spill_count: 0
    .symbol:         _ZN7rocprim17ROCPRIM_400000_NS6detail17trampoline_kernelINS0_14default_configENS1_25transform_config_selectorIN3c107complexIfEELb1EEEZNS1_14transform_implILb1ES3_S8_PS7_SA_NS0_8identityIS7_EEEE10hipError_tT2_T3_mT4_P12ihipStream_tbEUlT_E_NS1_11comp_targetILNS1_3genE10ELNS1_11target_archE1201ELNS1_3gpuE5ELNS1_3repE0EEENS1_30default_config_static_selectorELNS0_4arch9wavefront6targetE1EEEvT1_.kd
    .uniform_work_group_size: 1
    .uses_dynamic_stack: false
    .vgpr_count:     0
    .vgpr_spill_count: 0
    .wavefront_size: 64
  - .args:
      - .offset:         0
        .size:           40
        .value_kind:     by_value
    .group_segment_fixed_size: 0
    .kernarg_segment_align: 8
    .kernarg_segment_size: 40
    .language:       OpenCL C
    .language_version:
      - 2
      - 0
    .max_flat_workgroup_size: 512
    .name:           _ZN7rocprim17ROCPRIM_400000_NS6detail17trampoline_kernelINS0_14default_configENS1_25transform_config_selectorIN3c107complexIfEELb1EEEZNS1_14transform_implILb1ES3_S8_PS7_SA_NS0_8identityIS7_EEEE10hipError_tT2_T3_mT4_P12ihipStream_tbEUlT_E_NS1_11comp_targetILNS1_3genE5ELNS1_11target_archE942ELNS1_3gpuE9ELNS1_3repE0EEENS1_30default_config_static_selectorELNS0_4arch9wavefront6targetE1EEEvT1_
    .private_segment_fixed_size: 0
    .sgpr_count:     4
    .sgpr_spill_count: 0
    .symbol:         _ZN7rocprim17ROCPRIM_400000_NS6detail17trampoline_kernelINS0_14default_configENS1_25transform_config_selectorIN3c107complexIfEELb1EEEZNS1_14transform_implILb1ES3_S8_PS7_SA_NS0_8identityIS7_EEEE10hipError_tT2_T3_mT4_P12ihipStream_tbEUlT_E_NS1_11comp_targetILNS1_3genE5ELNS1_11target_archE942ELNS1_3gpuE9ELNS1_3repE0EEENS1_30default_config_static_selectorELNS0_4arch9wavefront6targetE1EEEvT1_.kd
    .uniform_work_group_size: 1
    .uses_dynamic_stack: false
    .vgpr_count:     0
    .vgpr_spill_count: 0
    .wavefront_size: 64
  - .args:
      - .offset:         0
        .size:           40
        .value_kind:     by_value
    .group_segment_fixed_size: 0
    .kernarg_segment_align: 8
    .kernarg_segment_size: 40
    .language:       OpenCL C
    .language_version:
      - 2
      - 0
    .max_flat_workgroup_size: 1024
    .name:           _ZN7rocprim17ROCPRIM_400000_NS6detail17trampoline_kernelINS0_14default_configENS1_25transform_config_selectorIN3c107complexIfEELb1EEEZNS1_14transform_implILb1ES3_S8_PS7_SA_NS0_8identityIS7_EEEE10hipError_tT2_T3_mT4_P12ihipStream_tbEUlT_E_NS1_11comp_targetILNS1_3genE4ELNS1_11target_archE910ELNS1_3gpuE8ELNS1_3repE0EEENS1_30default_config_static_selectorELNS0_4arch9wavefront6targetE1EEEvT1_
    .private_segment_fixed_size: 0
    .sgpr_count:     4
    .sgpr_spill_count: 0
    .symbol:         _ZN7rocprim17ROCPRIM_400000_NS6detail17trampoline_kernelINS0_14default_configENS1_25transform_config_selectorIN3c107complexIfEELb1EEEZNS1_14transform_implILb1ES3_S8_PS7_SA_NS0_8identityIS7_EEEE10hipError_tT2_T3_mT4_P12ihipStream_tbEUlT_E_NS1_11comp_targetILNS1_3genE4ELNS1_11target_archE910ELNS1_3gpuE8ELNS1_3repE0EEENS1_30default_config_static_selectorELNS0_4arch9wavefront6targetE1EEEvT1_.kd
    .uniform_work_group_size: 1
    .uses_dynamic_stack: false
    .vgpr_count:     0
    .vgpr_spill_count: 0
    .wavefront_size: 64
  - .args:
      - .offset:         0
        .size:           40
        .value_kind:     by_value
    .group_segment_fixed_size: 0
    .kernarg_segment_align: 8
    .kernarg_segment_size: 40
    .language:       OpenCL C
    .language_version:
      - 2
      - 0
    .max_flat_workgroup_size: 128
    .name:           _ZN7rocprim17ROCPRIM_400000_NS6detail17trampoline_kernelINS0_14default_configENS1_25transform_config_selectorIN3c107complexIfEELb1EEEZNS1_14transform_implILb1ES3_S8_PS7_SA_NS0_8identityIS7_EEEE10hipError_tT2_T3_mT4_P12ihipStream_tbEUlT_E_NS1_11comp_targetILNS1_3genE3ELNS1_11target_archE908ELNS1_3gpuE7ELNS1_3repE0EEENS1_30default_config_static_selectorELNS0_4arch9wavefront6targetE1EEEvT1_
    .private_segment_fixed_size: 0
    .sgpr_count:     4
    .sgpr_spill_count: 0
    .symbol:         _ZN7rocprim17ROCPRIM_400000_NS6detail17trampoline_kernelINS0_14default_configENS1_25transform_config_selectorIN3c107complexIfEELb1EEEZNS1_14transform_implILb1ES3_S8_PS7_SA_NS0_8identityIS7_EEEE10hipError_tT2_T3_mT4_P12ihipStream_tbEUlT_E_NS1_11comp_targetILNS1_3genE3ELNS1_11target_archE908ELNS1_3gpuE7ELNS1_3repE0EEENS1_30default_config_static_selectorELNS0_4arch9wavefront6targetE1EEEvT1_.kd
    .uniform_work_group_size: 1
    .uses_dynamic_stack: false
    .vgpr_count:     0
    .vgpr_spill_count: 0
    .wavefront_size: 64
  - .args:
      - .offset:         0
        .size:           40
        .value_kind:     by_value
      - .offset:         40
        .size:           4
        .value_kind:     hidden_block_count_x
      - .offset:         44
        .size:           4
        .value_kind:     hidden_block_count_y
      - .offset:         48
        .size:           4
        .value_kind:     hidden_block_count_z
      - .offset:         52
        .size:           2
        .value_kind:     hidden_group_size_x
      - .offset:         54
        .size:           2
        .value_kind:     hidden_group_size_y
      - .offset:         56
        .size:           2
        .value_kind:     hidden_group_size_z
      - .offset:         58
        .size:           2
        .value_kind:     hidden_remainder_x
      - .offset:         60
        .size:           2
        .value_kind:     hidden_remainder_y
      - .offset:         62
        .size:           2
        .value_kind:     hidden_remainder_z
      - .offset:         80
        .size:           8
        .value_kind:     hidden_global_offset_x
      - .offset:         88
        .size:           8
        .value_kind:     hidden_global_offset_y
      - .offset:         96
        .size:           8
        .value_kind:     hidden_global_offset_z
      - .offset:         104
        .size:           2
        .value_kind:     hidden_grid_dims
    .group_segment_fixed_size: 0
    .kernarg_segment_align: 8
    .kernarg_segment_size: 296
    .language:       OpenCL C
    .language_version:
      - 2
      - 0
    .max_flat_workgroup_size: 512
    .name:           _ZN7rocprim17ROCPRIM_400000_NS6detail17trampoline_kernelINS0_14default_configENS1_25transform_config_selectorIN3c107complexIfEELb1EEEZNS1_14transform_implILb1ES3_S8_PS7_SA_NS0_8identityIS7_EEEE10hipError_tT2_T3_mT4_P12ihipStream_tbEUlT_E_NS1_11comp_targetILNS1_3genE2ELNS1_11target_archE906ELNS1_3gpuE6ELNS1_3repE0EEENS1_30default_config_static_selectorELNS0_4arch9wavefront6targetE1EEEvT1_
    .private_segment_fixed_size: 0
    .sgpr_count:     16
    .sgpr_spill_count: 0
    .symbol:         _ZN7rocprim17ROCPRIM_400000_NS6detail17trampoline_kernelINS0_14default_configENS1_25transform_config_selectorIN3c107complexIfEELb1EEEZNS1_14transform_implILb1ES3_S8_PS7_SA_NS0_8identityIS7_EEEE10hipError_tT2_T3_mT4_P12ihipStream_tbEUlT_E_NS1_11comp_targetILNS1_3genE2ELNS1_11target_archE906ELNS1_3gpuE6ELNS1_3repE0EEENS1_30default_config_static_selectorELNS0_4arch9wavefront6targetE1EEEvT1_.kd
    .uniform_work_group_size: 1
    .uses_dynamic_stack: false
    .vgpr_count:     3
    .vgpr_spill_count: 0
    .wavefront_size: 64
  - .args:
      - .offset:         0
        .size:           40
        .value_kind:     by_value
    .group_segment_fixed_size: 0
    .kernarg_segment_align: 8
    .kernarg_segment_size: 40
    .language:       OpenCL C
    .language_version:
      - 2
      - 0
    .max_flat_workgroup_size: 1024
    .name:           _ZN7rocprim17ROCPRIM_400000_NS6detail17trampoline_kernelINS0_14default_configENS1_25transform_config_selectorIN3c107complexIfEELb1EEEZNS1_14transform_implILb1ES3_S8_PS7_SA_NS0_8identityIS7_EEEE10hipError_tT2_T3_mT4_P12ihipStream_tbEUlT_E_NS1_11comp_targetILNS1_3genE9ELNS1_11target_archE1100ELNS1_3gpuE3ELNS1_3repE0EEENS1_30default_config_static_selectorELNS0_4arch9wavefront6targetE1EEEvT1_
    .private_segment_fixed_size: 0
    .sgpr_count:     4
    .sgpr_spill_count: 0
    .symbol:         _ZN7rocprim17ROCPRIM_400000_NS6detail17trampoline_kernelINS0_14default_configENS1_25transform_config_selectorIN3c107complexIfEELb1EEEZNS1_14transform_implILb1ES3_S8_PS7_SA_NS0_8identityIS7_EEEE10hipError_tT2_T3_mT4_P12ihipStream_tbEUlT_E_NS1_11comp_targetILNS1_3genE9ELNS1_11target_archE1100ELNS1_3gpuE3ELNS1_3repE0EEENS1_30default_config_static_selectorELNS0_4arch9wavefront6targetE1EEEvT1_.kd
    .uniform_work_group_size: 1
    .uses_dynamic_stack: false
    .vgpr_count:     0
    .vgpr_spill_count: 0
    .wavefront_size: 64
  - .args:
      - .offset:         0
        .size:           40
        .value_kind:     by_value
    .group_segment_fixed_size: 0
    .kernarg_segment_align: 8
    .kernarg_segment_size: 40
    .language:       OpenCL C
    .language_version:
      - 2
      - 0
    .max_flat_workgroup_size: 1024
    .name:           _ZN7rocprim17ROCPRIM_400000_NS6detail17trampoline_kernelINS0_14default_configENS1_25transform_config_selectorIN3c107complexIfEELb1EEEZNS1_14transform_implILb1ES3_S8_PS7_SA_NS0_8identityIS7_EEEE10hipError_tT2_T3_mT4_P12ihipStream_tbEUlT_E_NS1_11comp_targetILNS1_3genE8ELNS1_11target_archE1030ELNS1_3gpuE2ELNS1_3repE0EEENS1_30default_config_static_selectorELNS0_4arch9wavefront6targetE1EEEvT1_
    .private_segment_fixed_size: 0
    .sgpr_count:     4
    .sgpr_spill_count: 0
    .symbol:         _ZN7rocprim17ROCPRIM_400000_NS6detail17trampoline_kernelINS0_14default_configENS1_25transform_config_selectorIN3c107complexIfEELb1EEEZNS1_14transform_implILb1ES3_S8_PS7_SA_NS0_8identityIS7_EEEE10hipError_tT2_T3_mT4_P12ihipStream_tbEUlT_E_NS1_11comp_targetILNS1_3genE8ELNS1_11target_archE1030ELNS1_3gpuE2ELNS1_3repE0EEENS1_30default_config_static_selectorELNS0_4arch9wavefront6targetE1EEEvT1_.kd
    .uniform_work_group_size: 1
    .uses_dynamic_stack: false
    .vgpr_count:     0
    .vgpr_spill_count: 0
    .wavefront_size: 64
  - .args:
      - .offset:         0
        .size:           40
        .value_kind:     by_value
    .group_segment_fixed_size: 0
    .kernarg_segment_align: 8
    .kernarg_segment_size: 40
    .language:       OpenCL C
    .language_version:
      - 2
      - 0
    .max_flat_workgroup_size: 256
    .name:           _ZN7rocprim17ROCPRIM_400000_NS6detail17trampoline_kernelINS0_14default_configENS1_20scan_config_selectorIN3c107complexIfEEEEZZNS1_9scan_implILNS1_25lookback_scan_determinismE0ELb0ELb0ES3_PKS7_PS7_S7_ZZZN2at6native31launch_logcumsumexp_cuda_kernelERKNSE_10TensorBaseESI_lENKUlvE_clEvENKUlvE2_clEvEUlS7_S7_E_S7_EEDaPvRmT3_T4_T5_mT6_P12ihipStream_tbENKUlT_T0_E_clISt17integral_constantIbLb0EESZ_EEDaSU_SV_EUlSU_E0_NS1_11comp_targetILNS1_3genE0ELNS1_11target_archE4294967295ELNS1_3gpuE0ELNS1_3repE0EEENS1_30default_config_static_selectorELNS0_4arch9wavefront6targetE1EEEvT1_
    .private_segment_fixed_size: 0
    .sgpr_count:     4
    .sgpr_spill_count: 0
    .symbol:         _ZN7rocprim17ROCPRIM_400000_NS6detail17trampoline_kernelINS0_14default_configENS1_20scan_config_selectorIN3c107complexIfEEEEZZNS1_9scan_implILNS1_25lookback_scan_determinismE0ELb0ELb0ES3_PKS7_PS7_S7_ZZZN2at6native31launch_logcumsumexp_cuda_kernelERKNSE_10TensorBaseESI_lENKUlvE_clEvENKUlvE2_clEvEUlS7_S7_E_S7_EEDaPvRmT3_T4_T5_mT6_P12ihipStream_tbENKUlT_T0_E_clISt17integral_constantIbLb0EESZ_EEDaSU_SV_EUlSU_E0_NS1_11comp_targetILNS1_3genE0ELNS1_11target_archE4294967295ELNS1_3gpuE0ELNS1_3repE0EEENS1_30default_config_static_selectorELNS0_4arch9wavefront6targetE1EEEvT1_.kd
    .uniform_work_group_size: 1
    .uses_dynamic_stack: false
    .vgpr_count:     0
    .vgpr_spill_count: 0
    .wavefront_size: 64
  - .args:
      - .offset:         0
        .size:           40
        .value_kind:     by_value
    .group_segment_fixed_size: 0
    .kernarg_segment_align: 8
    .kernarg_segment_size: 40
    .language:       OpenCL C
    .language_version:
      - 2
      - 0
    .max_flat_workgroup_size: 256
    .name:           _ZN7rocprim17ROCPRIM_400000_NS6detail17trampoline_kernelINS0_14default_configENS1_20scan_config_selectorIN3c107complexIfEEEEZZNS1_9scan_implILNS1_25lookback_scan_determinismE0ELb0ELb0ES3_PKS7_PS7_S7_ZZZN2at6native31launch_logcumsumexp_cuda_kernelERKNSE_10TensorBaseESI_lENKUlvE_clEvENKUlvE2_clEvEUlS7_S7_E_S7_EEDaPvRmT3_T4_T5_mT6_P12ihipStream_tbENKUlT_T0_E_clISt17integral_constantIbLb0EESZ_EEDaSU_SV_EUlSU_E0_NS1_11comp_targetILNS1_3genE5ELNS1_11target_archE942ELNS1_3gpuE9ELNS1_3repE0EEENS1_30default_config_static_selectorELNS0_4arch9wavefront6targetE1EEEvT1_
    .private_segment_fixed_size: 0
    .sgpr_count:     4
    .sgpr_spill_count: 0
    .symbol:         _ZN7rocprim17ROCPRIM_400000_NS6detail17trampoline_kernelINS0_14default_configENS1_20scan_config_selectorIN3c107complexIfEEEEZZNS1_9scan_implILNS1_25lookback_scan_determinismE0ELb0ELb0ES3_PKS7_PS7_S7_ZZZN2at6native31launch_logcumsumexp_cuda_kernelERKNSE_10TensorBaseESI_lENKUlvE_clEvENKUlvE2_clEvEUlS7_S7_E_S7_EEDaPvRmT3_T4_T5_mT6_P12ihipStream_tbENKUlT_T0_E_clISt17integral_constantIbLb0EESZ_EEDaSU_SV_EUlSU_E0_NS1_11comp_targetILNS1_3genE5ELNS1_11target_archE942ELNS1_3gpuE9ELNS1_3repE0EEENS1_30default_config_static_selectorELNS0_4arch9wavefront6targetE1EEEvT1_.kd
    .uniform_work_group_size: 1
    .uses_dynamic_stack: false
    .vgpr_count:     0
    .vgpr_spill_count: 0
    .wavefront_size: 64
  - .args:
      - .offset:         0
        .size:           40
        .value_kind:     by_value
    .group_segment_fixed_size: 0
    .kernarg_segment_align: 8
    .kernarg_segment_size: 40
    .language:       OpenCL C
    .language_version:
      - 2
      - 0
    .max_flat_workgroup_size: 128
    .name:           _ZN7rocprim17ROCPRIM_400000_NS6detail17trampoline_kernelINS0_14default_configENS1_20scan_config_selectorIN3c107complexIfEEEEZZNS1_9scan_implILNS1_25lookback_scan_determinismE0ELb0ELb0ES3_PKS7_PS7_S7_ZZZN2at6native31launch_logcumsumexp_cuda_kernelERKNSE_10TensorBaseESI_lENKUlvE_clEvENKUlvE2_clEvEUlS7_S7_E_S7_EEDaPvRmT3_T4_T5_mT6_P12ihipStream_tbENKUlT_T0_E_clISt17integral_constantIbLb0EESZ_EEDaSU_SV_EUlSU_E0_NS1_11comp_targetILNS1_3genE4ELNS1_11target_archE910ELNS1_3gpuE8ELNS1_3repE0EEENS1_30default_config_static_selectorELNS0_4arch9wavefront6targetE1EEEvT1_
    .private_segment_fixed_size: 0
    .sgpr_count:     4
    .sgpr_spill_count: 0
    .symbol:         _ZN7rocprim17ROCPRIM_400000_NS6detail17trampoline_kernelINS0_14default_configENS1_20scan_config_selectorIN3c107complexIfEEEEZZNS1_9scan_implILNS1_25lookback_scan_determinismE0ELb0ELb0ES3_PKS7_PS7_S7_ZZZN2at6native31launch_logcumsumexp_cuda_kernelERKNSE_10TensorBaseESI_lENKUlvE_clEvENKUlvE2_clEvEUlS7_S7_E_S7_EEDaPvRmT3_T4_T5_mT6_P12ihipStream_tbENKUlT_T0_E_clISt17integral_constantIbLb0EESZ_EEDaSU_SV_EUlSU_E0_NS1_11comp_targetILNS1_3genE4ELNS1_11target_archE910ELNS1_3gpuE8ELNS1_3repE0EEENS1_30default_config_static_selectorELNS0_4arch9wavefront6targetE1EEEvT1_.kd
    .uniform_work_group_size: 1
    .uses_dynamic_stack: false
    .vgpr_count:     0
    .vgpr_spill_count: 0
    .wavefront_size: 64
  - .args:
      - .offset:         0
        .size:           40
        .value_kind:     by_value
    .group_segment_fixed_size: 0
    .kernarg_segment_align: 8
    .kernarg_segment_size: 40
    .language:       OpenCL C
    .language_version:
      - 2
      - 0
    .max_flat_workgroup_size: 256
    .name:           _ZN7rocprim17ROCPRIM_400000_NS6detail17trampoline_kernelINS0_14default_configENS1_20scan_config_selectorIN3c107complexIfEEEEZZNS1_9scan_implILNS1_25lookback_scan_determinismE0ELb0ELb0ES3_PKS7_PS7_S7_ZZZN2at6native31launch_logcumsumexp_cuda_kernelERKNSE_10TensorBaseESI_lENKUlvE_clEvENKUlvE2_clEvEUlS7_S7_E_S7_EEDaPvRmT3_T4_T5_mT6_P12ihipStream_tbENKUlT_T0_E_clISt17integral_constantIbLb0EESZ_EEDaSU_SV_EUlSU_E0_NS1_11comp_targetILNS1_3genE3ELNS1_11target_archE908ELNS1_3gpuE7ELNS1_3repE0EEENS1_30default_config_static_selectorELNS0_4arch9wavefront6targetE1EEEvT1_
    .private_segment_fixed_size: 0
    .sgpr_count:     4
    .sgpr_spill_count: 0
    .symbol:         _ZN7rocprim17ROCPRIM_400000_NS6detail17trampoline_kernelINS0_14default_configENS1_20scan_config_selectorIN3c107complexIfEEEEZZNS1_9scan_implILNS1_25lookback_scan_determinismE0ELb0ELb0ES3_PKS7_PS7_S7_ZZZN2at6native31launch_logcumsumexp_cuda_kernelERKNSE_10TensorBaseESI_lENKUlvE_clEvENKUlvE2_clEvEUlS7_S7_E_S7_EEDaPvRmT3_T4_T5_mT6_P12ihipStream_tbENKUlT_T0_E_clISt17integral_constantIbLb0EESZ_EEDaSU_SV_EUlSU_E0_NS1_11comp_targetILNS1_3genE3ELNS1_11target_archE908ELNS1_3gpuE7ELNS1_3repE0EEENS1_30default_config_static_selectorELNS0_4arch9wavefront6targetE1EEEvT1_.kd
    .uniform_work_group_size: 1
    .uses_dynamic_stack: false
    .vgpr_count:     0
    .vgpr_spill_count: 0
    .wavefront_size: 64
  - .args:
      - .offset:         0
        .size:           40
        .value_kind:     by_value
    .group_segment_fixed_size: 7168
    .kernarg_segment_align: 8
    .kernarg_segment_size: 40
    .language:       OpenCL C
    .language_version:
      - 2
      - 0
    .max_flat_workgroup_size: 64
    .name:           _ZN7rocprim17ROCPRIM_400000_NS6detail17trampoline_kernelINS0_14default_configENS1_20scan_config_selectorIN3c107complexIfEEEEZZNS1_9scan_implILNS1_25lookback_scan_determinismE0ELb0ELb0ES3_PKS7_PS7_S7_ZZZN2at6native31launch_logcumsumexp_cuda_kernelERKNSE_10TensorBaseESI_lENKUlvE_clEvENKUlvE2_clEvEUlS7_S7_E_S7_EEDaPvRmT3_T4_T5_mT6_P12ihipStream_tbENKUlT_T0_E_clISt17integral_constantIbLb0EESZ_EEDaSU_SV_EUlSU_E0_NS1_11comp_targetILNS1_3genE2ELNS1_11target_archE906ELNS1_3gpuE6ELNS1_3repE0EEENS1_30default_config_static_selectorELNS0_4arch9wavefront6targetE1EEEvT1_
    .private_segment_fixed_size: 0
    .sgpr_count:     62
    .sgpr_spill_count: 0
    .symbol:         _ZN7rocprim17ROCPRIM_400000_NS6detail17trampoline_kernelINS0_14default_configENS1_20scan_config_selectorIN3c107complexIfEEEEZZNS1_9scan_implILNS1_25lookback_scan_determinismE0ELb0ELb0ES3_PKS7_PS7_S7_ZZZN2at6native31launch_logcumsumexp_cuda_kernelERKNSE_10TensorBaseESI_lENKUlvE_clEvENKUlvE2_clEvEUlS7_S7_E_S7_EEDaPvRmT3_T4_T5_mT6_P12ihipStream_tbENKUlT_T0_E_clISt17integral_constantIbLb0EESZ_EEDaSU_SV_EUlSU_E0_NS1_11comp_targetILNS1_3genE2ELNS1_11target_archE906ELNS1_3gpuE6ELNS1_3repE0EEENS1_30default_config_static_selectorELNS0_4arch9wavefront6targetE1EEEvT1_.kd
    .uniform_work_group_size: 1
    .uses_dynamic_stack: false
    .vgpr_count:     80
    .vgpr_spill_count: 0
    .wavefront_size: 64
  - .args:
      - .offset:         0
        .size:           40
        .value_kind:     by_value
    .group_segment_fixed_size: 0
    .kernarg_segment_align: 8
    .kernarg_segment_size: 40
    .language:       OpenCL C
    .language_version:
      - 2
      - 0
    .max_flat_workgroup_size: 256
    .name:           _ZN7rocprim17ROCPRIM_400000_NS6detail17trampoline_kernelINS0_14default_configENS1_20scan_config_selectorIN3c107complexIfEEEEZZNS1_9scan_implILNS1_25lookback_scan_determinismE0ELb0ELb0ES3_PKS7_PS7_S7_ZZZN2at6native31launch_logcumsumexp_cuda_kernelERKNSE_10TensorBaseESI_lENKUlvE_clEvENKUlvE2_clEvEUlS7_S7_E_S7_EEDaPvRmT3_T4_T5_mT6_P12ihipStream_tbENKUlT_T0_E_clISt17integral_constantIbLb0EESZ_EEDaSU_SV_EUlSU_E0_NS1_11comp_targetILNS1_3genE10ELNS1_11target_archE1201ELNS1_3gpuE5ELNS1_3repE0EEENS1_30default_config_static_selectorELNS0_4arch9wavefront6targetE1EEEvT1_
    .private_segment_fixed_size: 0
    .sgpr_count:     4
    .sgpr_spill_count: 0
    .symbol:         _ZN7rocprim17ROCPRIM_400000_NS6detail17trampoline_kernelINS0_14default_configENS1_20scan_config_selectorIN3c107complexIfEEEEZZNS1_9scan_implILNS1_25lookback_scan_determinismE0ELb0ELb0ES3_PKS7_PS7_S7_ZZZN2at6native31launch_logcumsumexp_cuda_kernelERKNSE_10TensorBaseESI_lENKUlvE_clEvENKUlvE2_clEvEUlS7_S7_E_S7_EEDaPvRmT3_T4_T5_mT6_P12ihipStream_tbENKUlT_T0_E_clISt17integral_constantIbLb0EESZ_EEDaSU_SV_EUlSU_E0_NS1_11comp_targetILNS1_3genE10ELNS1_11target_archE1201ELNS1_3gpuE5ELNS1_3repE0EEENS1_30default_config_static_selectorELNS0_4arch9wavefront6targetE1EEEvT1_.kd
    .uniform_work_group_size: 1
    .uses_dynamic_stack: false
    .vgpr_count:     0
    .vgpr_spill_count: 0
    .wavefront_size: 64
  - .args:
      - .offset:         0
        .size:           40
        .value_kind:     by_value
    .group_segment_fixed_size: 0
    .kernarg_segment_align: 8
    .kernarg_segment_size: 40
    .language:       OpenCL C
    .language_version:
      - 2
      - 0
    .max_flat_workgroup_size: 256
    .name:           _ZN7rocprim17ROCPRIM_400000_NS6detail17trampoline_kernelINS0_14default_configENS1_20scan_config_selectorIN3c107complexIfEEEEZZNS1_9scan_implILNS1_25lookback_scan_determinismE0ELb0ELb0ES3_PKS7_PS7_S7_ZZZN2at6native31launch_logcumsumexp_cuda_kernelERKNSE_10TensorBaseESI_lENKUlvE_clEvENKUlvE2_clEvEUlS7_S7_E_S7_EEDaPvRmT3_T4_T5_mT6_P12ihipStream_tbENKUlT_T0_E_clISt17integral_constantIbLb0EESZ_EEDaSU_SV_EUlSU_E0_NS1_11comp_targetILNS1_3genE10ELNS1_11target_archE1200ELNS1_3gpuE4ELNS1_3repE0EEENS1_30default_config_static_selectorELNS0_4arch9wavefront6targetE1EEEvT1_
    .private_segment_fixed_size: 0
    .sgpr_count:     4
    .sgpr_spill_count: 0
    .symbol:         _ZN7rocprim17ROCPRIM_400000_NS6detail17trampoline_kernelINS0_14default_configENS1_20scan_config_selectorIN3c107complexIfEEEEZZNS1_9scan_implILNS1_25lookback_scan_determinismE0ELb0ELb0ES3_PKS7_PS7_S7_ZZZN2at6native31launch_logcumsumexp_cuda_kernelERKNSE_10TensorBaseESI_lENKUlvE_clEvENKUlvE2_clEvEUlS7_S7_E_S7_EEDaPvRmT3_T4_T5_mT6_P12ihipStream_tbENKUlT_T0_E_clISt17integral_constantIbLb0EESZ_EEDaSU_SV_EUlSU_E0_NS1_11comp_targetILNS1_3genE10ELNS1_11target_archE1200ELNS1_3gpuE4ELNS1_3repE0EEENS1_30default_config_static_selectorELNS0_4arch9wavefront6targetE1EEEvT1_.kd
    .uniform_work_group_size: 1
    .uses_dynamic_stack: false
    .vgpr_count:     0
    .vgpr_spill_count: 0
    .wavefront_size: 64
  - .args:
      - .offset:         0
        .size:           40
        .value_kind:     by_value
    .group_segment_fixed_size: 0
    .kernarg_segment_align: 8
    .kernarg_segment_size: 40
    .language:       OpenCL C
    .language_version:
      - 2
      - 0
    .max_flat_workgroup_size: 256
    .name:           _ZN7rocprim17ROCPRIM_400000_NS6detail17trampoline_kernelINS0_14default_configENS1_20scan_config_selectorIN3c107complexIfEEEEZZNS1_9scan_implILNS1_25lookback_scan_determinismE0ELb0ELb0ES3_PKS7_PS7_S7_ZZZN2at6native31launch_logcumsumexp_cuda_kernelERKNSE_10TensorBaseESI_lENKUlvE_clEvENKUlvE2_clEvEUlS7_S7_E_S7_EEDaPvRmT3_T4_T5_mT6_P12ihipStream_tbENKUlT_T0_E_clISt17integral_constantIbLb0EESZ_EEDaSU_SV_EUlSU_E0_NS1_11comp_targetILNS1_3genE9ELNS1_11target_archE1100ELNS1_3gpuE3ELNS1_3repE0EEENS1_30default_config_static_selectorELNS0_4arch9wavefront6targetE1EEEvT1_
    .private_segment_fixed_size: 0
    .sgpr_count:     4
    .sgpr_spill_count: 0
    .symbol:         _ZN7rocprim17ROCPRIM_400000_NS6detail17trampoline_kernelINS0_14default_configENS1_20scan_config_selectorIN3c107complexIfEEEEZZNS1_9scan_implILNS1_25lookback_scan_determinismE0ELb0ELb0ES3_PKS7_PS7_S7_ZZZN2at6native31launch_logcumsumexp_cuda_kernelERKNSE_10TensorBaseESI_lENKUlvE_clEvENKUlvE2_clEvEUlS7_S7_E_S7_EEDaPvRmT3_T4_T5_mT6_P12ihipStream_tbENKUlT_T0_E_clISt17integral_constantIbLb0EESZ_EEDaSU_SV_EUlSU_E0_NS1_11comp_targetILNS1_3genE9ELNS1_11target_archE1100ELNS1_3gpuE3ELNS1_3repE0EEENS1_30default_config_static_selectorELNS0_4arch9wavefront6targetE1EEEvT1_.kd
    .uniform_work_group_size: 1
    .uses_dynamic_stack: false
    .vgpr_count:     0
    .vgpr_spill_count: 0
    .wavefront_size: 64
  - .args:
      - .offset:         0
        .size:           40
        .value_kind:     by_value
    .group_segment_fixed_size: 0
    .kernarg_segment_align: 8
    .kernarg_segment_size: 40
    .language:       OpenCL C
    .language_version:
      - 2
      - 0
    .max_flat_workgroup_size: 256
    .name:           _ZN7rocprim17ROCPRIM_400000_NS6detail17trampoline_kernelINS0_14default_configENS1_20scan_config_selectorIN3c107complexIfEEEEZZNS1_9scan_implILNS1_25lookback_scan_determinismE0ELb0ELb0ES3_PKS7_PS7_S7_ZZZN2at6native31launch_logcumsumexp_cuda_kernelERKNSE_10TensorBaseESI_lENKUlvE_clEvENKUlvE2_clEvEUlS7_S7_E_S7_EEDaPvRmT3_T4_T5_mT6_P12ihipStream_tbENKUlT_T0_E_clISt17integral_constantIbLb0EESZ_EEDaSU_SV_EUlSU_E0_NS1_11comp_targetILNS1_3genE8ELNS1_11target_archE1030ELNS1_3gpuE2ELNS1_3repE0EEENS1_30default_config_static_selectorELNS0_4arch9wavefront6targetE1EEEvT1_
    .private_segment_fixed_size: 0
    .sgpr_count:     4
    .sgpr_spill_count: 0
    .symbol:         _ZN7rocprim17ROCPRIM_400000_NS6detail17trampoline_kernelINS0_14default_configENS1_20scan_config_selectorIN3c107complexIfEEEEZZNS1_9scan_implILNS1_25lookback_scan_determinismE0ELb0ELb0ES3_PKS7_PS7_S7_ZZZN2at6native31launch_logcumsumexp_cuda_kernelERKNSE_10TensorBaseESI_lENKUlvE_clEvENKUlvE2_clEvEUlS7_S7_E_S7_EEDaPvRmT3_T4_T5_mT6_P12ihipStream_tbENKUlT_T0_E_clISt17integral_constantIbLb0EESZ_EEDaSU_SV_EUlSU_E0_NS1_11comp_targetILNS1_3genE8ELNS1_11target_archE1030ELNS1_3gpuE2ELNS1_3repE0EEENS1_30default_config_static_selectorELNS0_4arch9wavefront6targetE1EEEvT1_.kd
    .uniform_work_group_size: 1
    .uses_dynamic_stack: false
    .vgpr_count:     0
    .vgpr_spill_count: 0
    .wavefront_size: 64
  - .args:
      - .address_space:  global
        .offset:         0
        .size:           8
        .value_kind:     global_buffer
      - .offset:         8
        .size:           4
        .value_kind:     by_value
      - .address_space:  global
        .offset:         16
        .size:           8
        .value_kind:     global_buffer
      - .offset:         24
        .size:           4
        .value_kind:     by_value
      - .address_space:  global
        .offset:         32
        .size:           8
        .value_kind:     global_buffer
      - .offset:         40
        .size:           4
        .value_kind:     hidden_block_count_x
      - .offset:         44
        .size:           4
        .value_kind:     hidden_block_count_y
      - .offset:         48
        .size:           4
        .value_kind:     hidden_block_count_z
      - .offset:         52
        .size:           2
        .value_kind:     hidden_group_size_x
      - .offset:         54
        .size:           2
        .value_kind:     hidden_group_size_y
      - .offset:         56
        .size:           2
        .value_kind:     hidden_group_size_z
      - .offset:         58
        .size:           2
        .value_kind:     hidden_remainder_x
      - .offset:         60
        .size:           2
        .value_kind:     hidden_remainder_y
      - .offset:         62
        .size:           2
        .value_kind:     hidden_remainder_z
      - .offset:         80
        .size:           8
        .value_kind:     hidden_global_offset_x
      - .offset:         88
        .size:           8
        .value_kind:     hidden_global_offset_y
      - .offset:         96
        .size:           8
        .value_kind:     hidden_global_offset_z
      - .offset:         104
        .size:           2
        .value_kind:     hidden_grid_dims
    .group_segment_fixed_size: 0
    .kernarg_segment_align: 8
    .kernarg_segment_size: 296
    .language:       OpenCL C
    .language_version:
      - 2
      - 0
    .max_flat_workgroup_size: 256
    .name:           _ZN7rocprim17ROCPRIM_400000_NS6detail31init_lookback_scan_state_kernelINS1_19lookback_scan_stateIN3c107complexIfEELb1ELb1EEENS1_16block_id_wrapperIjLb1EEEEEvT_jT0_jPNSA_10value_typeE
    .private_segment_fixed_size: 0
    .sgpr_count:     20
    .sgpr_spill_count: 0
    .symbol:         _ZN7rocprim17ROCPRIM_400000_NS6detail31init_lookback_scan_state_kernelINS1_19lookback_scan_stateIN3c107complexIfEELb1ELb1EEENS1_16block_id_wrapperIjLb1EEEEEvT_jT0_jPNSA_10value_typeE.kd
    .uniform_work_group_size: 1
    .uses_dynamic_stack: false
    .vgpr_count:     8
    .vgpr_spill_count: 0
    .wavefront_size: 64
  - .args:
      - .offset:         0
        .size:           104
        .value_kind:     by_value
    .group_segment_fixed_size: 0
    .kernarg_segment_align: 8
    .kernarg_segment_size: 104
    .language:       OpenCL C
    .language_version:
      - 2
      - 0
    .max_flat_workgroup_size: 256
    .name:           _ZN7rocprim17ROCPRIM_400000_NS6detail17trampoline_kernelINS0_14default_configENS1_20scan_config_selectorIN3c107complexIfEEEEZZNS1_9scan_implILNS1_25lookback_scan_determinismE0ELb0ELb0ES3_PKS7_PS7_S7_ZZZN2at6native31launch_logcumsumexp_cuda_kernelERKNSE_10TensorBaseESI_lENKUlvE_clEvENKUlvE2_clEvEUlS7_S7_E_S7_EEDaPvRmT3_T4_T5_mT6_P12ihipStream_tbENKUlT_T0_E_clISt17integral_constantIbLb1EESZ_EEDaSU_SV_EUlSU_E_NS1_11comp_targetILNS1_3genE0ELNS1_11target_archE4294967295ELNS1_3gpuE0ELNS1_3repE0EEENS1_30default_config_static_selectorELNS0_4arch9wavefront6targetE1EEEvT1_
    .private_segment_fixed_size: 0
    .sgpr_count:     4
    .sgpr_spill_count: 0
    .symbol:         _ZN7rocprim17ROCPRIM_400000_NS6detail17trampoline_kernelINS0_14default_configENS1_20scan_config_selectorIN3c107complexIfEEEEZZNS1_9scan_implILNS1_25lookback_scan_determinismE0ELb0ELb0ES3_PKS7_PS7_S7_ZZZN2at6native31launch_logcumsumexp_cuda_kernelERKNSE_10TensorBaseESI_lENKUlvE_clEvENKUlvE2_clEvEUlS7_S7_E_S7_EEDaPvRmT3_T4_T5_mT6_P12ihipStream_tbENKUlT_T0_E_clISt17integral_constantIbLb1EESZ_EEDaSU_SV_EUlSU_E_NS1_11comp_targetILNS1_3genE0ELNS1_11target_archE4294967295ELNS1_3gpuE0ELNS1_3repE0EEENS1_30default_config_static_selectorELNS0_4arch9wavefront6targetE1EEEvT1_.kd
    .uniform_work_group_size: 1
    .uses_dynamic_stack: false
    .vgpr_count:     0
    .vgpr_spill_count: 0
    .wavefront_size: 64
  - .args:
      - .offset:         0
        .size:           104
        .value_kind:     by_value
    .group_segment_fixed_size: 0
    .kernarg_segment_align: 8
    .kernarg_segment_size: 104
    .language:       OpenCL C
    .language_version:
      - 2
      - 0
    .max_flat_workgroup_size: 256
    .name:           _ZN7rocprim17ROCPRIM_400000_NS6detail17trampoline_kernelINS0_14default_configENS1_20scan_config_selectorIN3c107complexIfEEEEZZNS1_9scan_implILNS1_25lookback_scan_determinismE0ELb0ELb0ES3_PKS7_PS7_S7_ZZZN2at6native31launch_logcumsumexp_cuda_kernelERKNSE_10TensorBaseESI_lENKUlvE_clEvENKUlvE2_clEvEUlS7_S7_E_S7_EEDaPvRmT3_T4_T5_mT6_P12ihipStream_tbENKUlT_T0_E_clISt17integral_constantIbLb1EESZ_EEDaSU_SV_EUlSU_E_NS1_11comp_targetILNS1_3genE5ELNS1_11target_archE942ELNS1_3gpuE9ELNS1_3repE0EEENS1_30default_config_static_selectorELNS0_4arch9wavefront6targetE1EEEvT1_
    .private_segment_fixed_size: 0
    .sgpr_count:     4
    .sgpr_spill_count: 0
    .symbol:         _ZN7rocprim17ROCPRIM_400000_NS6detail17trampoline_kernelINS0_14default_configENS1_20scan_config_selectorIN3c107complexIfEEEEZZNS1_9scan_implILNS1_25lookback_scan_determinismE0ELb0ELb0ES3_PKS7_PS7_S7_ZZZN2at6native31launch_logcumsumexp_cuda_kernelERKNSE_10TensorBaseESI_lENKUlvE_clEvENKUlvE2_clEvEUlS7_S7_E_S7_EEDaPvRmT3_T4_T5_mT6_P12ihipStream_tbENKUlT_T0_E_clISt17integral_constantIbLb1EESZ_EEDaSU_SV_EUlSU_E_NS1_11comp_targetILNS1_3genE5ELNS1_11target_archE942ELNS1_3gpuE9ELNS1_3repE0EEENS1_30default_config_static_selectorELNS0_4arch9wavefront6targetE1EEEvT1_.kd
    .uniform_work_group_size: 1
    .uses_dynamic_stack: false
    .vgpr_count:     0
    .vgpr_spill_count: 0
    .wavefront_size: 64
  - .args:
      - .offset:         0
        .size:           104
        .value_kind:     by_value
    .group_segment_fixed_size: 0
    .kernarg_segment_align: 8
    .kernarg_segment_size: 104
    .language:       OpenCL C
    .language_version:
      - 2
      - 0
    .max_flat_workgroup_size: 128
    .name:           _ZN7rocprim17ROCPRIM_400000_NS6detail17trampoline_kernelINS0_14default_configENS1_20scan_config_selectorIN3c107complexIfEEEEZZNS1_9scan_implILNS1_25lookback_scan_determinismE0ELb0ELb0ES3_PKS7_PS7_S7_ZZZN2at6native31launch_logcumsumexp_cuda_kernelERKNSE_10TensorBaseESI_lENKUlvE_clEvENKUlvE2_clEvEUlS7_S7_E_S7_EEDaPvRmT3_T4_T5_mT6_P12ihipStream_tbENKUlT_T0_E_clISt17integral_constantIbLb1EESZ_EEDaSU_SV_EUlSU_E_NS1_11comp_targetILNS1_3genE4ELNS1_11target_archE910ELNS1_3gpuE8ELNS1_3repE0EEENS1_30default_config_static_selectorELNS0_4arch9wavefront6targetE1EEEvT1_
    .private_segment_fixed_size: 0
    .sgpr_count:     4
    .sgpr_spill_count: 0
    .symbol:         _ZN7rocprim17ROCPRIM_400000_NS6detail17trampoline_kernelINS0_14default_configENS1_20scan_config_selectorIN3c107complexIfEEEEZZNS1_9scan_implILNS1_25lookback_scan_determinismE0ELb0ELb0ES3_PKS7_PS7_S7_ZZZN2at6native31launch_logcumsumexp_cuda_kernelERKNSE_10TensorBaseESI_lENKUlvE_clEvENKUlvE2_clEvEUlS7_S7_E_S7_EEDaPvRmT3_T4_T5_mT6_P12ihipStream_tbENKUlT_T0_E_clISt17integral_constantIbLb1EESZ_EEDaSU_SV_EUlSU_E_NS1_11comp_targetILNS1_3genE4ELNS1_11target_archE910ELNS1_3gpuE8ELNS1_3repE0EEENS1_30default_config_static_selectorELNS0_4arch9wavefront6targetE1EEEvT1_.kd
    .uniform_work_group_size: 1
    .uses_dynamic_stack: false
    .vgpr_count:     0
    .vgpr_spill_count: 0
    .wavefront_size: 64
  - .args:
      - .offset:         0
        .size:           104
        .value_kind:     by_value
    .group_segment_fixed_size: 0
    .kernarg_segment_align: 8
    .kernarg_segment_size: 104
    .language:       OpenCL C
    .language_version:
      - 2
      - 0
    .max_flat_workgroup_size: 256
    .name:           _ZN7rocprim17ROCPRIM_400000_NS6detail17trampoline_kernelINS0_14default_configENS1_20scan_config_selectorIN3c107complexIfEEEEZZNS1_9scan_implILNS1_25lookback_scan_determinismE0ELb0ELb0ES3_PKS7_PS7_S7_ZZZN2at6native31launch_logcumsumexp_cuda_kernelERKNSE_10TensorBaseESI_lENKUlvE_clEvENKUlvE2_clEvEUlS7_S7_E_S7_EEDaPvRmT3_T4_T5_mT6_P12ihipStream_tbENKUlT_T0_E_clISt17integral_constantIbLb1EESZ_EEDaSU_SV_EUlSU_E_NS1_11comp_targetILNS1_3genE3ELNS1_11target_archE908ELNS1_3gpuE7ELNS1_3repE0EEENS1_30default_config_static_selectorELNS0_4arch9wavefront6targetE1EEEvT1_
    .private_segment_fixed_size: 0
    .sgpr_count:     4
    .sgpr_spill_count: 0
    .symbol:         _ZN7rocprim17ROCPRIM_400000_NS6detail17trampoline_kernelINS0_14default_configENS1_20scan_config_selectorIN3c107complexIfEEEEZZNS1_9scan_implILNS1_25lookback_scan_determinismE0ELb0ELb0ES3_PKS7_PS7_S7_ZZZN2at6native31launch_logcumsumexp_cuda_kernelERKNSE_10TensorBaseESI_lENKUlvE_clEvENKUlvE2_clEvEUlS7_S7_E_S7_EEDaPvRmT3_T4_T5_mT6_P12ihipStream_tbENKUlT_T0_E_clISt17integral_constantIbLb1EESZ_EEDaSU_SV_EUlSU_E_NS1_11comp_targetILNS1_3genE3ELNS1_11target_archE908ELNS1_3gpuE7ELNS1_3repE0EEENS1_30default_config_static_selectorELNS0_4arch9wavefront6targetE1EEEvT1_.kd
    .uniform_work_group_size: 1
    .uses_dynamic_stack: false
    .vgpr_count:     0
    .vgpr_spill_count: 0
    .wavefront_size: 64
  - .args:
      - .offset:         0
        .size:           104
        .value_kind:     by_value
    .group_segment_fixed_size: 0
    .kernarg_segment_align: 8
    .kernarg_segment_size: 104
    .language:       OpenCL C
    .language_version:
      - 2
      - 0
    .max_flat_workgroup_size: 64
    .name:           _ZN7rocprim17ROCPRIM_400000_NS6detail17trampoline_kernelINS0_14default_configENS1_20scan_config_selectorIN3c107complexIfEEEEZZNS1_9scan_implILNS1_25lookback_scan_determinismE0ELb0ELb0ES3_PKS7_PS7_S7_ZZZN2at6native31launch_logcumsumexp_cuda_kernelERKNSE_10TensorBaseESI_lENKUlvE_clEvENKUlvE2_clEvEUlS7_S7_E_S7_EEDaPvRmT3_T4_T5_mT6_P12ihipStream_tbENKUlT_T0_E_clISt17integral_constantIbLb1EESZ_EEDaSU_SV_EUlSU_E_NS1_11comp_targetILNS1_3genE2ELNS1_11target_archE906ELNS1_3gpuE6ELNS1_3repE0EEENS1_30default_config_static_selectorELNS0_4arch9wavefront6targetE1EEEvT1_
    .private_segment_fixed_size: 0
    .sgpr_count:     4
    .sgpr_spill_count: 0
    .symbol:         _ZN7rocprim17ROCPRIM_400000_NS6detail17trampoline_kernelINS0_14default_configENS1_20scan_config_selectorIN3c107complexIfEEEEZZNS1_9scan_implILNS1_25lookback_scan_determinismE0ELb0ELb0ES3_PKS7_PS7_S7_ZZZN2at6native31launch_logcumsumexp_cuda_kernelERKNSE_10TensorBaseESI_lENKUlvE_clEvENKUlvE2_clEvEUlS7_S7_E_S7_EEDaPvRmT3_T4_T5_mT6_P12ihipStream_tbENKUlT_T0_E_clISt17integral_constantIbLb1EESZ_EEDaSU_SV_EUlSU_E_NS1_11comp_targetILNS1_3genE2ELNS1_11target_archE906ELNS1_3gpuE6ELNS1_3repE0EEENS1_30default_config_static_selectorELNS0_4arch9wavefront6targetE1EEEvT1_.kd
    .uniform_work_group_size: 1
    .uses_dynamic_stack: false
    .vgpr_count:     0
    .vgpr_spill_count: 0
    .wavefront_size: 64
  - .args:
      - .offset:         0
        .size:           104
        .value_kind:     by_value
    .group_segment_fixed_size: 0
    .kernarg_segment_align: 8
    .kernarg_segment_size: 104
    .language:       OpenCL C
    .language_version:
      - 2
      - 0
    .max_flat_workgroup_size: 256
    .name:           _ZN7rocprim17ROCPRIM_400000_NS6detail17trampoline_kernelINS0_14default_configENS1_20scan_config_selectorIN3c107complexIfEEEEZZNS1_9scan_implILNS1_25lookback_scan_determinismE0ELb0ELb0ES3_PKS7_PS7_S7_ZZZN2at6native31launch_logcumsumexp_cuda_kernelERKNSE_10TensorBaseESI_lENKUlvE_clEvENKUlvE2_clEvEUlS7_S7_E_S7_EEDaPvRmT3_T4_T5_mT6_P12ihipStream_tbENKUlT_T0_E_clISt17integral_constantIbLb1EESZ_EEDaSU_SV_EUlSU_E_NS1_11comp_targetILNS1_3genE10ELNS1_11target_archE1201ELNS1_3gpuE5ELNS1_3repE0EEENS1_30default_config_static_selectorELNS0_4arch9wavefront6targetE1EEEvT1_
    .private_segment_fixed_size: 0
    .sgpr_count:     4
    .sgpr_spill_count: 0
    .symbol:         _ZN7rocprim17ROCPRIM_400000_NS6detail17trampoline_kernelINS0_14default_configENS1_20scan_config_selectorIN3c107complexIfEEEEZZNS1_9scan_implILNS1_25lookback_scan_determinismE0ELb0ELb0ES3_PKS7_PS7_S7_ZZZN2at6native31launch_logcumsumexp_cuda_kernelERKNSE_10TensorBaseESI_lENKUlvE_clEvENKUlvE2_clEvEUlS7_S7_E_S7_EEDaPvRmT3_T4_T5_mT6_P12ihipStream_tbENKUlT_T0_E_clISt17integral_constantIbLb1EESZ_EEDaSU_SV_EUlSU_E_NS1_11comp_targetILNS1_3genE10ELNS1_11target_archE1201ELNS1_3gpuE5ELNS1_3repE0EEENS1_30default_config_static_selectorELNS0_4arch9wavefront6targetE1EEEvT1_.kd
    .uniform_work_group_size: 1
    .uses_dynamic_stack: false
    .vgpr_count:     0
    .vgpr_spill_count: 0
    .wavefront_size: 64
  - .args:
      - .offset:         0
        .size:           104
        .value_kind:     by_value
    .group_segment_fixed_size: 0
    .kernarg_segment_align: 8
    .kernarg_segment_size: 104
    .language:       OpenCL C
    .language_version:
      - 2
      - 0
    .max_flat_workgroup_size: 256
    .name:           _ZN7rocprim17ROCPRIM_400000_NS6detail17trampoline_kernelINS0_14default_configENS1_20scan_config_selectorIN3c107complexIfEEEEZZNS1_9scan_implILNS1_25lookback_scan_determinismE0ELb0ELb0ES3_PKS7_PS7_S7_ZZZN2at6native31launch_logcumsumexp_cuda_kernelERKNSE_10TensorBaseESI_lENKUlvE_clEvENKUlvE2_clEvEUlS7_S7_E_S7_EEDaPvRmT3_T4_T5_mT6_P12ihipStream_tbENKUlT_T0_E_clISt17integral_constantIbLb1EESZ_EEDaSU_SV_EUlSU_E_NS1_11comp_targetILNS1_3genE10ELNS1_11target_archE1200ELNS1_3gpuE4ELNS1_3repE0EEENS1_30default_config_static_selectorELNS0_4arch9wavefront6targetE1EEEvT1_
    .private_segment_fixed_size: 0
    .sgpr_count:     4
    .sgpr_spill_count: 0
    .symbol:         _ZN7rocprim17ROCPRIM_400000_NS6detail17trampoline_kernelINS0_14default_configENS1_20scan_config_selectorIN3c107complexIfEEEEZZNS1_9scan_implILNS1_25lookback_scan_determinismE0ELb0ELb0ES3_PKS7_PS7_S7_ZZZN2at6native31launch_logcumsumexp_cuda_kernelERKNSE_10TensorBaseESI_lENKUlvE_clEvENKUlvE2_clEvEUlS7_S7_E_S7_EEDaPvRmT3_T4_T5_mT6_P12ihipStream_tbENKUlT_T0_E_clISt17integral_constantIbLb1EESZ_EEDaSU_SV_EUlSU_E_NS1_11comp_targetILNS1_3genE10ELNS1_11target_archE1200ELNS1_3gpuE4ELNS1_3repE0EEENS1_30default_config_static_selectorELNS0_4arch9wavefront6targetE1EEEvT1_.kd
    .uniform_work_group_size: 1
    .uses_dynamic_stack: false
    .vgpr_count:     0
    .vgpr_spill_count: 0
    .wavefront_size: 64
  - .args:
      - .offset:         0
        .size:           104
        .value_kind:     by_value
    .group_segment_fixed_size: 0
    .kernarg_segment_align: 8
    .kernarg_segment_size: 104
    .language:       OpenCL C
    .language_version:
      - 2
      - 0
    .max_flat_workgroup_size: 256
    .name:           _ZN7rocprim17ROCPRIM_400000_NS6detail17trampoline_kernelINS0_14default_configENS1_20scan_config_selectorIN3c107complexIfEEEEZZNS1_9scan_implILNS1_25lookback_scan_determinismE0ELb0ELb0ES3_PKS7_PS7_S7_ZZZN2at6native31launch_logcumsumexp_cuda_kernelERKNSE_10TensorBaseESI_lENKUlvE_clEvENKUlvE2_clEvEUlS7_S7_E_S7_EEDaPvRmT3_T4_T5_mT6_P12ihipStream_tbENKUlT_T0_E_clISt17integral_constantIbLb1EESZ_EEDaSU_SV_EUlSU_E_NS1_11comp_targetILNS1_3genE9ELNS1_11target_archE1100ELNS1_3gpuE3ELNS1_3repE0EEENS1_30default_config_static_selectorELNS0_4arch9wavefront6targetE1EEEvT1_
    .private_segment_fixed_size: 0
    .sgpr_count:     4
    .sgpr_spill_count: 0
    .symbol:         _ZN7rocprim17ROCPRIM_400000_NS6detail17trampoline_kernelINS0_14default_configENS1_20scan_config_selectorIN3c107complexIfEEEEZZNS1_9scan_implILNS1_25lookback_scan_determinismE0ELb0ELb0ES3_PKS7_PS7_S7_ZZZN2at6native31launch_logcumsumexp_cuda_kernelERKNSE_10TensorBaseESI_lENKUlvE_clEvENKUlvE2_clEvEUlS7_S7_E_S7_EEDaPvRmT3_T4_T5_mT6_P12ihipStream_tbENKUlT_T0_E_clISt17integral_constantIbLb1EESZ_EEDaSU_SV_EUlSU_E_NS1_11comp_targetILNS1_3genE9ELNS1_11target_archE1100ELNS1_3gpuE3ELNS1_3repE0EEENS1_30default_config_static_selectorELNS0_4arch9wavefront6targetE1EEEvT1_.kd
    .uniform_work_group_size: 1
    .uses_dynamic_stack: false
    .vgpr_count:     0
    .vgpr_spill_count: 0
    .wavefront_size: 64
  - .args:
      - .offset:         0
        .size:           104
        .value_kind:     by_value
    .group_segment_fixed_size: 0
    .kernarg_segment_align: 8
    .kernarg_segment_size: 104
    .language:       OpenCL C
    .language_version:
      - 2
      - 0
    .max_flat_workgroup_size: 256
    .name:           _ZN7rocprim17ROCPRIM_400000_NS6detail17trampoline_kernelINS0_14default_configENS1_20scan_config_selectorIN3c107complexIfEEEEZZNS1_9scan_implILNS1_25lookback_scan_determinismE0ELb0ELb0ES3_PKS7_PS7_S7_ZZZN2at6native31launch_logcumsumexp_cuda_kernelERKNSE_10TensorBaseESI_lENKUlvE_clEvENKUlvE2_clEvEUlS7_S7_E_S7_EEDaPvRmT3_T4_T5_mT6_P12ihipStream_tbENKUlT_T0_E_clISt17integral_constantIbLb1EESZ_EEDaSU_SV_EUlSU_E_NS1_11comp_targetILNS1_3genE8ELNS1_11target_archE1030ELNS1_3gpuE2ELNS1_3repE0EEENS1_30default_config_static_selectorELNS0_4arch9wavefront6targetE1EEEvT1_
    .private_segment_fixed_size: 0
    .sgpr_count:     4
    .sgpr_spill_count: 0
    .symbol:         _ZN7rocprim17ROCPRIM_400000_NS6detail17trampoline_kernelINS0_14default_configENS1_20scan_config_selectorIN3c107complexIfEEEEZZNS1_9scan_implILNS1_25lookback_scan_determinismE0ELb0ELb0ES3_PKS7_PS7_S7_ZZZN2at6native31launch_logcumsumexp_cuda_kernelERKNSE_10TensorBaseESI_lENKUlvE_clEvENKUlvE2_clEvEUlS7_S7_E_S7_EEDaPvRmT3_T4_T5_mT6_P12ihipStream_tbENKUlT_T0_E_clISt17integral_constantIbLb1EESZ_EEDaSU_SV_EUlSU_E_NS1_11comp_targetILNS1_3genE8ELNS1_11target_archE1030ELNS1_3gpuE2ELNS1_3repE0EEENS1_30default_config_static_selectorELNS0_4arch9wavefront6targetE1EEEvT1_.kd
    .uniform_work_group_size: 1
    .uses_dynamic_stack: false
    .vgpr_count:     0
    .vgpr_spill_count: 0
    .wavefront_size: 64
  - .args:
      - .offset:         0
        .size:           40
        .value_kind:     by_value
    .group_segment_fixed_size: 0
    .kernarg_segment_align: 8
    .kernarg_segment_size: 40
    .language:       OpenCL C
    .language_version:
      - 2
      - 0
    .max_flat_workgroup_size: 256
    .name:           _ZN7rocprim17ROCPRIM_400000_NS6detail17trampoline_kernelINS0_14default_configENS1_20scan_config_selectorIN3c107complexIfEEEEZZNS1_9scan_implILNS1_25lookback_scan_determinismE0ELb0ELb0ES3_PKS7_PS7_S7_ZZZN2at6native31launch_logcumsumexp_cuda_kernelERKNSE_10TensorBaseESI_lENKUlvE_clEvENKUlvE2_clEvEUlS7_S7_E_S7_EEDaPvRmT3_T4_T5_mT6_P12ihipStream_tbENKUlT_T0_E_clISt17integral_constantIbLb1EESZ_EEDaSU_SV_EUlSU_E0_NS1_11comp_targetILNS1_3genE0ELNS1_11target_archE4294967295ELNS1_3gpuE0ELNS1_3repE0EEENS1_30default_config_static_selectorELNS0_4arch9wavefront6targetE1EEEvT1_
    .private_segment_fixed_size: 0
    .sgpr_count:     4
    .sgpr_spill_count: 0
    .symbol:         _ZN7rocprim17ROCPRIM_400000_NS6detail17trampoline_kernelINS0_14default_configENS1_20scan_config_selectorIN3c107complexIfEEEEZZNS1_9scan_implILNS1_25lookback_scan_determinismE0ELb0ELb0ES3_PKS7_PS7_S7_ZZZN2at6native31launch_logcumsumexp_cuda_kernelERKNSE_10TensorBaseESI_lENKUlvE_clEvENKUlvE2_clEvEUlS7_S7_E_S7_EEDaPvRmT3_T4_T5_mT6_P12ihipStream_tbENKUlT_T0_E_clISt17integral_constantIbLb1EESZ_EEDaSU_SV_EUlSU_E0_NS1_11comp_targetILNS1_3genE0ELNS1_11target_archE4294967295ELNS1_3gpuE0ELNS1_3repE0EEENS1_30default_config_static_selectorELNS0_4arch9wavefront6targetE1EEEvT1_.kd
    .uniform_work_group_size: 1
    .uses_dynamic_stack: false
    .vgpr_count:     0
    .vgpr_spill_count: 0
    .wavefront_size: 64
  - .args:
      - .offset:         0
        .size:           40
        .value_kind:     by_value
    .group_segment_fixed_size: 0
    .kernarg_segment_align: 8
    .kernarg_segment_size: 40
    .language:       OpenCL C
    .language_version:
      - 2
      - 0
    .max_flat_workgroup_size: 256
    .name:           _ZN7rocprim17ROCPRIM_400000_NS6detail17trampoline_kernelINS0_14default_configENS1_20scan_config_selectorIN3c107complexIfEEEEZZNS1_9scan_implILNS1_25lookback_scan_determinismE0ELb0ELb0ES3_PKS7_PS7_S7_ZZZN2at6native31launch_logcumsumexp_cuda_kernelERKNSE_10TensorBaseESI_lENKUlvE_clEvENKUlvE2_clEvEUlS7_S7_E_S7_EEDaPvRmT3_T4_T5_mT6_P12ihipStream_tbENKUlT_T0_E_clISt17integral_constantIbLb1EESZ_EEDaSU_SV_EUlSU_E0_NS1_11comp_targetILNS1_3genE5ELNS1_11target_archE942ELNS1_3gpuE9ELNS1_3repE0EEENS1_30default_config_static_selectorELNS0_4arch9wavefront6targetE1EEEvT1_
    .private_segment_fixed_size: 0
    .sgpr_count:     4
    .sgpr_spill_count: 0
    .symbol:         _ZN7rocprim17ROCPRIM_400000_NS6detail17trampoline_kernelINS0_14default_configENS1_20scan_config_selectorIN3c107complexIfEEEEZZNS1_9scan_implILNS1_25lookback_scan_determinismE0ELb0ELb0ES3_PKS7_PS7_S7_ZZZN2at6native31launch_logcumsumexp_cuda_kernelERKNSE_10TensorBaseESI_lENKUlvE_clEvENKUlvE2_clEvEUlS7_S7_E_S7_EEDaPvRmT3_T4_T5_mT6_P12ihipStream_tbENKUlT_T0_E_clISt17integral_constantIbLb1EESZ_EEDaSU_SV_EUlSU_E0_NS1_11comp_targetILNS1_3genE5ELNS1_11target_archE942ELNS1_3gpuE9ELNS1_3repE0EEENS1_30default_config_static_selectorELNS0_4arch9wavefront6targetE1EEEvT1_.kd
    .uniform_work_group_size: 1
    .uses_dynamic_stack: false
    .vgpr_count:     0
    .vgpr_spill_count: 0
    .wavefront_size: 64
  - .args:
      - .offset:         0
        .size:           40
        .value_kind:     by_value
    .group_segment_fixed_size: 0
    .kernarg_segment_align: 8
    .kernarg_segment_size: 40
    .language:       OpenCL C
    .language_version:
      - 2
      - 0
    .max_flat_workgroup_size: 128
    .name:           _ZN7rocprim17ROCPRIM_400000_NS6detail17trampoline_kernelINS0_14default_configENS1_20scan_config_selectorIN3c107complexIfEEEEZZNS1_9scan_implILNS1_25lookback_scan_determinismE0ELb0ELb0ES3_PKS7_PS7_S7_ZZZN2at6native31launch_logcumsumexp_cuda_kernelERKNSE_10TensorBaseESI_lENKUlvE_clEvENKUlvE2_clEvEUlS7_S7_E_S7_EEDaPvRmT3_T4_T5_mT6_P12ihipStream_tbENKUlT_T0_E_clISt17integral_constantIbLb1EESZ_EEDaSU_SV_EUlSU_E0_NS1_11comp_targetILNS1_3genE4ELNS1_11target_archE910ELNS1_3gpuE8ELNS1_3repE0EEENS1_30default_config_static_selectorELNS0_4arch9wavefront6targetE1EEEvT1_
    .private_segment_fixed_size: 0
    .sgpr_count:     4
    .sgpr_spill_count: 0
    .symbol:         _ZN7rocprim17ROCPRIM_400000_NS6detail17trampoline_kernelINS0_14default_configENS1_20scan_config_selectorIN3c107complexIfEEEEZZNS1_9scan_implILNS1_25lookback_scan_determinismE0ELb0ELb0ES3_PKS7_PS7_S7_ZZZN2at6native31launch_logcumsumexp_cuda_kernelERKNSE_10TensorBaseESI_lENKUlvE_clEvENKUlvE2_clEvEUlS7_S7_E_S7_EEDaPvRmT3_T4_T5_mT6_P12ihipStream_tbENKUlT_T0_E_clISt17integral_constantIbLb1EESZ_EEDaSU_SV_EUlSU_E0_NS1_11comp_targetILNS1_3genE4ELNS1_11target_archE910ELNS1_3gpuE8ELNS1_3repE0EEENS1_30default_config_static_selectorELNS0_4arch9wavefront6targetE1EEEvT1_.kd
    .uniform_work_group_size: 1
    .uses_dynamic_stack: false
    .vgpr_count:     0
    .vgpr_spill_count: 0
    .wavefront_size: 64
  - .args:
      - .offset:         0
        .size:           40
        .value_kind:     by_value
    .group_segment_fixed_size: 0
    .kernarg_segment_align: 8
    .kernarg_segment_size: 40
    .language:       OpenCL C
    .language_version:
      - 2
      - 0
    .max_flat_workgroup_size: 256
    .name:           _ZN7rocprim17ROCPRIM_400000_NS6detail17trampoline_kernelINS0_14default_configENS1_20scan_config_selectorIN3c107complexIfEEEEZZNS1_9scan_implILNS1_25lookback_scan_determinismE0ELb0ELb0ES3_PKS7_PS7_S7_ZZZN2at6native31launch_logcumsumexp_cuda_kernelERKNSE_10TensorBaseESI_lENKUlvE_clEvENKUlvE2_clEvEUlS7_S7_E_S7_EEDaPvRmT3_T4_T5_mT6_P12ihipStream_tbENKUlT_T0_E_clISt17integral_constantIbLb1EESZ_EEDaSU_SV_EUlSU_E0_NS1_11comp_targetILNS1_3genE3ELNS1_11target_archE908ELNS1_3gpuE7ELNS1_3repE0EEENS1_30default_config_static_selectorELNS0_4arch9wavefront6targetE1EEEvT1_
    .private_segment_fixed_size: 0
    .sgpr_count:     4
    .sgpr_spill_count: 0
    .symbol:         _ZN7rocprim17ROCPRIM_400000_NS6detail17trampoline_kernelINS0_14default_configENS1_20scan_config_selectorIN3c107complexIfEEEEZZNS1_9scan_implILNS1_25lookback_scan_determinismE0ELb0ELb0ES3_PKS7_PS7_S7_ZZZN2at6native31launch_logcumsumexp_cuda_kernelERKNSE_10TensorBaseESI_lENKUlvE_clEvENKUlvE2_clEvEUlS7_S7_E_S7_EEDaPvRmT3_T4_T5_mT6_P12ihipStream_tbENKUlT_T0_E_clISt17integral_constantIbLb1EESZ_EEDaSU_SV_EUlSU_E0_NS1_11comp_targetILNS1_3genE3ELNS1_11target_archE908ELNS1_3gpuE7ELNS1_3repE0EEENS1_30default_config_static_selectorELNS0_4arch9wavefront6targetE1EEEvT1_.kd
    .uniform_work_group_size: 1
    .uses_dynamic_stack: false
    .vgpr_count:     0
    .vgpr_spill_count: 0
    .wavefront_size: 64
  - .args:
      - .offset:         0
        .size:           40
        .value_kind:     by_value
    .group_segment_fixed_size: 7168
    .kernarg_segment_align: 8
    .kernarg_segment_size: 40
    .language:       OpenCL C
    .language_version:
      - 2
      - 0
    .max_flat_workgroup_size: 64
    .name:           _ZN7rocprim17ROCPRIM_400000_NS6detail17trampoline_kernelINS0_14default_configENS1_20scan_config_selectorIN3c107complexIfEEEEZZNS1_9scan_implILNS1_25lookback_scan_determinismE0ELb0ELb0ES3_PKS7_PS7_S7_ZZZN2at6native31launch_logcumsumexp_cuda_kernelERKNSE_10TensorBaseESI_lENKUlvE_clEvENKUlvE2_clEvEUlS7_S7_E_S7_EEDaPvRmT3_T4_T5_mT6_P12ihipStream_tbENKUlT_T0_E_clISt17integral_constantIbLb1EESZ_EEDaSU_SV_EUlSU_E0_NS1_11comp_targetILNS1_3genE2ELNS1_11target_archE906ELNS1_3gpuE6ELNS1_3repE0EEENS1_30default_config_static_selectorELNS0_4arch9wavefront6targetE1EEEvT1_
    .private_segment_fixed_size: 0
    .sgpr_count:     62
    .sgpr_spill_count: 0
    .symbol:         _ZN7rocprim17ROCPRIM_400000_NS6detail17trampoline_kernelINS0_14default_configENS1_20scan_config_selectorIN3c107complexIfEEEEZZNS1_9scan_implILNS1_25lookback_scan_determinismE0ELb0ELb0ES3_PKS7_PS7_S7_ZZZN2at6native31launch_logcumsumexp_cuda_kernelERKNSE_10TensorBaseESI_lENKUlvE_clEvENKUlvE2_clEvEUlS7_S7_E_S7_EEDaPvRmT3_T4_T5_mT6_P12ihipStream_tbENKUlT_T0_E_clISt17integral_constantIbLb1EESZ_EEDaSU_SV_EUlSU_E0_NS1_11comp_targetILNS1_3genE2ELNS1_11target_archE906ELNS1_3gpuE6ELNS1_3repE0EEENS1_30default_config_static_selectorELNS0_4arch9wavefront6targetE1EEEvT1_.kd
    .uniform_work_group_size: 1
    .uses_dynamic_stack: false
    .vgpr_count:     80
    .vgpr_spill_count: 0
    .wavefront_size: 64
  - .args:
      - .offset:         0
        .size:           40
        .value_kind:     by_value
    .group_segment_fixed_size: 0
    .kernarg_segment_align: 8
    .kernarg_segment_size: 40
    .language:       OpenCL C
    .language_version:
      - 2
      - 0
    .max_flat_workgroup_size: 256
    .name:           _ZN7rocprim17ROCPRIM_400000_NS6detail17trampoline_kernelINS0_14default_configENS1_20scan_config_selectorIN3c107complexIfEEEEZZNS1_9scan_implILNS1_25lookback_scan_determinismE0ELb0ELb0ES3_PKS7_PS7_S7_ZZZN2at6native31launch_logcumsumexp_cuda_kernelERKNSE_10TensorBaseESI_lENKUlvE_clEvENKUlvE2_clEvEUlS7_S7_E_S7_EEDaPvRmT3_T4_T5_mT6_P12ihipStream_tbENKUlT_T0_E_clISt17integral_constantIbLb1EESZ_EEDaSU_SV_EUlSU_E0_NS1_11comp_targetILNS1_3genE10ELNS1_11target_archE1201ELNS1_3gpuE5ELNS1_3repE0EEENS1_30default_config_static_selectorELNS0_4arch9wavefront6targetE1EEEvT1_
    .private_segment_fixed_size: 0
    .sgpr_count:     4
    .sgpr_spill_count: 0
    .symbol:         _ZN7rocprim17ROCPRIM_400000_NS6detail17trampoline_kernelINS0_14default_configENS1_20scan_config_selectorIN3c107complexIfEEEEZZNS1_9scan_implILNS1_25lookback_scan_determinismE0ELb0ELb0ES3_PKS7_PS7_S7_ZZZN2at6native31launch_logcumsumexp_cuda_kernelERKNSE_10TensorBaseESI_lENKUlvE_clEvENKUlvE2_clEvEUlS7_S7_E_S7_EEDaPvRmT3_T4_T5_mT6_P12ihipStream_tbENKUlT_T0_E_clISt17integral_constantIbLb1EESZ_EEDaSU_SV_EUlSU_E0_NS1_11comp_targetILNS1_3genE10ELNS1_11target_archE1201ELNS1_3gpuE5ELNS1_3repE0EEENS1_30default_config_static_selectorELNS0_4arch9wavefront6targetE1EEEvT1_.kd
    .uniform_work_group_size: 1
    .uses_dynamic_stack: false
    .vgpr_count:     0
    .vgpr_spill_count: 0
    .wavefront_size: 64
  - .args:
      - .offset:         0
        .size:           40
        .value_kind:     by_value
    .group_segment_fixed_size: 0
    .kernarg_segment_align: 8
    .kernarg_segment_size: 40
    .language:       OpenCL C
    .language_version:
      - 2
      - 0
    .max_flat_workgroup_size: 256
    .name:           _ZN7rocprim17ROCPRIM_400000_NS6detail17trampoline_kernelINS0_14default_configENS1_20scan_config_selectorIN3c107complexIfEEEEZZNS1_9scan_implILNS1_25lookback_scan_determinismE0ELb0ELb0ES3_PKS7_PS7_S7_ZZZN2at6native31launch_logcumsumexp_cuda_kernelERKNSE_10TensorBaseESI_lENKUlvE_clEvENKUlvE2_clEvEUlS7_S7_E_S7_EEDaPvRmT3_T4_T5_mT6_P12ihipStream_tbENKUlT_T0_E_clISt17integral_constantIbLb1EESZ_EEDaSU_SV_EUlSU_E0_NS1_11comp_targetILNS1_3genE10ELNS1_11target_archE1200ELNS1_3gpuE4ELNS1_3repE0EEENS1_30default_config_static_selectorELNS0_4arch9wavefront6targetE1EEEvT1_
    .private_segment_fixed_size: 0
    .sgpr_count:     4
    .sgpr_spill_count: 0
    .symbol:         _ZN7rocprim17ROCPRIM_400000_NS6detail17trampoline_kernelINS0_14default_configENS1_20scan_config_selectorIN3c107complexIfEEEEZZNS1_9scan_implILNS1_25lookback_scan_determinismE0ELb0ELb0ES3_PKS7_PS7_S7_ZZZN2at6native31launch_logcumsumexp_cuda_kernelERKNSE_10TensorBaseESI_lENKUlvE_clEvENKUlvE2_clEvEUlS7_S7_E_S7_EEDaPvRmT3_T4_T5_mT6_P12ihipStream_tbENKUlT_T0_E_clISt17integral_constantIbLb1EESZ_EEDaSU_SV_EUlSU_E0_NS1_11comp_targetILNS1_3genE10ELNS1_11target_archE1200ELNS1_3gpuE4ELNS1_3repE0EEENS1_30default_config_static_selectorELNS0_4arch9wavefront6targetE1EEEvT1_.kd
    .uniform_work_group_size: 1
    .uses_dynamic_stack: false
    .vgpr_count:     0
    .vgpr_spill_count: 0
    .wavefront_size: 64
  - .args:
      - .offset:         0
        .size:           40
        .value_kind:     by_value
    .group_segment_fixed_size: 0
    .kernarg_segment_align: 8
    .kernarg_segment_size: 40
    .language:       OpenCL C
    .language_version:
      - 2
      - 0
    .max_flat_workgroup_size: 256
    .name:           _ZN7rocprim17ROCPRIM_400000_NS6detail17trampoline_kernelINS0_14default_configENS1_20scan_config_selectorIN3c107complexIfEEEEZZNS1_9scan_implILNS1_25lookback_scan_determinismE0ELb0ELb0ES3_PKS7_PS7_S7_ZZZN2at6native31launch_logcumsumexp_cuda_kernelERKNSE_10TensorBaseESI_lENKUlvE_clEvENKUlvE2_clEvEUlS7_S7_E_S7_EEDaPvRmT3_T4_T5_mT6_P12ihipStream_tbENKUlT_T0_E_clISt17integral_constantIbLb1EESZ_EEDaSU_SV_EUlSU_E0_NS1_11comp_targetILNS1_3genE9ELNS1_11target_archE1100ELNS1_3gpuE3ELNS1_3repE0EEENS1_30default_config_static_selectorELNS0_4arch9wavefront6targetE1EEEvT1_
    .private_segment_fixed_size: 0
    .sgpr_count:     4
    .sgpr_spill_count: 0
    .symbol:         _ZN7rocprim17ROCPRIM_400000_NS6detail17trampoline_kernelINS0_14default_configENS1_20scan_config_selectorIN3c107complexIfEEEEZZNS1_9scan_implILNS1_25lookback_scan_determinismE0ELb0ELb0ES3_PKS7_PS7_S7_ZZZN2at6native31launch_logcumsumexp_cuda_kernelERKNSE_10TensorBaseESI_lENKUlvE_clEvENKUlvE2_clEvEUlS7_S7_E_S7_EEDaPvRmT3_T4_T5_mT6_P12ihipStream_tbENKUlT_T0_E_clISt17integral_constantIbLb1EESZ_EEDaSU_SV_EUlSU_E0_NS1_11comp_targetILNS1_3genE9ELNS1_11target_archE1100ELNS1_3gpuE3ELNS1_3repE0EEENS1_30default_config_static_selectorELNS0_4arch9wavefront6targetE1EEEvT1_.kd
    .uniform_work_group_size: 1
    .uses_dynamic_stack: false
    .vgpr_count:     0
    .vgpr_spill_count: 0
    .wavefront_size: 64
  - .args:
      - .offset:         0
        .size:           40
        .value_kind:     by_value
    .group_segment_fixed_size: 0
    .kernarg_segment_align: 8
    .kernarg_segment_size: 40
    .language:       OpenCL C
    .language_version:
      - 2
      - 0
    .max_flat_workgroup_size: 256
    .name:           _ZN7rocprim17ROCPRIM_400000_NS6detail17trampoline_kernelINS0_14default_configENS1_20scan_config_selectorIN3c107complexIfEEEEZZNS1_9scan_implILNS1_25lookback_scan_determinismE0ELb0ELb0ES3_PKS7_PS7_S7_ZZZN2at6native31launch_logcumsumexp_cuda_kernelERKNSE_10TensorBaseESI_lENKUlvE_clEvENKUlvE2_clEvEUlS7_S7_E_S7_EEDaPvRmT3_T4_T5_mT6_P12ihipStream_tbENKUlT_T0_E_clISt17integral_constantIbLb1EESZ_EEDaSU_SV_EUlSU_E0_NS1_11comp_targetILNS1_3genE8ELNS1_11target_archE1030ELNS1_3gpuE2ELNS1_3repE0EEENS1_30default_config_static_selectorELNS0_4arch9wavefront6targetE1EEEvT1_
    .private_segment_fixed_size: 0
    .sgpr_count:     4
    .sgpr_spill_count: 0
    .symbol:         _ZN7rocprim17ROCPRIM_400000_NS6detail17trampoline_kernelINS0_14default_configENS1_20scan_config_selectorIN3c107complexIfEEEEZZNS1_9scan_implILNS1_25lookback_scan_determinismE0ELb0ELb0ES3_PKS7_PS7_S7_ZZZN2at6native31launch_logcumsumexp_cuda_kernelERKNSE_10TensorBaseESI_lENKUlvE_clEvENKUlvE2_clEvEUlS7_S7_E_S7_EEDaPvRmT3_T4_T5_mT6_P12ihipStream_tbENKUlT_T0_E_clISt17integral_constantIbLb1EESZ_EEDaSU_SV_EUlSU_E0_NS1_11comp_targetILNS1_3genE8ELNS1_11target_archE1030ELNS1_3gpuE2ELNS1_3repE0EEENS1_30default_config_static_selectorELNS0_4arch9wavefront6targetE1EEEvT1_.kd
    .uniform_work_group_size: 1
    .uses_dynamic_stack: false
    .vgpr_count:     0
    .vgpr_spill_count: 0
    .wavefront_size: 64
  - .args:
      - .address_space:  global
        .offset:         0
        .size:           8
        .value_kind:     global_buffer
      - .offset:         8
        .size:           4
        .value_kind:     by_value
      - .offset:         12
        .size:           1
        .value_kind:     by_value
      - .offset:         16
        .size:           4
        .value_kind:     by_value
      - .address_space:  global
        .offset:         24
        .size:           8
        .value_kind:     global_buffer
      - .offset:         32
        .size:           4
        .value_kind:     hidden_block_count_x
      - .offset:         36
        .size:           4
        .value_kind:     hidden_block_count_y
      - .offset:         40
        .size:           4
        .value_kind:     hidden_block_count_z
      - .offset:         44
        .size:           2
        .value_kind:     hidden_group_size_x
      - .offset:         46
        .size:           2
        .value_kind:     hidden_group_size_y
      - .offset:         48
        .size:           2
        .value_kind:     hidden_group_size_z
      - .offset:         50
        .size:           2
        .value_kind:     hidden_remainder_x
      - .offset:         52
        .size:           2
        .value_kind:     hidden_remainder_y
      - .offset:         54
        .size:           2
        .value_kind:     hidden_remainder_z
      - .offset:         72
        .size:           8
        .value_kind:     hidden_global_offset_x
      - .offset:         80
        .size:           8
        .value_kind:     hidden_global_offset_y
      - .offset:         88
        .size:           8
        .value_kind:     hidden_global_offset_z
      - .offset:         96
        .size:           2
        .value_kind:     hidden_grid_dims
    .group_segment_fixed_size: 0
    .kernarg_segment_align: 8
    .kernarg_segment_size: 288
    .language:       OpenCL C
    .language_version:
      - 2
      - 0
    .max_flat_workgroup_size: 256
    .name:           _ZN7rocprim17ROCPRIM_400000_NS6detail31init_lookback_scan_state_kernelINS1_19lookback_scan_stateIN3c107complexIfEELb1ELb1EEENS1_16block_id_wrapperIjLb0EEEEEvT_jT0_jPNSA_10value_typeE
    .private_segment_fixed_size: 0
    .sgpr_count:     18
    .sgpr_spill_count: 0
    .symbol:         _ZN7rocprim17ROCPRIM_400000_NS6detail31init_lookback_scan_state_kernelINS1_19lookback_scan_stateIN3c107complexIfEELb1ELb1EEENS1_16block_id_wrapperIjLb0EEEEEvT_jT0_jPNSA_10value_typeE.kd
    .uniform_work_group_size: 1
    .uses_dynamic_stack: false
    .vgpr_count:     8
    .vgpr_spill_count: 0
    .wavefront_size: 64
  - .args:
      - .offset:         0
        .size:           104
        .value_kind:     by_value
    .group_segment_fixed_size: 0
    .kernarg_segment_align: 8
    .kernarg_segment_size: 104
    .language:       OpenCL C
    .language_version:
      - 2
      - 0
    .max_flat_workgroup_size: 256
    .name:           _ZN7rocprim17ROCPRIM_400000_NS6detail17trampoline_kernelINS0_14default_configENS1_20scan_config_selectorIN3c107complexIfEEEEZZNS1_9scan_implILNS1_25lookback_scan_determinismE0ELb0ELb0ES3_PKS7_PS7_S7_ZZZN2at6native31launch_logcumsumexp_cuda_kernelERKNSE_10TensorBaseESI_lENKUlvE_clEvENKUlvE2_clEvEUlS7_S7_E_S7_EEDaPvRmT3_T4_T5_mT6_P12ihipStream_tbENKUlT_T0_E_clISt17integral_constantIbLb1EESY_IbLb0EEEEDaSU_SV_EUlSU_E_NS1_11comp_targetILNS1_3genE0ELNS1_11target_archE4294967295ELNS1_3gpuE0ELNS1_3repE0EEENS1_30default_config_static_selectorELNS0_4arch9wavefront6targetE1EEEvT1_
    .private_segment_fixed_size: 0
    .sgpr_count:     4
    .sgpr_spill_count: 0
    .symbol:         _ZN7rocprim17ROCPRIM_400000_NS6detail17trampoline_kernelINS0_14default_configENS1_20scan_config_selectorIN3c107complexIfEEEEZZNS1_9scan_implILNS1_25lookback_scan_determinismE0ELb0ELb0ES3_PKS7_PS7_S7_ZZZN2at6native31launch_logcumsumexp_cuda_kernelERKNSE_10TensorBaseESI_lENKUlvE_clEvENKUlvE2_clEvEUlS7_S7_E_S7_EEDaPvRmT3_T4_T5_mT6_P12ihipStream_tbENKUlT_T0_E_clISt17integral_constantIbLb1EESY_IbLb0EEEEDaSU_SV_EUlSU_E_NS1_11comp_targetILNS1_3genE0ELNS1_11target_archE4294967295ELNS1_3gpuE0ELNS1_3repE0EEENS1_30default_config_static_selectorELNS0_4arch9wavefront6targetE1EEEvT1_.kd
    .uniform_work_group_size: 1
    .uses_dynamic_stack: false
    .vgpr_count:     0
    .vgpr_spill_count: 0
    .wavefront_size: 64
  - .args:
      - .offset:         0
        .size:           104
        .value_kind:     by_value
    .group_segment_fixed_size: 0
    .kernarg_segment_align: 8
    .kernarg_segment_size: 104
    .language:       OpenCL C
    .language_version:
      - 2
      - 0
    .max_flat_workgroup_size: 256
    .name:           _ZN7rocprim17ROCPRIM_400000_NS6detail17trampoline_kernelINS0_14default_configENS1_20scan_config_selectorIN3c107complexIfEEEEZZNS1_9scan_implILNS1_25lookback_scan_determinismE0ELb0ELb0ES3_PKS7_PS7_S7_ZZZN2at6native31launch_logcumsumexp_cuda_kernelERKNSE_10TensorBaseESI_lENKUlvE_clEvENKUlvE2_clEvEUlS7_S7_E_S7_EEDaPvRmT3_T4_T5_mT6_P12ihipStream_tbENKUlT_T0_E_clISt17integral_constantIbLb1EESY_IbLb0EEEEDaSU_SV_EUlSU_E_NS1_11comp_targetILNS1_3genE5ELNS1_11target_archE942ELNS1_3gpuE9ELNS1_3repE0EEENS1_30default_config_static_selectorELNS0_4arch9wavefront6targetE1EEEvT1_
    .private_segment_fixed_size: 0
    .sgpr_count:     4
    .sgpr_spill_count: 0
    .symbol:         _ZN7rocprim17ROCPRIM_400000_NS6detail17trampoline_kernelINS0_14default_configENS1_20scan_config_selectorIN3c107complexIfEEEEZZNS1_9scan_implILNS1_25lookback_scan_determinismE0ELb0ELb0ES3_PKS7_PS7_S7_ZZZN2at6native31launch_logcumsumexp_cuda_kernelERKNSE_10TensorBaseESI_lENKUlvE_clEvENKUlvE2_clEvEUlS7_S7_E_S7_EEDaPvRmT3_T4_T5_mT6_P12ihipStream_tbENKUlT_T0_E_clISt17integral_constantIbLb1EESY_IbLb0EEEEDaSU_SV_EUlSU_E_NS1_11comp_targetILNS1_3genE5ELNS1_11target_archE942ELNS1_3gpuE9ELNS1_3repE0EEENS1_30default_config_static_selectorELNS0_4arch9wavefront6targetE1EEEvT1_.kd
    .uniform_work_group_size: 1
    .uses_dynamic_stack: false
    .vgpr_count:     0
    .vgpr_spill_count: 0
    .wavefront_size: 64
  - .args:
      - .offset:         0
        .size:           104
        .value_kind:     by_value
    .group_segment_fixed_size: 0
    .kernarg_segment_align: 8
    .kernarg_segment_size: 104
    .language:       OpenCL C
    .language_version:
      - 2
      - 0
    .max_flat_workgroup_size: 128
    .name:           _ZN7rocprim17ROCPRIM_400000_NS6detail17trampoline_kernelINS0_14default_configENS1_20scan_config_selectorIN3c107complexIfEEEEZZNS1_9scan_implILNS1_25lookback_scan_determinismE0ELb0ELb0ES3_PKS7_PS7_S7_ZZZN2at6native31launch_logcumsumexp_cuda_kernelERKNSE_10TensorBaseESI_lENKUlvE_clEvENKUlvE2_clEvEUlS7_S7_E_S7_EEDaPvRmT3_T4_T5_mT6_P12ihipStream_tbENKUlT_T0_E_clISt17integral_constantIbLb1EESY_IbLb0EEEEDaSU_SV_EUlSU_E_NS1_11comp_targetILNS1_3genE4ELNS1_11target_archE910ELNS1_3gpuE8ELNS1_3repE0EEENS1_30default_config_static_selectorELNS0_4arch9wavefront6targetE1EEEvT1_
    .private_segment_fixed_size: 0
    .sgpr_count:     4
    .sgpr_spill_count: 0
    .symbol:         _ZN7rocprim17ROCPRIM_400000_NS6detail17trampoline_kernelINS0_14default_configENS1_20scan_config_selectorIN3c107complexIfEEEEZZNS1_9scan_implILNS1_25lookback_scan_determinismE0ELb0ELb0ES3_PKS7_PS7_S7_ZZZN2at6native31launch_logcumsumexp_cuda_kernelERKNSE_10TensorBaseESI_lENKUlvE_clEvENKUlvE2_clEvEUlS7_S7_E_S7_EEDaPvRmT3_T4_T5_mT6_P12ihipStream_tbENKUlT_T0_E_clISt17integral_constantIbLb1EESY_IbLb0EEEEDaSU_SV_EUlSU_E_NS1_11comp_targetILNS1_3genE4ELNS1_11target_archE910ELNS1_3gpuE8ELNS1_3repE0EEENS1_30default_config_static_selectorELNS0_4arch9wavefront6targetE1EEEvT1_.kd
    .uniform_work_group_size: 1
    .uses_dynamic_stack: false
    .vgpr_count:     0
    .vgpr_spill_count: 0
    .wavefront_size: 64
  - .args:
      - .offset:         0
        .size:           104
        .value_kind:     by_value
    .group_segment_fixed_size: 0
    .kernarg_segment_align: 8
    .kernarg_segment_size: 104
    .language:       OpenCL C
    .language_version:
      - 2
      - 0
    .max_flat_workgroup_size: 256
    .name:           _ZN7rocprim17ROCPRIM_400000_NS6detail17trampoline_kernelINS0_14default_configENS1_20scan_config_selectorIN3c107complexIfEEEEZZNS1_9scan_implILNS1_25lookback_scan_determinismE0ELb0ELb0ES3_PKS7_PS7_S7_ZZZN2at6native31launch_logcumsumexp_cuda_kernelERKNSE_10TensorBaseESI_lENKUlvE_clEvENKUlvE2_clEvEUlS7_S7_E_S7_EEDaPvRmT3_T4_T5_mT6_P12ihipStream_tbENKUlT_T0_E_clISt17integral_constantIbLb1EESY_IbLb0EEEEDaSU_SV_EUlSU_E_NS1_11comp_targetILNS1_3genE3ELNS1_11target_archE908ELNS1_3gpuE7ELNS1_3repE0EEENS1_30default_config_static_selectorELNS0_4arch9wavefront6targetE1EEEvT1_
    .private_segment_fixed_size: 0
    .sgpr_count:     4
    .sgpr_spill_count: 0
    .symbol:         _ZN7rocprim17ROCPRIM_400000_NS6detail17trampoline_kernelINS0_14default_configENS1_20scan_config_selectorIN3c107complexIfEEEEZZNS1_9scan_implILNS1_25lookback_scan_determinismE0ELb0ELb0ES3_PKS7_PS7_S7_ZZZN2at6native31launch_logcumsumexp_cuda_kernelERKNSE_10TensorBaseESI_lENKUlvE_clEvENKUlvE2_clEvEUlS7_S7_E_S7_EEDaPvRmT3_T4_T5_mT6_P12ihipStream_tbENKUlT_T0_E_clISt17integral_constantIbLb1EESY_IbLb0EEEEDaSU_SV_EUlSU_E_NS1_11comp_targetILNS1_3genE3ELNS1_11target_archE908ELNS1_3gpuE7ELNS1_3repE0EEENS1_30default_config_static_selectorELNS0_4arch9wavefront6targetE1EEEvT1_.kd
    .uniform_work_group_size: 1
    .uses_dynamic_stack: false
    .vgpr_count:     0
    .vgpr_spill_count: 0
    .wavefront_size: 64
  - .args:
      - .offset:         0
        .size:           104
        .value_kind:     by_value
    .group_segment_fixed_size: 0
    .kernarg_segment_align: 8
    .kernarg_segment_size: 104
    .language:       OpenCL C
    .language_version:
      - 2
      - 0
    .max_flat_workgroup_size: 64
    .name:           _ZN7rocprim17ROCPRIM_400000_NS6detail17trampoline_kernelINS0_14default_configENS1_20scan_config_selectorIN3c107complexIfEEEEZZNS1_9scan_implILNS1_25lookback_scan_determinismE0ELb0ELb0ES3_PKS7_PS7_S7_ZZZN2at6native31launch_logcumsumexp_cuda_kernelERKNSE_10TensorBaseESI_lENKUlvE_clEvENKUlvE2_clEvEUlS7_S7_E_S7_EEDaPvRmT3_T4_T5_mT6_P12ihipStream_tbENKUlT_T0_E_clISt17integral_constantIbLb1EESY_IbLb0EEEEDaSU_SV_EUlSU_E_NS1_11comp_targetILNS1_3genE2ELNS1_11target_archE906ELNS1_3gpuE6ELNS1_3repE0EEENS1_30default_config_static_selectorELNS0_4arch9wavefront6targetE1EEEvT1_
    .private_segment_fixed_size: 0
    .sgpr_count:     4
    .sgpr_spill_count: 0
    .symbol:         _ZN7rocprim17ROCPRIM_400000_NS6detail17trampoline_kernelINS0_14default_configENS1_20scan_config_selectorIN3c107complexIfEEEEZZNS1_9scan_implILNS1_25lookback_scan_determinismE0ELb0ELb0ES3_PKS7_PS7_S7_ZZZN2at6native31launch_logcumsumexp_cuda_kernelERKNSE_10TensorBaseESI_lENKUlvE_clEvENKUlvE2_clEvEUlS7_S7_E_S7_EEDaPvRmT3_T4_T5_mT6_P12ihipStream_tbENKUlT_T0_E_clISt17integral_constantIbLb1EESY_IbLb0EEEEDaSU_SV_EUlSU_E_NS1_11comp_targetILNS1_3genE2ELNS1_11target_archE906ELNS1_3gpuE6ELNS1_3repE0EEENS1_30default_config_static_selectorELNS0_4arch9wavefront6targetE1EEEvT1_.kd
    .uniform_work_group_size: 1
    .uses_dynamic_stack: false
    .vgpr_count:     0
    .vgpr_spill_count: 0
    .wavefront_size: 64
  - .args:
      - .offset:         0
        .size:           104
        .value_kind:     by_value
    .group_segment_fixed_size: 0
    .kernarg_segment_align: 8
    .kernarg_segment_size: 104
    .language:       OpenCL C
    .language_version:
      - 2
      - 0
    .max_flat_workgroup_size: 256
    .name:           _ZN7rocprim17ROCPRIM_400000_NS6detail17trampoline_kernelINS0_14default_configENS1_20scan_config_selectorIN3c107complexIfEEEEZZNS1_9scan_implILNS1_25lookback_scan_determinismE0ELb0ELb0ES3_PKS7_PS7_S7_ZZZN2at6native31launch_logcumsumexp_cuda_kernelERKNSE_10TensorBaseESI_lENKUlvE_clEvENKUlvE2_clEvEUlS7_S7_E_S7_EEDaPvRmT3_T4_T5_mT6_P12ihipStream_tbENKUlT_T0_E_clISt17integral_constantIbLb1EESY_IbLb0EEEEDaSU_SV_EUlSU_E_NS1_11comp_targetILNS1_3genE10ELNS1_11target_archE1201ELNS1_3gpuE5ELNS1_3repE0EEENS1_30default_config_static_selectorELNS0_4arch9wavefront6targetE1EEEvT1_
    .private_segment_fixed_size: 0
    .sgpr_count:     4
    .sgpr_spill_count: 0
    .symbol:         _ZN7rocprim17ROCPRIM_400000_NS6detail17trampoline_kernelINS0_14default_configENS1_20scan_config_selectorIN3c107complexIfEEEEZZNS1_9scan_implILNS1_25lookback_scan_determinismE0ELb0ELb0ES3_PKS7_PS7_S7_ZZZN2at6native31launch_logcumsumexp_cuda_kernelERKNSE_10TensorBaseESI_lENKUlvE_clEvENKUlvE2_clEvEUlS7_S7_E_S7_EEDaPvRmT3_T4_T5_mT6_P12ihipStream_tbENKUlT_T0_E_clISt17integral_constantIbLb1EESY_IbLb0EEEEDaSU_SV_EUlSU_E_NS1_11comp_targetILNS1_3genE10ELNS1_11target_archE1201ELNS1_3gpuE5ELNS1_3repE0EEENS1_30default_config_static_selectorELNS0_4arch9wavefront6targetE1EEEvT1_.kd
    .uniform_work_group_size: 1
    .uses_dynamic_stack: false
    .vgpr_count:     0
    .vgpr_spill_count: 0
    .wavefront_size: 64
  - .args:
      - .offset:         0
        .size:           104
        .value_kind:     by_value
    .group_segment_fixed_size: 0
    .kernarg_segment_align: 8
    .kernarg_segment_size: 104
    .language:       OpenCL C
    .language_version:
      - 2
      - 0
    .max_flat_workgroup_size: 256
    .name:           _ZN7rocprim17ROCPRIM_400000_NS6detail17trampoline_kernelINS0_14default_configENS1_20scan_config_selectorIN3c107complexIfEEEEZZNS1_9scan_implILNS1_25lookback_scan_determinismE0ELb0ELb0ES3_PKS7_PS7_S7_ZZZN2at6native31launch_logcumsumexp_cuda_kernelERKNSE_10TensorBaseESI_lENKUlvE_clEvENKUlvE2_clEvEUlS7_S7_E_S7_EEDaPvRmT3_T4_T5_mT6_P12ihipStream_tbENKUlT_T0_E_clISt17integral_constantIbLb1EESY_IbLb0EEEEDaSU_SV_EUlSU_E_NS1_11comp_targetILNS1_3genE10ELNS1_11target_archE1200ELNS1_3gpuE4ELNS1_3repE0EEENS1_30default_config_static_selectorELNS0_4arch9wavefront6targetE1EEEvT1_
    .private_segment_fixed_size: 0
    .sgpr_count:     4
    .sgpr_spill_count: 0
    .symbol:         _ZN7rocprim17ROCPRIM_400000_NS6detail17trampoline_kernelINS0_14default_configENS1_20scan_config_selectorIN3c107complexIfEEEEZZNS1_9scan_implILNS1_25lookback_scan_determinismE0ELb0ELb0ES3_PKS7_PS7_S7_ZZZN2at6native31launch_logcumsumexp_cuda_kernelERKNSE_10TensorBaseESI_lENKUlvE_clEvENKUlvE2_clEvEUlS7_S7_E_S7_EEDaPvRmT3_T4_T5_mT6_P12ihipStream_tbENKUlT_T0_E_clISt17integral_constantIbLb1EESY_IbLb0EEEEDaSU_SV_EUlSU_E_NS1_11comp_targetILNS1_3genE10ELNS1_11target_archE1200ELNS1_3gpuE4ELNS1_3repE0EEENS1_30default_config_static_selectorELNS0_4arch9wavefront6targetE1EEEvT1_.kd
    .uniform_work_group_size: 1
    .uses_dynamic_stack: false
    .vgpr_count:     0
    .vgpr_spill_count: 0
    .wavefront_size: 64
  - .args:
      - .offset:         0
        .size:           104
        .value_kind:     by_value
    .group_segment_fixed_size: 0
    .kernarg_segment_align: 8
    .kernarg_segment_size: 104
    .language:       OpenCL C
    .language_version:
      - 2
      - 0
    .max_flat_workgroup_size: 256
    .name:           _ZN7rocprim17ROCPRIM_400000_NS6detail17trampoline_kernelINS0_14default_configENS1_20scan_config_selectorIN3c107complexIfEEEEZZNS1_9scan_implILNS1_25lookback_scan_determinismE0ELb0ELb0ES3_PKS7_PS7_S7_ZZZN2at6native31launch_logcumsumexp_cuda_kernelERKNSE_10TensorBaseESI_lENKUlvE_clEvENKUlvE2_clEvEUlS7_S7_E_S7_EEDaPvRmT3_T4_T5_mT6_P12ihipStream_tbENKUlT_T0_E_clISt17integral_constantIbLb1EESY_IbLb0EEEEDaSU_SV_EUlSU_E_NS1_11comp_targetILNS1_3genE9ELNS1_11target_archE1100ELNS1_3gpuE3ELNS1_3repE0EEENS1_30default_config_static_selectorELNS0_4arch9wavefront6targetE1EEEvT1_
    .private_segment_fixed_size: 0
    .sgpr_count:     4
    .sgpr_spill_count: 0
    .symbol:         _ZN7rocprim17ROCPRIM_400000_NS6detail17trampoline_kernelINS0_14default_configENS1_20scan_config_selectorIN3c107complexIfEEEEZZNS1_9scan_implILNS1_25lookback_scan_determinismE0ELb0ELb0ES3_PKS7_PS7_S7_ZZZN2at6native31launch_logcumsumexp_cuda_kernelERKNSE_10TensorBaseESI_lENKUlvE_clEvENKUlvE2_clEvEUlS7_S7_E_S7_EEDaPvRmT3_T4_T5_mT6_P12ihipStream_tbENKUlT_T0_E_clISt17integral_constantIbLb1EESY_IbLb0EEEEDaSU_SV_EUlSU_E_NS1_11comp_targetILNS1_3genE9ELNS1_11target_archE1100ELNS1_3gpuE3ELNS1_3repE0EEENS1_30default_config_static_selectorELNS0_4arch9wavefront6targetE1EEEvT1_.kd
    .uniform_work_group_size: 1
    .uses_dynamic_stack: false
    .vgpr_count:     0
    .vgpr_spill_count: 0
    .wavefront_size: 64
  - .args:
      - .offset:         0
        .size:           104
        .value_kind:     by_value
    .group_segment_fixed_size: 0
    .kernarg_segment_align: 8
    .kernarg_segment_size: 104
    .language:       OpenCL C
    .language_version:
      - 2
      - 0
    .max_flat_workgroup_size: 256
    .name:           _ZN7rocprim17ROCPRIM_400000_NS6detail17trampoline_kernelINS0_14default_configENS1_20scan_config_selectorIN3c107complexIfEEEEZZNS1_9scan_implILNS1_25lookback_scan_determinismE0ELb0ELb0ES3_PKS7_PS7_S7_ZZZN2at6native31launch_logcumsumexp_cuda_kernelERKNSE_10TensorBaseESI_lENKUlvE_clEvENKUlvE2_clEvEUlS7_S7_E_S7_EEDaPvRmT3_T4_T5_mT6_P12ihipStream_tbENKUlT_T0_E_clISt17integral_constantIbLb1EESY_IbLb0EEEEDaSU_SV_EUlSU_E_NS1_11comp_targetILNS1_3genE8ELNS1_11target_archE1030ELNS1_3gpuE2ELNS1_3repE0EEENS1_30default_config_static_selectorELNS0_4arch9wavefront6targetE1EEEvT1_
    .private_segment_fixed_size: 0
    .sgpr_count:     4
    .sgpr_spill_count: 0
    .symbol:         _ZN7rocprim17ROCPRIM_400000_NS6detail17trampoline_kernelINS0_14default_configENS1_20scan_config_selectorIN3c107complexIfEEEEZZNS1_9scan_implILNS1_25lookback_scan_determinismE0ELb0ELb0ES3_PKS7_PS7_S7_ZZZN2at6native31launch_logcumsumexp_cuda_kernelERKNSE_10TensorBaseESI_lENKUlvE_clEvENKUlvE2_clEvEUlS7_S7_E_S7_EEDaPvRmT3_T4_T5_mT6_P12ihipStream_tbENKUlT_T0_E_clISt17integral_constantIbLb1EESY_IbLb0EEEEDaSU_SV_EUlSU_E_NS1_11comp_targetILNS1_3genE8ELNS1_11target_archE1030ELNS1_3gpuE2ELNS1_3repE0EEENS1_30default_config_static_selectorELNS0_4arch9wavefront6targetE1EEEvT1_.kd
    .uniform_work_group_size: 1
    .uses_dynamic_stack: false
    .vgpr_count:     0
    .vgpr_spill_count: 0
    .wavefront_size: 64
  - .args:
      - .offset:         0
        .size:           40
        .value_kind:     by_value
    .group_segment_fixed_size: 0
    .kernarg_segment_align: 8
    .kernarg_segment_size: 40
    .language:       OpenCL C
    .language_version:
      - 2
      - 0
    .max_flat_workgroup_size: 256
    .name:           _ZN7rocprim17ROCPRIM_400000_NS6detail17trampoline_kernelINS0_14default_configENS1_20scan_config_selectorIN3c107complexIfEEEEZZNS1_9scan_implILNS1_25lookback_scan_determinismE0ELb0ELb0ES3_PKS7_PS7_S7_ZZZN2at6native31launch_logcumsumexp_cuda_kernelERKNSE_10TensorBaseESI_lENKUlvE_clEvENKUlvE2_clEvEUlS7_S7_E_S7_EEDaPvRmT3_T4_T5_mT6_P12ihipStream_tbENKUlT_T0_E_clISt17integral_constantIbLb1EESY_IbLb0EEEEDaSU_SV_EUlSU_E0_NS1_11comp_targetILNS1_3genE0ELNS1_11target_archE4294967295ELNS1_3gpuE0ELNS1_3repE0EEENS1_30default_config_static_selectorELNS0_4arch9wavefront6targetE1EEEvT1_
    .private_segment_fixed_size: 0
    .sgpr_count:     4
    .sgpr_spill_count: 0
    .symbol:         _ZN7rocprim17ROCPRIM_400000_NS6detail17trampoline_kernelINS0_14default_configENS1_20scan_config_selectorIN3c107complexIfEEEEZZNS1_9scan_implILNS1_25lookback_scan_determinismE0ELb0ELb0ES3_PKS7_PS7_S7_ZZZN2at6native31launch_logcumsumexp_cuda_kernelERKNSE_10TensorBaseESI_lENKUlvE_clEvENKUlvE2_clEvEUlS7_S7_E_S7_EEDaPvRmT3_T4_T5_mT6_P12ihipStream_tbENKUlT_T0_E_clISt17integral_constantIbLb1EESY_IbLb0EEEEDaSU_SV_EUlSU_E0_NS1_11comp_targetILNS1_3genE0ELNS1_11target_archE4294967295ELNS1_3gpuE0ELNS1_3repE0EEENS1_30default_config_static_selectorELNS0_4arch9wavefront6targetE1EEEvT1_.kd
    .uniform_work_group_size: 1
    .uses_dynamic_stack: false
    .vgpr_count:     0
    .vgpr_spill_count: 0
    .wavefront_size: 64
  - .args:
      - .offset:         0
        .size:           40
        .value_kind:     by_value
    .group_segment_fixed_size: 0
    .kernarg_segment_align: 8
    .kernarg_segment_size: 40
    .language:       OpenCL C
    .language_version:
      - 2
      - 0
    .max_flat_workgroup_size: 256
    .name:           _ZN7rocprim17ROCPRIM_400000_NS6detail17trampoline_kernelINS0_14default_configENS1_20scan_config_selectorIN3c107complexIfEEEEZZNS1_9scan_implILNS1_25lookback_scan_determinismE0ELb0ELb0ES3_PKS7_PS7_S7_ZZZN2at6native31launch_logcumsumexp_cuda_kernelERKNSE_10TensorBaseESI_lENKUlvE_clEvENKUlvE2_clEvEUlS7_S7_E_S7_EEDaPvRmT3_T4_T5_mT6_P12ihipStream_tbENKUlT_T0_E_clISt17integral_constantIbLb1EESY_IbLb0EEEEDaSU_SV_EUlSU_E0_NS1_11comp_targetILNS1_3genE5ELNS1_11target_archE942ELNS1_3gpuE9ELNS1_3repE0EEENS1_30default_config_static_selectorELNS0_4arch9wavefront6targetE1EEEvT1_
    .private_segment_fixed_size: 0
    .sgpr_count:     4
    .sgpr_spill_count: 0
    .symbol:         _ZN7rocprim17ROCPRIM_400000_NS6detail17trampoline_kernelINS0_14default_configENS1_20scan_config_selectorIN3c107complexIfEEEEZZNS1_9scan_implILNS1_25lookback_scan_determinismE0ELb0ELb0ES3_PKS7_PS7_S7_ZZZN2at6native31launch_logcumsumexp_cuda_kernelERKNSE_10TensorBaseESI_lENKUlvE_clEvENKUlvE2_clEvEUlS7_S7_E_S7_EEDaPvRmT3_T4_T5_mT6_P12ihipStream_tbENKUlT_T0_E_clISt17integral_constantIbLb1EESY_IbLb0EEEEDaSU_SV_EUlSU_E0_NS1_11comp_targetILNS1_3genE5ELNS1_11target_archE942ELNS1_3gpuE9ELNS1_3repE0EEENS1_30default_config_static_selectorELNS0_4arch9wavefront6targetE1EEEvT1_.kd
    .uniform_work_group_size: 1
    .uses_dynamic_stack: false
    .vgpr_count:     0
    .vgpr_spill_count: 0
    .wavefront_size: 64
  - .args:
      - .offset:         0
        .size:           40
        .value_kind:     by_value
    .group_segment_fixed_size: 0
    .kernarg_segment_align: 8
    .kernarg_segment_size: 40
    .language:       OpenCL C
    .language_version:
      - 2
      - 0
    .max_flat_workgroup_size: 128
    .name:           _ZN7rocprim17ROCPRIM_400000_NS6detail17trampoline_kernelINS0_14default_configENS1_20scan_config_selectorIN3c107complexIfEEEEZZNS1_9scan_implILNS1_25lookback_scan_determinismE0ELb0ELb0ES3_PKS7_PS7_S7_ZZZN2at6native31launch_logcumsumexp_cuda_kernelERKNSE_10TensorBaseESI_lENKUlvE_clEvENKUlvE2_clEvEUlS7_S7_E_S7_EEDaPvRmT3_T4_T5_mT6_P12ihipStream_tbENKUlT_T0_E_clISt17integral_constantIbLb1EESY_IbLb0EEEEDaSU_SV_EUlSU_E0_NS1_11comp_targetILNS1_3genE4ELNS1_11target_archE910ELNS1_3gpuE8ELNS1_3repE0EEENS1_30default_config_static_selectorELNS0_4arch9wavefront6targetE1EEEvT1_
    .private_segment_fixed_size: 0
    .sgpr_count:     4
    .sgpr_spill_count: 0
    .symbol:         _ZN7rocprim17ROCPRIM_400000_NS6detail17trampoline_kernelINS0_14default_configENS1_20scan_config_selectorIN3c107complexIfEEEEZZNS1_9scan_implILNS1_25lookback_scan_determinismE0ELb0ELb0ES3_PKS7_PS7_S7_ZZZN2at6native31launch_logcumsumexp_cuda_kernelERKNSE_10TensorBaseESI_lENKUlvE_clEvENKUlvE2_clEvEUlS7_S7_E_S7_EEDaPvRmT3_T4_T5_mT6_P12ihipStream_tbENKUlT_T0_E_clISt17integral_constantIbLb1EESY_IbLb0EEEEDaSU_SV_EUlSU_E0_NS1_11comp_targetILNS1_3genE4ELNS1_11target_archE910ELNS1_3gpuE8ELNS1_3repE0EEENS1_30default_config_static_selectorELNS0_4arch9wavefront6targetE1EEEvT1_.kd
    .uniform_work_group_size: 1
    .uses_dynamic_stack: false
    .vgpr_count:     0
    .vgpr_spill_count: 0
    .wavefront_size: 64
  - .args:
      - .offset:         0
        .size:           40
        .value_kind:     by_value
    .group_segment_fixed_size: 0
    .kernarg_segment_align: 8
    .kernarg_segment_size: 40
    .language:       OpenCL C
    .language_version:
      - 2
      - 0
    .max_flat_workgroup_size: 256
    .name:           _ZN7rocprim17ROCPRIM_400000_NS6detail17trampoline_kernelINS0_14default_configENS1_20scan_config_selectorIN3c107complexIfEEEEZZNS1_9scan_implILNS1_25lookback_scan_determinismE0ELb0ELb0ES3_PKS7_PS7_S7_ZZZN2at6native31launch_logcumsumexp_cuda_kernelERKNSE_10TensorBaseESI_lENKUlvE_clEvENKUlvE2_clEvEUlS7_S7_E_S7_EEDaPvRmT3_T4_T5_mT6_P12ihipStream_tbENKUlT_T0_E_clISt17integral_constantIbLb1EESY_IbLb0EEEEDaSU_SV_EUlSU_E0_NS1_11comp_targetILNS1_3genE3ELNS1_11target_archE908ELNS1_3gpuE7ELNS1_3repE0EEENS1_30default_config_static_selectorELNS0_4arch9wavefront6targetE1EEEvT1_
    .private_segment_fixed_size: 0
    .sgpr_count:     4
    .sgpr_spill_count: 0
    .symbol:         _ZN7rocprim17ROCPRIM_400000_NS6detail17trampoline_kernelINS0_14default_configENS1_20scan_config_selectorIN3c107complexIfEEEEZZNS1_9scan_implILNS1_25lookback_scan_determinismE0ELb0ELb0ES3_PKS7_PS7_S7_ZZZN2at6native31launch_logcumsumexp_cuda_kernelERKNSE_10TensorBaseESI_lENKUlvE_clEvENKUlvE2_clEvEUlS7_S7_E_S7_EEDaPvRmT3_T4_T5_mT6_P12ihipStream_tbENKUlT_T0_E_clISt17integral_constantIbLb1EESY_IbLb0EEEEDaSU_SV_EUlSU_E0_NS1_11comp_targetILNS1_3genE3ELNS1_11target_archE908ELNS1_3gpuE7ELNS1_3repE0EEENS1_30default_config_static_selectorELNS0_4arch9wavefront6targetE1EEEvT1_.kd
    .uniform_work_group_size: 1
    .uses_dynamic_stack: false
    .vgpr_count:     0
    .vgpr_spill_count: 0
    .wavefront_size: 64
  - .args:
      - .offset:         0
        .size:           40
        .value_kind:     by_value
    .group_segment_fixed_size: 7168
    .kernarg_segment_align: 8
    .kernarg_segment_size: 40
    .language:       OpenCL C
    .language_version:
      - 2
      - 0
    .max_flat_workgroup_size: 64
    .name:           _ZN7rocprim17ROCPRIM_400000_NS6detail17trampoline_kernelINS0_14default_configENS1_20scan_config_selectorIN3c107complexIfEEEEZZNS1_9scan_implILNS1_25lookback_scan_determinismE0ELb0ELb0ES3_PKS7_PS7_S7_ZZZN2at6native31launch_logcumsumexp_cuda_kernelERKNSE_10TensorBaseESI_lENKUlvE_clEvENKUlvE2_clEvEUlS7_S7_E_S7_EEDaPvRmT3_T4_T5_mT6_P12ihipStream_tbENKUlT_T0_E_clISt17integral_constantIbLb1EESY_IbLb0EEEEDaSU_SV_EUlSU_E0_NS1_11comp_targetILNS1_3genE2ELNS1_11target_archE906ELNS1_3gpuE6ELNS1_3repE0EEENS1_30default_config_static_selectorELNS0_4arch9wavefront6targetE1EEEvT1_
    .private_segment_fixed_size: 0
    .sgpr_count:     62
    .sgpr_spill_count: 0
    .symbol:         _ZN7rocprim17ROCPRIM_400000_NS6detail17trampoline_kernelINS0_14default_configENS1_20scan_config_selectorIN3c107complexIfEEEEZZNS1_9scan_implILNS1_25lookback_scan_determinismE0ELb0ELb0ES3_PKS7_PS7_S7_ZZZN2at6native31launch_logcumsumexp_cuda_kernelERKNSE_10TensorBaseESI_lENKUlvE_clEvENKUlvE2_clEvEUlS7_S7_E_S7_EEDaPvRmT3_T4_T5_mT6_P12ihipStream_tbENKUlT_T0_E_clISt17integral_constantIbLb1EESY_IbLb0EEEEDaSU_SV_EUlSU_E0_NS1_11comp_targetILNS1_3genE2ELNS1_11target_archE906ELNS1_3gpuE6ELNS1_3repE0EEENS1_30default_config_static_selectorELNS0_4arch9wavefront6targetE1EEEvT1_.kd
    .uniform_work_group_size: 1
    .uses_dynamic_stack: false
    .vgpr_count:     80
    .vgpr_spill_count: 0
    .wavefront_size: 64
  - .args:
      - .offset:         0
        .size:           40
        .value_kind:     by_value
    .group_segment_fixed_size: 0
    .kernarg_segment_align: 8
    .kernarg_segment_size: 40
    .language:       OpenCL C
    .language_version:
      - 2
      - 0
    .max_flat_workgroup_size: 256
    .name:           _ZN7rocprim17ROCPRIM_400000_NS6detail17trampoline_kernelINS0_14default_configENS1_20scan_config_selectorIN3c107complexIfEEEEZZNS1_9scan_implILNS1_25lookback_scan_determinismE0ELb0ELb0ES3_PKS7_PS7_S7_ZZZN2at6native31launch_logcumsumexp_cuda_kernelERKNSE_10TensorBaseESI_lENKUlvE_clEvENKUlvE2_clEvEUlS7_S7_E_S7_EEDaPvRmT3_T4_T5_mT6_P12ihipStream_tbENKUlT_T0_E_clISt17integral_constantIbLb1EESY_IbLb0EEEEDaSU_SV_EUlSU_E0_NS1_11comp_targetILNS1_3genE10ELNS1_11target_archE1201ELNS1_3gpuE5ELNS1_3repE0EEENS1_30default_config_static_selectorELNS0_4arch9wavefront6targetE1EEEvT1_
    .private_segment_fixed_size: 0
    .sgpr_count:     4
    .sgpr_spill_count: 0
    .symbol:         _ZN7rocprim17ROCPRIM_400000_NS6detail17trampoline_kernelINS0_14default_configENS1_20scan_config_selectorIN3c107complexIfEEEEZZNS1_9scan_implILNS1_25lookback_scan_determinismE0ELb0ELb0ES3_PKS7_PS7_S7_ZZZN2at6native31launch_logcumsumexp_cuda_kernelERKNSE_10TensorBaseESI_lENKUlvE_clEvENKUlvE2_clEvEUlS7_S7_E_S7_EEDaPvRmT3_T4_T5_mT6_P12ihipStream_tbENKUlT_T0_E_clISt17integral_constantIbLb1EESY_IbLb0EEEEDaSU_SV_EUlSU_E0_NS1_11comp_targetILNS1_3genE10ELNS1_11target_archE1201ELNS1_3gpuE5ELNS1_3repE0EEENS1_30default_config_static_selectorELNS0_4arch9wavefront6targetE1EEEvT1_.kd
    .uniform_work_group_size: 1
    .uses_dynamic_stack: false
    .vgpr_count:     0
    .vgpr_spill_count: 0
    .wavefront_size: 64
  - .args:
      - .offset:         0
        .size:           40
        .value_kind:     by_value
    .group_segment_fixed_size: 0
    .kernarg_segment_align: 8
    .kernarg_segment_size: 40
    .language:       OpenCL C
    .language_version:
      - 2
      - 0
    .max_flat_workgroup_size: 256
    .name:           _ZN7rocprim17ROCPRIM_400000_NS6detail17trampoline_kernelINS0_14default_configENS1_20scan_config_selectorIN3c107complexIfEEEEZZNS1_9scan_implILNS1_25lookback_scan_determinismE0ELb0ELb0ES3_PKS7_PS7_S7_ZZZN2at6native31launch_logcumsumexp_cuda_kernelERKNSE_10TensorBaseESI_lENKUlvE_clEvENKUlvE2_clEvEUlS7_S7_E_S7_EEDaPvRmT3_T4_T5_mT6_P12ihipStream_tbENKUlT_T0_E_clISt17integral_constantIbLb1EESY_IbLb0EEEEDaSU_SV_EUlSU_E0_NS1_11comp_targetILNS1_3genE10ELNS1_11target_archE1200ELNS1_3gpuE4ELNS1_3repE0EEENS1_30default_config_static_selectorELNS0_4arch9wavefront6targetE1EEEvT1_
    .private_segment_fixed_size: 0
    .sgpr_count:     4
    .sgpr_spill_count: 0
    .symbol:         _ZN7rocprim17ROCPRIM_400000_NS6detail17trampoline_kernelINS0_14default_configENS1_20scan_config_selectorIN3c107complexIfEEEEZZNS1_9scan_implILNS1_25lookback_scan_determinismE0ELb0ELb0ES3_PKS7_PS7_S7_ZZZN2at6native31launch_logcumsumexp_cuda_kernelERKNSE_10TensorBaseESI_lENKUlvE_clEvENKUlvE2_clEvEUlS7_S7_E_S7_EEDaPvRmT3_T4_T5_mT6_P12ihipStream_tbENKUlT_T0_E_clISt17integral_constantIbLb1EESY_IbLb0EEEEDaSU_SV_EUlSU_E0_NS1_11comp_targetILNS1_3genE10ELNS1_11target_archE1200ELNS1_3gpuE4ELNS1_3repE0EEENS1_30default_config_static_selectorELNS0_4arch9wavefront6targetE1EEEvT1_.kd
    .uniform_work_group_size: 1
    .uses_dynamic_stack: false
    .vgpr_count:     0
    .vgpr_spill_count: 0
    .wavefront_size: 64
  - .args:
      - .offset:         0
        .size:           40
        .value_kind:     by_value
    .group_segment_fixed_size: 0
    .kernarg_segment_align: 8
    .kernarg_segment_size: 40
    .language:       OpenCL C
    .language_version:
      - 2
      - 0
    .max_flat_workgroup_size: 256
    .name:           _ZN7rocprim17ROCPRIM_400000_NS6detail17trampoline_kernelINS0_14default_configENS1_20scan_config_selectorIN3c107complexIfEEEEZZNS1_9scan_implILNS1_25lookback_scan_determinismE0ELb0ELb0ES3_PKS7_PS7_S7_ZZZN2at6native31launch_logcumsumexp_cuda_kernelERKNSE_10TensorBaseESI_lENKUlvE_clEvENKUlvE2_clEvEUlS7_S7_E_S7_EEDaPvRmT3_T4_T5_mT6_P12ihipStream_tbENKUlT_T0_E_clISt17integral_constantIbLb1EESY_IbLb0EEEEDaSU_SV_EUlSU_E0_NS1_11comp_targetILNS1_3genE9ELNS1_11target_archE1100ELNS1_3gpuE3ELNS1_3repE0EEENS1_30default_config_static_selectorELNS0_4arch9wavefront6targetE1EEEvT1_
    .private_segment_fixed_size: 0
    .sgpr_count:     4
    .sgpr_spill_count: 0
    .symbol:         _ZN7rocprim17ROCPRIM_400000_NS6detail17trampoline_kernelINS0_14default_configENS1_20scan_config_selectorIN3c107complexIfEEEEZZNS1_9scan_implILNS1_25lookback_scan_determinismE0ELb0ELb0ES3_PKS7_PS7_S7_ZZZN2at6native31launch_logcumsumexp_cuda_kernelERKNSE_10TensorBaseESI_lENKUlvE_clEvENKUlvE2_clEvEUlS7_S7_E_S7_EEDaPvRmT3_T4_T5_mT6_P12ihipStream_tbENKUlT_T0_E_clISt17integral_constantIbLb1EESY_IbLb0EEEEDaSU_SV_EUlSU_E0_NS1_11comp_targetILNS1_3genE9ELNS1_11target_archE1100ELNS1_3gpuE3ELNS1_3repE0EEENS1_30default_config_static_selectorELNS0_4arch9wavefront6targetE1EEEvT1_.kd
    .uniform_work_group_size: 1
    .uses_dynamic_stack: false
    .vgpr_count:     0
    .vgpr_spill_count: 0
    .wavefront_size: 64
  - .args:
      - .offset:         0
        .size:           40
        .value_kind:     by_value
    .group_segment_fixed_size: 0
    .kernarg_segment_align: 8
    .kernarg_segment_size: 40
    .language:       OpenCL C
    .language_version:
      - 2
      - 0
    .max_flat_workgroup_size: 256
    .name:           _ZN7rocprim17ROCPRIM_400000_NS6detail17trampoline_kernelINS0_14default_configENS1_20scan_config_selectorIN3c107complexIfEEEEZZNS1_9scan_implILNS1_25lookback_scan_determinismE0ELb0ELb0ES3_PKS7_PS7_S7_ZZZN2at6native31launch_logcumsumexp_cuda_kernelERKNSE_10TensorBaseESI_lENKUlvE_clEvENKUlvE2_clEvEUlS7_S7_E_S7_EEDaPvRmT3_T4_T5_mT6_P12ihipStream_tbENKUlT_T0_E_clISt17integral_constantIbLb1EESY_IbLb0EEEEDaSU_SV_EUlSU_E0_NS1_11comp_targetILNS1_3genE8ELNS1_11target_archE1030ELNS1_3gpuE2ELNS1_3repE0EEENS1_30default_config_static_selectorELNS0_4arch9wavefront6targetE1EEEvT1_
    .private_segment_fixed_size: 0
    .sgpr_count:     4
    .sgpr_spill_count: 0
    .symbol:         _ZN7rocprim17ROCPRIM_400000_NS6detail17trampoline_kernelINS0_14default_configENS1_20scan_config_selectorIN3c107complexIfEEEEZZNS1_9scan_implILNS1_25lookback_scan_determinismE0ELb0ELb0ES3_PKS7_PS7_S7_ZZZN2at6native31launch_logcumsumexp_cuda_kernelERKNSE_10TensorBaseESI_lENKUlvE_clEvENKUlvE2_clEvEUlS7_S7_E_S7_EEDaPvRmT3_T4_T5_mT6_P12ihipStream_tbENKUlT_T0_E_clISt17integral_constantIbLb1EESY_IbLb0EEEEDaSU_SV_EUlSU_E0_NS1_11comp_targetILNS1_3genE8ELNS1_11target_archE1030ELNS1_3gpuE2ELNS1_3repE0EEENS1_30default_config_static_selectorELNS0_4arch9wavefront6targetE1EEEvT1_.kd
    .uniform_work_group_size: 1
    .uses_dynamic_stack: false
    .vgpr_count:     0
    .vgpr_spill_count: 0
    .wavefront_size: 64
  - .args:
      - .address_space:  global
        .offset:         0
        .size:           8
        .value_kind:     global_buffer
      - .offset:         8
        .size:           4
        .value_kind:     by_value
      - .address_space:  global
        .offset:         16
        .size:           8
        .value_kind:     global_buffer
      - .offset:         24
        .size:           4
        .value_kind:     by_value
      - .address_space:  global
        .offset:         32
        .size:           8
        .value_kind:     global_buffer
      - .offset:         40
        .size:           4
        .value_kind:     hidden_block_count_x
      - .offset:         44
        .size:           4
        .value_kind:     hidden_block_count_y
      - .offset:         48
        .size:           4
        .value_kind:     hidden_block_count_z
      - .offset:         52
        .size:           2
        .value_kind:     hidden_group_size_x
      - .offset:         54
        .size:           2
        .value_kind:     hidden_group_size_y
      - .offset:         56
        .size:           2
        .value_kind:     hidden_group_size_z
      - .offset:         58
        .size:           2
        .value_kind:     hidden_remainder_x
      - .offset:         60
        .size:           2
        .value_kind:     hidden_remainder_y
      - .offset:         62
        .size:           2
        .value_kind:     hidden_remainder_z
      - .offset:         80
        .size:           8
        .value_kind:     hidden_global_offset_x
      - .offset:         88
        .size:           8
        .value_kind:     hidden_global_offset_y
      - .offset:         96
        .size:           8
        .value_kind:     hidden_global_offset_z
      - .offset:         104
        .size:           2
        .value_kind:     hidden_grid_dims
    .group_segment_fixed_size: 0
    .kernarg_segment_align: 8
    .kernarg_segment_size: 296
    .language:       OpenCL C
    .language_version:
      - 2
      - 0
    .max_flat_workgroup_size: 256
    .name:           _ZN7rocprim17ROCPRIM_400000_NS6detail31init_lookback_scan_state_kernelINS1_19lookback_scan_stateIN3c107complexIfEELb0ELb1EEENS1_16block_id_wrapperIjLb1EEEEEvT_jT0_jPNSA_10value_typeE
    .private_segment_fixed_size: 0
    .sgpr_count:     19
    .sgpr_spill_count: 0
    .symbol:         _ZN7rocprim17ROCPRIM_400000_NS6detail31init_lookback_scan_state_kernelINS1_19lookback_scan_stateIN3c107complexIfEELb0ELb1EEENS1_16block_id_wrapperIjLb1EEEEEvT_jT0_jPNSA_10value_typeE.kd
    .uniform_work_group_size: 1
    .uses_dynamic_stack: false
    .vgpr_count:     8
    .vgpr_spill_count: 0
    .wavefront_size: 64
  - .args:
      - .offset:         0
        .size:           104
        .value_kind:     by_value
    .group_segment_fixed_size: 0
    .kernarg_segment_align: 8
    .kernarg_segment_size: 104
    .language:       OpenCL C
    .language_version:
      - 2
      - 0
    .max_flat_workgroup_size: 256
    .name:           _ZN7rocprim17ROCPRIM_400000_NS6detail17trampoline_kernelINS0_14default_configENS1_20scan_config_selectorIN3c107complexIfEEEEZZNS1_9scan_implILNS1_25lookback_scan_determinismE0ELb0ELb0ES3_PKS7_PS7_S7_ZZZN2at6native31launch_logcumsumexp_cuda_kernelERKNSE_10TensorBaseESI_lENKUlvE_clEvENKUlvE2_clEvEUlS7_S7_E_S7_EEDaPvRmT3_T4_T5_mT6_P12ihipStream_tbENKUlT_T0_E_clISt17integral_constantIbLb0EESY_IbLb1EEEEDaSU_SV_EUlSU_E_NS1_11comp_targetILNS1_3genE0ELNS1_11target_archE4294967295ELNS1_3gpuE0ELNS1_3repE0EEENS1_30default_config_static_selectorELNS0_4arch9wavefront6targetE1EEEvT1_
    .private_segment_fixed_size: 0
    .sgpr_count:     4
    .sgpr_spill_count: 0
    .symbol:         _ZN7rocprim17ROCPRIM_400000_NS6detail17trampoline_kernelINS0_14default_configENS1_20scan_config_selectorIN3c107complexIfEEEEZZNS1_9scan_implILNS1_25lookback_scan_determinismE0ELb0ELb0ES3_PKS7_PS7_S7_ZZZN2at6native31launch_logcumsumexp_cuda_kernelERKNSE_10TensorBaseESI_lENKUlvE_clEvENKUlvE2_clEvEUlS7_S7_E_S7_EEDaPvRmT3_T4_T5_mT6_P12ihipStream_tbENKUlT_T0_E_clISt17integral_constantIbLb0EESY_IbLb1EEEEDaSU_SV_EUlSU_E_NS1_11comp_targetILNS1_3genE0ELNS1_11target_archE4294967295ELNS1_3gpuE0ELNS1_3repE0EEENS1_30default_config_static_selectorELNS0_4arch9wavefront6targetE1EEEvT1_.kd
    .uniform_work_group_size: 1
    .uses_dynamic_stack: false
    .vgpr_count:     0
    .vgpr_spill_count: 0
    .wavefront_size: 64
  - .args:
      - .offset:         0
        .size:           104
        .value_kind:     by_value
    .group_segment_fixed_size: 0
    .kernarg_segment_align: 8
    .kernarg_segment_size: 104
    .language:       OpenCL C
    .language_version:
      - 2
      - 0
    .max_flat_workgroup_size: 256
    .name:           _ZN7rocprim17ROCPRIM_400000_NS6detail17trampoline_kernelINS0_14default_configENS1_20scan_config_selectorIN3c107complexIfEEEEZZNS1_9scan_implILNS1_25lookback_scan_determinismE0ELb0ELb0ES3_PKS7_PS7_S7_ZZZN2at6native31launch_logcumsumexp_cuda_kernelERKNSE_10TensorBaseESI_lENKUlvE_clEvENKUlvE2_clEvEUlS7_S7_E_S7_EEDaPvRmT3_T4_T5_mT6_P12ihipStream_tbENKUlT_T0_E_clISt17integral_constantIbLb0EESY_IbLb1EEEEDaSU_SV_EUlSU_E_NS1_11comp_targetILNS1_3genE5ELNS1_11target_archE942ELNS1_3gpuE9ELNS1_3repE0EEENS1_30default_config_static_selectorELNS0_4arch9wavefront6targetE1EEEvT1_
    .private_segment_fixed_size: 0
    .sgpr_count:     4
    .sgpr_spill_count: 0
    .symbol:         _ZN7rocprim17ROCPRIM_400000_NS6detail17trampoline_kernelINS0_14default_configENS1_20scan_config_selectorIN3c107complexIfEEEEZZNS1_9scan_implILNS1_25lookback_scan_determinismE0ELb0ELb0ES3_PKS7_PS7_S7_ZZZN2at6native31launch_logcumsumexp_cuda_kernelERKNSE_10TensorBaseESI_lENKUlvE_clEvENKUlvE2_clEvEUlS7_S7_E_S7_EEDaPvRmT3_T4_T5_mT6_P12ihipStream_tbENKUlT_T0_E_clISt17integral_constantIbLb0EESY_IbLb1EEEEDaSU_SV_EUlSU_E_NS1_11comp_targetILNS1_3genE5ELNS1_11target_archE942ELNS1_3gpuE9ELNS1_3repE0EEENS1_30default_config_static_selectorELNS0_4arch9wavefront6targetE1EEEvT1_.kd
    .uniform_work_group_size: 1
    .uses_dynamic_stack: false
    .vgpr_count:     0
    .vgpr_spill_count: 0
    .wavefront_size: 64
  - .args:
      - .offset:         0
        .size:           104
        .value_kind:     by_value
    .group_segment_fixed_size: 0
    .kernarg_segment_align: 8
    .kernarg_segment_size: 104
    .language:       OpenCL C
    .language_version:
      - 2
      - 0
    .max_flat_workgroup_size: 128
    .name:           _ZN7rocprim17ROCPRIM_400000_NS6detail17trampoline_kernelINS0_14default_configENS1_20scan_config_selectorIN3c107complexIfEEEEZZNS1_9scan_implILNS1_25lookback_scan_determinismE0ELb0ELb0ES3_PKS7_PS7_S7_ZZZN2at6native31launch_logcumsumexp_cuda_kernelERKNSE_10TensorBaseESI_lENKUlvE_clEvENKUlvE2_clEvEUlS7_S7_E_S7_EEDaPvRmT3_T4_T5_mT6_P12ihipStream_tbENKUlT_T0_E_clISt17integral_constantIbLb0EESY_IbLb1EEEEDaSU_SV_EUlSU_E_NS1_11comp_targetILNS1_3genE4ELNS1_11target_archE910ELNS1_3gpuE8ELNS1_3repE0EEENS1_30default_config_static_selectorELNS0_4arch9wavefront6targetE1EEEvT1_
    .private_segment_fixed_size: 0
    .sgpr_count:     4
    .sgpr_spill_count: 0
    .symbol:         _ZN7rocprim17ROCPRIM_400000_NS6detail17trampoline_kernelINS0_14default_configENS1_20scan_config_selectorIN3c107complexIfEEEEZZNS1_9scan_implILNS1_25lookback_scan_determinismE0ELb0ELb0ES3_PKS7_PS7_S7_ZZZN2at6native31launch_logcumsumexp_cuda_kernelERKNSE_10TensorBaseESI_lENKUlvE_clEvENKUlvE2_clEvEUlS7_S7_E_S7_EEDaPvRmT3_T4_T5_mT6_P12ihipStream_tbENKUlT_T0_E_clISt17integral_constantIbLb0EESY_IbLb1EEEEDaSU_SV_EUlSU_E_NS1_11comp_targetILNS1_3genE4ELNS1_11target_archE910ELNS1_3gpuE8ELNS1_3repE0EEENS1_30default_config_static_selectorELNS0_4arch9wavefront6targetE1EEEvT1_.kd
    .uniform_work_group_size: 1
    .uses_dynamic_stack: false
    .vgpr_count:     0
    .vgpr_spill_count: 0
    .wavefront_size: 64
  - .args:
      - .offset:         0
        .size:           104
        .value_kind:     by_value
    .group_segment_fixed_size: 0
    .kernarg_segment_align: 8
    .kernarg_segment_size: 104
    .language:       OpenCL C
    .language_version:
      - 2
      - 0
    .max_flat_workgroup_size: 256
    .name:           _ZN7rocprim17ROCPRIM_400000_NS6detail17trampoline_kernelINS0_14default_configENS1_20scan_config_selectorIN3c107complexIfEEEEZZNS1_9scan_implILNS1_25lookback_scan_determinismE0ELb0ELb0ES3_PKS7_PS7_S7_ZZZN2at6native31launch_logcumsumexp_cuda_kernelERKNSE_10TensorBaseESI_lENKUlvE_clEvENKUlvE2_clEvEUlS7_S7_E_S7_EEDaPvRmT3_T4_T5_mT6_P12ihipStream_tbENKUlT_T0_E_clISt17integral_constantIbLb0EESY_IbLb1EEEEDaSU_SV_EUlSU_E_NS1_11comp_targetILNS1_3genE3ELNS1_11target_archE908ELNS1_3gpuE7ELNS1_3repE0EEENS1_30default_config_static_selectorELNS0_4arch9wavefront6targetE1EEEvT1_
    .private_segment_fixed_size: 0
    .sgpr_count:     4
    .sgpr_spill_count: 0
    .symbol:         _ZN7rocprim17ROCPRIM_400000_NS6detail17trampoline_kernelINS0_14default_configENS1_20scan_config_selectorIN3c107complexIfEEEEZZNS1_9scan_implILNS1_25lookback_scan_determinismE0ELb0ELb0ES3_PKS7_PS7_S7_ZZZN2at6native31launch_logcumsumexp_cuda_kernelERKNSE_10TensorBaseESI_lENKUlvE_clEvENKUlvE2_clEvEUlS7_S7_E_S7_EEDaPvRmT3_T4_T5_mT6_P12ihipStream_tbENKUlT_T0_E_clISt17integral_constantIbLb0EESY_IbLb1EEEEDaSU_SV_EUlSU_E_NS1_11comp_targetILNS1_3genE3ELNS1_11target_archE908ELNS1_3gpuE7ELNS1_3repE0EEENS1_30default_config_static_selectorELNS0_4arch9wavefront6targetE1EEEvT1_.kd
    .uniform_work_group_size: 1
    .uses_dynamic_stack: false
    .vgpr_count:     0
    .vgpr_spill_count: 0
    .wavefront_size: 64
  - .args:
      - .offset:         0
        .size:           104
        .value_kind:     by_value
    .group_segment_fixed_size: 7168
    .kernarg_segment_align: 8
    .kernarg_segment_size: 104
    .language:       OpenCL C
    .language_version:
      - 2
      - 0
    .max_flat_workgroup_size: 64
    .name:           _ZN7rocprim17ROCPRIM_400000_NS6detail17trampoline_kernelINS0_14default_configENS1_20scan_config_selectorIN3c107complexIfEEEEZZNS1_9scan_implILNS1_25lookback_scan_determinismE0ELb0ELb0ES3_PKS7_PS7_S7_ZZZN2at6native31launch_logcumsumexp_cuda_kernelERKNSE_10TensorBaseESI_lENKUlvE_clEvENKUlvE2_clEvEUlS7_S7_E_S7_EEDaPvRmT3_T4_T5_mT6_P12ihipStream_tbENKUlT_T0_E_clISt17integral_constantIbLb0EESY_IbLb1EEEEDaSU_SV_EUlSU_E_NS1_11comp_targetILNS1_3genE2ELNS1_11target_archE906ELNS1_3gpuE6ELNS1_3repE0EEENS1_30default_config_static_selectorELNS0_4arch9wavefront6targetE1EEEvT1_
    .private_segment_fixed_size: 0
    .sgpr_count:     59
    .sgpr_spill_count: 0
    .symbol:         _ZN7rocprim17ROCPRIM_400000_NS6detail17trampoline_kernelINS0_14default_configENS1_20scan_config_selectorIN3c107complexIfEEEEZZNS1_9scan_implILNS1_25lookback_scan_determinismE0ELb0ELb0ES3_PKS7_PS7_S7_ZZZN2at6native31launch_logcumsumexp_cuda_kernelERKNSE_10TensorBaseESI_lENKUlvE_clEvENKUlvE2_clEvEUlS7_S7_E_S7_EEDaPvRmT3_T4_T5_mT6_P12ihipStream_tbENKUlT_T0_E_clISt17integral_constantIbLb0EESY_IbLb1EEEEDaSU_SV_EUlSU_E_NS1_11comp_targetILNS1_3genE2ELNS1_11target_archE906ELNS1_3gpuE6ELNS1_3repE0EEENS1_30default_config_static_selectorELNS0_4arch9wavefront6targetE1EEEvT1_.kd
    .uniform_work_group_size: 1
    .uses_dynamic_stack: false
    .vgpr_count:     86
    .vgpr_spill_count: 0
    .wavefront_size: 64
  - .args:
      - .offset:         0
        .size:           104
        .value_kind:     by_value
    .group_segment_fixed_size: 0
    .kernarg_segment_align: 8
    .kernarg_segment_size: 104
    .language:       OpenCL C
    .language_version:
      - 2
      - 0
    .max_flat_workgroup_size: 256
    .name:           _ZN7rocprim17ROCPRIM_400000_NS6detail17trampoline_kernelINS0_14default_configENS1_20scan_config_selectorIN3c107complexIfEEEEZZNS1_9scan_implILNS1_25lookback_scan_determinismE0ELb0ELb0ES3_PKS7_PS7_S7_ZZZN2at6native31launch_logcumsumexp_cuda_kernelERKNSE_10TensorBaseESI_lENKUlvE_clEvENKUlvE2_clEvEUlS7_S7_E_S7_EEDaPvRmT3_T4_T5_mT6_P12ihipStream_tbENKUlT_T0_E_clISt17integral_constantIbLb0EESY_IbLb1EEEEDaSU_SV_EUlSU_E_NS1_11comp_targetILNS1_3genE10ELNS1_11target_archE1201ELNS1_3gpuE5ELNS1_3repE0EEENS1_30default_config_static_selectorELNS0_4arch9wavefront6targetE1EEEvT1_
    .private_segment_fixed_size: 0
    .sgpr_count:     4
    .sgpr_spill_count: 0
    .symbol:         _ZN7rocprim17ROCPRIM_400000_NS6detail17trampoline_kernelINS0_14default_configENS1_20scan_config_selectorIN3c107complexIfEEEEZZNS1_9scan_implILNS1_25lookback_scan_determinismE0ELb0ELb0ES3_PKS7_PS7_S7_ZZZN2at6native31launch_logcumsumexp_cuda_kernelERKNSE_10TensorBaseESI_lENKUlvE_clEvENKUlvE2_clEvEUlS7_S7_E_S7_EEDaPvRmT3_T4_T5_mT6_P12ihipStream_tbENKUlT_T0_E_clISt17integral_constantIbLb0EESY_IbLb1EEEEDaSU_SV_EUlSU_E_NS1_11comp_targetILNS1_3genE10ELNS1_11target_archE1201ELNS1_3gpuE5ELNS1_3repE0EEENS1_30default_config_static_selectorELNS0_4arch9wavefront6targetE1EEEvT1_.kd
    .uniform_work_group_size: 1
    .uses_dynamic_stack: false
    .vgpr_count:     0
    .vgpr_spill_count: 0
    .wavefront_size: 64
  - .args:
      - .offset:         0
        .size:           104
        .value_kind:     by_value
    .group_segment_fixed_size: 0
    .kernarg_segment_align: 8
    .kernarg_segment_size: 104
    .language:       OpenCL C
    .language_version:
      - 2
      - 0
    .max_flat_workgroup_size: 256
    .name:           _ZN7rocprim17ROCPRIM_400000_NS6detail17trampoline_kernelINS0_14default_configENS1_20scan_config_selectorIN3c107complexIfEEEEZZNS1_9scan_implILNS1_25lookback_scan_determinismE0ELb0ELb0ES3_PKS7_PS7_S7_ZZZN2at6native31launch_logcumsumexp_cuda_kernelERKNSE_10TensorBaseESI_lENKUlvE_clEvENKUlvE2_clEvEUlS7_S7_E_S7_EEDaPvRmT3_T4_T5_mT6_P12ihipStream_tbENKUlT_T0_E_clISt17integral_constantIbLb0EESY_IbLb1EEEEDaSU_SV_EUlSU_E_NS1_11comp_targetILNS1_3genE10ELNS1_11target_archE1200ELNS1_3gpuE4ELNS1_3repE0EEENS1_30default_config_static_selectorELNS0_4arch9wavefront6targetE1EEEvT1_
    .private_segment_fixed_size: 0
    .sgpr_count:     4
    .sgpr_spill_count: 0
    .symbol:         _ZN7rocprim17ROCPRIM_400000_NS6detail17trampoline_kernelINS0_14default_configENS1_20scan_config_selectorIN3c107complexIfEEEEZZNS1_9scan_implILNS1_25lookback_scan_determinismE0ELb0ELb0ES3_PKS7_PS7_S7_ZZZN2at6native31launch_logcumsumexp_cuda_kernelERKNSE_10TensorBaseESI_lENKUlvE_clEvENKUlvE2_clEvEUlS7_S7_E_S7_EEDaPvRmT3_T4_T5_mT6_P12ihipStream_tbENKUlT_T0_E_clISt17integral_constantIbLb0EESY_IbLb1EEEEDaSU_SV_EUlSU_E_NS1_11comp_targetILNS1_3genE10ELNS1_11target_archE1200ELNS1_3gpuE4ELNS1_3repE0EEENS1_30default_config_static_selectorELNS0_4arch9wavefront6targetE1EEEvT1_.kd
    .uniform_work_group_size: 1
    .uses_dynamic_stack: false
    .vgpr_count:     0
    .vgpr_spill_count: 0
    .wavefront_size: 64
  - .args:
      - .offset:         0
        .size:           104
        .value_kind:     by_value
    .group_segment_fixed_size: 0
    .kernarg_segment_align: 8
    .kernarg_segment_size: 104
    .language:       OpenCL C
    .language_version:
      - 2
      - 0
    .max_flat_workgroup_size: 256
    .name:           _ZN7rocprim17ROCPRIM_400000_NS6detail17trampoline_kernelINS0_14default_configENS1_20scan_config_selectorIN3c107complexIfEEEEZZNS1_9scan_implILNS1_25lookback_scan_determinismE0ELb0ELb0ES3_PKS7_PS7_S7_ZZZN2at6native31launch_logcumsumexp_cuda_kernelERKNSE_10TensorBaseESI_lENKUlvE_clEvENKUlvE2_clEvEUlS7_S7_E_S7_EEDaPvRmT3_T4_T5_mT6_P12ihipStream_tbENKUlT_T0_E_clISt17integral_constantIbLb0EESY_IbLb1EEEEDaSU_SV_EUlSU_E_NS1_11comp_targetILNS1_3genE9ELNS1_11target_archE1100ELNS1_3gpuE3ELNS1_3repE0EEENS1_30default_config_static_selectorELNS0_4arch9wavefront6targetE1EEEvT1_
    .private_segment_fixed_size: 0
    .sgpr_count:     4
    .sgpr_spill_count: 0
    .symbol:         _ZN7rocprim17ROCPRIM_400000_NS6detail17trampoline_kernelINS0_14default_configENS1_20scan_config_selectorIN3c107complexIfEEEEZZNS1_9scan_implILNS1_25lookback_scan_determinismE0ELb0ELb0ES3_PKS7_PS7_S7_ZZZN2at6native31launch_logcumsumexp_cuda_kernelERKNSE_10TensorBaseESI_lENKUlvE_clEvENKUlvE2_clEvEUlS7_S7_E_S7_EEDaPvRmT3_T4_T5_mT6_P12ihipStream_tbENKUlT_T0_E_clISt17integral_constantIbLb0EESY_IbLb1EEEEDaSU_SV_EUlSU_E_NS1_11comp_targetILNS1_3genE9ELNS1_11target_archE1100ELNS1_3gpuE3ELNS1_3repE0EEENS1_30default_config_static_selectorELNS0_4arch9wavefront6targetE1EEEvT1_.kd
    .uniform_work_group_size: 1
    .uses_dynamic_stack: false
    .vgpr_count:     0
    .vgpr_spill_count: 0
    .wavefront_size: 64
  - .args:
      - .offset:         0
        .size:           104
        .value_kind:     by_value
    .group_segment_fixed_size: 0
    .kernarg_segment_align: 8
    .kernarg_segment_size: 104
    .language:       OpenCL C
    .language_version:
      - 2
      - 0
    .max_flat_workgroup_size: 256
    .name:           _ZN7rocprim17ROCPRIM_400000_NS6detail17trampoline_kernelINS0_14default_configENS1_20scan_config_selectorIN3c107complexIfEEEEZZNS1_9scan_implILNS1_25lookback_scan_determinismE0ELb0ELb0ES3_PKS7_PS7_S7_ZZZN2at6native31launch_logcumsumexp_cuda_kernelERKNSE_10TensorBaseESI_lENKUlvE_clEvENKUlvE2_clEvEUlS7_S7_E_S7_EEDaPvRmT3_T4_T5_mT6_P12ihipStream_tbENKUlT_T0_E_clISt17integral_constantIbLb0EESY_IbLb1EEEEDaSU_SV_EUlSU_E_NS1_11comp_targetILNS1_3genE8ELNS1_11target_archE1030ELNS1_3gpuE2ELNS1_3repE0EEENS1_30default_config_static_selectorELNS0_4arch9wavefront6targetE1EEEvT1_
    .private_segment_fixed_size: 0
    .sgpr_count:     4
    .sgpr_spill_count: 0
    .symbol:         _ZN7rocprim17ROCPRIM_400000_NS6detail17trampoline_kernelINS0_14default_configENS1_20scan_config_selectorIN3c107complexIfEEEEZZNS1_9scan_implILNS1_25lookback_scan_determinismE0ELb0ELb0ES3_PKS7_PS7_S7_ZZZN2at6native31launch_logcumsumexp_cuda_kernelERKNSE_10TensorBaseESI_lENKUlvE_clEvENKUlvE2_clEvEUlS7_S7_E_S7_EEDaPvRmT3_T4_T5_mT6_P12ihipStream_tbENKUlT_T0_E_clISt17integral_constantIbLb0EESY_IbLb1EEEEDaSU_SV_EUlSU_E_NS1_11comp_targetILNS1_3genE8ELNS1_11target_archE1030ELNS1_3gpuE2ELNS1_3repE0EEENS1_30default_config_static_selectorELNS0_4arch9wavefront6targetE1EEEvT1_.kd
    .uniform_work_group_size: 1
    .uses_dynamic_stack: false
    .vgpr_count:     0
    .vgpr_spill_count: 0
    .wavefront_size: 64
  - .args:
      - .offset:         0
        .size:           40
        .value_kind:     by_value
    .group_segment_fixed_size: 0
    .kernarg_segment_align: 8
    .kernarg_segment_size: 40
    .language:       OpenCL C
    .language_version:
      - 2
      - 0
    .max_flat_workgroup_size: 256
    .name:           _ZN7rocprim17ROCPRIM_400000_NS6detail17trampoline_kernelINS0_14default_configENS1_20scan_config_selectorIN3c107complexIfEEEEZZNS1_9scan_implILNS1_25lookback_scan_determinismE0ELb0ELb0ES3_PKS7_PS7_S7_ZZZN2at6native31launch_logcumsumexp_cuda_kernelERKNSE_10TensorBaseESI_lENKUlvE_clEvENKUlvE2_clEvEUlS7_S7_E_S7_EEDaPvRmT3_T4_T5_mT6_P12ihipStream_tbENKUlT_T0_E_clISt17integral_constantIbLb0EESY_IbLb1EEEEDaSU_SV_EUlSU_E0_NS1_11comp_targetILNS1_3genE0ELNS1_11target_archE4294967295ELNS1_3gpuE0ELNS1_3repE0EEENS1_30default_config_static_selectorELNS0_4arch9wavefront6targetE1EEEvT1_
    .private_segment_fixed_size: 0
    .sgpr_count:     4
    .sgpr_spill_count: 0
    .symbol:         _ZN7rocprim17ROCPRIM_400000_NS6detail17trampoline_kernelINS0_14default_configENS1_20scan_config_selectorIN3c107complexIfEEEEZZNS1_9scan_implILNS1_25lookback_scan_determinismE0ELb0ELb0ES3_PKS7_PS7_S7_ZZZN2at6native31launch_logcumsumexp_cuda_kernelERKNSE_10TensorBaseESI_lENKUlvE_clEvENKUlvE2_clEvEUlS7_S7_E_S7_EEDaPvRmT3_T4_T5_mT6_P12ihipStream_tbENKUlT_T0_E_clISt17integral_constantIbLb0EESY_IbLb1EEEEDaSU_SV_EUlSU_E0_NS1_11comp_targetILNS1_3genE0ELNS1_11target_archE4294967295ELNS1_3gpuE0ELNS1_3repE0EEENS1_30default_config_static_selectorELNS0_4arch9wavefront6targetE1EEEvT1_.kd
    .uniform_work_group_size: 1
    .uses_dynamic_stack: false
    .vgpr_count:     0
    .vgpr_spill_count: 0
    .wavefront_size: 64
  - .args:
      - .offset:         0
        .size:           40
        .value_kind:     by_value
    .group_segment_fixed_size: 0
    .kernarg_segment_align: 8
    .kernarg_segment_size: 40
    .language:       OpenCL C
    .language_version:
      - 2
      - 0
    .max_flat_workgroup_size: 256
    .name:           _ZN7rocprim17ROCPRIM_400000_NS6detail17trampoline_kernelINS0_14default_configENS1_20scan_config_selectorIN3c107complexIfEEEEZZNS1_9scan_implILNS1_25lookback_scan_determinismE0ELb0ELb0ES3_PKS7_PS7_S7_ZZZN2at6native31launch_logcumsumexp_cuda_kernelERKNSE_10TensorBaseESI_lENKUlvE_clEvENKUlvE2_clEvEUlS7_S7_E_S7_EEDaPvRmT3_T4_T5_mT6_P12ihipStream_tbENKUlT_T0_E_clISt17integral_constantIbLb0EESY_IbLb1EEEEDaSU_SV_EUlSU_E0_NS1_11comp_targetILNS1_3genE5ELNS1_11target_archE942ELNS1_3gpuE9ELNS1_3repE0EEENS1_30default_config_static_selectorELNS0_4arch9wavefront6targetE1EEEvT1_
    .private_segment_fixed_size: 0
    .sgpr_count:     4
    .sgpr_spill_count: 0
    .symbol:         _ZN7rocprim17ROCPRIM_400000_NS6detail17trampoline_kernelINS0_14default_configENS1_20scan_config_selectorIN3c107complexIfEEEEZZNS1_9scan_implILNS1_25lookback_scan_determinismE0ELb0ELb0ES3_PKS7_PS7_S7_ZZZN2at6native31launch_logcumsumexp_cuda_kernelERKNSE_10TensorBaseESI_lENKUlvE_clEvENKUlvE2_clEvEUlS7_S7_E_S7_EEDaPvRmT3_T4_T5_mT6_P12ihipStream_tbENKUlT_T0_E_clISt17integral_constantIbLb0EESY_IbLb1EEEEDaSU_SV_EUlSU_E0_NS1_11comp_targetILNS1_3genE5ELNS1_11target_archE942ELNS1_3gpuE9ELNS1_3repE0EEENS1_30default_config_static_selectorELNS0_4arch9wavefront6targetE1EEEvT1_.kd
    .uniform_work_group_size: 1
    .uses_dynamic_stack: false
    .vgpr_count:     0
    .vgpr_spill_count: 0
    .wavefront_size: 64
  - .args:
      - .offset:         0
        .size:           40
        .value_kind:     by_value
    .group_segment_fixed_size: 0
    .kernarg_segment_align: 8
    .kernarg_segment_size: 40
    .language:       OpenCL C
    .language_version:
      - 2
      - 0
    .max_flat_workgroup_size: 128
    .name:           _ZN7rocprim17ROCPRIM_400000_NS6detail17trampoline_kernelINS0_14default_configENS1_20scan_config_selectorIN3c107complexIfEEEEZZNS1_9scan_implILNS1_25lookback_scan_determinismE0ELb0ELb0ES3_PKS7_PS7_S7_ZZZN2at6native31launch_logcumsumexp_cuda_kernelERKNSE_10TensorBaseESI_lENKUlvE_clEvENKUlvE2_clEvEUlS7_S7_E_S7_EEDaPvRmT3_T4_T5_mT6_P12ihipStream_tbENKUlT_T0_E_clISt17integral_constantIbLb0EESY_IbLb1EEEEDaSU_SV_EUlSU_E0_NS1_11comp_targetILNS1_3genE4ELNS1_11target_archE910ELNS1_3gpuE8ELNS1_3repE0EEENS1_30default_config_static_selectorELNS0_4arch9wavefront6targetE1EEEvT1_
    .private_segment_fixed_size: 0
    .sgpr_count:     4
    .sgpr_spill_count: 0
    .symbol:         _ZN7rocprim17ROCPRIM_400000_NS6detail17trampoline_kernelINS0_14default_configENS1_20scan_config_selectorIN3c107complexIfEEEEZZNS1_9scan_implILNS1_25lookback_scan_determinismE0ELb0ELb0ES3_PKS7_PS7_S7_ZZZN2at6native31launch_logcumsumexp_cuda_kernelERKNSE_10TensorBaseESI_lENKUlvE_clEvENKUlvE2_clEvEUlS7_S7_E_S7_EEDaPvRmT3_T4_T5_mT6_P12ihipStream_tbENKUlT_T0_E_clISt17integral_constantIbLb0EESY_IbLb1EEEEDaSU_SV_EUlSU_E0_NS1_11comp_targetILNS1_3genE4ELNS1_11target_archE910ELNS1_3gpuE8ELNS1_3repE0EEENS1_30default_config_static_selectorELNS0_4arch9wavefront6targetE1EEEvT1_.kd
    .uniform_work_group_size: 1
    .uses_dynamic_stack: false
    .vgpr_count:     0
    .vgpr_spill_count: 0
    .wavefront_size: 64
  - .args:
      - .offset:         0
        .size:           40
        .value_kind:     by_value
    .group_segment_fixed_size: 0
    .kernarg_segment_align: 8
    .kernarg_segment_size: 40
    .language:       OpenCL C
    .language_version:
      - 2
      - 0
    .max_flat_workgroup_size: 256
    .name:           _ZN7rocprim17ROCPRIM_400000_NS6detail17trampoline_kernelINS0_14default_configENS1_20scan_config_selectorIN3c107complexIfEEEEZZNS1_9scan_implILNS1_25lookback_scan_determinismE0ELb0ELb0ES3_PKS7_PS7_S7_ZZZN2at6native31launch_logcumsumexp_cuda_kernelERKNSE_10TensorBaseESI_lENKUlvE_clEvENKUlvE2_clEvEUlS7_S7_E_S7_EEDaPvRmT3_T4_T5_mT6_P12ihipStream_tbENKUlT_T0_E_clISt17integral_constantIbLb0EESY_IbLb1EEEEDaSU_SV_EUlSU_E0_NS1_11comp_targetILNS1_3genE3ELNS1_11target_archE908ELNS1_3gpuE7ELNS1_3repE0EEENS1_30default_config_static_selectorELNS0_4arch9wavefront6targetE1EEEvT1_
    .private_segment_fixed_size: 0
    .sgpr_count:     4
    .sgpr_spill_count: 0
    .symbol:         _ZN7rocprim17ROCPRIM_400000_NS6detail17trampoline_kernelINS0_14default_configENS1_20scan_config_selectorIN3c107complexIfEEEEZZNS1_9scan_implILNS1_25lookback_scan_determinismE0ELb0ELb0ES3_PKS7_PS7_S7_ZZZN2at6native31launch_logcumsumexp_cuda_kernelERKNSE_10TensorBaseESI_lENKUlvE_clEvENKUlvE2_clEvEUlS7_S7_E_S7_EEDaPvRmT3_T4_T5_mT6_P12ihipStream_tbENKUlT_T0_E_clISt17integral_constantIbLb0EESY_IbLb1EEEEDaSU_SV_EUlSU_E0_NS1_11comp_targetILNS1_3genE3ELNS1_11target_archE908ELNS1_3gpuE7ELNS1_3repE0EEENS1_30default_config_static_selectorELNS0_4arch9wavefront6targetE1EEEvT1_.kd
    .uniform_work_group_size: 1
    .uses_dynamic_stack: false
    .vgpr_count:     0
    .vgpr_spill_count: 0
    .wavefront_size: 64
  - .args:
      - .offset:         0
        .size:           40
        .value_kind:     by_value
    .group_segment_fixed_size: 7168
    .kernarg_segment_align: 8
    .kernarg_segment_size: 40
    .language:       OpenCL C
    .language_version:
      - 2
      - 0
    .max_flat_workgroup_size: 64
    .name:           _ZN7rocprim17ROCPRIM_400000_NS6detail17trampoline_kernelINS0_14default_configENS1_20scan_config_selectorIN3c107complexIfEEEEZZNS1_9scan_implILNS1_25lookback_scan_determinismE0ELb0ELb0ES3_PKS7_PS7_S7_ZZZN2at6native31launch_logcumsumexp_cuda_kernelERKNSE_10TensorBaseESI_lENKUlvE_clEvENKUlvE2_clEvEUlS7_S7_E_S7_EEDaPvRmT3_T4_T5_mT6_P12ihipStream_tbENKUlT_T0_E_clISt17integral_constantIbLb0EESY_IbLb1EEEEDaSU_SV_EUlSU_E0_NS1_11comp_targetILNS1_3genE2ELNS1_11target_archE906ELNS1_3gpuE6ELNS1_3repE0EEENS1_30default_config_static_selectorELNS0_4arch9wavefront6targetE1EEEvT1_
    .private_segment_fixed_size: 0
    .sgpr_count:     62
    .sgpr_spill_count: 0
    .symbol:         _ZN7rocprim17ROCPRIM_400000_NS6detail17trampoline_kernelINS0_14default_configENS1_20scan_config_selectorIN3c107complexIfEEEEZZNS1_9scan_implILNS1_25lookback_scan_determinismE0ELb0ELb0ES3_PKS7_PS7_S7_ZZZN2at6native31launch_logcumsumexp_cuda_kernelERKNSE_10TensorBaseESI_lENKUlvE_clEvENKUlvE2_clEvEUlS7_S7_E_S7_EEDaPvRmT3_T4_T5_mT6_P12ihipStream_tbENKUlT_T0_E_clISt17integral_constantIbLb0EESY_IbLb1EEEEDaSU_SV_EUlSU_E0_NS1_11comp_targetILNS1_3genE2ELNS1_11target_archE906ELNS1_3gpuE6ELNS1_3repE0EEENS1_30default_config_static_selectorELNS0_4arch9wavefront6targetE1EEEvT1_.kd
    .uniform_work_group_size: 1
    .uses_dynamic_stack: false
    .vgpr_count:     80
    .vgpr_spill_count: 0
    .wavefront_size: 64
  - .args:
      - .offset:         0
        .size:           40
        .value_kind:     by_value
    .group_segment_fixed_size: 0
    .kernarg_segment_align: 8
    .kernarg_segment_size: 40
    .language:       OpenCL C
    .language_version:
      - 2
      - 0
    .max_flat_workgroup_size: 256
    .name:           _ZN7rocprim17ROCPRIM_400000_NS6detail17trampoline_kernelINS0_14default_configENS1_20scan_config_selectorIN3c107complexIfEEEEZZNS1_9scan_implILNS1_25lookback_scan_determinismE0ELb0ELb0ES3_PKS7_PS7_S7_ZZZN2at6native31launch_logcumsumexp_cuda_kernelERKNSE_10TensorBaseESI_lENKUlvE_clEvENKUlvE2_clEvEUlS7_S7_E_S7_EEDaPvRmT3_T4_T5_mT6_P12ihipStream_tbENKUlT_T0_E_clISt17integral_constantIbLb0EESY_IbLb1EEEEDaSU_SV_EUlSU_E0_NS1_11comp_targetILNS1_3genE10ELNS1_11target_archE1201ELNS1_3gpuE5ELNS1_3repE0EEENS1_30default_config_static_selectorELNS0_4arch9wavefront6targetE1EEEvT1_
    .private_segment_fixed_size: 0
    .sgpr_count:     4
    .sgpr_spill_count: 0
    .symbol:         _ZN7rocprim17ROCPRIM_400000_NS6detail17trampoline_kernelINS0_14default_configENS1_20scan_config_selectorIN3c107complexIfEEEEZZNS1_9scan_implILNS1_25lookback_scan_determinismE0ELb0ELb0ES3_PKS7_PS7_S7_ZZZN2at6native31launch_logcumsumexp_cuda_kernelERKNSE_10TensorBaseESI_lENKUlvE_clEvENKUlvE2_clEvEUlS7_S7_E_S7_EEDaPvRmT3_T4_T5_mT6_P12ihipStream_tbENKUlT_T0_E_clISt17integral_constantIbLb0EESY_IbLb1EEEEDaSU_SV_EUlSU_E0_NS1_11comp_targetILNS1_3genE10ELNS1_11target_archE1201ELNS1_3gpuE5ELNS1_3repE0EEENS1_30default_config_static_selectorELNS0_4arch9wavefront6targetE1EEEvT1_.kd
    .uniform_work_group_size: 1
    .uses_dynamic_stack: false
    .vgpr_count:     0
    .vgpr_spill_count: 0
    .wavefront_size: 64
  - .args:
      - .offset:         0
        .size:           40
        .value_kind:     by_value
    .group_segment_fixed_size: 0
    .kernarg_segment_align: 8
    .kernarg_segment_size: 40
    .language:       OpenCL C
    .language_version:
      - 2
      - 0
    .max_flat_workgroup_size: 256
    .name:           _ZN7rocprim17ROCPRIM_400000_NS6detail17trampoline_kernelINS0_14default_configENS1_20scan_config_selectorIN3c107complexIfEEEEZZNS1_9scan_implILNS1_25lookback_scan_determinismE0ELb0ELb0ES3_PKS7_PS7_S7_ZZZN2at6native31launch_logcumsumexp_cuda_kernelERKNSE_10TensorBaseESI_lENKUlvE_clEvENKUlvE2_clEvEUlS7_S7_E_S7_EEDaPvRmT3_T4_T5_mT6_P12ihipStream_tbENKUlT_T0_E_clISt17integral_constantIbLb0EESY_IbLb1EEEEDaSU_SV_EUlSU_E0_NS1_11comp_targetILNS1_3genE10ELNS1_11target_archE1200ELNS1_3gpuE4ELNS1_3repE0EEENS1_30default_config_static_selectorELNS0_4arch9wavefront6targetE1EEEvT1_
    .private_segment_fixed_size: 0
    .sgpr_count:     4
    .sgpr_spill_count: 0
    .symbol:         _ZN7rocprim17ROCPRIM_400000_NS6detail17trampoline_kernelINS0_14default_configENS1_20scan_config_selectorIN3c107complexIfEEEEZZNS1_9scan_implILNS1_25lookback_scan_determinismE0ELb0ELb0ES3_PKS7_PS7_S7_ZZZN2at6native31launch_logcumsumexp_cuda_kernelERKNSE_10TensorBaseESI_lENKUlvE_clEvENKUlvE2_clEvEUlS7_S7_E_S7_EEDaPvRmT3_T4_T5_mT6_P12ihipStream_tbENKUlT_T0_E_clISt17integral_constantIbLb0EESY_IbLb1EEEEDaSU_SV_EUlSU_E0_NS1_11comp_targetILNS1_3genE10ELNS1_11target_archE1200ELNS1_3gpuE4ELNS1_3repE0EEENS1_30default_config_static_selectorELNS0_4arch9wavefront6targetE1EEEvT1_.kd
    .uniform_work_group_size: 1
    .uses_dynamic_stack: false
    .vgpr_count:     0
    .vgpr_spill_count: 0
    .wavefront_size: 64
  - .args:
      - .offset:         0
        .size:           40
        .value_kind:     by_value
    .group_segment_fixed_size: 0
    .kernarg_segment_align: 8
    .kernarg_segment_size: 40
    .language:       OpenCL C
    .language_version:
      - 2
      - 0
    .max_flat_workgroup_size: 256
    .name:           _ZN7rocprim17ROCPRIM_400000_NS6detail17trampoline_kernelINS0_14default_configENS1_20scan_config_selectorIN3c107complexIfEEEEZZNS1_9scan_implILNS1_25lookback_scan_determinismE0ELb0ELb0ES3_PKS7_PS7_S7_ZZZN2at6native31launch_logcumsumexp_cuda_kernelERKNSE_10TensorBaseESI_lENKUlvE_clEvENKUlvE2_clEvEUlS7_S7_E_S7_EEDaPvRmT3_T4_T5_mT6_P12ihipStream_tbENKUlT_T0_E_clISt17integral_constantIbLb0EESY_IbLb1EEEEDaSU_SV_EUlSU_E0_NS1_11comp_targetILNS1_3genE9ELNS1_11target_archE1100ELNS1_3gpuE3ELNS1_3repE0EEENS1_30default_config_static_selectorELNS0_4arch9wavefront6targetE1EEEvT1_
    .private_segment_fixed_size: 0
    .sgpr_count:     4
    .sgpr_spill_count: 0
    .symbol:         _ZN7rocprim17ROCPRIM_400000_NS6detail17trampoline_kernelINS0_14default_configENS1_20scan_config_selectorIN3c107complexIfEEEEZZNS1_9scan_implILNS1_25lookback_scan_determinismE0ELb0ELb0ES3_PKS7_PS7_S7_ZZZN2at6native31launch_logcumsumexp_cuda_kernelERKNSE_10TensorBaseESI_lENKUlvE_clEvENKUlvE2_clEvEUlS7_S7_E_S7_EEDaPvRmT3_T4_T5_mT6_P12ihipStream_tbENKUlT_T0_E_clISt17integral_constantIbLb0EESY_IbLb1EEEEDaSU_SV_EUlSU_E0_NS1_11comp_targetILNS1_3genE9ELNS1_11target_archE1100ELNS1_3gpuE3ELNS1_3repE0EEENS1_30default_config_static_selectorELNS0_4arch9wavefront6targetE1EEEvT1_.kd
    .uniform_work_group_size: 1
    .uses_dynamic_stack: false
    .vgpr_count:     0
    .vgpr_spill_count: 0
    .wavefront_size: 64
  - .args:
      - .offset:         0
        .size:           40
        .value_kind:     by_value
    .group_segment_fixed_size: 0
    .kernarg_segment_align: 8
    .kernarg_segment_size: 40
    .language:       OpenCL C
    .language_version:
      - 2
      - 0
    .max_flat_workgroup_size: 256
    .name:           _ZN7rocprim17ROCPRIM_400000_NS6detail17trampoline_kernelINS0_14default_configENS1_20scan_config_selectorIN3c107complexIfEEEEZZNS1_9scan_implILNS1_25lookback_scan_determinismE0ELb0ELb0ES3_PKS7_PS7_S7_ZZZN2at6native31launch_logcumsumexp_cuda_kernelERKNSE_10TensorBaseESI_lENKUlvE_clEvENKUlvE2_clEvEUlS7_S7_E_S7_EEDaPvRmT3_T4_T5_mT6_P12ihipStream_tbENKUlT_T0_E_clISt17integral_constantIbLb0EESY_IbLb1EEEEDaSU_SV_EUlSU_E0_NS1_11comp_targetILNS1_3genE8ELNS1_11target_archE1030ELNS1_3gpuE2ELNS1_3repE0EEENS1_30default_config_static_selectorELNS0_4arch9wavefront6targetE1EEEvT1_
    .private_segment_fixed_size: 0
    .sgpr_count:     4
    .sgpr_spill_count: 0
    .symbol:         _ZN7rocprim17ROCPRIM_400000_NS6detail17trampoline_kernelINS0_14default_configENS1_20scan_config_selectorIN3c107complexIfEEEEZZNS1_9scan_implILNS1_25lookback_scan_determinismE0ELb0ELb0ES3_PKS7_PS7_S7_ZZZN2at6native31launch_logcumsumexp_cuda_kernelERKNSE_10TensorBaseESI_lENKUlvE_clEvENKUlvE2_clEvEUlS7_S7_E_S7_EEDaPvRmT3_T4_T5_mT6_P12ihipStream_tbENKUlT_T0_E_clISt17integral_constantIbLb0EESY_IbLb1EEEEDaSU_SV_EUlSU_E0_NS1_11comp_targetILNS1_3genE8ELNS1_11target_archE1030ELNS1_3gpuE2ELNS1_3repE0EEENS1_30default_config_static_selectorELNS0_4arch9wavefront6targetE1EEEvT1_.kd
    .uniform_work_group_size: 1
    .uses_dynamic_stack: false
    .vgpr_count:     0
    .vgpr_spill_count: 0
    .wavefront_size: 64
  - .args:
      - .address_space:  global
        .offset:         0
        .size:           8
        .value_kind:     global_buffer
      - .address_space:  global
        .offset:         8
        .size:           8
        .value_kind:     global_buffer
      - .offset:         16
        .size:           4
        .value_kind:     by_value
      - .offset:         20
        .size:           4
        .value_kind:     by_value
      - .offset:         24
        .size:           4
        .value_kind:     by_value
      - .offset:         32
        .size:           8
        .value_kind:     by_value
      - .offset:         40
        .size:           1
        .value_kind:     by_value
      - .offset:         48
        .size:           4
        .value_kind:     hidden_block_count_x
      - .offset:         52
        .size:           4
        .value_kind:     hidden_block_count_y
      - .offset:         56
        .size:           4
        .value_kind:     hidden_block_count_z
      - .offset:         60
        .size:           2
        .value_kind:     hidden_group_size_x
      - .offset:         62
        .size:           2
        .value_kind:     hidden_group_size_y
      - .offset:         64
        .size:           2
        .value_kind:     hidden_group_size_z
      - .offset:         66
        .size:           2
        .value_kind:     hidden_remainder_x
      - .offset:         68
        .size:           2
        .value_kind:     hidden_remainder_y
      - .offset:         70
        .size:           2
        .value_kind:     hidden_remainder_z
      - .offset:         88
        .size:           8
        .value_kind:     hidden_global_offset_x
      - .offset:         96
        .size:           8
        .value_kind:     hidden_global_offset_y
      - .offset:         104
        .size:           8
        .value_kind:     hidden_global_offset_z
      - .offset:         112
        .size:           2
        .value_kind:     hidden_grid_dims
      - .offset:         168
        .size:           4
        .value_kind:     hidden_dynamic_lds_size
    .group_segment_fixed_size: 0
    .kernarg_segment_align: 8
    .kernarg_segment_size: 304
    .language:       OpenCL C
    .language_version:
      - 2
      - 0
    .max_flat_workgroup_size: 1024
    .name:           _ZN2at6native32tensor_kernel_scan_innermost_dimIN3c107complexIfEEZZZNS0_31launch_logcumsumexp_cuda_kernelERKNS_10TensorBaseES7_lENKUlvE_clEvENKUlvE2_clEvEUlS4_S4_E_EEvPT_PKSB_jjjSB_T0_
    .private_segment_fixed_size: 0
    .sgpr_count:     76
    .sgpr_spill_count: 0
    .symbol:         _ZN2at6native32tensor_kernel_scan_innermost_dimIN3c107complexIfEEZZZNS0_31launch_logcumsumexp_cuda_kernelERKNS_10TensorBaseES7_lENKUlvE_clEvENKUlvE2_clEvEUlS4_S4_E_EEvPT_PKSB_jjjSB_T0_.kd
    .uniform_work_group_size: 1
    .uses_dynamic_stack: false
    .vgpr_count:     60
    .vgpr_spill_count: 0
    .wavefront_size: 64
  - .args:
      - .address_space:  global
        .offset:         0
        .size:           8
        .value_kind:     global_buffer
      - .address_space:  global
        .offset:         8
        .size:           8
        .value_kind:     global_buffer
      - .offset:         16
        .size:           4
        .value_kind:     by_value
      - .offset:         20
        .size:           4
        .value_kind:     by_value
      - .offset:         24
        .size:           4
        .value_kind:     by_value
      - .offset:         32
        .size:           8
        .value_kind:     by_value
      - .offset:         40
        .size:           1
        .value_kind:     by_value
      - .offset:         48
        .size:           4
        .value_kind:     hidden_block_count_x
      - .offset:         52
        .size:           4
        .value_kind:     hidden_block_count_y
      - .offset:         56
        .size:           4
        .value_kind:     hidden_block_count_z
      - .offset:         60
        .size:           2
        .value_kind:     hidden_group_size_x
      - .offset:         62
        .size:           2
        .value_kind:     hidden_group_size_y
      - .offset:         64
        .size:           2
        .value_kind:     hidden_group_size_z
      - .offset:         66
        .size:           2
        .value_kind:     hidden_remainder_x
      - .offset:         68
        .size:           2
        .value_kind:     hidden_remainder_y
      - .offset:         70
        .size:           2
        .value_kind:     hidden_remainder_z
      - .offset:         88
        .size:           8
        .value_kind:     hidden_global_offset_x
      - .offset:         96
        .size:           8
        .value_kind:     hidden_global_offset_y
      - .offset:         104
        .size:           8
        .value_kind:     hidden_global_offset_z
      - .offset:         112
        .size:           2
        .value_kind:     hidden_grid_dims
    .group_segment_fixed_size: 0
    .kernarg_segment_align: 8
    .kernarg_segment_size: 304
    .language:       OpenCL C
    .language_version:
      - 2
      - 0
    .max_flat_workgroup_size: 1024
    .name:           _ZN2at6native28tensor_kernel_scan_outer_dimIN3c107complexIfEEjZZZNS0_31launch_logcumsumexp_cuda_kernelERKNS_10TensorBaseES7_lENKUlvE_clEvENKUlvE2_clEvEUlS4_S4_E_EEvPT_PKSB_jjjSB_T1_
    .private_segment_fixed_size: 0
    .sgpr_count:     75
    .sgpr_spill_count: 0
    .symbol:         _ZN2at6native28tensor_kernel_scan_outer_dimIN3c107complexIfEEjZZZNS0_31launch_logcumsumexp_cuda_kernelERKNS_10TensorBaseES7_lENKUlvE_clEvENKUlvE2_clEvEUlS4_S4_E_EEvPT_PKSB_jjjSB_T1_.kd
    .uniform_work_group_size: 1
    .uses_dynamic_stack: false
    .vgpr_count:     47
    .vgpr_spill_count: 0
    .wavefront_size: 64
  - .args:
      - .address_space:  global
        .offset:         0
        .size:           8
        .value_kind:     global_buffer
      - .address_space:  global
        .offset:         8
        .size:           8
        .value_kind:     global_buffer
      - .offset:         16
        .size:           4
        .value_kind:     by_value
      - .offset:         20
        .size:           4
        .value_kind:     by_value
      - .offset:         24
        .size:           4
        .value_kind:     by_value
      - .offset:         32
        .size:           8
        .value_kind:     by_value
      - .offset:         40
        .size:           1
        .value_kind:     by_value
      - .offset:         48
        .size:           4
        .value_kind:     hidden_block_count_x
      - .offset:         52
        .size:           4
        .value_kind:     hidden_block_count_y
      - .offset:         56
        .size:           4
        .value_kind:     hidden_block_count_z
      - .offset:         60
        .size:           2
        .value_kind:     hidden_group_size_x
      - .offset:         62
        .size:           2
        .value_kind:     hidden_group_size_y
      - .offset:         64
        .size:           2
        .value_kind:     hidden_group_size_z
      - .offset:         66
        .size:           2
        .value_kind:     hidden_remainder_x
      - .offset:         68
        .size:           2
        .value_kind:     hidden_remainder_y
      - .offset:         70
        .size:           2
        .value_kind:     hidden_remainder_z
      - .offset:         88
        .size:           8
        .value_kind:     hidden_global_offset_x
      - .offset:         96
        .size:           8
        .value_kind:     hidden_global_offset_y
      - .offset:         104
        .size:           8
        .value_kind:     hidden_global_offset_z
      - .offset:         112
        .size:           2
        .value_kind:     hidden_grid_dims
    .group_segment_fixed_size: 0
    .kernarg_segment_align: 8
    .kernarg_segment_size: 304
    .language:       OpenCL C
    .language_version:
      - 2
      - 0
    .max_flat_workgroup_size: 1024
    .name:           _ZN2at6native28tensor_kernel_scan_outer_dimIN3c107complexIfEEmZZZNS0_31launch_logcumsumexp_cuda_kernelERKNS_10TensorBaseES7_lENKUlvE_clEvENKUlvE2_clEvEUlS4_S4_E_EEvPT_PKSB_jjjSB_T1_
    .private_segment_fixed_size: 0
    .sgpr_count:     74
    .sgpr_spill_count: 0
    .symbol:         _ZN2at6native28tensor_kernel_scan_outer_dimIN3c107complexIfEEmZZZNS0_31launch_logcumsumexp_cuda_kernelERKNS_10TensorBaseES7_lENKUlvE_clEvENKUlvE2_clEvEUlS4_S4_E_EEvPT_PKSB_jjjSB_T1_.kd
    .uniform_work_group_size: 1
    .uses_dynamic_stack: false
    .vgpr_count:     47
    .vgpr_spill_count: 0
    .wavefront_size: 64
  - .args:
      - .address_space:  global
        .offset:         0
        .size:           8
        .value_kind:     global_buffer
      - .offset:         8
        .size:           4
        .value_kind:     by_value
      - .offset:         12
        .size:           1
        .value_kind:     by_value
      - .offset:         16
        .size:           4
        .value_kind:     by_value
      - .address_space:  global
        .offset:         24
        .size:           8
        .value_kind:     global_buffer
      - .offset:         32
        .size:           4
        .value_kind:     hidden_block_count_x
      - .offset:         36
        .size:           4
        .value_kind:     hidden_block_count_y
      - .offset:         40
        .size:           4
        .value_kind:     hidden_block_count_z
      - .offset:         44
        .size:           2
        .value_kind:     hidden_group_size_x
      - .offset:         46
        .size:           2
        .value_kind:     hidden_group_size_y
      - .offset:         48
        .size:           2
        .value_kind:     hidden_group_size_z
      - .offset:         50
        .size:           2
        .value_kind:     hidden_remainder_x
      - .offset:         52
        .size:           2
        .value_kind:     hidden_remainder_y
      - .offset:         54
        .size:           2
        .value_kind:     hidden_remainder_z
      - .offset:         72
        .size:           8
        .value_kind:     hidden_global_offset_x
      - .offset:         80
        .size:           8
        .value_kind:     hidden_global_offset_y
      - .offset:         88
        .size:           8
        .value_kind:     hidden_global_offset_z
      - .offset:         96
        .size:           2
        .value_kind:     hidden_grid_dims
    .group_segment_fixed_size: 0
    .kernarg_segment_align: 8
    .kernarg_segment_size: 288
    .language:       OpenCL C
    .language_version:
      - 2
      - 0
    .max_flat_workgroup_size: 256
    .name:           _ZN7rocprim17ROCPRIM_400000_NS6detail31init_lookback_scan_state_kernelINS1_19lookback_scan_stateIN3c104HalfELb0ELb1EEENS1_16block_id_wrapperIjLb0EEEEEvT_jT0_jPNS9_10value_typeE
    .private_segment_fixed_size: 0
    .sgpr_count:     13
    .sgpr_spill_count: 0
    .symbol:         _ZN7rocprim17ROCPRIM_400000_NS6detail31init_lookback_scan_state_kernelINS1_19lookback_scan_stateIN3c104HalfELb0ELb1EEENS1_16block_id_wrapperIjLb0EEEEEvT_jT0_jPNS9_10value_typeE.kd
    .uniform_work_group_size: 1
    .uses_dynamic_stack: false
    .vgpr_count:     5
    .vgpr_spill_count: 0
    .wavefront_size: 64
  - .args:
      - .offset:         0
        .size:           96
        .value_kind:     by_value
    .group_segment_fixed_size: 0
    .kernarg_segment_align: 8
    .kernarg_segment_size: 96
    .language:       OpenCL C
    .language_version:
      - 2
      - 0
    .max_flat_workgroup_size: 128
    .name:           _ZN7rocprim17ROCPRIM_400000_NS6detail17trampoline_kernelINS0_14default_configENS1_20scan_config_selectorIN3c104HalfEEEZZNS1_9scan_implILNS1_25lookback_scan_determinismE0ELb0ELb0ES3_PKS6_PS6_S6_ZZZN2at6native31launch_logcumsumexp_cuda_kernelERKNSD_10TensorBaseESH_lENKUlvE_clEvENKUlvE3_clEvEUlS6_S6_E_S6_EEDaPvRmT3_T4_T5_mT6_P12ihipStream_tbENKUlT_T0_E_clISt17integral_constantIbLb0EESY_EEDaST_SU_EUlST_E_NS1_11comp_targetILNS1_3genE0ELNS1_11target_archE4294967295ELNS1_3gpuE0ELNS1_3repE0EEENS1_30default_config_static_selectorELNS0_4arch9wavefront6targetE1EEEvT1_
    .private_segment_fixed_size: 0
    .sgpr_count:     4
    .sgpr_spill_count: 0
    .symbol:         _ZN7rocprim17ROCPRIM_400000_NS6detail17trampoline_kernelINS0_14default_configENS1_20scan_config_selectorIN3c104HalfEEEZZNS1_9scan_implILNS1_25lookback_scan_determinismE0ELb0ELb0ES3_PKS6_PS6_S6_ZZZN2at6native31launch_logcumsumexp_cuda_kernelERKNSD_10TensorBaseESH_lENKUlvE_clEvENKUlvE3_clEvEUlS6_S6_E_S6_EEDaPvRmT3_T4_T5_mT6_P12ihipStream_tbENKUlT_T0_E_clISt17integral_constantIbLb0EESY_EEDaST_SU_EUlST_E_NS1_11comp_targetILNS1_3genE0ELNS1_11target_archE4294967295ELNS1_3gpuE0ELNS1_3repE0EEENS1_30default_config_static_selectorELNS0_4arch9wavefront6targetE1EEEvT1_.kd
    .uniform_work_group_size: 1
    .uses_dynamic_stack: false
    .vgpr_count:     0
    .vgpr_spill_count: 0
    .wavefront_size: 64
  - .args:
      - .offset:         0
        .size:           96
        .value_kind:     by_value
    .group_segment_fixed_size: 0
    .kernarg_segment_align: 8
    .kernarg_segment_size: 96
    .language:       OpenCL C
    .language_version:
      - 2
      - 0
    .max_flat_workgroup_size: 256
    .name:           _ZN7rocprim17ROCPRIM_400000_NS6detail17trampoline_kernelINS0_14default_configENS1_20scan_config_selectorIN3c104HalfEEEZZNS1_9scan_implILNS1_25lookback_scan_determinismE0ELb0ELb0ES3_PKS6_PS6_S6_ZZZN2at6native31launch_logcumsumexp_cuda_kernelERKNSD_10TensorBaseESH_lENKUlvE_clEvENKUlvE3_clEvEUlS6_S6_E_S6_EEDaPvRmT3_T4_T5_mT6_P12ihipStream_tbENKUlT_T0_E_clISt17integral_constantIbLb0EESY_EEDaST_SU_EUlST_E_NS1_11comp_targetILNS1_3genE5ELNS1_11target_archE942ELNS1_3gpuE9ELNS1_3repE0EEENS1_30default_config_static_selectorELNS0_4arch9wavefront6targetE1EEEvT1_
    .private_segment_fixed_size: 0
    .sgpr_count:     4
    .sgpr_spill_count: 0
    .symbol:         _ZN7rocprim17ROCPRIM_400000_NS6detail17trampoline_kernelINS0_14default_configENS1_20scan_config_selectorIN3c104HalfEEEZZNS1_9scan_implILNS1_25lookback_scan_determinismE0ELb0ELb0ES3_PKS6_PS6_S6_ZZZN2at6native31launch_logcumsumexp_cuda_kernelERKNSD_10TensorBaseESH_lENKUlvE_clEvENKUlvE3_clEvEUlS6_S6_E_S6_EEDaPvRmT3_T4_T5_mT6_P12ihipStream_tbENKUlT_T0_E_clISt17integral_constantIbLb0EESY_EEDaST_SU_EUlST_E_NS1_11comp_targetILNS1_3genE5ELNS1_11target_archE942ELNS1_3gpuE9ELNS1_3repE0EEENS1_30default_config_static_selectorELNS0_4arch9wavefront6targetE1EEEvT1_.kd
    .uniform_work_group_size: 1
    .uses_dynamic_stack: false
    .vgpr_count:     0
    .vgpr_spill_count: 0
    .wavefront_size: 64
  - .args:
      - .offset:         0
        .size:           96
        .value_kind:     by_value
    .group_segment_fixed_size: 0
    .kernarg_segment_align: 8
    .kernarg_segment_size: 96
    .language:       OpenCL C
    .language_version:
      - 2
      - 0
    .max_flat_workgroup_size: 64
    .name:           _ZN7rocprim17ROCPRIM_400000_NS6detail17trampoline_kernelINS0_14default_configENS1_20scan_config_selectorIN3c104HalfEEEZZNS1_9scan_implILNS1_25lookback_scan_determinismE0ELb0ELb0ES3_PKS6_PS6_S6_ZZZN2at6native31launch_logcumsumexp_cuda_kernelERKNSD_10TensorBaseESH_lENKUlvE_clEvENKUlvE3_clEvEUlS6_S6_E_S6_EEDaPvRmT3_T4_T5_mT6_P12ihipStream_tbENKUlT_T0_E_clISt17integral_constantIbLb0EESY_EEDaST_SU_EUlST_E_NS1_11comp_targetILNS1_3genE4ELNS1_11target_archE910ELNS1_3gpuE8ELNS1_3repE0EEENS1_30default_config_static_selectorELNS0_4arch9wavefront6targetE1EEEvT1_
    .private_segment_fixed_size: 0
    .sgpr_count:     4
    .sgpr_spill_count: 0
    .symbol:         _ZN7rocprim17ROCPRIM_400000_NS6detail17trampoline_kernelINS0_14default_configENS1_20scan_config_selectorIN3c104HalfEEEZZNS1_9scan_implILNS1_25lookback_scan_determinismE0ELb0ELb0ES3_PKS6_PS6_S6_ZZZN2at6native31launch_logcumsumexp_cuda_kernelERKNSD_10TensorBaseESH_lENKUlvE_clEvENKUlvE3_clEvEUlS6_S6_E_S6_EEDaPvRmT3_T4_T5_mT6_P12ihipStream_tbENKUlT_T0_E_clISt17integral_constantIbLb0EESY_EEDaST_SU_EUlST_E_NS1_11comp_targetILNS1_3genE4ELNS1_11target_archE910ELNS1_3gpuE8ELNS1_3repE0EEENS1_30default_config_static_selectorELNS0_4arch9wavefront6targetE1EEEvT1_.kd
    .uniform_work_group_size: 1
    .uses_dynamic_stack: false
    .vgpr_count:     0
    .vgpr_spill_count: 0
    .wavefront_size: 64
  - .args:
      - .offset:         0
        .size:           96
        .value_kind:     by_value
    .group_segment_fixed_size: 0
    .kernarg_segment_align: 8
    .kernarg_segment_size: 96
    .language:       OpenCL C
    .language_version:
      - 2
      - 0
    .max_flat_workgroup_size: 128
    .name:           _ZN7rocprim17ROCPRIM_400000_NS6detail17trampoline_kernelINS0_14default_configENS1_20scan_config_selectorIN3c104HalfEEEZZNS1_9scan_implILNS1_25lookback_scan_determinismE0ELb0ELb0ES3_PKS6_PS6_S6_ZZZN2at6native31launch_logcumsumexp_cuda_kernelERKNSD_10TensorBaseESH_lENKUlvE_clEvENKUlvE3_clEvEUlS6_S6_E_S6_EEDaPvRmT3_T4_T5_mT6_P12ihipStream_tbENKUlT_T0_E_clISt17integral_constantIbLb0EESY_EEDaST_SU_EUlST_E_NS1_11comp_targetILNS1_3genE3ELNS1_11target_archE908ELNS1_3gpuE7ELNS1_3repE0EEENS1_30default_config_static_selectorELNS0_4arch9wavefront6targetE1EEEvT1_
    .private_segment_fixed_size: 0
    .sgpr_count:     4
    .sgpr_spill_count: 0
    .symbol:         _ZN7rocprim17ROCPRIM_400000_NS6detail17trampoline_kernelINS0_14default_configENS1_20scan_config_selectorIN3c104HalfEEEZZNS1_9scan_implILNS1_25lookback_scan_determinismE0ELb0ELb0ES3_PKS6_PS6_S6_ZZZN2at6native31launch_logcumsumexp_cuda_kernelERKNSD_10TensorBaseESH_lENKUlvE_clEvENKUlvE3_clEvEUlS6_S6_E_S6_EEDaPvRmT3_T4_T5_mT6_P12ihipStream_tbENKUlT_T0_E_clISt17integral_constantIbLb0EESY_EEDaST_SU_EUlST_E_NS1_11comp_targetILNS1_3genE3ELNS1_11target_archE908ELNS1_3gpuE7ELNS1_3repE0EEENS1_30default_config_static_selectorELNS0_4arch9wavefront6targetE1EEEvT1_.kd
    .uniform_work_group_size: 1
    .uses_dynamic_stack: false
    .vgpr_count:     0
    .vgpr_spill_count: 0
    .wavefront_size: 64
  - .args:
      - .offset:         0
        .size:           96
        .value_kind:     by_value
    .group_segment_fixed_size: 12288
    .kernarg_segment_align: 8
    .kernarg_segment_size: 96
    .language:       OpenCL C
    .language_version:
      - 2
      - 0
    .max_flat_workgroup_size: 256
    .name:           _ZN7rocprim17ROCPRIM_400000_NS6detail17trampoline_kernelINS0_14default_configENS1_20scan_config_selectorIN3c104HalfEEEZZNS1_9scan_implILNS1_25lookback_scan_determinismE0ELb0ELb0ES3_PKS6_PS6_S6_ZZZN2at6native31launch_logcumsumexp_cuda_kernelERKNSD_10TensorBaseESH_lENKUlvE_clEvENKUlvE3_clEvEUlS6_S6_E_S6_EEDaPvRmT3_T4_T5_mT6_P12ihipStream_tbENKUlT_T0_E_clISt17integral_constantIbLb0EESY_EEDaST_SU_EUlST_E_NS1_11comp_targetILNS1_3genE2ELNS1_11target_archE906ELNS1_3gpuE6ELNS1_3repE0EEENS1_30default_config_static_selectorELNS0_4arch9wavefront6targetE1EEEvT1_
    .private_segment_fixed_size: 0
    .sgpr_count:     90
    .sgpr_spill_count: 0
    .symbol:         _ZN7rocprim17ROCPRIM_400000_NS6detail17trampoline_kernelINS0_14default_configENS1_20scan_config_selectorIN3c104HalfEEEZZNS1_9scan_implILNS1_25lookback_scan_determinismE0ELb0ELb0ES3_PKS6_PS6_S6_ZZZN2at6native31launch_logcumsumexp_cuda_kernelERKNSD_10TensorBaseESH_lENKUlvE_clEvENKUlvE3_clEvEUlS6_S6_E_S6_EEDaPvRmT3_T4_T5_mT6_P12ihipStream_tbENKUlT_T0_E_clISt17integral_constantIbLb0EESY_EEDaST_SU_EUlST_E_NS1_11comp_targetILNS1_3genE2ELNS1_11target_archE906ELNS1_3gpuE6ELNS1_3repE0EEENS1_30default_config_static_selectorELNS0_4arch9wavefront6targetE1EEEvT1_.kd
    .uniform_work_group_size: 1
    .uses_dynamic_stack: false
    .vgpr_count:     76
    .vgpr_spill_count: 0
    .wavefront_size: 64
  - .args:
      - .offset:         0
        .size:           96
        .value_kind:     by_value
    .group_segment_fixed_size: 0
    .kernarg_segment_align: 8
    .kernarg_segment_size: 96
    .language:       OpenCL C
    .language_version:
      - 2
      - 0
    .max_flat_workgroup_size: 256
    .name:           _ZN7rocprim17ROCPRIM_400000_NS6detail17trampoline_kernelINS0_14default_configENS1_20scan_config_selectorIN3c104HalfEEEZZNS1_9scan_implILNS1_25lookback_scan_determinismE0ELb0ELb0ES3_PKS6_PS6_S6_ZZZN2at6native31launch_logcumsumexp_cuda_kernelERKNSD_10TensorBaseESH_lENKUlvE_clEvENKUlvE3_clEvEUlS6_S6_E_S6_EEDaPvRmT3_T4_T5_mT6_P12ihipStream_tbENKUlT_T0_E_clISt17integral_constantIbLb0EESY_EEDaST_SU_EUlST_E_NS1_11comp_targetILNS1_3genE10ELNS1_11target_archE1201ELNS1_3gpuE5ELNS1_3repE0EEENS1_30default_config_static_selectorELNS0_4arch9wavefront6targetE1EEEvT1_
    .private_segment_fixed_size: 0
    .sgpr_count:     4
    .sgpr_spill_count: 0
    .symbol:         _ZN7rocprim17ROCPRIM_400000_NS6detail17trampoline_kernelINS0_14default_configENS1_20scan_config_selectorIN3c104HalfEEEZZNS1_9scan_implILNS1_25lookback_scan_determinismE0ELb0ELb0ES3_PKS6_PS6_S6_ZZZN2at6native31launch_logcumsumexp_cuda_kernelERKNSD_10TensorBaseESH_lENKUlvE_clEvENKUlvE3_clEvEUlS6_S6_E_S6_EEDaPvRmT3_T4_T5_mT6_P12ihipStream_tbENKUlT_T0_E_clISt17integral_constantIbLb0EESY_EEDaST_SU_EUlST_E_NS1_11comp_targetILNS1_3genE10ELNS1_11target_archE1201ELNS1_3gpuE5ELNS1_3repE0EEENS1_30default_config_static_selectorELNS0_4arch9wavefront6targetE1EEEvT1_.kd
    .uniform_work_group_size: 1
    .uses_dynamic_stack: false
    .vgpr_count:     0
    .vgpr_spill_count: 0
    .wavefront_size: 64
  - .args:
      - .offset:         0
        .size:           96
        .value_kind:     by_value
    .group_segment_fixed_size: 0
    .kernarg_segment_align: 8
    .kernarg_segment_size: 96
    .language:       OpenCL C
    .language_version:
      - 2
      - 0
    .max_flat_workgroup_size: 256
    .name:           _ZN7rocprim17ROCPRIM_400000_NS6detail17trampoline_kernelINS0_14default_configENS1_20scan_config_selectorIN3c104HalfEEEZZNS1_9scan_implILNS1_25lookback_scan_determinismE0ELb0ELb0ES3_PKS6_PS6_S6_ZZZN2at6native31launch_logcumsumexp_cuda_kernelERKNSD_10TensorBaseESH_lENKUlvE_clEvENKUlvE3_clEvEUlS6_S6_E_S6_EEDaPvRmT3_T4_T5_mT6_P12ihipStream_tbENKUlT_T0_E_clISt17integral_constantIbLb0EESY_EEDaST_SU_EUlST_E_NS1_11comp_targetILNS1_3genE10ELNS1_11target_archE1200ELNS1_3gpuE4ELNS1_3repE0EEENS1_30default_config_static_selectorELNS0_4arch9wavefront6targetE1EEEvT1_
    .private_segment_fixed_size: 0
    .sgpr_count:     4
    .sgpr_spill_count: 0
    .symbol:         _ZN7rocprim17ROCPRIM_400000_NS6detail17trampoline_kernelINS0_14default_configENS1_20scan_config_selectorIN3c104HalfEEEZZNS1_9scan_implILNS1_25lookback_scan_determinismE0ELb0ELb0ES3_PKS6_PS6_S6_ZZZN2at6native31launch_logcumsumexp_cuda_kernelERKNSD_10TensorBaseESH_lENKUlvE_clEvENKUlvE3_clEvEUlS6_S6_E_S6_EEDaPvRmT3_T4_T5_mT6_P12ihipStream_tbENKUlT_T0_E_clISt17integral_constantIbLb0EESY_EEDaST_SU_EUlST_E_NS1_11comp_targetILNS1_3genE10ELNS1_11target_archE1200ELNS1_3gpuE4ELNS1_3repE0EEENS1_30default_config_static_selectorELNS0_4arch9wavefront6targetE1EEEvT1_.kd
    .uniform_work_group_size: 1
    .uses_dynamic_stack: false
    .vgpr_count:     0
    .vgpr_spill_count: 0
    .wavefront_size: 64
  - .args:
      - .offset:         0
        .size:           96
        .value_kind:     by_value
    .group_segment_fixed_size: 0
    .kernarg_segment_align: 8
    .kernarg_segment_size: 96
    .language:       OpenCL C
    .language_version:
      - 2
      - 0
    .max_flat_workgroup_size: 64
    .name:           _ZN7rocprim17ROCPRIM_400000_NS6detail17trampoline_kernelINS0_14default_configENS1_20scan_config_selectorIN3c104HalfEEEZZNS1_9scan_implILNS1_25lookback_scan_determinismE0ELb0ELb0ES3_PKS6_PS6_S6_ZZZN2at6native31launch_logcumsumexp_cuda_kernelERKNSD_10TensorBaseESH_lENKUlvE_clEvENKUlvE3_clEvEUlS6_S6_E_S6_EEDaPvRmT3_T4_T5_mT6_P12ihipStream_tbENKUlT_T0_E_clISt17integral_constantIbLb0EESY_EEDaST_SU_EUlST_E_NS1_11comp_targetILNS1_3genE9ELNS1_11target_archE1100ELNS1_3gpuE3ELNS1_3repE0EEENS1_30default_config_static_selectorELNS0_4arch9wavefront6targetE1EEEvT1_
    .private_segment_fixed_size: 0
    .sgpr_count:     4
    .sgpr_spill_count: 0
    .symbol:         _ZN7rocprim17ROCPRIM_400000_NS6detail17trampoline_kernelINS0_14default_configENS1_20scan_config_selectorIN3c104HalfEEEZZNS1_9scan_implILNS1_25lookback_scan_determinismE0ELb0ELb0ES3_PKS6_PS6_S6_ZZZN2at6native31launch_logcumsumexp_cuda_kernelERKNSD_10TensorBaseESH_lENKUlvE_clEvENKUlvE3_clEvEUlS6_S6_E_S6_EEDaPvRmT3_T4_T5_mT6_P12ihipStream_tbENKUlT_T0_E_clISt17integral_constantIbLb0EESY_EEDaST_SU_EUlST_E_NS1_11comp_targetILNS1_3genE9ELNS1_11target_archE1100ELNS1_3gpuE3ELNS1_3repE0EEENS1_30default_config_static_selectorELNS0_4arch9wavefront6targetE1EEEvT1_.kd
    .uniform_work_group_size: 1
    .uses_dynamic_stack: false
    .vgpr_count:     0
    .vgpr_spill_count: 0
    .wavefront_size: 64
  - .args:
      - .offset:         0
        .size:           96
        .value_kind:     by_value
    .group_segment_fixed_size: 0
    .kernarg_segment_align: 8
    .kernarg_segment_size: 96
    .language:       OpenCL C
    .language_version:
      - 2
      - 0
    .max_flat_workgroup_size: 64
    .name:           _ZN7rocprim17ROCPRIM_400000_NS6detail17trampoline_kernelINS0_14default_configENS1_20scan_config_selectorIN3c104HalfEEEZZNS1_9scan_implILNS1_25lookback_scan_determinismE0ELb0ELb0ES3_PKS6_PS6_S6_ZZZN2at6native31launch_logcumsumexp_cuda_kernelERKNSD_10TensorBaseESH_lENKUlvE_clEvENKUlvE3_clEvEUlS6_S6_E_S6_EEDaPvRmT3_T4_T5_mT6_P12ihipStream_tbENKUlT_T0_E_clISt17integral_constantIbLb0EESY_EEDaST_SU_EUlST_E_NS1_11comp_targetILNS1_3genE8ELNS1_11target_archE1030ELNS1_3gpuE2ELNS1_3repE0EEENS1_30default_config_static_selectorELNS0_4arch9wavefront6targetE1EEEvT1_
    .private_segment_fixed_size: 0
    .sgpr_count:     4
    .sgpr_spill_count: 0
    .symbol:         _ZN7rocprim17ROCPRIM_400000_NS6detail17trampoline_kernelINS0_14default_configENS1_20scan_config_selectorIN3c104HalfEEEZZNS1_9scan_implILNS1_25lookback_scan_determinismE0ELb0ELb0ES3_PKS6_PS6_S6_ZZZN2at6native31launch_logcumsumexp_cuda_kernelERKNSD_10TensorBaseESH_lENKUlvE_clEvENKUlvE3_clEvEUlS6_S6_E_S6_EEDaPvRmT3_T4_T5_mT6_P12ihipStream_tbENKUlT_T0_E_clISt17integral_constantIbLb0EESY_EEDaST_SU_EUlST_E_NS1_11comp_targetILNS1_3genE8ELNS1_11target_archE1030ELNS1_3gpuE2ELNS1_3repE0EEENS1_30default_config_static_selectorELNS0_4arch9wavefront6targetE1EEEvT1_.kd
    .uniform_work_group_size: 1
    .uses_dynamic_stack: false
    .vgpr_count:     0
    .vgpr_spill_count: 0
    .wavefront_size: 64
  - .args:
      - .offset:         0
        .size:           40
        .value_kind:     by_value
    .group_segment_fixed_size: 0
    .kernarg_segment_align: 8
    .kernarg_segment_size: 40
    .language:       OpenCL C
    .language_version:
      - 2
      - 0
    .max_flat_workgroup_size: 128
    .name:           _ZN7rocprim17ROCPRIM_400000_NS6detail17trampoline_kernelINS0_14default_configENS1_25transform_config_selectorIN3c104HalfELb1EEEZNS1_14transform_implILb1ES3_S7_PS6_S9_NS0_8identityIS6_EEEE10hipError_tT2_T3_mT4_P12ihipStream_tbEUlT_E_NS1_11comp_targetILNS1_3genE0ELNS1_11target_archE4294967295ELNS1_3gpuE0ELNS1_3repE0EEENS1_30default_config_static_selectorELNS0_4arch9wavefront6targetE1EEEvT1_
    .private_segment_fixed_size: 0
    .sgpr_count:     4
    .sgpr_spill_count: 0
    .symbol:         _ZN7rocprim17ROCPRIM_400000_NS6detail17trampoline_kernelINS0_14default_configENS1_25transform_config_selectorIN3c104HalfELb1EEEZNS1_14transform_implILb1ES3_S7_PS6_S9_NS0_8identityIS6_EEEE10hipError_tT2_T3_mT4_P12ihipStream_tbEUlT_E_NS1_11comp_targetILNS1_3genE0ELNS1_11target_archE4294967295ELNS1_3gpuE0ELNS1_3repE0EEENS1_30default_config_static_selectorELNS0_4arch9wavefront6targetE1EEEvT1_.kd
    .uniform_work_group_size: 1
    .uses_dynamic_stack: false
    .vgpr_count:     0
    .vgpr_spill_count: 0
    .wavefront_size: 64
  - .args:
      - .offset:         0
        .size:           40
        .value_kind:     by_value
    .group_segment_fixed_size: 0
    .kernarg_segment_align: 8
    .kernarg_segment_size: 40
    .language:       OpenCL C
    .language_version:
      - 2
      - 0
    .max_flat_workgroup_size: 64
    .name:           _ZN7rocprim17ROCPRIM_400000_NS6detail17trampoline_kernelINS0_14default_configENS1_25transform_config_selectorIN3c104HalfELb1EEEZNS1_14transform_implILb1ES3_S7_PS6_S9_NS0_8identityIS6_EEEE10hipError_tT2_T3_mT4_P12ihipStream_tbEUlT_E_NS1_11comp_targetILNS1_3genE10ELNS1_11target_archE1201ELNS1_3gpuE5ELNS1_3repE0EEENS1_30default_config_static_selectorELNS0_4arch9wavefront6targetE1EEEvT1_
    .private_segment_fixed_size: 0
    .sgpr_count:     4
    .sgpr_spill_count: 0
    .symbol:         _ZN7rocprim17ROCPRIM_400000_NS6detail17trampoline_kernelINS0_14default_configENS1_25transform_config_selectorIN3c104HalfELb1EEEZNS1_14transform_implILb1ES3_S7_PS6_S9_NS0_8identityIS6_EEEE10hipError_tT2_T3_mT4_P12ihipStream_tbEUlT_E_NS1_11comp_targetILNS1_3genE10ELNS1_11target_archE1201ELNS1_3gpuE5ELNS1_3repE0EEENS1_30default_config_static_selectorELNS0_4arch9wavefront6targetE1EEEvT1_.kd
    .uniform_work_group_size: 1
    .uses_dynamic_stack: false
    .vgpr_count:     0
    .vgpr_spill_count: 0
    .wavefront_size: 64
  - .args:
      - .offset:         0
        .size:           40
        .value_kind:     by_value
    .group_segment_fixed_size: 0
    .kernarg_segment_align: 8
    .kernarg_segment_size: 40
    .language:       OpenCL C
    .language_version:
      - 2
      - 0
    .max_flat_workgroup_size: 256
    .name:           _ZN7rocprim17ROCPRIM_400000_NS6detail17trampoline_kernelINS0_14default_configENS1_25transform_config_selectorIN3c104HalfELb1EEEZNS1_14transform_implILb1ES3_S7_PS6_S9_NS0_8identityIS6_EEEE10hipError_tT2_T3_mT4_P12ihipStream_tbEUlT_E_NS1_11comp_targetILNS1_3genE5ELNS1_11target_archE942ELNS1_3gpuE9ELNS1_3repE0EEENS1_30default_config_static_selectorELNS0_4arch9wavefront6targetE1EEEvT1_
    .private_segment_fixed_size: 0
    .sgpr_count:     4
    .sgpr_spill_count: 0
    .symbol:         _ZN7rocprim17ROCPRIM_400000_NS6detail17trampoline_kernelINS0_14default_configENS1_25transform_config_selectorIN3c104HalfELb1EEEZNS1_14transform_implILb1ES3_S7_PS6_S9_NS0_8identityIS6_EEEE10hipError_tT2_T3_mT4_P12ihipStream_tbEUlT_E_NS1_11comp_targetILNS1_3genE5ELNS1_11target_archE942ELNS1_3gpuE9ELNS1_3repE0EEENS1_30default_config_static_selectorELNS0_4arch9wavefront6targetE1EEEvT1_.kd
    .uniform_work_group_size: 1
    .uses_dynamic_stack: false
    .vgpr_count:     0
    .vgpr_spill_count: 0
    .wavefront_size: 64
  - .args:
      - .offset:         0
        .size:           40
        .value_kind:     by_value
    .group_segment_fixed_size: 0
    .kernarg_segment_align: 8
    .kernarg_segment_size: 40
    .language:       OpenCL C
    .language_version:
      - 2
      - 0
    .max_flat_workgroup_size: 1024
    .name:           _ZN7rocprim17ROCPRIM_400000_NS6detail17trampoline_kernelINS0_14default_configENS1_25transform_config_selectorIN3c104HalfELb1EEEZNS1_14transform_implILb1ES3_S7_PS6_S9_NS0_8identityIS6_EEEE10hipError_tT2_T3_mT4_P12ihipStream_tbEUlT_E_NS1_11comp_targetILNS1_3genE4ELNS1_11target_archE910ELNS1_3gpuE8ELNS1_3repE0EEENS1_30default_config_static_selectorELNS0_4arch9wavefront6targetE1EEEvT1_
    .private_segment_fixed_size: 0
    .sgpr_count:     4
    .sgpr_spill_count: 0
    .symbol:         _ZN7rocprim17ROCPRIM_400000_NS6detail17trampoline_kernelINS0_14default_configENS1_25transform_config_selectorIN3c104HalfELb1EEEZNS1_14transform_implILb1ES3_S7_PS6_S9_NS0_8identityIS6_EEEE10hipError_tT2_T3_mT4_P12ihipStream_tbEUlT_E_NS1_11comp_targetILNS1_3genE4ELNS1_11target_archE910ELNS1_3gpuE8ELNS1_3repE0EEENS1_30default_config_static_selectorELNS0_4arch9wavefront6targetE1EEEvT1_.kd
    .uniform_work_group_size: 1
    .uses_dynamic_stack: false
    .vgpr_count:     0
    .vgpr_spill_count: 0
    .wavefront_size: 64
  - .args:
      - .offset:         0
        .size:           40
        .value_kind:     by_value
    .group_segment_fixed_size: 0
    .kernarg_segment_align: 8
    .kernarg_segment_size: 40
    .language:       OpenCL C
    .language_version:
      - 2
      - 0
    .max_flat_workgroup_size: 128
    .name:           _ZN7rocprim17ROCPRIM_400000_NS6detail17trampoline_kernelINS0_14default_configENS1_25transform_config_selectorIN3c104HalfELb1EEEZNS1_14transform_implILb1ES3_S7_PS6_S9_NS0_8identityIS6_EEEE10hipError_tT2_T3_mT4_P12ihipStream_tbEUlT_E_NS1_11comp_targetILNS1_3genE3ELNS1_11target_archE908ELNS1_3gpuE7ELNS1_3repE0EEENS1_30default_config_static_selectorELNS0_4arch9wavefront6targetE1EEEvT1_
    .private_segment_fixed_size: 0
    .sgpr_count:     4
    .sgpr_spill_count: 0
    .symbol:         _ZN7rocprim17ROCPRIM_400000_NS6detail17trampoline_kernelINS0_14default_configENS1_25transform_config_selectorIN3c104HalfELb1EEEZNS1_14transform_implILb1ES3_S7_PS6_S9_NS0_8identityIS6_EEEE10hipError_tT2_T3_mT4_P12ihipStream_tbEUlT_E_NS1_11comp_targetILNS1_3genE3ELNS1_11target_archE908ELNS1_3gpuE7ELNS1_3repE0EEENS1_30default_config_static_selectorELNS0_4arch9wavefront6targetE1EEEvT1_.kd
    .uniform_work_group_size: 1
    .uses_dynamic_stack: false
    .vgpr_count:     0
    .vgpr_spill_count: 0
    .wavefront_size: 64
  - .args:
      - .offset:         0
        .size:           40
        .value_kind:     by_value
      - .offset:         40
        .size:           4
        .value_kind:     hidden_block_count_x
      - .offset:         44
        .size:           4
        .value_kind:     hidden_block_count_y
      - .offset:         48
        .size:           4
        .value_kind:     hidden_block_count_z
      - .offset:         52
        .size:           2
        .value_kind:     hidden_group_size_x
      - .offset:         54
        .size:           2
        .value_kind:     hidden_group_size_y
      - .offset:         56
        .size:           2
        .value_kind:     hidden_group_size_z
      - .offset:         58
        .size:           2
        .value_kind:     hidden_remainder_x
      - .offset:         60
        .size:           2
        .value_kind:     hidden_remainder_y
      - .offset:         62
        .size:           2
        .value_kind:     hidden_remainder_z
      - .offset:         80
        .size:           8
        .value_kind:     hidden_global_offset_x
      - .offset:         88
        .size:           8
        .value_kind:     hidden_global_offset_y
      - .offset:         96
        .size:           8
        .value_kind:     hidden_global_offset_z
      - .offset:         104
        .size:           2
        .value_kind:     hidden_grid_dims
    .group_segment_fixed_size: 0
    .kernarg_segment_align: 8
    .kernarg_segment_size: 296
    .language:       OpenCL C
    .language_version:
      - 2
      - 0
    .max_flat_workgroup_size: 1024
    .name:           _ZN7rocprim17ROCPRIM_400000_NS6detail17trampoline_kernelINS0_14default_configENS1_25transform_config_selectorIN3c104HalfELb1EEEZNS1_14transform_implILb1ES3_S7_PS6_S9_NS0_8identityIS6_EEEE10hipError_tT2_T3_mT4_P12ihipStream_tbEUlT_E_NS1_11comp_targetILNS1_3genE2ELNS1_11target_archE906ELNS1_3gpuE6ELNS1_3repE0EEENS1_30default_config_static_selectorELNS0_4arch9wavefront6targetE1EEEvT1_
    .private_segment_fixed_size: 0
    .sgpr_count:     26
    .sgpr_spill_count: 0
    .symbol:         _ZN7rocprim17ROCPRIM_400000_NS6detail17trampoline_kernelINS0_14default_configENS1_25transform_config_selectorIN3c104HalfELb1EEEZNS1_14transform_implILb1ES3_S7_PS6_S9_NS0_8identityIS6_EEEE10hipError_tT2_T3_mT4_P12ihipStream_tbEUlT_E_NS1_11comp_targetILNS1_3genE2ELNS1_11target_archE906ELNS1_3gpuE6ELNS1_3repE0EEENS1_30default_config_static_selectorELNS0_4arch9wavefront6targetE1EEEvT1_.kd
    .uniform_work_group_size: 1
    .uses_dynamic_stack: false
    .vgpr_count:     11
    .vgpr_spill_count: 0
    .wavefront_size: 64
  - .args:
      - .offset:         0
        .size:           40
        .value_kind:     by_value
    .group_segment_fixed_size: 0
    .kernarg_segment_align: 8
    .kernarg_segment_size: 40
    .language:       OpenCL C
    .language_version:
      - 2
      - 0
    .max_flat_workgroup_size: 1024
    .name:           _ZN7rocprim17ROCPRIM_400000_NS6detail17trampoline_kernelINS0_14default_configENS1_25transform_config_selectorIN3c104HalfELb1EEEZNS1_14transform_implILb1ES3_S7_PS6_S9_NS0_8identityIS6_EEEE10hipError_tT2_T3_mT4_P12ihipStream_tbEUlT_E_NS1_11comp_targetILNS1_3genE9ELNS1_11target_archE1100ELNS1_3gpuE3ELNS1_3repE0EEENS1_30default_config_static_selectorELNS0_4arch9wavefront6targetE1EEEvT1_
    .private_segment_fixed_size: 0
    .sgpr_count:     4
    .sgpr_spill_count: 0
    .symbol:         _ZN7rocprim17ROCPRIM_400000_NS6detail17trampoline_kernelINS0_14default_configENS1_25transform_config_selectorIN3c104HalfELb1EEEZNS1_14transform_implILb1ES3_S7_PS6_S9_NS0_8identityIS6_EEEE10hipError_tT2_T3_mT4_P12ihipStream_tbEUlT_E_NS1_11comp_targetILNS1_3genE9ELNS1_11target_archE1100ELNS1_3gpuE3ELNS1_3repE0EEENS1_30default_config_static_selectorELNS0_4arch9wavefront6targetE1EEEvT1_.kd
    .uniform_work_group_size: 1
    .uses_dynamic_stack: false
    .vgpr_count:     0
    .vgpr_spill_count: 0
    .wavefront_size: 64
  - .args:
      - .offset:         0
        .size:           40
        .value_kind:     by_value
    .group_segment_fixed_size: 0
    .kernarg_segment_align: 8
    .kernarg_segment_size: 40
    .language:       OpenCL C
    .language_version:
      - 2
      - 0
    .max_flat_workgroup_size: 1024
    .name:           _ZN7rocprim17ROCPRIM_400000_NS6detail17trampoline_kernelINS0_14default_configENS1_25transform_config_selectorIN3c104HalfELb1EEEZNS1_14transform_implILb1ES3_S7_PS6_S9_NS0_8identityIS6_EEEE10hipError_tT2_T3_mT4_P12ihipStream_tbEUlT_E_NS1_11comp_targetILNS1_3genE8ELNS1_11target_archE1030ELNS1_3gpuE2ELNS1_3repE0EEENS1_30default_config_static_selectorELNS0_4arch9wavefront6targetE1EEEvT1_
    .private_segment_fixed_size: 0
    .sgpr_count:     4
    .sgpr_spill_count: 0
    .symbol:         _ZN7rocprim17ROCPRIM_400000_NS6detail17trampoline_kernelINS0_14default_configENS1_25transform_config_selectorIN3c104HalfELb1EEEZNS1_14transform_implILb1ES3_S7_PS6_S9_NS0_8identityIS6_EEEE10hipError_tT2_T3_mT4_P12ihipStream_tbEUlT_E_NS1_11comp_targetILNS1_3genE8ELNS1_11target_archE1030ELNS1_3gpuE2ELNS1_3repE0EEENS1_30default_config_static_selectorELNS0_4arch9wavefront6targetE1EEEvT1_.kd
    .uniform_work_group_size: 1
    .uses_dynamic_stack: false
    .vgpr_count:     0
    .vgpr_spill_count: 0
    .wavefront_size: 64
  - .args:
      - .offset:         0
        .size:           32
        .value_kind:     by_value
    .group_segment_fixed_size: 0
    .kernarg_segment_align: 8
    .kernarg_segment_size: 32
    .language:       OpenCL C
    .language_version:
      - 2
      - 0
    .max_flat_workgroup_size: 128
    .name:           _ZN7rocprim17ROCPRIM_400000_NS6detail17trampoline_kernelINS0_14default_configENS1_20scan_config_selectorIN3c104HalfEEEZZNS1_9scan_implILNS1_25lookback_scan_determinismE0ELb0ELb0ES3_PKS6_PS6_S6_ZZZN2at6native31launch_logcumsumexp_cuda_kernelERKNSD_10TensorBaseESH_lENKUlvE_clEvENKUlvE3_clEvEUlS6_S6_E_S6_EEDaPvRmT3_T4_T5_mT6_P12ihipStream_tbENKUlT_T0_E_clISt17integral_constantIbLb0EESY_EEDaST_SU_EUlST_E0_NS1_11comp_targetILNS1_3genE0ELNS1_11target_archE4294967295ELNS1_3gpuE0ELNS1_3repE0EEENS1_30default_config_static_selectorELNS0_4arch9wavefront6targetE1EEEvT1_
    .private_segment_fixed_size: 0
    .sgpr_count:     4
    .sgpr_spill_count: 0
    .symbol:         _ZN7rocprim17ROCPRIM_400000_NS6detail17trampoline_kernelINS0_14default_configENS1_20scan_config_selectorIN3c104HalfEEEZZNS1_9scan_implILNS1_25lookback_scan_determinismE0ELb0ELb0ES3_PKS6_PS6_S6_ZZZN2at6native31launch_logcumsumexp_cuda_kernelERKNSD_10TensorBaseESH_lENKUlvE_clEvENKUlvE3_clEvEUlS6_S6_E_S6_EEDaPvRmT3_T4_T5_mT6_P12ihipStream_tbENKUlT_T0_E_clISt17integral_constantIbLb0EESY_EEDaST_SU_EUlST_E0_NS1_11comp_targetILNS1_3genE0ELNS1_11target_archE4294967295ELNS1_3gpuE0ELNS1_3repE0EEENS1_30default_config_static_selectorELNS0_4arch9wavefront6targetE1EEEvT1_.kd
    .uniform_work_group_size: 1
    .uses_dynamic_stack: false
    .vgpr_count:     0
    .vgpr_spill_count: 0
    .wavefront_size: 64
  - .args:
      - .offset:         0
        .size:           32
        .value_kind:     by_value
    .group_segment_fixed_size: 0
    .kernarg_segment_align: 8
    .kernarg_segment_size: 32
    .language:       OpenCL C
    .language_version:
      - 2
      - 0
    .max_flat_workgroup_size: 256
    .name:           _ZN7rocprim17ROCPRIM_400000_NS6detail17trampoline_kernelINS0_14default_configENS1_20scan_config_selectorIN3c104HalfEEEZZNS1_9scan_implILNS1_25lookback_scan_determinismE0ELb0ELb0ES3_PKS6_PS6_S6_ZZZN2at6native31launch_logcumsumexp_cuda_kernelERKNSD_10TensorBaseESH_lENKUlvE_clEvENKUlvE3_clEvEUlS6_S6_E_S6_EEDaPvRmT3_T4_T5_mT6_P12ihipStream_tbENKUlT_T0_E_clISt17integral_constantIbLb0EESY_EEDaST_SU_EUlST_E0_NS1_11comp_targetILNS1_3genE5ELNS1_11target_archE942ELNS1_3gpuE9ELNS1_3repE0EEENS1_30default_config_static_selectorELNS0_4arch9wavefront6targetE1EEEvT1_
    .private_segment_fixed_size: 0
    .sgpr_count:     4
    .sgpr_spill_count: 0
    .symbol:         _ZN7rocprim17ROCPRIM_400000_NS6detail17trampoline_kernelINS0_14default_configENS1_20scan_config_selectorIN3c104HalfEEEZZNS1_9scan_implILNS1_25lookback_scan_determinismE0ELb0ELb0ES3_PKS6_PS6_S6_ZZZN2at6native31launch_logcumsumexp_cuda_kernelERKNSD_10TensorBaseESH_lENKUlvE_clEvENKUlvE3_clEvEUlS6_S6_E_S6_EEDaPvRmT3_T4_T5_mT6_P12ihipStream_tbENKUlT_T0_E_clISt17integral_constantIbLb0EESY_EEDaST_SU_EUlST_E0_NS1_11comp_targetILNS1_3genE5ELNS1_11target_archE942ELNS1_3gpuE9ELNS1_3repE0EEENS1_30default_config_static_selectorELNS0_4arch9wavefront6targetE1EEEvT1_.kd
    .uniform_work_group_size: 1
    .uses_dynamic_stack: false
    .vgpr_count:     0
    .vgpr_spill_count: 0
    .wavefront_size: 64
  - .args:
      - .offset:         0
        .size:           32
        .value_kind:     by_value
    .group_segment_fixed_size: 0
    .kernarg_segment_align: 8
    .kernarg_segment_size: 32
    .language:       OpenCL C
    .language_version:
      - 2
      - 0
    .max_flat_workgroup_size: 64
    .name:           _ZN7rocprim17ROCPRIM_400000_NS6detail17trampoline_kernelINS0_14default_configENS1_20scan_config_selectorIN3c104HalfEEEZZNS1_9scan_implILNS1_25lookback_scan_determinismE0ELb0ELb0ES3_PKS6_PS6_S6_ZZZN2at6native31launch_logcumsumexp_cuda_kernelERKNSD_10TensorBaseESH_lENKUlvE_clEvENKUlvE3_clEvEUlS6_S6_E_S6_EEDaPvRmT3_T4_T5_mT6_P12ihipStream_tbENKUlT_T0_E_clISt17integral_constantIbLb0EESY_EEDaST_SU_EUlST_E0_NS1_11comp_targetILNS1_3genE4ELNS1_11target_archE910ELNS1_3gpuE8ELNS1_3repE0EEENS1_30default_config_static_selectorELNS0_4arch9wavefront6targetE1EEEvT1_
    .private_segment_fixed_size: 0
    .sgpr_count:     4
    .sgpr_spill_count: 0
    .symbol:         _ZN7rocprim17ROCPRIM_400000_NS6detail17trampoline_kernelINS0_14default_configENS1_20scan_config_selectorIN3c104HalfEEEZZNS1_9scan_implILNS1_25lookback_scan_determinismE0ELb0ELb0ES3_PKS6_PS6_S6_ZZZN2at6native31launch_logcumsumexp_cuda_kernelERKNSD_10TensorBaseESH_lENKUlvE_clEvENKUlvE3_clEvEUlS6_S6_E_S6_EEDaPvRmT3_T4_T5_mT6_P12ihipStream_tbENKUlT_T0_E_clISt17integral_constantIbLb0EESY_EEDaST_SU_EUlST_E0_NS1_11comp_targetILNS1_3genE4ELNS1_11target_archE910ELNS1_3gpuE8ELNS1_3repE0EEENS1_30default_config_static_selectorELNS0_4arch9wavefront6targetE1EEEvT1_.kd
    .uniform_work_group_size: 1
    .uses_dynamic_stack: false
    .vgpr_count:     0
    .vgpr_spill_count: 0
    .wavefront_size: 64
  - .args:
      - .offset:         0
        .size:           32
        .value_kind:     by_value
    .group_segment_fixed_size: 0
    .kernarg_segment_align: 8
    .kernarg_segment_size: 32
    .language:       OpenCL C
    .language_version:
      - 2
      - 0
    .max_flat_workgroup_size: 128
    .name:           _ZN7rocprim17ROCPRIM_400000_NS6detail17trampoline_kernelINS0_14default_configENS1_20scan_config_selectorIN3c104HalfEEEZZNS1_9scan_implILNS1_25lookback_scan_determinismE0ELb0ELb0ES3_PKS6_PS6_S6_ZZZN2at6native31launch_logcumsumexp_cuda_kernelERKNSD_10TensorBaseESH_lENKUlvE_clEvENKUlvE3_clEvEUlS6_S6_E_S6_EEDaPvRmT3_T4_T5_mT6_P12ihipStream_tbENKUlT_T0_E_clISt17integral_constantIbLb0EESY_EEDaST_SU_EUlST_E0_NS1_11comp_targetILNS1_3genE3ELNS1_11target_archE908ELNS1_3gpuE7ELNS1_3repE0EEENS1_30default_config_static_selectorELNS0_4arch9wavefront6targetE1EEEvT1_
    .private_segment_fixed_size: 0
    .sgpr_count:     4
    .sgpr_spill_count: 0
    .symbol:         _ZN7rocprim17ROCPRIM_400000_NS6detail17trampoline_kernelINS0_14default_configENS1_20scan_config_selectorIN3c104HalfEEEZZNS1_9scan_implILNS1_25lookback_scan_determinismE0ELb0ELb0ES3_PKS6_PS6_S6_ZZZN2at6native31launch_logcumsumexp_cuda_kernelERKNSD_10TensorBaseESH_lENKUlvE_clEvENKUlvE3_clEvEUlS6_S6_E_S6_EEDaPvRmT3_T4_T5_mT6_P12ihipStream_tbENKUlT_T0_E_clISt17integral_constantIbLb0EESY_EEDaST_SU_EUlST_E0_NS1_11comp_targetILNS1_3genE3ELNS1_11target_archE908ELNS1_3gpuE7ELNS1_3repE0EEENS1_30default_config_static_selectorELNS0_4arch9wavefront6targetE1EEEvT1_.kd
    .uniform_work_group_size: 1
    .uses_dynamic_stack: false
    .vgpr_count:     0
    .vgpr_spill_count: 0
    .wavefront_size: 64
  - .args:
      - .offset:         0
        .size:           32
        .value_kind:     by_value
    .group_segment_fixed_size: 12288
    .kernarg_segment_align: 8
    .kernarg_segment_size: 32
    .language:       OpenCL C
    .language_version:
      - 2
      - 0
    .max_flat_workgroup_size: 256
    .name:           _ZN7rocprim17ROCPRIM_400000_NS6detail17trampoline_kernelINS0_14default_configENS1_20scan_config_selectorIN3c104HalfEEEZZNS1_9scan_implILNS1_25lookback_scan_determinismE0ELb0ELb0ES3_PKS6_PS6_S6_ZZZN2at6native31launch_logcumsumexp_cuda_kernelERKNSD_10TensorBaseESH_lENKUlvE_clEvENKUlvE3_clEvEUlS6_S6_E_S6_EEDaPvRmT3_T4_T5_mT6_P12ihipStream_tbENKUlT_T0_E_clISt17integral_constantIbLb0EESY_EEDaST_SU_EUlST_E0_NS1_11comp_targetILNS1_3genE2ELNS1_11target_archE906ELNS1_3gpuE6ELNS1_3repE0EEENS1_30default_config_static_selectorELNS0_4arch9wavefront6targetE1EEEvT1_
    .private_segment_fixed_size: 0
    .sgpr_count:     100
    .sgpr_spill_count: 14
    .symbol:         _ZN7rocprim17ROCPRIM_400000_NS6detail17trampoline_kernelINS0_14default_configENS1_20scan_config_selectorIN3c104HalfEEEZZNS1_9scan_implILNS1_25lookback_scan_determinismE0ELb0ELb0ES3_PKS6_PS6_S6_ZZZN2at6native31launch_logcumsumexp_cuda_kernelERKNSD_10TensorBaseESH_lENKUlvE_clEvENKUlvE3_clEvEUlS6_S6_E_S6_EEDaPvRmT3_T4_T5_mT6_P12ihipStream_tbENKUlT_T0_E_clISt17integral_constantIbLb0EESY_EEDaST_SU_EUlST_E0_NS1_11comp_targetILNS1_3genE2ELNS1_11target_archE906ELNS1_3gpuE6ELNS1_3repE0EEENS1_30default_config_static_selectorELNS0_4arch9wavefront6targetE1EEEvT1_.kd
    .uniform_work_group_size: 1
    .uses_dynamic_stack: false
    .vgpr_count:     49
    .vgpr_spill_count: 0
    .wavefront_size: 64
  - .args:
      - .offset:         0
        .size:           32
        .value_kind:     by_value
    .group_segment_fixed_size: 0
    .kernarg_segment_align: 8
    .kernarg_segment_size: 32
    .language:       OpenCL C
    .language_version:
      - 2
      - 0
    .max_flat_workgroup_size: 256
    .name:           _ZN7rocprim17ROCPRIM_400000_NS6detail17trampoline_kernelINS0_14default_configENS1_20scan_config_selectorIN3c104HalfEEEZZNS1_9scan_implILNS1_25lookback_scan_determinismE0ELb0ELb0ES3_PKS6_PS6_S6_ZZZN2at6native31launch_logcumsumexp_cuda_kernelERKNSD_10TensorBaseESH_lENKUlvE_clEvENKUlvE3_clEvEUlS6_S6_E_S6_EEDaPvRmT3_T4_T5_mT6_P12ihipStream_tbENKUlT_T0_E_clISt17integral_constantIbLb0EESY_EEDaST_SU_EUlST_E0_NS1_11comp_targetILNS1_3genE10ELNS1_11target_archE1201ELNS1_3gpuE5ELNS1_3repE0EEENS1_30default_config_static_selectorELNS0_4arch9wavefront6targetE1EEEvT1_
    .private_segment_fixed_size: 0
    .sgpr_count:     4
    .sgpr_spill_count: 0
    .symbol:         _ZN7rocprim17ROCPRIM_400000_NS6detail17trampoline_kernelINS0_14default_configENS1_20scan_config_selectorIN3c104HalfEEEZZNS1_9scan_implILNS1_25lookback_scan_determinismE0ELb0ELb0ES3_PKS6_PS6_S6_ZZZN2at6native31launch_logcumsumexp_cuda_kernelERKNSD_10TensorBaseESH_lENKUlvE_clEvENKUlvE3_clEvEUlS6_S6_E_S6_EEDaPvRmT3_T4_T5_mT6_P12ihipStream_tbENKUlT_T0_E_clISt17integral_constantIbLb0EESY_EEDaST_SU_EUlST_E0_NS1_11comp_targetILNS1_3genE10ELNS1_11target_archE1201ELNS1_3gpuE5ELNS1_3repE0EEENS1_30default_config_static_selectorELNS0_4arch9wavefront6targetE1EEEvT1_.kd
    .uniform_work_group_size: 1
    .uses_dynamic_stack: false
    .vgpr_count:     0
    .vgpr_spill_count: 0
    .wavefront_size: 64
  - .args:
      - .offset:         0
        .size:           32
        .value_kind:     by_value
    .group_segment_fixed_size: 0
    .kernarg_segment_align: 8
    .kernarg_segment_size: 32
    .language:       OpenCL C
    .language_version:
      - 2
      - 0
    .max_flat_workgroup_size: 256
    .name:           _ZN7rocprim17ROCPRIM_400000_NS6detail17trampoline_kernelINS0_14default_configENS1_20scan_config_selectorIN3c104HalfEEEZZNS1_9scan_implILNS1_25lookback_scan_determinismE0ELb0ELb0ES3_PKS6_PS6_S6_ZZZN2at6native31launch_logcumsumexp_cuda_kernelERKNSD_10TensorBaseESH_lENKUlvE_clEvENKUlvE3_clEvEUlS6_S6_E_S6_EEDaPvRmT3_T4_T5_mT6_P12ihipStream_tbENKUlT_T0_E_clISt17integral_constantIbLb0EESY_EEDaST_SU_EUlST_E0_NS1_11comp_targetILNS1_3genE10ELNS1_11target_archE1200ELNS1_3gpuE4ELNS1_3repE0EEENS1_30default_config_static_selectorELNS0_4arch9wavefront6targetE1EEEvT1_
    .private_segment_fixed_size: 0
    .sgpr_count:     4
    .sgpr_spill_count: 0
    .symbol:         _ZN7rocprim17ROCPRIM_400000_NS6detail17trampoline_kernelINS0_14default_configENS1_20scan_config_selectorIN3c104HalfEEEZZNS1_9scan_implILNS1_25lookback_scan_determinismE0ELb0ELb0ES3_PKS6_PS6_S6_ZZZN2at6native31launch_logcumsumexp_cuda_kernelERKNSD_10TensorBaseESH_lENKUlvE_clEvENKUlvE3_clEvEUlS6_S6_E_S6_EEDaPvRmT3_T4_T5_mT6_P12ihipStream_tbENKUlT_T0_E_clISt17integral_constantIbLb0EESY_EEDaST_SU_EUlST_E0_NS1_11comp_targetILNS1_3genE10ELNS1_11target_archE1200ELNS1_3gpuE4ELNS1_3repE0EEENS1_30default_config_static_selectorELNS0_4arch9wavefront6targetE1EEEvT1_.kd
    .uniform_work_group_size: 1
    .uses_dynamic_stack: false
    .vgpr_count:     0
    .vgpr_spill_count: 0
    .wavefront_size: 64
  - .args:
      - .offset:         0
        .size:           32
        .value_kind:     by_value
    .group_segment_fixed_size: 0
    .kernarg_segment_align: 8
    .kernarg_segment_size: 32
    .language:       OpenCL C
    .language_version:
      - 2
      - 0
    .max_flat_workgroup_size: 64
    .name:           _ZN7rocprim17ROCPRIM_400000_NS6detail17trampoline_kernelINS0_14default_configENS1_20scan_config_selectorIN3c104HalfEEEZZNS1_9scan_implILNS1_25lookback_scan_determinismE0ELb0ELb0ES3_PKS6_PS6_S6_ZZZN2at6native31launch_logcumsumexp_cuda_kernelERKNSD_10TensorBaseESH_lENKUlvE_clEvENKUlvE3_clEvEUlS6_S6_E_S6_EEDaPvRmT3_T4_T5_mT6_P12ihipStream_tbENKUlT_T0_E_clISt17integral_constantIbLb0EESY_EEDaST_SU_EUlST_E0_NS1_11comp_targetILNS1_3genE9ELNS1_11target_archE1100ELNS1_3gpuE3ELNS1_3repE0EEENS1_30default_config_static_selectorELNS0_4arch9wavefront6targetE1EEEvT1_
    .private_segment_fixed_size: 0
    .sgpr_count:     4
    .sgpr_spill_count: 0
    .symbol:         _ZN7rocprim17ROCPRIM_400000_NS6detail17trampoline_kernelINS0_14default_configENS1_20scan_config_selectorIN3c104HalfEEEZZNS1_9scan_implILNS1_25lookback_scan_determinismE0ELb0ELb0ES3_PKS6_PS6_S6_ZZZN2at6native31launch_logcumsumexp_cuda_kernelERKNSD_10TensorBaseESH_lENKUlvE_clEvENKUlvE3_clEvEUlS6_S6_E_S6_EEDaPvRmT3_T4_T5_mT6_P12ihipStream_tbENKUlT_T0_E_clISt17integral_constantIbLb0EESY_EEDaST_SU_EUlST_E0_NS1_11comp_targetILNS1_3genE9ELNS1_11target_archE1100ELNS1_3gpuE3ELNS1_3repE0EEENS1_30default_config_static_selectorELNS0_4arch9wavefront6targetE1EEEvT1_.kd
    .uniform_work_group_size: 1
    .uses_dynamic_stack: false
    .vgpr_count:     0
    .vgpr_spill_count: 0
    .wavefront_size: 64
  - .args:
      - .offset:         0
        .size:           32
        .value_kind:     by_value
    .group_segment_fixed_size: 0
    .kernarg_segment_align: 8
    .kernarg_segment_size: 32
    .language:       OpenCL C
    .language_version:
      - 2
      - 0
    .max_flat_workgroup_size: 64
    .name:           _ZN7rocprim17ROCPRIM_400000_NS6detail17trampoline_kernelINS0_14default_configENS1_20scan_config_selectorIN3c104HalfEEEZZNS1_9scan_implILNS1_25lookback_scan_determinismE0ELb0ELb0ES3_PKS6_PS6_S6_ZZZN2at6native31launch_logcumsumexp_cuda_kernelERKNSD_10TensorBaseESH_lENKUlvE_clEvENKUlvE3_clEvEUlS6_S6_E_S6_EEDaPvRmT3_T4_T5_mT6_P12ihipStream_tbENKUlT_T0_E_clISt17integral_constantIbLb0EESY_EEDaST_SU_EUlST_E0_NS1_11comp_targetILNS1_3genE8ELNS1_11target_archE1030ELNS1_3gpuE2ELNS1_3repE0EEENS1_30default_config_static_selectorELNS0_4arch9wavefront6targetE1EEEvT1_
    .private_segment_fixed_size: 0
    .sgpr_count:     4
    .sgpr_spill_count: 0
    .symbol:         _ZN7rocprim17ROCPRIM_400000_NS6detail17trampoline_kernelINS0_14default_configENS1_20scan_config_selectorIN3c104HalfEEEZZNS1_9scan_implILNS1_25lookback_scan_determinismE0ELb0ELb0ES3_PKS6_PS6_S6_ZZZN2at6native31launch_logcumsumexp_cuda_kernelERKNSD_10TensorBaseESH_lENKUlvE_clEvENKUlvE3_clEvEUlS6_S6_E_S6_EEDaPvRmT3_T4_T5_mT6_P12ihipStream_tbENKUlT_T0_E_clISt17integral_constantIbLb0EESY_EEDaST_SU_EUlST_E0_NS1_11comp_targetILNS1_3genE8ELNS1_11target_archE1030ELNS1_3gpuE2ELNS1_3repE0EEENS1_30default_config_static_selectorELNS0_4arch9wavefront6targetE1EEEvT1_.kd
    .uniform_work_group_size: 1
    .uses_dynamic_stack: false
    .vgpr_count:     0
    .vgpr_spill_count: 0
    .wavefront_size: 64
  - .args:
      - .address_space:  global
        .offset:         0
        .size:           8
        .value_kind:     global_buffer
      - .offset:         8
        .size:           4
        .value_kind:     by_value
      - .address_space:  global
        .offset:         16
        .size:           8
        .value_kind:     global_buffer
      - .offset:         24
        .size:           4
        .value_kind:     by_value
      - .address_space:  global
        .offset:         32
        .size:           8
        .value_kind:     global_buffer
      - .offset:         40
        .size:           4
        .value_kind:     hidden_block_count_x
      - .offset:         44
        .size:           4
        .value_kind:     hidden_block_count_y
      - .offset:         48
        .size:           4
        .value_kind:     hidden_block_count_z
      - .offset:         52
        .size:           2
        .value_kind:     hidden_group_size_x
      - .offset:         54
        .size:           2
        .value_kind:     hidden_group_size_y
      - .offset:         56
        .size:           2
        .value_kind:     hidden_group_size_z
      - .offset:         58
        .size:           2
        .value_kind:     hidden_remainder_x
      - .offset:         60
        .size:           2
        .value_kind:     hidden_remainder_y
      - .offset:         62
        .size:           2
        .value_kind:     hidden_remainder_z
      - .offset:         80
        .size:           8
        .value_kind:     hidden_global_offset_x
      - .offset:         88
        .size:           8
        .value_kind:     hidden_global_offset_y
      - .offset:         96
        .size:           8
        .value_kind:     hidden_global_offset_z
      - .offset:         104
        .size:           2
        .value_kind:     hidden_grid_dims
    .group_segment_fixed_size: 0
    .kernarg_segment_align: 8
    .kernarg_segment_size: 296
    .language:       OpenCL C
    .language_version:
      - 2
      - 0
    .max_flat_workgroup_size: 256
    .name:           _ZN7rocprim17ROCPRIM_400000_NS6detail31init_lookback_scan_state_kernelINS1_19lookback_scan_stateIN3c104HalfELb1ELb1EEENS1_16block_id_wrapperIjLb1EEEEEvT_jT0_jPNS9_10value_typeE
    .private_segment_fixed_size: 0
    .sgpr_count:     18
    .sgpr_spill_count: 0
    .symbol:         _ZN7rocprim17ROCPRIM_400000_NS6detail31init_lookback_scan_state_kernelINS1_19lookback_scan_stateIN3c104HalfELb1ELb1EEENS1_16block_id_wrapperIjLb1EEEEEvT_jT0_jPNS9_10value_typeE.kd
    .uniform_work_group_size: 1
    .uses_dynamic_stack: false
    .vgpr_count:     5
    .vgpr_spill_count: 0
    .wavefront_size: 64
  - .args:
      - .offset:         0
        .size:           96
        .value_kind:     by_value
    .group_segment_fixed_size: 0
    .kernarg_segment_align: 8
    .kernarg_segment_size: 96
    .language:       OpenCL C
    .language_version:
      - 2
      - 0
    .max_flat_workgroup_size: 128
    .name:           _ZN7rocprim17ROCPRIM_400000_NS6detail17trampoline_kernelINS0_14default_configENS1_20scan_config_selectorIN3c104HalfEEEZZNS1_9scan_implILNS1_25lookback_scan_determinismE0ELb0ELb0ES3_PKS6_PS6_S6_ZZZN2at6native31launch_logcumsumexp_cuda_kernelERKNSD_10TensorBaseESH_lENKUlvE_clEvENKUlvE3_clEvEUlS6_S6_E_S6_EEDaPvRmT3_T4_T5_mT6_P12ihipStream_tbENKUlT_T0_E_clISt17integral_constantIbLb1EESY_EEDaST_SU_EUlST_E_NS1_11comp_targetILNS1_3genE0ELNS1_11target_archE4294967295ELNS1_3gpuE0ELNS1_3repE0EEENS1_30default_config_static_selectorELNS0_4arch9wavefront6targetE1EEEvT1_
    .private_segment_fixed_size: 0
    .sgpr_count:     4
    .sgpr_spill_count: 0
    .symbol:         _ZN7rocprim17ROCPRIM_400000_NS6detail17trampoline_kernelINS0_14default_configENS1_20scan_config_selectorIN3c104HalfEEEZZNS1_9scan_implILNS1_25lookback_scan_determinismE0ELb0ELb0ES3_PKS6_PS6_S6_ZZZN2at6native31launch_logcumsumexp_cuda_kernelERKNSD_10TensorBaseESH_lENKUlvE_clEvENKUlvE3_clEvEUlS6_S6_E_S6_EEDaPvRmT3_T4_T5_mT6_P12ihipStream_tbENKUlT_T0_E_clISt17integral_constantIbLb1EESY_EEDaST_SU_EUlST_E_NS1_11comp_targetILNS1_3genE0ELNS1_11target_archE4294967295ELNS1_3gpuE0ELNS1_3repE0EEENS1_30default_config_static_selectorELNS0_4arch9wavefront6targetE1EEEvT1_.kd
    .uniform_work_group_size: 1
    .uses_dynamic_stack: false
    .vgpr_count:     0
    .vgpr_spill_count: 0
    .wavefront_size: 64
  - .args:
      - .offset:         0
        .size:           96
        .value_kind:     by_value
    .group_segment_fixed_size: 0
    .kernarg_segment_align: 8
    .kernarg_segment_size: 96
    .language:       OpenCL C
    .language_version:
      - 2
      - 0
    .max_flat_workgroup_size: 256
    .name:           _ZN7rocprim17ROCPRIM_400000_NS6detail17trampoline_kernelINS0_14default_configENS1_20scan_config_selectorIN3c104HalfEEEZZNS1_9scan_implILNS1_25lookback_scan_determinismE0ELb0ELb0ES3_PKS6_PS6_S6_ZZZN2at6native31launch_logcumsumexp_cuda_kernelERKNSD_10TensorBaseESH_lENKUlvE_clEvENKUlvE3_clEvEUlS6_S6_E_S6_EEDaPvRmT3_T4_T5_mT6_P12ihipStream_tbENKUlT_T0_E_clISt17integral_constantIbLb1EESY_EEDaST_SU_EUlST_E_NS1_11comp_targetILNS1_3genE5ELNS1_11target_archE942ELNS1_3gpuE9ELNS1_3repE0EEENS1_30default_config_static_selectorELNS0_4arch9wavefront6targetE1EEEvT1_
    .private_segment_fixed_size: 0
    .sgpr_count:     4
    .sgpr_spill_count: 0
    .symbol:         _ZN7rocprim17ROCPRIM_400000_NS6detail17trampoline_kernelINS0_14default_configENS1_20scan_config_selectorIN3c104HalfEEEZZNS1_9scan_implILNS1_25lookback_scan_determinismE0ELb0ELb0ES3_PKS6_PS6_S6_ZZZN2at6native31launch_logcumsumexp_cuda_kernelERKNSD_10TensorBaseESH_lENKUlvE_clEvENKUlvE3_clEvEUlS6_S6_E_S6_EEDaPvRmT3_T4_T5_mT6_P12ihipStream_tbENKUlT_T0_E_clISt17integral_constantIbLb1EESY_EEDaST_SU_EUlST_E_NS1_11comp_targetILNS1_3genE5ELNS1_11target_archE942ELNS1_3gpuE9ELNS1_3repE0EEENS1_30default_config_static_selectorELNS0_4arch9wavefront6targetE1EEEvT1_.kd
    .uniform_work_group_size: 1
    .uses_dynamic_stack: false
    .vgpr_count:     0
    .vgpr_spill_count: 0
    .wavefront_size: 64
  - .args:
      - .offset:         0
        .size:           96
        .value_kind:     by_value
    .group_segment_fixed_size: 0
    .kernarg_segment_align: 8
    .kernarg_segment_size: 96
    .language:       OpenCL C
    .language_version:
      - 2
      - 0
    .max_flat_workgroup_size: 64
    .name:           _ZN7rocprim17ROCPRIM_400000_NS6detail17trampoline_kernelINS0_14default_configENS1_20scan_config_selectorIN3c104HalfEEEZZNS1_9scan_implILNS1_25lookback_scan_determinismE0ELb0ELb0ES3_PKS6_PS6_S6_ZZZN2at6native31launch_logcumsumexp_cuda_kernelERKNSD_10TensorBaseESH_lENKUlvE_clEvENKUlvE3_clEvEUlS6_S6_E_S6_EEDaPvRmT3_T4_T5_mT6_P12ihipStream_tbENKUlT_T0_E_clISt17integral_constantIbLb1EESY_EEDaST_SU_EUlST_E_NS1_11comp_targetILNS1_3genE4ELNS1_11target_archE910ELNS1_3gpuE8ELNS1_3repE0EEENS1_30default_config_static_selectorELNS0_4arch9wavefront6targetE1EEEvT1_
    .private_segment_fixed_size: 0
    .sgpr_count:     4
    .sgpr_spill_count: 0
    .symbol:         _ZN7rocprim17ROCPRIM_400000_NS6detail17trampoline_kernelINS0_14default_configENS1_20scan_config_selectorIN3c104HalfEEEZZNS1_9scan_implILNS1_25lookback_scan_determinismE0ELb0ELb0ES3_PKS6_PS6_S6_ZZZN2at6native31launch_logcumsumexp_cuda_kernelERKNSD_10TensorBaseESH_lENKUlvE_clEvENKUlvE3_clEvEUlS6_S6_E_S6_EEDaPvRmT3_T4_T5_mT6_P12ihipStream_tbENKUlT_T0_E_clISt17integral_constantIbLb1EESY_EEDaST_SU_EUlST_E_NS1_11comp_targetILNS1_3genE4ELNS1_11target_archE910ELNS1_3gpuE8ELNS1_3repE0EEENS1_30default_config_static_selectorELNS0_4arch9wavefront6targetE1EEEvT1_.kd
    .uniform_work_group_size: 1
    .uses_dynamic_stack: false
    .vgpr_count:     0
    .vgpr_spill_count: 0
    .wavefront_size: 64
  - .args:
      - .offset:         0
        .size:           96
        .value_kind:     by_value
    .group_segment_fixed_size: 0
    .kernarg_segment_align: 8
    .kernarg_segment_size: 96
    .language:       OpenCL C
    .language_version:
      - 2
      - 0
    .max_flat_workgroup_size: 128
    .name:           _ZN7rocprim17ROCPRIM_400000_NS6detail17trampoline_kernelINS0_14default_configENS1_20scan_config_selectorIN3c104HalfEEEZZNS1_9scan_implILNS1_25lookback_scan_determinismE0ELb0ELb0ES3_PKS6_PS6_S6_ZZZN2at6native31launch_logcumsumexp_cuda_kernelERKNSD_10TensorBaseESH_lENKUlvE_clEvENKUlvE3_clEvEUlS6_S6_E_S6_EEDaPvRmT3_T4_T5_mT6_P12ihipStream_tbENKUlT_T0_E_clISt17integral_constantIbLb1EESY_EEDaST_SU_EUlST_E_NS1_11comp_targetILNS1_3genE3ELNS1_11target_archE908ELNS1_3gpuE7ELNS1_3repE0EEENS1_30default_config_static_selectorELNS0_4arch9wavefront6targetE1EEEvT1_
    .private_segment_fixed_size: 0
    .sgpr_count:     4
    .sgpr_spill_count: 0
    .symbol:         _ZN7rocprim17ROCPRIM_400000_NS6detail17trampoline_kernelINS0_14default_configENS1_20scan_config_selectorIN3c104HalfEEEZZNS1_9scan_implILNS1_25lookback_scan_determinismE0ELb0ELb0ES3_PKS6_PS6_S6_ZZZN2at6native31launch_logcumsumexp_cuda_kernelERKNSD_10TensorBaseESH_lENKUlvE_clEvENKUlvE3_clEvEUlS6_S6_E_S6_EEDaPvRmT3_T4_T5_mT6_P12ihipStream_tbENKUlT_T0_E_clISt17integral_constantIbLb1EESY_EEDaST_SU_EUlST_E_NS1_11comp_targetILNS1_3genE3ELNS1_11target_archE908ELNS1_3gpuE7ELNS1_3repE0EEENS1_30default_config_static_selectorELNS0_4arch9wavefront6targetE1EEEvT1_.kd
    .uniform_work_group_size: 1
    .uses_dynamic_stack: false
    .vgpr_count:     0
    .vgpr_spill_count: 0
    .wavefront_size: 64
  - .args:
      - .offset:         0
        .size:           96
        .value_kind:     by_value
    .group_segment_fixed_size: 0
    .kernarg_segment_align: 8
    .kernarg_segment_size: 96
    .language:       OpenCL C
    .language_version:
      - 2
      - 0
    .max_flat_workgroup_size: 256
    .name:           _ZN7rocprim17ROCPRIM_400000_NS6detail17trampoline_kernelINS0_14default_configENS1_20scan_config_selectorIN3c104HalfEEEZZNS1_9scan_implILNS1_25lookback_scan_determinismE0ELb0ELb0ES3_PKS6_PS6_S6_ZZZN2at6native31launch_logcumsumexp_cuda_kernelERKNSD_10TensorBaseESH_lENKUlvE_clEvENKUlvE3_clEvEUlS6_S6_E_S6_EEDaPvRmT3_T4_T5_mT6_P12ihipStream_tbENKUlT_T0_E_clISt17integral_constantIbLb1EESY_EEDaST_SU_EUlST_E_NS1_11comp_targetILNS1_3genE2ELNS1_11target_archE906ELNS1_3gpuE6ELNS1_3repE0EEENS1_30default_config_static_selectorELNS0_4arch9wavefront6targetE1EEEvT1_
    .private_segment_fixed_size: 0
    .sgpr_count:     4
    .sgpr_spill_count: 0
    .symbol:         _ZN7rocprim17ROCPRIM_400000_NS6detail17trampoline_kernelINS0_14default_configENS1_20scan_config_selectorIN3c104HalfEEEZZNS1_9scan_implILNS1_25lookback_scan_determinismE0ELb0ELb0ES3_PKS6_PS6_S6_ZZZN2at6native31launch_logcumsumexp_cuda_kernelERKNSD_10TensorBaseESH_lENKUlvE_clEvENKUlvE3_clEvEUlS6_S6_E_S6_EEDaPvRmT3_T4_T5_mT6_P12ihipStream_tbENKUlT_T0_E_clISt17integral_constantIbLb1EESY_EEDaST_SU_EUlST_E_NS1_11comp_targetILNS1_3genE2ELNS1_11target_archE906ELNS1_3gpuE6ELNS1_3repE0EEENS1_30default_config_static_selectorELNS0_4arch9wavefront6targetE1EEEvT1_.kd
    .uniform_work_group_size: 1
    .uses_dynamic_stack: false
    .vgpr_count:     0
    .vgpr_spill_count: 0
    .wavefront_size: 64
  - .args:
      - .offset:         0
        .size:           96
        .value_kind:     by_value
    .group_segment_fixed_size: 0
    .kernarg_segment_align: 8
    .kernarg_segment_size: 96
    .language:       OpenCL C
    .language_version:
      - 2
      - 0
    .max_flat_workgroup_size: 256
    .name:           _ZN7rocprim17ROCPRIM_400000_NS6detail17trampoline_kernelINS0_14default_configENS1_20scan_config_selectorIN3c104HalfEEEZZNS1_9scan_implILNS1_25lookback_scan_determinismE0ELb0ELb0ES3_PKS6_PS6_S6_ZZZN2at6native31launch_logcumsumexp_cuda_kernelERKNSD_10TensorBaseESH_lENKUlvE_clEvENKUlvE3_clEvEUlS6_S6_E_S6_EEDaPvRmT3_T4_T5_mT6_P12ihipStream_tbENKUlT_T0_E_clISt17integral_constantIbLb1EESY_EEDaST_SU_EUlST_E_NS1_11comp_targetILNS1_3genE10ELNS1_11target_archE1201ELNS1_3gpuE5ELNS1_3repE0EEENS1_30default_config_static_selectorELNS0_4arch9wavefront6targetE1EEEvT1_
    .private_segment_fixed_size: 0
    .sgpr_count:     4
    .sgpr_spill_count: 0
    .symbol:         _ZN7rocprim17ROCPRIM_400000_NS6detail17trampoline_kernelINS0_14default_configENS1_20scan_config_selectorIN3c104HalfEEEZZNS1_9scan_implILNS1_25lookback_scan_determinismE0ELb0ELb0ES3_PKS6_PS6_S6_ZZZN2at6native31launch_logcumsumexp_cuda_kernelERKNSD_10TensorBaseESH_lENKUlvE_clEvENKUlvE3_clEvEUlS6_S6_E_S6_EEDaPvRmT3_T4_T5_mT6_P12ihipStream_tbENKUlT_T0_E_clISt17integral_constantIbLb1EESY_EEDaST_SU_EUlST_E_NS1_11comp_targetILNS1_3genE10ELNS1_11target_archE1201ELNS1_3gpuE5ELNS1_3repE0EEENS1_30default_config_static_selectorELNS0_4arch9wavefront6targetE1EEEvT1_.kd
    .uniform_work_group_size: 1
    .uses_dynamic_stack: false
    .vgpr_count:     0
    .vgpr_spill_count: 0
    .wavefront_size: 64
  - .args:
      - .offset:         0
        .size:           96
        .value_kind:     by_value
    .group_segment_fixed_size: 0
    .kernarg_segment_align: 8
    .kernarg_segment_size: 96
    .language:       OpenCL C
    .language_version:
      - 2
      - 0
    .max_flat_workgroup_size: 256
    .name:           _ZN7rocprim17ROCPRIM_400000_NS6detail17trampoline_kernelINS0_14default_configENS1_20scan_config_selectorIN3c104HalfEEEZZNS1_9scan_implILNS1_25lookback_scan_determinismE0ELb0ELb0ES3_PKS6_PS6_S6_ZZZN2at6native31launch_logcumsumexp_cuda_kernelERKNSD_10TensorBaseESH_lENKUlvE_clEvENKUlvE3_clEvEUlS6_S6_E_S6_EEDaPvRmT3_T4_T5_mT6_P12ihipStream_tbENKUlT_T0_E_clISt17integral_constantIbLb1EESY_EEDaST_SU_EUlST_E_NS1_11comp_targetILNS1_3genE10ELNS1_11target_archE1200ELNS1_3gpuE4ELNS1_3repE0EEENS1_30default_config_static_selectorELNS0_4arch9wavefront6targetE1EEEvT1_
    .private_segment_fixed_size: 0
    .sgpr_count:     4
    .sgpr_spill_count: 0
    .symbol:         _ZN7rocprim17ROCPRIM_400000_NS6detail17trampoline_kernelINS0_14default_configENS1_20scan_config_selectorIN3c104HalfEEEZZNS1_9scan_implILNS1_25lookback_scan_determinismE0ELb0ELb0ES3_PKS6_PS6_S6_ZZZN2at6native31launch_logcumsumexp_cuda_kernelERKNSD_10TensorBaseESH_lENKUlvE_clEvENKUlvE3_clEvEUlS6_S6_E_S6_EEDaPvRmT3_T4_T5_mT6_P12ihipStream_tbENKUlT_T0_E_clISt17integral_constantIbLb1EESY_EEDaST_SU_EUlST_E_NS1_11comp_targetILNS1_3genE10ELNS1_11target_archE1200ELNS1_3gpuE4ELNS1_3repE0EEENS1_30default_config_static_selectorELNS0_4arch9wavefront6targetE1EEEvT1_.kd
    .uniform_work_group_size: 1
    .uses_dynamic_stack: false
    .vgpr_count:     0
    .vgpr_spill_count: 0
    .wavefront_size: 64
  - .args:
      - .offset:         0
        .size:           96
        .value_kind:     by_value
    .group_segment_fixed_size: 0
    .kernarg_segment_align: 8
    .kernarg_segment_size: 96
    .language:       OpenCL C
    .language_version:
      - 2
      - 0
    .max_flat_workgroup_size: 64
    .name:           _ZN7rocprim17ROCPRIM_400000_NS6detail17trampoline_kernelINS0_14default_configENS1_20scan_config_selectorIN3c104HalfEEEZZNS1_9scan_implILNS1_25lookback_scan_determinismE0ELb0ELb0ES3_PKS6_PS6_S6_ZZZN2at6native31launch_logcumsumexp_cuda_kernelERKNSD_10TensorBaseESH_lENKUlvE_clEvENKUlvE3_clEvEUlS6_S6_E_S6_EEDaPvRmT3_T4_T5_mT6_P12ihipStream_tbENKUlT_T0_E_clISt17integral_constantIbLb1EESY_EEDaST_SU_EUlST_E_NS1_11comp_targetILNS1_3genE9ELNS1_11target_archE1100ELNS1_3gpuE3ELNS1_3repE0EEENS1_30default_config_static_selectorELNS0_4arch9wavefront6targetE1EEEvT1_
    .private_segment_fixed_size: 0
    .sgpr_count:     4
    .sgpr_spill_count: 0
    .symbol:         _ZN7rocprim17ROCPRIM_400000_NS6detail17trampoline_kernelINS0_14default_configENS1_20scan_config_selectorIN3c104HalfEEEZZNS1_9scan_implILNS1_25lookback_scan_determinismE0ELb0ELb0ES3_PKS6_PS6_S6_ZZZN2at6native31launch_logcumsumexp_cuda_kernelERKNSD_10TensorBaseESH_lENKUlvE_clEvENKUlvE3_clEvEUlS6_S6_E_S6_EEDaPvRmT3_T4_T5_mT6_P12ihipStream_tbENKUlT_T0_E_clISt17integral_constantIbLb1EESY_EEDaST_SU_EUlST_E_NS1_11comp_targetILNS1_3genE9ELNS1_11target_archE1100ELNS1_3gpuE3ELNS1_3repE0EEENS1_30default_config_static_selectorELNS0_4arch9wavefront6targetE1EEEvT1_.kd
    .uniform_work_group_size: 1
    .uses_dynamic_stack: false
    .vgpr_count:     0
    .vgpr_spill_count: 0
    .wavefront_size: 64
  - .args:
      - .offset:         0
        .size:           96
        .value_kind:     by_value
    .group_segment_fixed_size: 0
    .kernarg_segment_align: 8
    .kernarg_segment_size: 96
    .language:       OpenCL C
    .language_version:
      - 2
      - 0
    .max_flat_workgroup_size: 64
    .name:           _ZN7rocprim17ROCPRIM_400000_NS6detail17trampoline_kernelINS0_14default_configENS1_20scan_config_selectorIN3c104HalfEEEZZNS1_9scan_implILNS1_25lookback_scan_determinismE0ELb0ELb0ES3_PKS6_PS6_S6_ZZZN2at6native31launch_logcumsumexp_cuda_kernelERKNSD_10TensorBaseESH_lENKUlvE_clEvENKUlvE3_clEvEUlS6_S6_E_S6_EEDaPvRmT3_T4_T5_mT6_P12ihipStream_tbENKUlT_T0_E_clISt17integral_constantIbLb1EESY_EEDaST_SU_EUlST_E_NS1_11comp_targetILNS1_3genE8ELNS1_11target_archE1030ELNS1_3gpuE2ELNS1_3repE0EEENS1_30default_config_static_selectorELNS0_4arch9wavefront6targetE1EEEvT1_
    .private_segment_fixed_size: 0
    .sgpr_count:     4
    .sgpr_spill_count: 0
    .symbol:         _ZN7rocprim17ROCPRIM_400000_NS6detail17trampoline_kernelINS0_14default_configENS1_20scan_config_selectorIN3c104HalfEEEZZNS1_9scan_implILNS1_25lookback_scan_determinismE0ELb0ELb0ES3_PKS6_PS6_S6_ZZZN2at6native31launch_logcumsumexp_cuda_kernelERKNSD_10TensorBaseESH_lENKUlvE_clEvENKUlvE3_clEvEUlS6_S6_E_S6_EEDaPvRmT3_T4_T5_mT6_P12ihipStream_tbENKUlT_T0_E_clISt17integral_constantIbLb1EESY_EEDaST_SU_EUlST_E_NS1_11comp_targetILNS1_3genE8ELNS1_11target_archE1030ELNS1_3gpuE2ELNS1_3repE0EEENS1_30default_config_static_selectorELNS0_4arch9wavefront6targetE1EEEvT1_.kd
    .uniform_work_group_size: 1
    .uses_dynamic_stack: false
    .vgpr_count:     0
    .vgpr_spill_count: 0
    .wavefront_size: 64
  - .args:
      - .offset:         0
        .size:           32
        .value_kind:     by_value
    .group_segment_fixed_size: 0
    .kernarg_segment_align: 8
    .kernarg_segment_size: 32
    .language:       OpenCL C
    .language_version:
      - 2
      - 0
    .max_flat_workgroup_size: 128
    .name:           _ZN7rocprim17ROCPRIM_400000_NS6detail17trampoline_kernelINS0_14default_configENS1_20scan_config_selectorIN3c104HalfEEEZZNS1_9scan_implILNS1_25lookback_scan_determinismE0ELb0ELb0ES3_PKS6_PS6_S6_ZZZN2at6native31launch_logcumsumexp_cuda_kernelERKNSD_10TensorBaseESH_lENKUlvE_clEvENKUlvE3_clEvEUlS6_S6_E_S6_EEDaPvRmT3_T4_T5_mT6_P12ihipStream_tbENKUlT_T0_E_clISt17integral_constantIbLb1EESY_EEDaST_SU_EUlST_E0_NS1_11comp_targetILNS1_3genE0ELNS1_11target_archE4294967295ELNS1_3gpuE0ELNS1_3repE0EEENS1_30default_config_static_selectorELNS0_4arch9wavefront6targetE1EEEvT1_
    .private_segment_fixed_size: 0
    .sgpr_count:     4
    .sgpr_spill_count: 0
    .symbol:         _ZN7rocprim17ROCPRIM_400000_NS6detail17trampoline_kernelINS0_14default_configENS1_20scan_config_selectorIN3c104HalfEEEZZNS1_9scan_implILNS1_25lookback_scan_determinismE0ELb0ELb0ES3_PKS6_PS6_S6_ZZZN2at6native31launch_logcumsumexp_cuda_kernelERKNSD_10TensorBaseESH_lENKUlvE_clEvENKUlvE3_clEvEUlS6_S6_E_S6_EEDaPvRmT3_T4_T5_mT6_P12ihipStream_tbENKUlT_T0_E_clISt17integral_constantIbLb1EESY_EEDaST_SU_EUlST_E0_NS1_11comp_targetILNS1_3genE0ELNS1_11target_archE4294967295ELNS1_3gpuE0ELNS1_3repE0EEENS1_30default_config_static_selectorELNS0_4arch9wavefront6targetE1EEEvT1_.kd
    .uniform_work_group_size: 1
    .uses_dynamic_stack: false
    .vgpr_count:     0
    .vgpr_spill_count: 0
    .wavefront_size: 64
  - .args:
      - .offset:         0
        .size:           32
        .value_kind:     by_value
    .group_segment_fixed_size: 0
    .kernarg_segment_align: 8
    .kernarg_segment_size: 32
    .language:       OpenCL C
    .language_version:
      - 2
      - 0
    .max_flat_workgroup_size: 256
    .name:           _ZN7rocprim17ROCPRIM_400000_NS6detail17trampoline_kernelINS0_14default_configENS1_20scan_config_selectorIN3c104HalfEEEZZNS1_9scan_implILNS1_25lookback_scan_determinismE0ELb0ELb0ES3_PKS6_PS6_S6_ZZZN2at6native31launch_logcumsumexp_cuda_kernelERKNSD_10TensorBaseESH_lENKUlvE_clEvENKUlvE3_clEvEUlS6_S6_E_S6_EEDaPvRmT3_T4_T5_mT6_P12ihipStream_tbENKUlT_T0_E_clISt17integral_constantIbLb1EESY_EEDaST_SU_EUlST_E0_NS1_11comp_targetILNS1_3genE5ELNS1_11target_archE942ELNS1_3gpuE9ELNS1_3repE0EEENS1_30default_config_static_selectorELNS0_4arch9wavefront6targetE1EEEvT1_
    .private_segment_fixed_size: 0
    .sgpr_count:     4
    .sgpr_spill_count: 0
    .symbol:         _ZN7rocprim17ROCPRIM_400000_NS6detail17trampoline_kernelINS0_14default_configENS1_20scan_config_selectorIN3c104HalfEEEZZNS1_9scan_implILNS1_25lookback_scan_determinismE0ELb0ELb0ES3_PKS6_PS6_S6_ZZZN2at6native31launch_logcumsumexp_cuda_kernelERKNSD_10TensorBaseESH_lENKUlvE_clEvENKUlvE3_clEvEUlS6_S6_E_S6_EEDaPvRmT3_T4_T5_mT6_P12ihipStream_tbENKUlT_T0_E_clISt17integral_constantIbLb1EESY_EEDaST_SU_EUlST_E0_NS1_11comp_targetILNS1_3genE5ELNS1_11target_archE942ELNS1_3gpuE9ELNS1_3repE0EEENS1_30default_config_static_selectorELNS0_4arch9wavefront6targetE1EEEvT1_.kd
    .uniform_work_group_size: 1
    .uses_dynamic_stack: false
    .vgpr_count:     0
    .vgpr_spill_count: 0
    .wavefront_size: 64
  - .args:
      - .offset:         0
        .size:           32
        .value_kind:     by_value
    .group_segment_fixed_size: 0
    .kernarg_segment_align: 8
    .kernarg_segment_size: 32
    .language:       OpenCL C
    .language_version:
      - 2
      - 0
    .max_flat_workgroup_size: 64
    .name:           _ZN7rocprim17ROCPRIM_400000_NS6detail17trampoline_kernelINS0_14default_configENS1_20scan_config_selectorIN3c104HalfEEEZZNS1_9scan_implILNS1_25lookback_scan_determinismE0ELb0ELb0ES3_PKS6_PS6_S6_ZZZN2at6native31launch_logcumsumexp_cuda_kernelERKNSD_10TensorBaseESH_lENKUlvE_clEvENKUlvE3_clEvEUlS6_S6_E_S6_EEDaPvRmT3_T4_T5_mT6_P12ihipStream_tbENKUlT_T0_E_clISt17integral_constantIbLb1EESY_EEDaST_SU_EUlST_E0_NS1_11comp_targetILNS1_3genE4ELNS1_11target_archE910ELNS1_3gpuE8ELNS1_3repE0EEENS1_30default_config_static_selectorELNS0_4arch9wavefront6targetE1EEEvT1_
    .private_segment_fixed_size: 0
    .sgpr_count:     4
    .sgpr_spill_count: 0
    .symbol:         _ZN7rocprim17ROCPRIM_400000_NS6detail17trampoline_kernelINS0_14default_configENS1_20scan_config_selectorIN3c104HalfEEEZZNS1_9scan_implILNS1_25lookback_scan_determinismE0ELb0ELb0ES3_PKS6_PS6_S6_ZZZN2at6native31launch_logcumsumexp_cuda_kernelERKNSD_10TensorBaseESH_lENKUlvE_clEvENKUlvE3_clEvEUlS6_S6_E_S6_EEDaPvRmT3_T4_T5_mT6_P12ihipStream_tbENKUlT_T0_E_clISt17integral_constantIbLb1EESY_EEDaST_SU_EUlST_E0_NS1_11comp_targetILNS1_3genE4ELNS1_11target_archE910ELNS1_3gpuE8ELNS1_3repE0EEENS1_30default_config_static_selectorELNS0_4arch9wavefront6targetE1EEEvT1_.kd
    .uniform_work_group_size: 1
    .uses_dynamic_stack: false
    .vgpr_count:     0
    .vgpr_spill_count: 0
    .wavefront_size: 64
  - .args:
      - .offset:         0
        .size:           32
        .value_kind:     by_value
    .group_segment_fixed_size: 0
    .kernarg_segment_align: 8
    .kernarg_segment_size: 32
    .language:       OpenCL C
    .language_version:
      - 2
      - 0
    .max_flat_workgroup_size: 128
    .name:           _ZN7rocprim17ROCPRIM_400000_NS6detail17trampoline_kernelINS0_14default_configENS1_20scan_config_selectorIN3c104HalfEEEZZNS1_9scan_implILNS1_25lookback_scan_determinismE0ELb0ELb0ES3_PKS6_PS6_S6_ZZZN2at6native31launch_logcumsumexp_cuda_kernelERKNSD_10TensorBaseESH_lENKUlvE_clEvENKUlvE3_clEvEUlS6_S6_E_S6_EEDaPvRmT3_T4_T5_mT6_P12ihipStream_tbENKUlT_T0_E_clISt17integral_constantIbLb1EESY_EEDaST_SU_EUlST_E0_NS1_11comp_targetILNS1_3genE3ELNS1_11target_archE908ELNS1_3gpuE7ELNS1_3repE0EEENS1_30default_config_static_selectorELNS0_4arch9wavefront6targetE1EEEvT1_
    .private_segment_fixed_size: 0
    .sgpr_count:     4
    .sgpr_spill_count: 0
    .symbol:         _ZN7rocprim17ROCPRIM_400000_NS6detail17trampoline_kernelINS0_14default_configENS1_20scan_config_selectorIN3c104HalfEEEZZNS1_9scan_implILNS1_25lookback_scan_determinismE0ELb0ELb0ES3_PKS6_PS6_S6_ZZZN2at6native31launch_logcumsumexp_cuda_kernelERKNSD_10TensorBaseESH_lENKUlvE_clEvENKUlvE3_clEvEUlS6_S6_E_S6_EEDaPvRmT3_T4_T5_mT6_P12ihipStream_tbENKUlT_T0_E_clISt17integral_constantIbLb1EESY_EEDaST_SU_EUlST_E0_NS1_11comp_targetILNS1_3genE3ELNS1_11target_archE908ELNS1_3gpuE7ELNS1_3repE0EEENS1_30default_config_static_selectorELNS0_4arch9wavefront6targetE1EEEvT1_.kd
    .uniform_work_group_size: 1
    .uses_dynamic_stack: false
    .vgpr_count:     0
    .vgpr_spill_count: 0
    .wavefront_size: 64
  - .args:
      - .offset:         0
        .size:           32
        .value_kind:     by_value
    .group_segment_fixed_size: 12288
    .kernarg_segment_align: 8
    .kernarg_segment_size: 32
    .language:       OpenCL C
    .language_version:
      - 2
      - 0
    .max_flat_workgroup_size: 256
    .name:           _ZN7rocprim17ROCPRIM_400000_NS6detail17trampoline_kernelINS0_14default_configENS1_20scan_config_selectorIN3c104HalfEEEZZNS1_9scan_implILNS1_25lookback_scan_determinismE0ELb0ELb0ES3_PKS6_PS6_S6_ZZZN2at6native31launch_logcumsumexp_cuda_kernelERKNSD_10TensorBaseESH_lENKUlvE_clEvENKUlvE3_clEvEUlS6_S6_E_S6_EEDaPvRmT3_T4_T5_mT6_P12ihipStream_tbENKUlT_T0_E_clISt17integral_constantIbLb1EESY_EEDaST_SU_EUlST_E0_NS1_11comp_targetILNS1_3genE2ELNS1_11target_archE906ELNS1_3gpuE6ELNS1_3repE0EEENS1_30default_config_static_selectorELNS0_4arch9wavefront6targetE1EEEvT1_
    .private_segment_fixed_size: 0
    .sgpr_count:     100
    .sgpr_spill_count: 14
    .symbol:         _ZN7rocprim17ROCPRIM_400000_NS6detail17trampoline_kernelINS0_14default_configENS1_20scan_config_selectorIN3c104HalfEEEZZNS1_9scan_implILNS1_25lookback_scan_determinismE0ELb0ELb0ES3_PKS6_PS6_S6_ZZZN2at6native31launch_logcumsumexp_cuda_kernelERKNSD_10TensorBaseESH_lENKUlvE_clEvENKUlvE3_clEvEUlS6_S6_E_S6_EEDaPvRmT3_T4_T5_mT6_P12ihipStream_tbENKUlT_T0_E_clISt17integral_constantIbLb1EESY_EEDaST_SU_EUlST_E0_NS1_11comp_targetILNS1_3genE2ELNS1_11target_archE906ELNS1_3gpuE6ELNS1_3repE0EEENS1_30default_config_static_selectorELNS0_4arch9wavefront6targetE1EEEvT1_.kd
    .uniform_work_group_size: 1
    .uses_dynamic_stack: false
    .vgpr_count:     49
    .vgpr_spill_count: 0
    .wavefront_size: 64
  - .args:
      - .offset:         0
        .size:           32
        .value_kind:     by_value
    .group_segment_fixed_size: 0
    .kernarg_segment_align: 8
    .kernarg_segment_size: 32
    .language:       OpenCL C
    .language_version:
      - 2
      - 0
    .max_flat_workgroup_size: 256
    .name:           _ZN7rocprim17ROCPRIM_400000_NS6detail17trampoline_kernelINS0_14default_configENS1_20scan_config_selectorIN3c104HalfEEEZZNS1_9scan_implILNS1_25lookback_scan_determinismE0ELb0ELb0ES3_PKS6_PS6_S6_ZZZN2at6native31launch_logcumsumexp_cuda_kernelERKNSD_10TensorBaseESH_lENKUlvE_clEvENKUlvE3_clEvEUlS6_S6_E_S6_EEDaPvRmT3_T4_T5_mT6_P12ihipStream_tbENKUlT_T0_E_clISt17integral_constantIbLb1EESY_EEDaST_SU_EUlST_E0_NS1_11comp_targetILNS1_3genE10ELNS1_11target_archE1201ELNS1_3gpuE5ELNS1_3repE0EEENS1_30default_config_static_selectorELNS0_4arch9wavefront6targetE1EEEvT1_
    .private_segment_fixed_size: 0
    .sgpr_count:     4
    .sgpr_spill_count: 0
    .symbol:         _ZN7rocprim17ROCPRIM_400000_NS6detail17trampoline_kernelINS0_14default_configENS1_20scan_config_selectorIN3c104HalfEEEZZNS1_9scan_implILNS1_25lookback_scan_determinismE0ELb0ELb0ES3_PKS6_PS6_S6_ZZZN2at6native31launch_logcumsumexp_cuda_kernelERKNSD_10TensorBaseESH_lENKUlvE_clEvENKUlvE3_clEvEUlS6_S6_E_S6_EEDaPvRmT3_T4_T5_mT6_P12ihipStream_tbENKUlT_T0_E_clISt17integral_constantIbLb1EESY_EEDaST_SU_EUlST_E0_NS1_11comp_targetILNS1_3genE10ELNS1_11target_archE1201ELNS1_3gpuE5ELNS1_3repE0EEENS1_30default_config_static_selectorELNS0_4arch9wavefront6targetE1EEEvT1_.kd
    .uniform_work_group_size: 1
    .uses_dynamic_stack: false
    .vgpr_count:     0
    .vgpr_spill_count: 0
    .wavefront_size: 64
  - .args:
      - .offset:         0
        .size:           32
        .value_kind:     by_value
    .group_segment_fixed_size: 0
    .kernarg_segment_align: 8
    .kernarg_segment_size: 32
    .language:       OpenCL C
    .language_version:
      - 2
      - 0
    .max_flat_workgroup_size: 256
    .name:           _ZN7rocprim17ROCPRIM_400000_NS6detail17trampoline_kernelINS0_14default_configENS1_20scan_config_selectorIN3c104HalfEEEZZNS1_9scan_implILNS1_25lookback_scan_determinismE0ELb0ELb0ES3_PKS6_PS6_S6_ZZZN2at6native31launch_logcumsumexp_cuda_kernelERKNSD_10TensorBaseESH_lENKUlvE_clEvENKUlvE3_clEvEUlS6_S6_E_S6_EEDaPvRmT3_T4_T5_mT6_P12ihipStream_tbENKUlT_T0_E_clISt17integral_constantIbLb1EESY_EEDaST_SU_EUlST_E0_NS1_11comp_targetILNS1_3genE10ELNS1_11target_archE1200ELNS1_3gpuE4ELNS1_3repE0EEENS1_30default_config_static_selectorELNS0_4arch9wavefront6targetE1EEEvT1_
    .private_segment_fixed_size: 0
    .sgpr_count:     4
    .sgpr_spill_count: 0
    .symbol:         _ZN7rocprim17ROCPRIM_400000_NS6detail17trampoline_kernelINS0_14default_configENS1_20scan_config_selectorIN3c104HalfEEEZZNS1_9scan_implILNS1_25lookback_scan_determinismE0ELb0ELb0ES3_PKS6_PS6_S6_ZZZN2at6native31launch_logcumsumexp_cuda_kernelERKNSD_10TensorBaseESH_lENKUlvE_clEvENKUlvE3_clEvEUlS6_S6_E_S6_EEDaPvRmT3_T4_T5_mT6_P12ihipStream_tbENKUlT_T0_E_clISt17integral_constantIbLb1EESY_EEDaST_SU_EUlST_E0_NS1_11comp_targetILNS1_3genE10ELNS1_11target_archE1200ELNS1_3gpuE4ELNS1_3repE0EEENS1_30default_config_static_selectorELNS0_4arch9wavefront6targetE1EEEvT1_.kd
    .uniform_work_group_size: 1
    .uses_dynamic_stack: false
    .vgpr_count:     0
    .vgpr_spill_count: 0
    .wavefront_size: 64
  - .args:
      - .offset:         0
        .size:           32
        .value_kind:     by_value
    .group_segment_fixed_size: 0
    .kernarg_segment_align: 8
    .kernarg_segment_size: 32
    .language:       OpenCL C
    .language_version:
      - 2
      - 0
    .max_flat_workgroup_size: 64
    .name:           _ZN7rocprim17ROCPRIM_400000_NS6detail17trampoline_kernelINS0_14default_configENS1_20scan_config_selectorIN3c104HalfEEEZZNS1_9scan_implILNS1_25lookback_scan_determinismE0ELb0ELb0ES3_PKS6_PS6_S6_ZZZN2at6native31launch_logcumsumexp_cuda_kernelERKNSD_10TensorBaseESH_lENKUlvE_clEvENKUlvE3_clEvEUlS6_S6_E_S6_EEDaPvRmT3_T4_T5_mT6_P12ihipStream_tbENKUlT_T0_E_clISt17integral_constantIbLb1EESY_EEDaST_SU_EUlST_E0_NS1_11comp_targetILNS1_3genE9ELNS1_11target_archE1100ELNS1_3gpuE3ELNS1_3repE0EEENS1_30default_config_static_selectorELNS0_4arch9wavefront6targetE1EEEvT1_
    .private_segment_fixed_size: 0
    .sgpr_count:     4
    .sgpr_spill_count: 0
    .symbol:         _ZN7rocprim17ROCPRIM_400000_NS6detail17trampoline_kernelINS0_14default_configENS1_20scan_config_selectorIN3c104HalfEEEZZNS1_9scan_implILNS1_25lookback_scan_determinismE0ELb0ELb0ES3_PKS6_PS6_S6_ZZZN2at6native31launch_logcumsumexp_cuda_kernelERKNSD_10TensorBaseESH_lENKUlvE_clEvENKUlvE3_clEvEUlS6_S6_E_S6_EEDaPvRmT3_T4_T5_mT6_P12ihipStream_tbENKUlT_T0_E_clISt17integral_constantIbLb1EESY_EEDaST_SU_EUlST_E0_NS1_11comp_targetILNS1_3genE9ELNS1_11target_archE1100ELNS1_3gpuE3ELNS1_3repE0EEENS1_30default_config_static_selectorELNS0_4arch9wavefront6targetE1EEEvT1_.kd
    .uniform_work_group_size: 1
    .uses_dynamic_stack: false
    .vgpr_count:     0
    .vgpr_spill_count: 0
    .wavefront_size: 64
  - .args:
      - .offset:         0
        .size:           32
        .value_kind:     by_value
    .group_segment_fixed_size: 0
    .kernarg_segment_align: 8
    .kernarg_segment_size: 32
    .language:       OpenCL C
    .language_version:
      - 2
      - 0
    .max_flat_workgroup_size: 64
    .name:           _ZN7rocprim17ROCPRIM_400000_NS6detail17trampoline_kernelINS0_14default_configENS1_20scan_config_selectorIN3c104HalfEEEZZNS1_9scan_implILNS1_25lookback_scan_determinismE0ELb0ELb0ES3_PKS6_PS6_S6_ZZZN2at6native31launch_logcumsumexp_cuda_kernelERKNSD_10TensorBaseESH_lENKUlvE_clEvENKUlvE3_clEvEUlS6_S6_E_S6_EEDaPvRmT3_T4_T5_mT6_P12ihipStream_tbENKUlT_T0_E_clISt17integral_constantIbLb1EESY_EEDaST_SU_EUlST_E0_NS1_11comp_targetILNS1_3genE8ELNS1_11target_archE1030ELNS1_3gpuE2ELNS1_3repE0EEENS1_30default_config_static_selectorELNS0_4arch9wavefront6targetE1EEEvT1_
    .private_segment_fixed_size: 0
    .sgpr_count:     4
    .sgpr_spill_count: 0
    .symbol:         _ZN7rocprim17ROCPRIM_400000_NS6detail17trampoline_kernelINS0_14default_configENS1_20scan_config_selectorIN3c104HalfEEEZZNS1_9scan_implILNS1_25lookback_scan_determinismE0ELb0ELb0ES3_PKS6_PS6_S6_ZZZN2at6native31launch_logcumsumexp_cuda_kernelERKNSD_10TensorBaseESH_lENKUlvE_clEvENKUlvE3_clEvEUlS6_S6_E_S6_EEDaPvRmT3_T4_T5_mT6_P12ihipStream_tbENKUlT_T0_E_clISt17integral_constantIbLb1EESY_EEDaST_SU_EUlST_E0_NS1_11comp_targetILNS1_3genE8ELNS1_11target_archE1030ELNS1_3gpuE2ELNS1_3repE0EEENS1_30default_config_static_selectorELNS0_4arch9wavefront6targetE1EEEvT1_.kd
    .uniform_work_group_size: 1
    .uses_dynamic_stack: false
    .vgpr_count:     0
    .vgpr_spill_count: 0
    .wavefront_size: 64
  - .args:
      - .address_space:  global
        .offset:         0
        .size:           8
        .value_kind:     global_buffer
      - .offset:         8
        .size:           4
        .value_kind:     by_value
      - .offset:         12
        .size:           1
        .value_kind:     by_value
      - .offset:         16
        .size:           4
        .value_kind:     by_value
      - .address_space:  global
        .offset:         24
        .size:           8
        .value_kind:     global_buffer
      - .offset:         32
        .size:           4
        .value_kind:     hidden_block_count_x
      - .offset:         36
        .size:           4
        .value_kind:     hidden_block_count_y
      - .offset:         40
        .size:           4
        .value_kind:     hidden_block_count_z
      - .offset:         44
        .size:           2
        .value_kind:     hidden_group_size_x
      - .offset:         46
        .size:           2
        .value_kind:     hidden_group_size_y
      - .offset:         48
        .size:           2
        .value_kind:     hidden_group_size_z
      - .offset:         50
        .size:           2
        .value_kind:     hidden_remainder_x
      - .offset:         52
        .size:           2
        .value_kind:     hidden_remainder_y
      - .offset:         54
        .size:           2
        .value_kind:     hidden_remainder_z
      - .offset:         72
        .size:           8
        .value_kind:     hidden_global_offset_x
      - .offset:         80
        .size:           8
        .value_kind:     hidden_global_offset_y
      - .offset:         88
        .size:           8
        .value_kind:     hidden_global_offset_z
      - .offset:         96
        .size:           2
        .value_kind:     hidden_grid_dims
    .group_segment_fixed_size: 0
    .kernarg_segment_align: 8
    .kernarg_segment_size: 288
    .language:       OpenCL C
    .language_version:
      - 2
      - 0
    .max_flat_workgroup_size: 256
    .name:           _ZN7rocprim17ROCPRIM_400000_NS6detail31init_lookback_scan_state_kernelINS1_19lookback_scan_stateIN3c104HalfELb1ELb1EEENS1_16block_id_wrapperIjLb0EEEEEvT_jT0_jPNS9_10value_typeE
    .private_segment_fixed_size: 0
    .sgpr_count:     16
    .sgpr_spill_count: 0
    .symbol:         _ZN7rocprim17ROCPRIM_400000_NS6detail31init_lookback_scan_state_kernelINS1_19lookback_scan_stateIN3c104HalfELb1ELb1EEENS1_16block_id_wrapperIjLb0EEEEEvT_jT0_jPNS9_10value_typeE.kd
    .uniform_work_group_size: 1
    .uses_dynamic_stack: false
    .vgpr_count:     5
    .vgpr_spill_count: 0
    .wavefront_size: 64
  - .args:
      - .offset:         0
        .size:           96
        .value_kind:     by_value
    .group_segment_fixed_size: 0
    .kernarg_segment_align: 8
    .kernarg_segment_size: 96
    .language:       OpenCL C
    .language_version:
      - 2
      - 0
    .max_flat_workgroup_size: 128
    .name:           _ZN7rocprim17ROCPRIM_400000_NS6detail17trampoline_kernelINS0_14default_configENS1_20scan_config_selectorIN3c104HalfEEEZZNS1_9scan_implILNS1_25lookback_scan_determinismE0ELb0ELb0ES3_PKS6_PS6_S6_ZZZN2at6native31launch_logcumsumexp_cuda_kernelERKNSD_10TensorBaseESH_lENKUlvE_clEvENKUlvE3_clEvEUlS6_S6_E_S6_EEDaPvRmT3_T4_T5_mT6_P12ihipStream_tbENKUlT_T0_E_clISt17integral_constantIbLb1EESX_IbLb0EEEEDaST_SU_EUlST_E_NS1_11comp_targetILNS1_3genE0ELNS1_11target_archE4294967295ELNS1_3gpuE0ELNS1_3repE0EEENS1_30default_config_static_selectorELNS0_4arch9wavefront6targetE1EEEvT1_
    .private_segment_fixed_size: 0
    .sgpr_count:     4
    .sgpr_spill_count: 0
    .symbol:         _ZN7rocprim17ROCPRIM_400000_NS6detail17trampoline_kernelINS0_14default_configENS1_20scan_config_selectorIN3c104HalfEEEZZNS1_9scan_implILNS1_25lookback_scan_determinismE0ELb0ELb0ES3_PKS6_PS6_S6_ZZZN2at6native31launch_logcumsumexp_cuda_kernelERKNSD_10TensorBaseESH_lENKUlvE_clEvENKUlvE3_clEvEUlS6_S6_E_S6_EEDaPvRmT3_T4_T5_mT6_P12ihipStream_tbENKUlT_T0_E_clISt17integral_constantIbLb1EESX_IbLb0EEEEDaST_SU_EUlST_E_NS1_11comp_targetILNS1_3genE0ELNS1_11target_archE4294967295ELNS1_3gpuE0ELNS1_3repE0EEENS1_30default_config_static_selectorELNS0_4arch9wavefront6targetE1EEEvT1_.kd
    .uniform_work_group_size: 1
    .uses_dynamic_stack: false
    .vgpr_count:     0
    .vgpr_spill_count: 0
    .wavefront_size: 64
  - .args:
      - .offset:         0
        .size:           96
        .value_kind:     by_value
    .group_segment_fixed_size: 0
    .kernarg_segment_align: 8
    .kernarg_segment_size: 96
    .language:       OpenCL C
    .language_version:
      - 2
      - 0
    .max_flat_workgroup_size: 256
    .name:           _ZN7rocprim17ROCPRIM_400000_NS6detail17trampoline_kernelINS0_14default_configENS1_20scan_config_selectorIN3c104HalfEEEZZNS1_9scan_implILNS1_25lookback_scan_determinismE0ELb0ELb0ES3_PKS6_PS6_S6_ZZZN2at6native31launch_logcumsumexp_cuda_kernelERKNSD_10TensorBaseESH_lENKUlvE_clEvENKUlvE3_clEvEUlS6_S6_E_S6_EEDaPvRmT3_T4_T5_mT6_P12ihipStream_tbENKUlT_T0_E_clISt17integral_constantIbLb1EESX_IbLb0EEEEDaST_SU_EUlST_E_NS1_11comp_targetILNS1_3genE5ELNS1_11target_archE942ELNS1_3gpuE9ELNS1_3repE0EEENS1_30default_config_static_selectorELNS0_4arch9wavefront6targetE1EEEvT1_
    .private_segment_fixed_size: 0
    .sgpr_count:     4
    .sgpr_spill_count: 0
    .symbol:         _ZN7rocprim17ROCPRIM_400000_NS6detail17trampoline_kernelINS0_14default_configENS1_20scan_config_selectorIN3c104HalfEEEZZNS1_9scan_implILNS1_25lookback_scan_determinismE0ELb0ELb0ES3_PKS6_PS6_S6_ZZZN2at6native31launch_logcumsumexp_cuda_kernelERKNSD_10TensorBaseESH_lENKUlvE_clEvENKUlvE3_clEvEUlS6_S6_E_S6_EEDaPvRmT3_T4_T5_mT6_P12ihipStream_tbENKUlT_T0_E_clISt17integral_constantIbLb1EESX_IbLb0EEEEDaST_SU_EUlST_E_NS1_11comp_targetILNS1_3genE5ELNS1_11target_archE942ELNS1_3gpuE9ELNS1_3repE0EEENS1_30default_config_static_selectorELNS0_4arch9wavefront6targetE1EEEvT1_.kd
    .uniform_work_group_size: 1
    .uses_dynamic_stack: false
    .vgpr_count:     0
    .vgpr_spill_count: 0
    .wavefront_size: 64
  - .args:
      - .offset:         0
        .size:           96
        .value_kind:     by_value
    .group_segment_fixed_size: 0
    .kernarg_segment_align: 8
    .kernarg_segment_size: 96
    .language:       OpenCL C
    .language_version:
      - 2
      - 0
    .max_flat_workgroup_size: 64
    .name:           _ZN7rocprim17ROCPRIM_400000_NS6detail17trampoline_kernelINS0_14default_configENS1_20scan_config_selectorIN3c104HalfEEEZZNS1_9scan_implILNS1_25lookback_scan_determinismE0ELb0ELb0ES3_PKS6_PS6_S6_ZZZN2at6native31launch_logcumsumexp_cuda_kernelERKNSD_10TensorBaseESH_lENKUlvE_clEvENKUlvE3_clEvEUlS6_S6_E_S6_EEDaPvRmT3_T4_T5_mT6_P12ihipStream_tbENKUlT_T0_E_clISt17integral_constantIbLb1EESX_IbLb0EEEEDaST_SU_EUlST_E_NS1_11comp_targetILNS1_3genE4ELNS1_11target_archE910ELNS1_3gpuE8ELNS1_3repE0EEENS1_30default_config_static_selectorELNS0_4arch9wavefront6targetE1EEEvT1_
    .private_segment_fixed_size: 0
    .sgpr_count:     4
    .sgpr_spill_count: 0
    .symbol:         _ZN7rocprim17ROCPRIM_400000_NS6detail17trampoline_kernelINS0_14default_configENS1_20scan_config_selectorIN3c104HalfEEEZZNS1_9scan_implILNS1_25lookback_scan_determinismE0ELb0ELb0ES3_PKS6_PS6_S6_ZZZN2at6native31launch_logcumsumexp_cuda_kernelERKNSD_10TensorBaseESH_lENKUlvE_clEvENKUlvE3_clEvEUlS6_S6_E_S6_EEDaPvRmT3_T4_T5_mT6_P12ihipStream_tbENKUlT_T0_E_clISt17integral_constantIbLb1EESX_IbLb0EEEEDaST_SU_EUlST_E_NS1_11comp_targetILNS1_3genE4ELNS1_11target_archE910ELNS1_3gpuE8ELNS1_3repE0EEENS1_30default_config_static_selectorELNS0_4arch9wavefront6targetE1EEEvT1_.kd
    .uniform_work_group_size: 1
    .uses_dynamic_stack: false
    .vgpr_count:     0
    .vgpr_spill_count: 0
    .wavefront_size: 64
  - .args:
      - .offset:         0
        .size:           96
        .value_kind:     by_value
    .group_segment_fixed_size: 0
    .kernarg_segment_align: 8
    .kernarg_segment_size: 96
    .language:       OpenCL C
    .language_version:
      - 2
      - 0
    .max_flat_workgroup_size: 128
    .name:           _ZN7rocprim17ROCPRIM_400000_NS6detail17trampoline_kernelINS0_14default_configENS1_20scan_config_selectorIN3c104HalfEEEZZNS1_9scan_implILNS1_25lookback_scan_determinismE0ELb0ELb0ES3_PKS6_PS6_S6_ZZZN2at6native31launch_logcumsumexp_cuda_kernelERKNSD_10TensorBaseESH_lENKUlvE_clEvENKUlvE3_clEvEUlS6_S6_E_S6_EEDaPvRmT3_T4_T5_mT6_P12ihipStream_tbENKUlT_T0_E_clISt17integral_constantIbLb1EESX_IbLb0EEEEDaST_SU_EUlST_E_NS1_11comp_targetILNS1_3genE3ELNS1_11target_archE908ELNS1_3gpuE7ELNS1_3repE0EEENS1_30default_config_static_selectorELNS0_4arch9wavefront6targetE1EEEvT1_
    .private_segment_fixed_size: 0
    .sgpr_count:     4
    .sgpr_spill_count: 0
    .symbol:         _ZN7rocprim17ROCPRIM_400000_NS6detail17trampoline_kernelINS0_14default_configENS1_20scan_config_selectorIN3c104HalfEEEZZNS1_9scan_implILNS1_25lookback_scan_determinismE0ELb0ELb0ES3_PKS6_PS6_S6_ZZZN2at6native31launch_logcumsumexp_cuda_kernelERKNSD_10TensorBaseESH_lENKUlvE_clEvENKUlvE3_clEvEUlS6_S6_E_S6_EEDaPvRmT3_T4_T5_mT6_P12ihipStream_tbENKUlT_T0_E_clISt17integral_constantIbLb1EESX_IbLb0EEEEDaST_SU_EUlST_E_NS1_11comp_targetILNS1_3genE3ELNS1_11target_archE908ELNS1_3gpuE7ELNS1_3repE0EEENS1_30default_config_static_selectorELNS0_4arch9wavefront6targetE1EEEvT1_.kd
    .uniform_work_group_size: 1
    .uses_dynamic_stack: false
    .vgpr_count:     0
    .vgpr_spill_count: 0
    .wavefront_size: 64
  - .args:
      - .offset:         0
        .size:           96
        .value_kind:     by_value
    .group_segment_fixed_size: 0
    .kernarg_segment_align: 8
    .kernarg_segment_size: 96
    .language:       OpenCL C
    .language_version:
      - 2
      - 0
    .max_flat_workgroup_size: 256
    .name:           _ZN7rocprim17ROCPRIM_400000_NS6detail17trampoline_kernelINS0_14default_configENS1_20scan_config_selectorIN3c104HalfEEEZZNS1_9scan_implILNS1_25lookback_scan_determinismE0ELb0ELb0ES3_PKS6_PS6_S6_ZZZN2at6native31launch_logcumsumexp_cuda_kernelERKNSD_10TensorBaseESH_lENKUlvE_clEvENKUlvE3_clEvEUlS6_S6_E_S6_EEDaPvRmT3_T4_T5_mT6_P12ihipStream_tbENKUlT_T0_E_clISt17integral_constantIbLb1EESX_IbLb0EEEEDaST_SU_EUlST_E_NS1_11comp_targetILNS1_3genE2ELNS1_11target_archE906ELNS1_3gpuE6ELNS1_3repE0EEENS1_30default_config_static_selectorELNS0_4arch9wavefront6targetE1EEEvT1_
    .private_segment_fixed_size: 0
    .sgpr_count:     4
    .sgpr_spill_count: 0
    .symbol:         _ZN7rocprim17ROCPRIM_400000_NS6detail17trampoline_kernelINS0_14default_configENS1_20scan_config_selectorIN3c104HalfEEEZZNS1_9scan_implILNS1_25lookback_scan_determinismE0ELb0ELb0ES3_PKS6_PS6_S6_ZZZN2at6native31launch_logcumsumexp_cuda_kernelERKNSD_10TensorBaseESH_lENKUlvE_clEvENKUlvE3_clEvEUlS6_S6_E_S6_EEDaPvRmT3_T4_T5_mT6_P12ihipStream_tbENKUlT_T0_E_clISt17integral_constantIbLb1EESX_IbLb0EEEEDaST_SU_EUlST_E_NS1_11comp_targetILNS1_3genE2ELNS1_11target_archE906ELNS1_3gpuE6ELNS1_3repE0EEENS1_30default_config_static_selectorELNS0_4arch9wavefront6targetE1EEEvT1_.kd
    .uniform_work_group_size: 1
    .uses_dynamic_stack: false
    .vgpr_count:     0
    .vgpr_spill_count: 0
    .wavefront_size: 64
  - .args:
      - .offset:         0
        .size:           96
        .value_kind:     by_value
    .group_segment_fixed_size: 0
    .kernarg_segment_align: 8
    .kernarg_segment_size: 96
    .language:       OpenCL C
    .language_version:
      - 2
      - 0
    .max_flat_workgroup_size: 256
    .name:           _ZN7rocprim17ROCPRIM_400000_NS6detail17trampoline_kernelINS0_14default_configENS1_20scan_config_selectorIN3c104HalfEEEZZNS1_9scan_implILNS1_25lookback_scan_determinismE0ELb0ELb0ES3_PKS6_PS6_S6_ZZZN2at6native31launch_logcumsumexp_cuda_kernelERKNSD_10TensorBaseESH_lENKUlvE_clEvENKUlvE3_clEvEUlS6_S6_E_S6_EEDaPvRmT3_T4_T5_mT6_P12ihipStream_tbENKUlT_T0_E_clISt17integral_constantIbLb1EESX_IbLb0EEEEDaST_SU_EUlST_E_NS1_11comp_targetILNS1_3genE10ELNS1_11target_archE1201ELNS1_3gpuE5ELNS1_3repE0EEENS1_30default_config_static_selectorELNS0_4arch9wavefront6targetE1EEEvT1_
    .private_segment_fixed_size: 0
    .sgpr_count:     4
    .sgpr_spill_count: 0
    .symbol:         _ZN7rocprim17ROCPRIM_400000_NS6detail17trampoline_kernelINS0_14default_configENS1_20scan_config_selectorIN3c104HalfEEEZZNS1_9scan_implILNS1_25lookback_scan_determinismE0ELb0ELb0ES3_PKS6_PS6_S6_ZZZN2at6native31launch_logcumsumexp_cuda_kernelERKNSD_10TensorBaseESH_lENKUlvE_clEvENKUlvE3_clEvEUlS6_S6_E_S6_EEDaPvRmT3_T4_T5_mT6_P12ihipStream_tbENKUlT_T0_E_clISt17integral_constantIbLb1EESX_IbLb0EEEEDaST_SU_EUlST_E_NS1_11comp_targetILNS1_3genE10ELNS1_11target_archE1201ELNS1_3gpuE5ELNS1_3repE0EEENS1_30default_config_static_selectorELNS0_4arch9wavefront6targetE1EEEvT1_.kd
    .uniform_work_group_size: 1
    .uses_dynamic_stack: false
    .vgpr_count:     0
    .vgpr_spill_count: 0
    .wavefront_size: 64
  - .args:
      - .offset:         0
        .size:           96
        .value_kind:     by_value
    .group_segment_fixed_size: 0
    .kernarg_segment_align: 8
    .kernarg_segment_size: 96
    .language:       OpenCL C
    .language_version:
      - 2
      - 0
    .max_flat_workgroup_size: 256
    .name:           _ZN7rocprim17ROCPRIM_400000_NS6detail17trampoline_kernelINS0_14default_configENS1_20scan_config_selectorIN3c104HalfEEEZZNS1_9scan_implILNS1_25lookback_scan_determinismE0ELb0ELb0ES3_PKS6_PS6_S6_ZZZN2at6native31launch_logcumsumexp_cuda_kernelERKNSD_10TensorBaseESH_lENKUlvE_clEvENKUlvE3_clEvEUlS6_S6_E_S6_EEDaPvRmT3_T4_T5_mT6_P12ihipStream_tbENKUlT_T0_E_clISt17integral_constantIbLb1EESX_IbLb0EEEEDaST_SU_EUlST_E_NS1_11comp_targetILNS1_3genE10ELNS1_11target_archE1200ELNS1_3gpuE4ELNS1_3repE0EEENS1_30default_config_static_selectorELNS0_4arch9wavefront6targetE1EEEvT1_
    .private_segment_fixed_size: 0
    .sgpr_count:     4
    .sgpr_spill_count: 0
    .symbol:         _ZN7rocprim17ROCPRIM_400000_NS6detail17trampoline_kernelINS0_14default_configENS1_20scan_config_selectorIN3c104HalfEEEZZNS1_9scan_implILNS1_25lookback_scan_determinismE0ELb0ELb0ES3_PKS6_PS6_S6_ZZZN2at6native31launch_logcumsumexp_cuda_kernelERKNSD_10TensorBaseESH_lENKUlvE_clEvENKUlvE3_clEvEUlS6_S6_E_S6_EEDaPvRmT3_T4_T5_mT6_P12ihipStream_tbENKUlT_T0_E_clISt17integral_constantIbLb1EESX_IbLb0EEEEDaST_SU_EUlST_E_NS1_11comp_targetILNS1_3genE10ELNS1_11target_archE1200ELNS1_3gpuE4ELNS1_3repE0EEENS1_30default_config_static_selectorELNS0_4arch9wavefront6targetE1EEEvT1_.kd
    .uniform_work_group_size: 1
    .uses_dynamic_stack: false
    .vgpr_count:     0
    .vgpr_spill_count: 0
    .wavefront_size: 64
  - .args:
      - .offset:         0
        .size:           96
        .value_kind:     by_value
    .group_segment_fixed_size: 0
    .kernarg_segment_align: 8
    .kernarg_segment_size: 96
    .language:       OpenCL C
    .language_version:
      - 2
      - 0
    .max_flat_workgroup_size: 64
    .name:           _ZN7rocprim17ROCPRIM_400000_NS6detail17trampoline_kernelINS0_14default_configENS1_20scan_config_selectorIN3c104HalfEEEZZNS1_9scan_implILNS1_25lookback_scan_determinismE0ELb0ELb0ES3_PKS6_PS6_S6_ZZZN2at6native31launch_logcumsumexp_cuda_kernelERKNSD_10TensorBaseESH_lENKUlvE_clEvENKUlvE3_clEvEUlS6_S6_E_S6_EEDaPvRmT3_T4_T5_mT6_P12ihipStream_tbENKUlT_T0_E_clISt17integral_constantIbLb1EESX_IbLb0EEEEDaST_SU_EUlST_E_NS1_11comp_targetILNS1_3genE9ELNS1_11target_archE1100ELNS1_3gpuE3ELNS1_3repE0EEENS1_30default_config_static_selectorELNS0_4arch9wavefront6targetE1EEEvT1_
    .private_segment_fixed_size: 0
    .sgpr_count:     4
    .sgpr_spill_count: 0
    .symbol:         _ZN7rocprim17ROCPRIM_400000_NS6detail17trampoline_kernelINS0_14default_configENS1_20scan_config_selectorIN3c104HalfEEEZZNS1_9scan_implILNS1_25lookback_scan_determinismE0ELb0ELb0ES3_PKS6_PS6_S6_ZZZN2at6native31launch_logcumsumexp_cuda_kernelERKNSD_10TensorBaseESH_lENKUlvE_clEvENKUlvE3_clEvEUlS6_S6_E_S6_EEDaPvRmT3_T4_T5_mT6_P12ihipStream_tbENKUlT_T0_E_clISt17integral_constantIbLb1EESX_IbLb0EEEEDaST_SU_EUlST_E_NS1_11comp_targetILNS1_3genE9ELNS1_11target_archE1100ELNS1_3gpuE3ELNS1_3repE0EEENS1_30default_config_static_selectorELNS0_4arch9wavefront6targetE1EEEvT1_.kd
    .uniform_work_group_size: 1
    .uses_dynamic_stack: false
    .vgpr_count:     0
    .vgpr_spill_count: 0
    .wavefront_size: 64
  - .args:
      - .offset:         0
        .size:           96
        .value_kind:     by_value
    .group_segment_fixed_size: 0
    .kernarg_segment_align: 8
    .kernarg_segment_size: 96
    .language:       OpenCL C
    .language_version:
      - 2
      - 0
    .max_flat_workgroup_size: 64
    .name:           _ZN7rocprim17ROCPRIM_400000_NS6detail17trampoline_kernelINS0_14default_configENS1_20scan_config_selectorIN3c104HalfEEEZZNS1_9scan_implILNS1_25lookback_scan_determinismE0ELb0ELb0ES3_PKS6_PS6_S6_ZZZN2at6native31launch_logcumsumexp_cuda_kernelERKNSD_10TensorBaseESH_lENKUlvE_clEvENKUlvE3_clEvEUlS6_S6_E_S6_EEDaPvRmT3_T4_T5_mT6_P12ihipStream_tbENKUlT_T0_E_clISt17integral_constantIbLb1EESX_IbLb0EEEEDaST_SU_EUlST_E_NS1_11comp_targetILNS1_3genE8ELNS1_11target_archE1030ELNS1_3gpuE2ELNS1_3repE0EEENS1_30default_config_static_selectorELNS0_4arch9wavefront6targetE1EEEvT1_
    .private_segment_fixed_size: 0
    .sgpr_count:     4
    .sgpr_spill_count: 0
    .symbol:         _ZN7rocprim17ROCPRIM_400000_NS6detail17trampoline_kernelINS0_14default_configENS1_20scan_config_selectorIN3c104HalfEEEZZNS1_9scan_implILNS1_25lookback_scan_determinismE0ELb0ELb0ES3_PKS6_PS6_S6_ZZZN2at6native31launch_logcumsumexp_cuda_kernelERKNSD_10TensorBaseESH_lENKUlvE_clEvENKUlvE3_clEvEUlS6_S6_E_S6_EEDaPvRmT3_T4_T5_mT6_P12ihipStream_tbENKUlT_T0_E_clISt17integral_constantIbLb1EESX_IbLb0EEEEDaST_SU_EUlST_E_NS1_11comp_targetILNS1_3genE8ELNS1_11target_archE1030ELNS1_3gpuE2ELNS1_3repE0EEENS1_30default_config_static_selectorELNS0_4arch9wavefront6targetE1EEEvT1_.kd
    .uniform_work_group_size: 1
    .uses_dynamic_stack: false
    .vgpr_count:     0
    .vgpr_spill_count: 0
    .wavefront_size: 64
  - .args:
      - .offset:         0
        .size:           32
        .value_kind:     by_value
    .group_segment_fixed_size: 0
    .kernarg_segment_align: 8
    .kernarg_segment_size: 32
    .language:       OpenCL C
    .language_version:
      - 2
      - 0
    .max_flat_workgroup_size: 128
    .name:           _ZN7rocprim17ROCPRIM_400000_NS6detail17trampoline_kernelINS0_14default_configENS1_20scan_config_selectorIN3c104HalfEEEZZNS1_9scan_implILNS1_25lookback_scan_determinismE0ELb0ELb0ES3_PKS6_PS6_S6_ZZZN2at6native31launch_logcumsumexp_cuda_kernelERKNSD_10TensorBaseESH_lENKUlvE_clEvENKUlvE3_clEvEUlS6_S6_E_S6_EEDaPvRmT3_T4_T5_mT6_P12ihipStream_tbENKUlT_T0_E_clISt17integral_constantIbLb1EESX_IbLb0EEEEDaST_SU_EUlST_E0_NS1_11comp_targetILNS1_3genE0ELNS1_11target_archE4294967295ELNS1_3gpuE0ELNS1_3repE0EEENS1_30default_config_static_selectorELNS0_4arch9wavefront6targetE1EEEvT1_
    .private_segment_fixed_size: 0
    .sgpr_count:     4
    .sgpr_spill_count: 0
    .symbol:         _ZN7rocprim17ROCPRIM_400000_NS6detail17trampoline_kernelINS0_14default_configENS1_20scan_config_selectorIN3c104HalfEEEZZNS1_9scan_implILNS1_25lookback_scan_determinismE0ELb0ELb0ES3_PKS6_PS6_S6_ZZZN2at6native31launch_logcumsumexp_cuda_kernelERKNSD_10TensorBaseESH_lENKUlvE_clEvENKUlvE3_clEvEUlS6_S6_E_S6_EEDaPvRmT3_T4_T5_mT6_P12ihipStream_tbENKUlT_T0_E_clISt17integral_constantIbLb1EESX_IbLb0EEEEDaST_SU_EUlST_E0_NS1_11comp_targetILNS1_3genE0ELNS1_11target_archE4294967295ELNS1_3gpuE0ELNS1_3repE0EEENS1_30default_config_static_selectorELNS0_4arch9wavefront6targetE1EEEvT1_.kd
    .uniform_work_group_size: 1
    .uses_dynamic_stack: false
    .vgpr_count:     0
    .vgpr_spill_count: 0
    .wavefront_size: 64
  - .args:
      - .offset:         0
        .size:           32
        .value_kind:     by_value
    .group_segment_fixed_size: 0
    .kernarg_segment_align: 8
    .kernarg_segment_size: 32
    .language:       OpenCL C
    .language_version:
      - 2
      - 0
    .max_flat_workgroup_size: 256
    .name:           _ZN7rocprim17ROCPRIM_400000_NS6detail17trampoline_kernelINS0_14default_configENS1_20scan_config_selectorIN3c104HalfEEEZZNS1_9scan_implILNS1_25lookback_scan_determinismE0ELb0ELb0ES3_PKS6_PS6_S6_ZZZN2at6native31launch_logcumsumexp_cuda_kernelERKNSD_10TensorBaseESH_lENKUlvE_clEvENKUlvE3_clEvEUlS6_S6_E_S6_EEDaPvRmT3_T4_T5_mT6_P12ihipStream_tbENKUlT_T0_E_clISt17integral_constantIbLb1EESX_IbLb0EEEEDaST_SU_EUlST_E0_NS1_11comp_targetILNS1_3genE5ELNS1_11target_archE942ELNS1_3gpuE9ELNS1_3repE0EEENS1_30default_config_static_selectorELNS0_4arch9wavefront6targetE1EEEvT1_
    .private_segment_fixed_size: 0
    .sgpr_count:     4
    .sgpr_spill_count: 0
    .symbol:         _ZN7rocprim17ROCPRIM_400000_NS6detail17trampoline_kernelINS0_14default_configENS1_20scan_config_selectorIN3c104HalfEEEZZNS1_9scan_implILNS1_25lookback_scan_determinismE0ELb0ELb0ES3_PKS6_PS6_S6_ZZZN2at6native31launch_logcumsumexp_cuda_kernelERKNSD_10TensorBaseESH_lENKUlvE_clEvENKUlvE3_clEvEUlS6_S6_E_S6_EEDaPvRmT3_T4_T5_mT6_P12ihipStream_tbENKUlT_T0_E_clISt17integral_constantIbLb1EESX_IbLb0EEEEDaST_SU_EUlST_E0_NS1_11comp_targetILNS1_3genE5ELNS1_11target_archE942ELNS1_3gpuE9ELNS1_3repE0EEENS1_30default_config_static_selectorELNS0_4arch9wavefront6targetE1EEEvT1_.kd
    .uniform_work_group_size: 1
    .uses_dynamic_stack: false
    .vgpr_count:     0
    .vgpr_spill_count: 0
    .wavefront_size: 64
  - .args:
      - .offset:         0
        .size:           32
        .value_kind:     by_value
    .group_segment_fixed_size: 0
    .kernarg_segment_align: 8
    .kernarg_segment_size: 32
    .language:       OpenCL C
    .language_version:
      - 2
      - 0
    .max_flat_workgroup_size: 64
    .name:           _ZN7rocprim17ROCPRIM_400000_NS6detail17trampoline_kernelINS0_14default_configENS1_20scan_config_selectorIN3c104HalfEEEZZNS1_9scan_implILNS1_25lookback_scan_determinismE0ELb0ELb0ES3_PKS6_PS6_S6_ZZZN2at6native31launch_logcumsumexp_cuda_kernelERKNSD_10TensorBaseESH_lENKUlvE_clEvENKUlvE3_clEvEUlS6_S6_E_S6_EEDaPvRmT3_T4_T5_mT6_P12ihipStream_tbENKUlT_T0_E_clISt17integral_constantIbLb1EESX_IbLb0EEEEDaST_SU_EUlST_E0_NS1_11comp_targetILNS1_3genE4ELNS1_11target_archE910ELNS1_3gpuE8ELNS1_3repE0EEENS1_30default_config_static_selectorELNS0_4arch9wavefront6targetE1EEEvT1_
    .private_segment_fixed_size: 0
    .sgpr_count:     4
    .sgpr_spill_count: 0
    .symbol:         _ZN7rocprim17ROCPRIM_400000_NS6detail17trampoline_kernelINS0_14default_configENS1_20scan_config_selectorIN3c104HalfEEEZZNS1_9scan_implILNS1_25lookback_scan_determinismE0ELb0ELb0ES3_PKS6_PS6_S6_ZZZN2at6native31launch_logcumsumexp_cuda_kernelERKNSD_10TensorBaseESH_lENKUlvE_clEvENKUlvE3_clEvEUlS6_S6_E_S6_EEDaPvRmT3_T4_T5_mT6_P12ihipStream_tbENKUlT_T0_E_clISt17integral_constantIbLb1EESX_IbLb0EEEEDaST_SU_EUlST_E0_NS1_11comp_targetILNS1_3genE4ELNS1_11target_archE910ELNS1_3gpuE8ELNS1_3repE0EEENS1_30default_config_static_selectorELNS0_4arch9wavefront6targetE1EEEvT1_.kd
    .uniform_work_group_size: 1
    .uses_dynamic_stack: false
    .vgpr_count:     0
    .vgpr_spill_count: 0
    .wavefront_size: 64
  - .args:
      - .offset:         0
        .size:           32
        .value_kind:     by_value
    .group_segment_fixed_size: 0
    .kernarg_segment_align: 8
    .kernarg_segment_size: 32
    .language:       OpenCL C
    .language_version:
      - 2
      - 0
    .max_flat_workgroup_size: 128
    .name:           _ZN7rocprim17ROCPRIM_400000_NS6detail17trampoline_kernelINS0_14default_configENS1_20scan_config_selectorIN3c104HalfEEEZZNS1_9scan_implILNS1_25lookback_scan_determinismE0ELb0ELb0ES3_PKS6_PS6_S6_ZZZN2at6native31launch_logcumsumexp_cuda_kernelERKNSD_10TensorBaseESH_lENKUlvE_clEvENKUlvE3_clEvEUlS6_S6_E_S6_EEDaPvRmT3_T4_T5_mT6_P12ihipStream_tbENKUlT_T0_E_clISt17integral_constantIbLb1EESX_IbLb0EEEEDaST_SU_EUlST_E0_NS1_11comp_targetILNS1_3genE3ELNS1_11target_archE908ELNS1_3gpuE7ELNS1_3repE0EEENS1_30default_config_static_selectorELNS0_4arch9wavefront6targetE1EEEvT1_
    .private_segment_fixed_size: 0
    .sgpr_count:     4
    .sgpr_spill_count: 0
    .symbol:         _ZN7rocprim17ROCPRIM_400000_NS6detail17trampoline_kernelINS0_14default_configENS1_20scan_config_selectorIN3c104HalfEEEZZNS1_9scan_implILNS1_25lookback_scan_determinismE0ELb0ELb0ES3_PKS6_PS6_S6_ZZZN2at6native31launch_logcumsumexp_cuda_kernelERKNSD_10TensorBaseESH_lENKUlvE_clEvENKUlvE3_clEvEUlS6_S6_E_S6_EEDaPvRmT3_T4_T5_mT6_P12ihipStream_tbENKUlT_T0_E_clISt17integral_constantIbLb1EESX_IbLb0EEEEDaST_SU_EUlST_E0_NS1_11comp_targetILNS1_3genE3ELNS1_11target_archE908ELNS1_3gpuE7ELNS1_3repE0EEENS1_30default_config_static_selectorELNS0_4arch9wavefront6targetE1EEEvT1_.kd
    .uniform_work_group_size: 1
    .uses_dynamic_stack: false
    .vgpr_count:     0
    .vgpr_spill_count: 0
    .wavefront_size: 64
  - .args:
      - .offset:         0
        .size:           32
        .value_kind:     by_value
    .group_segment_fixed_size: 12288
    .kernarg_segment_align: 8
    .kernarg_segment_size: 32
    .language:       OpenCL C
    .language_version:
      - 2
      - 0
    .max_flat_workgroup_size: 256
    .name:           _ZN7rocprim17ROCPRIM_400000_NS6detail17trampoline_kernelINS0_14default_configENS1_20scan_config_selectorIN3c104HalfEEEZZNS1_9scan_implILNS1_25lookback_scan_determinismE0ELb0ELb0ES3_PKS6_PS6_S6_ZZZN2at6native31launch_logcumsumexp_cuda_kernelERKNSD_10TensorBaseESH_lENKUlvE_clEvENKUlvE3_clEvEUlS6_S6_E_S6_EEDaPvRmT3_T4_T5_mT6_P12ihipStream_tbENKUlT_T0_E_clISt17integral_constantIbLb1EESX_IbLb0EEEEDaST_SU_EUlST_E0_NS1_11comp_targetILNS1_3genE2ELNS1_11target_archE906ELNS1_3gpuE6ELNS1_3repE0EEENS1_30default_config_static_selectorELNS0_4arch9wavefront6targetE1EEEvT1_
    .private_segment_fixed_size: 0
    .sgpr_count:     100
    .sgpr_spill_count: 14
    .symbol:         _ZN7rocprim17ROCPRIM_400000_NS6detail17trampoline_kernelINS0_14default_configENS1_20scan_config_selectorIN3c104HalfEEEZZNS1_9scan_implILNS1_25lookback_scan_determinismE0ELb0ELb0ES3_PKS6_PS6_S6_ZZZN2at6native31launch_logcumsumexp_cuda_kernelERKNSD_10TensorBaseESH_lENKUlvE_clEvENKUlvE3_clEvEUlS6_S6_E_S6_EEDaPvRmT3_T4_T5_mT6_P12ihipStream_tbENKUlT_T0_E_clISt17integral_constantIbLb1EESX_IbLb0EEEEDaST_SU_EUlST_E0_NS1_11comp_targetILNS1_3genE2ELNS1_11target_archE906ELNS1_3gpuE6ELNS1_3repE0EEENS1_30default_config_static_selectorELNS0_4arch9wavefront6targetE1EEEvT1_.kd
    .uniform_work_group_size: 1
    .uses_dynamic_stack: false
    .vgpr_count:     49
    .vgpr_spill_count: 0
    .wavefront_size: 64
  - .args:
      - .offset:         0
        .size:           32
        .value_kind:     by_value
    .group_segment_fixed_size: 0
    .kernarg_segment_align: 8
    .kernarg_segment_size: 32
    .language:       OpenCL C
    .language_version:
      - 2
      - 0
    .max_flat_workgroup_size: 256
    .name:           _ZN7rocprim17ROCPRIM_400000_NS6detail17trampoline_kernelINS0_14default_configENS1_20scan_config_selectorIN3c104HalfEEEZZNS1_9scan_implILNS1_25lookback_scan_determinismE0ELb0ELb0ES3_PKS6_PS6_S6_ZZZN2at6native31launch_logcumsumexp_cuda_kernelERKNSD_10TensorBaseESH_lENKUlvE_clEvENKUlvE3_clEvEUlS6_S6_E_S6_EEDaPvRmT3_T4_T5_mT6_P12ihipStream_tbENKUlT_T0_E_clISt17integral_constantIbLb1EESX_IbLb0EEEEDaST_SU_EUlST_E0_NS1_11comp_targetILNS1_3genE10ELNS1_11target_archE1201ELNS1_3gpuE5ELNS1_3repE0EEENS1_30default_config_static_selectorELNS0_4arch9wavefront6targetE1EEEvT1_
    .private_segment_fixed_size: 0
    .sgpr_count:     4
    .sgpr_spill_count: 0
    .symbol:         _ZN7rocprim17ROCPRIM_400000_NS6detail17trampoline_kernelINS0_14default_configENS1_20scan_config_selectorIN3c104HalfEEEZZNS1_9scan_implILNS1_25lookback_scan_determinismE0ELb0ELb0ES3_PKS6_PS6_S6_ZZZN2at6native31launch_logcumsumexp_cuda_kernelERKNSD_10TensorBaseESH_lENKUlvE_clEvENKUlvE3_clEvEUlS6_S6_E_S6_EEDaPvRmT3_T4_T5_mT6_P12ihipStream_tbENKUlT_T0_E_clISt17integral_constantIbLb1EESX_IbLb0EEEEDaST_SU_EUlST_E0_NS1_11comp_targetILNS1_3genE10ELNS1_11target_archE1201ELNS1_3gpuE5ELNS1_3repE0EEENS1_30default_config_static_selectorELNS0_4arch9wavefront6targetE1EEEvT1_.kd
    .uniform_work_group_size: 1
    .uses_dynamic_stack: false
    .vgpr_count:     0
    .vgpr_spill_count: 0
    .wavefront_size: 64
  - .args:
      - .offset:         0
        .size:           32
        .value_kind:     by_value
    .group_segment_fixed_size: 0
    .kernarg_segment_align: 8
    .kernarg_segment_size: 32
    .language:       OpenCL C
    .language_version:
      - 2
      - 0
    .max_flat_workgroup_size: 256
    .name:           _ZN7rocprim17ROCPRIM_400000_NS6detail17trampoline_kernelINS0_14default_configENS1_20scan_config_selectorIN3c104HalfEEEZZNS1_9scan_implILNS1_25lookback_scan_determinismE0ELb0ELb0ES3_PKS6_PS6_S6_ZZZN2at6native31launch_logcumsumexp_cuda_kernelERKNSD_10TensorBaseESH_lENKUlvE_clEvENKUlvE3_clEvEUlS6_S6_E_S6_EEDaPvRmT3_T4_T5_mT6_P12ihipStream_tbENKUlT_T0_E_clISt17integral_constantIbLb1EESX_IbLb0EEEEDaST_SU_EUlST_E0_NS1_11comp_targetILNS1_3genE10ELNS1_11target_archE1200ELNS1_3gpuE4ELNS1_3repE0EEENS1_30default_config_static_selectorELNS0_4arch9wavefront6targetE1EEEvT1_
    .private_segment_fixed_size: 0
    .sgpr_count:     4
    .sgpr_spill_count: 0
    .symbol:         _ZN7rocprim17ROCPRIM_400000_NS6detail17trampoline_kernelINS0_14default_configENS1_20scan_config_selectorIN3c104HalfEEEZZNS1_9scan_implILNS1_25lookback_scan_determinismE0ELb0ELb0ES3_PKS6_PS6_S6_ZZZN2at6native31launch_logcumsumexp_cuda_kernelERKNSD_10TensorBaseESH_lENKUlvE_clEvENKUlvE3_clEvEUlS6_S6_E_S6_EEDaPvRmT3_T4_T5_mT6_P12ihipStream_tbENKUlT_T0_E_clISt17integral_constantIbLb1EESX_IbLb0EEEEDaST_SU_EUlST_E0_NS1_11comp_targetILNS1_3genE10ELNS1_11target_archE1200ELNS1_3gpuE4ELNS1_3repE0EEENS1_30default_config_static_selectorELNS0_4arch9wavefront6targetE1EEEvT1_.kd
    .uniform_work_group_size: 1
    .uses_dynamic_stack: false
    .vgpr_count:     0
    .vgpr_spill_count: 0
    .wavefront_size: 64
  - .args:
      - .offset:         0
        .size:           32
        .value_kind:     by_value
    .group_segment_fixed_size: 0
    .kernarg_segment_align: 8
    .kernarg_segment_size: 32
    .language:       OpenCL C
    .language_version:
      - 2
      - 0
    .max_flat_workgroup_size: 64
    .name:           _ZN7rocprim17ROCPRIM_400000_NS6detail17trampoline_kernelINS0_14default_configENS1_20scan_config_selectorIN3c104HalfEEEZZNS1_9scan_implILNS1_25lookback_scan_determinismE0ELb0ELb0ES3_PKS6_PS6_S6_ZZZN2at6native31launch_logcumsumexp_cuda_kernelERKNSD_10TensorBaseESH_lENKUlvE_clEvENKUlvE3_clEvEUlS6_S6_E_S6_EEDaPvRmT3_T4_T5_mT6_P12ihipStream_tbENKUlT_T0_E_clISt17integral_constantIbLb1EESX_IbLb0EEEEDaST_SU_EUlST_E0_NS1_11comp_targetILNS1_3genE9ELNS1_11target_archE1100ELNS1_3gpuE3ELNS1_3repE0EEENS1_30default_config_static_selectorELNS0_4arch9wavefront6targetE1EEEvT1_
    .private_segment_fixed_size: 0
    .sgpr_count:     4
    .sgpr_spill_count: 0
    .symbol:         _ZN7rocprim17ROCPRIM_400000_NS6detail17trampoline_kernelINS0_14default_configENS1_20scan_config_selectorIN3c104HalfEEEZZNS1_9scan_implILNS1_25lookback_scan_determinismE0ELb0ELb0ES3_PKS6_PS6_S6_ZZZN2at6native31launch_logcumsumexp_cuda_kernelERKNSD_10TensorBaseESH_lENKUlvE_clEvENKUlvE3_clEvEUlS6_S6_E_S6_EEDaPvRmT3_T4_T5_mT6_P12ihipStream_tbENKUlT_T0_E_clISt17integral_constantIbLb1EESX_IbLb0EEEEDaST_SU_EUlST_E0_NS1_11comp_targetILNS1_3genE9ELNS1_11target_archE1100ELNS1_3gpuE3ELNS1_3repE0EEENS1_30default_config_static_selectorELNS0_4arch9wavefront6targetE1EEEvT1_.kd
    .uniform_work_group_size: 1
    .uses_dynamic_stack: false
    .vgpr_count:     0
    .vgpr_spill_count: 0
    .wavefront_size: 64
  - .args:
      - .offset:         0
        .size:           32
        .value_kind:     by_value
    .group_segment_fixed_size: 0
    .kernarg_segment_align: 8
    .kernarg_segment_size: 32
    .language:       OpenCL C
    .language_version:
      - 2
      - 0
    .max_flat_workgroup_size: 64
    .name:           _ZN7rocprim17ROCPRIM_400000_NS6detail17trampoline_kernelINS0_14default_configENS1_20scan_config_selectorIN3c104HalfEEEZZNS1_9scan_implILNS1_25lookback_scan_determinismE0ELb0ELb0ES3_PKS6_PS6_S6_ZZZN2at6native31launch_logcumsumexp_cuda_kernelERKNSD_10TensorBaseESH_lENKUlvE_clEvENKUlvE3_clEvEUlS6_S6_E_S6_EEDaPvRmT3_T4_T5_mT6_P12ihipStream_tbENKUlT_T0_E_clISt17integral_constantIbLb1EESX_IbLb0EEEEDaST_SU_EUlST_E0_NS1_11comp_targetILNS1_3genE8ELNS1_11target_archE1030ELNS1_3gpuE2ELNS1_3repE0EEENS1_30default_config_static_selectorELNS0_4arch9wavefront6targetE1EEEvT1_
    .private_segment_fixed_size: 0
    .sgpr_count:     4
    .sgpr_spill_count: 0
    .symbol:         _ZN7rocprim17ROCPRIM_400000_NS6detail17trampoline_kernelINS0_14default_configENS1_20scan_config_selectorIN3c104HalfEEEZZNS1_9scan_implILNS1_25lookback_scan_determinismE0ELb0ELb0ES3_PKS6_PS6_S6_ZZZN2at6native31launch_logcumsumexp_cuda_kernelERKNSD_10TensorBaseESH_lENKUlvE_clEvENKUlvE3_clEvEUlS6_S6_E_S6_EEDaPvRmT3_T4_T5_mT6_P12ihipStream_tbENKUlT_T0_E_clISt17integral_constantIbLb1EESX_IbLb0EEEEDaST_SU_EUlST_E0_NS1_11comp_targetILNS1_3genE8ELNS1_11target_archE1030ELNS1_3gpuE2ELNS1_3repE0EEENS1_30default_config_static_selectorELNS0_4arch9wavefront6targetE1EEEvT1_.kd
    .uniform_work_group_size: 1
    .uses_dynamic_stack: false
    .vgpr_count:     0
    .vgpr_spill_count: 0
    .wavefront_size: 64
  - .args:
      - .address_space:  global
        .offset:         0
        .size:           8
        .value_kind:     global_buffer
      - .offset:         8
        .size:           4
        .value_kind:     by_value
      - .address_space:  global
        .offset:         16
        .size:           8
        .value_kind:     global_buffer
      - .offset:         24
        .size:           4
        .value_kind:     by_value
      - .address_space:  global
        .offset:         32
        .size:           8
        .value_kind:     global_buffer
      - .offset:         40
        .size:           4
        .value_kind:     hidden_block_count_x
      - .offset:         44
        .size:           4
        .value_kind:     hidden_block_count_y
      - .offset:         48
        .size:           4
        .value_kind:     hidden_block_count_z
      - .offset:         52
        .size:           2
        .value_kind:     hidden_group_size_x
      - .offset:         54
        .size:           2
        .value_kind:     hidden_group_size_y
      - .offset:         56
        .size:           2
        .value_kind:     hidden_group_size_z
      - .offset:         58
        .size:           2
        .value_kind:     hidden_remainder_x
      - .offset:         60
        .size:           2
        .value_kind:     hidden_remainder_y
      - .offset:         62
        .size:           2
        .value_kind:     hidden_remainder_z
      - .offset:         80
        .size:           8
        .value_kind:     hidden_global_offset_x
      - .offset:         88
        .size:           8
        .value_kind:     hidden_global_offset_y
      - .offset:         96
        .size:           8
        .value_kind:     hidden_global_offset_z
      - .offset:         104
        .size:           2
        .value_kind:     hidden_grid_dims
    .group_segment_fixed_size: 0
    .kernarg_segment_align: 8
    .kernarg_segment_size: 296
    .language:       OpenCL C
    .language_version:
      - 2
      - 0
    .max_flat_workgroup_size: 256
    .name:           _ZN7rocprim17ROCPRIM_400000_NS6detail31init_lookback_scan_state_kernelINS1_19lookback_scan_stateIN3c104HalfELb0ELb1EEENS1_16block_id_wrapperIjLb1EEEEEvT_jT0_jPNS9_10value_typeE
    .private_segment_fixed_size: 0
    .sgpr_count:     15
    .sgpr_spill_count: 0
    .symbol:         _ZN7rocprim17ROCPRIM_400000_NS6detail31init_lookback_scan_state_kernelINS1_19lookback_scan_stateIN3c104HalfELb0ELb1EEENS1_16block_id_wrapperIjLb1EEEEEvT_jT0_jPNS9_10value_typeE.kd
    .uniform_work_group_size: 1
    .uses_dynamic_stack: false
    .vgpr_count:     5
    .vgpr_spill_count: 0
    .wavefront_size: 64
  - .args:
      - .offset:         0
        .size:           96
        .value_kind:     by_value
    .group_segment_fixed_size: 0
    .kernarg_segment_align: 8
    .kernarg_segment_size: 96
    .language:       OpenCL C
    .language_version:
      - 2
      - 0
    .max_flat_workgroup_size: 128
    .name:           _ZN7rocprim17ROCPRIM_400000_NS6detail17trampoline_kernelINS0_14default_configENS1_20scan_config_selectorIN3c104HalfEEEZZNS1_9scan_implILNS1_25lookback_scan_determinismE0ELb0ELb0ES3_PKS6_PS6_S6_ZZZN2at6native31launch_logcumsumexp_cuda_kernelERKNSD_10TensorBaseESH_lENKUlvE_clEvENKUlvE3_clEvEUlS6_S6_E_S6_EEDaPvRmT3_T4_T5_mT6_P12ihipStream_tbENKUlT_T0_E_clISt17integral_constantIbLb0EESX_IbLb1EEEEDaST_SU_EUlST_E_NS1_11comp_targetILNS1_3genE0ELNS1_11target_archE4294967295ELNS1_3gpuE0ELNS1_3repE0EEENS1_30default_config_static_selectorELNS0_4arch9wavefront6targetE1EEEvT1_
    .private_segment_fixed_size: 0
    .sgpr_count:     4
    .sgpr_spill_count: 0
    .symbol:         _ZN7rocprim17ROCPRIM_400000_NS6detail17trampoline_kernelINS0_14default_configENS1_20scan_config_selectorIN3c104HalfEEEZZNS1_9scan_implILNS1_25lookback_scan_determinismE0ELb0ELb0ES3_PKS6_PS6_S6_ZZZN2at6native31launch_logcumsumexp_cuda_kernelERKNSD_10TensorBaseESH_lENKUlvE_clEvENKUlvE3_clEvEUlS6_S6_E_S6_EEDaPvRmT3_T4_T5_mT6_P12ihipStream_tbENKUlT_T0_E_clISt17integral_constantIbLb0EESX_IbLb1EEEEDaST_SU_EUlST_E_NS1_11comp_targetILNS1_3genE0ELNS1_11target_archE4294967295ELNS1_3gpuE0ELNS1_3repE0EEENS1_30default_config_static_selectorELNS0_4arch9wavefront6targetE1EEEvT1_.kd
    .uniform_work_group_size: 1
    .uses_dynamic_stack: false
    .vgpr_count:     0
    .vgpr_spill_count: 0
    .wavefront_size: 64
  - .args:
      - .offset:         0
        .size:           96
        .value_kind:     by_value
    .group_segment_fixed_size: 0
    .kernarg_segment_align: 8
    .kernarg_segment_size: 96
    .language:       OpenCL C
    .language_version:
      - 2
      - 0
    .max_flat_workgroup_size: 256
    .name:           _ZN7rocprim17ROCPRIM_400000_NS6detail17trampoline_kernelINS0_14default_configENS1_20scan_config_selectorIN3c104HalfEEEZZNS1_9scan_implILNS1_25lookback_scan_determinismE0ELb0ELb0ES3_PKS6_PS6_S6_ZZZN2at6native31launch_logcumsumexp_cuda_kernelERKNSD_10TensorBaseESH_lENKUlvE_clEvENKUlvE3_clEvEUlS6_S6_E_S6_EEDaPvRmT3_T4_T5_mT6_P12ihipStream_tbENKUlT_T0_E_clISt17integral_constantIbLb0EESX_IbLb1EEEEDaST_SU_EUlST_E_NS1_11comp_targetILNS1_3genE5ELNS1_11target_archE942ELNS1_3gpuE9ELNS1_3repE0EEENS1_30default_config_static_selectorELNS0_4arch9wavefront6targetE1EEEvT1_
    .private_segment_fixed_size: 0
    .sgpr_count:     4
    .sgpr_spill_count: 0
    .symbol:         _ZN7rocprim17ROCPRIM_400000_NS6detail17trampoline_kernelINS0_14default_configENS1_20scan_config_selectorIN3c104HalfEEEZZNS1_9scan_implILNS1_25lookback_scan_determinismE0ELb0ELb0ES3_PKS6_PS6_S6_ZZZN2at6native31launch_logcumsumexp_cuda_kernelERKNSD_10TensorBaseESH_lENKUlvE_clEvENKUlvE3_clEvEUlS6_S6_E_S6_EEDaPvRmT3_T4_T5_mT6_P12ihipStream_tbENKUlT_T0_E_clISt17integral_constantIbLb0EESX_IbLb1EEEEDaST_SU_EUlST_E_NS1_11comp_targetILNS1_3genE5ELNS1_11target_archE942ELNS1_3gpuE9ELNS1_3repE0EEENS1_30default_config_static_selectorELNS0_4arch9wavefront6targetE1EEEvT1_.kd
    .uniform_work_group_size: 1
    .uses_dynamic_stack: false
    .vgpr_count:     0
    .vgpr_spill_count: 0
    .wavefront_size: 64
  - .args:
      - .offset:         0
        .size:           96
        .value_kind:     by_value
    .group_segment_fixed_size: 0
    .kernarg_segment_align: 8
    .kernarg_segment_size: 96
    .language:       OpenCL C
    .language_version:
      - 2
      - 0
    .max_flat_workgroup_size: 64
    .name:           _ZN7rocprim17ROCPRIM_400000_NS6detail17trampoline_kernelINS0_14default_configENS1_20scan_config_selectorIN3c104HalfEEEZZNS1_9scan_implILNS1_25lookback_scan_determinismE0ELb0ELb0ES3_PKS6_PS6_S6_ZZZN2at6native31launch_logcumsumexp_cuda_kernelERKNSD_10TensorBaseESH_lENKUlvE_clEvENKUlvE3_clEvEUlS6_S6_E_S6_EEDaPvRmT3_T4_T5_mT6_P12ihipStream_tbENKUlT_T0_E_clISt17integral_constantIbLb0EESX_IbLb1EEEEDaST_SU_EUlST_E_NS1_11comp_targetILNS1_3genE4ELNS1_11target_archE910ELNS1_3gpuE8ELNS1_3repE0EEENS1_30default_config_static_selectorELNS0_4arch9wavefront6targetE1EEEvT1_
    .private_segment_fixed_size: 0
    .sgpr_count:     4
    .sgpr_spill_count: 0
    .symbol:         _ZN7rocprim17ROCPRIM_400000_NS6detail17trampoline_kernelINS0_14default_configENS1_20scan_config_selectorIN3c104HalfEEEZZNS1_9scan_implILNS1_25lookback_scan_determinismE0ELb0ELb0ES3_PKS6_PS6_S6_ZZZN2at6native31launch_logcumsumexp_cuda_kernelERKNSD_10TensorBaseESH_lENKUlvE_clEvENKUlvE3_clEvEUlS6_S6_E_S6_EEDaPvRmT3_T4_T5_mT6_P12ihipStream_tbENKUlT_T0_E_clISt17integral_constantIbLb0EESX_IbLb1EEEEDaST_SU_EUlST_E_NS1_11comp_targetILNS1_3genE4ELNS1_11target_archE910ELNS1_3gpuE8ELNS1_3repE0EEENS1_30default_config_static_selectorELNS0_4arch9wavefront6targetE1EEEvT1_.kd
    .uniform_work_group_size: 1
    .uses_dynamic_stack: false
    .vgpr_count:     0
    .vgpr_spill_count: 0
    .wavefront_size: 64
  - .args:
      - .offset:         0
        .size:           96
        .value_kind:     by_value
    .group_segment_fixed_size: 0
    .kernarg_segment_align: 8
    .kernarg_segment_size: 96
    .language:       OpenCL C
    .language_version:
      - 2
      - 0
    .max_flat_workgroup_size: 128
    .name:           _ZN7rocprim17ROCPRIM_400000_NS6detail17trampoline_kernelINS0_14default_configENS1_20scan_config_selectorIN3c104HalfEEEZZNS1_9scan_implILNS1_25lookback_scan_determinismE0ELb0ELb0ES3_PKS6_PS6_S6_ZZZN2at6native31launch_logcumsumexp_cuda_kernelERKNSD_10TensorBaseESH_lENKUlvE_clEvENKUlvE3_clEvEUlS6_S6_E_S6_EEDaPvRmT3_T4_T5_mT6_P12ihipStream_tbENKUlT_T0_E_clISt17integral_constantIbLb0EESX_IbLb1EEEEDaST_SU_EUlST_E_NS1_11comp_targetILNS1_3genE3ELNS1_11target_archE908ELNS1_3gpuE7ELNS1_3repE0EEENS1_30default_config_static_selectorELNS0_4arch9wavefront6targetE1EEEvT1_
    .private_segment_fixed_size: 0
    .sgpr_count:     4
    .sgpr_spill_count: 0
    .symbol:         _ZN7rocprim17ROCPRIM_400000_NS6detail17trampoline_kernelINS0_14default_configENS1_20scan_config_selectorIN3c104HalfEEEZZNS1_9scan_implILNS1_25lookback_scan_determinismE0ELb0ELb0ES3_PKS6_PS6_S6_ZZZN2at6native31launch_logcumsumexp_cuda_kernelERKNSD_10TensorBaseESH_lENKUlvE_clEvENKUlvE3_clEvEUlS6_S6_E_S6_EEDaPvRmT3_T4_T5_mT6_P12ihipStream_tbENKUlT_T0_E_clISt17integral_constantIbLb0EESX_IbLb1EEEEDaST_SU_EUlST_E_NS1_11comp_targetILNS1_3genE3ELNS1_11target_archE908ELNS1_3gpuE7ELNS1_3repE0EEENS1_30default_config_static_selectorELNS0_4arch9wavefront6targetE1EEEvT1_.kd
    .uniform_work_group_size: 1
    .uses_dynamic_stack: false
    .vgpr_count:     0
    .vgpr_spill_count: 0
    .wavefront_size: 64
  - .args:
      - .offset:         0
        .size:           96
        .value_kind:     by_value
    .group_segment_fixed_size: 12288
    .kernarg_segment_align: 8
    .kernarg_segment_size: 96
    .language:       OpenCL C
    .language_version:
      - 2
      - 0
    .max_flat_workgroup_size: 256
    .name:           _ZN7rocprim17ROCPRIM_400000_NS6detail17trampoline_kernelINS0_14default_configENS1_20scan_config_selectorIN3c104HalfEEEZZNS1_9scan_implILNS1_25lookback_scan_determinismE0ELb0ELb0ES3_PKS6_PS6_S6_ZZZN2at6native31launch_logcumsumexp_cuda_kernelERKNSD_10TensorBaseESH_lENKUlvE_clEvENKUlvE3_clEvEUlS6_S6_E_S6_EEDaPvRmT3_T4_T5_mT6_P12ihipStream_tbENKUlT_T0_E_clISt17integral_constantIbLb0EESX_IbLb1EEEEDaST_SU_EUlST_E_NS1_11comp_targetILNS1_3genE2ELNS1_11target_archE906ELNS1_3gpuE6ELNS1_3repE0EEENS1_30default_config_static_selectorELNS0_4arch9wavefront6targetE1EEEvT1_
    .private_segment_fixed_size: 0
    .sgpr_count:     96
    .sgpr_spill_count: 0
    .symbol:         _ZN7rocprim17ROCPRIM_400000_NS6detail17trampoline_kernelINS0_14default_configENS1_20scan_config_selectorIN3c104HalfEEEZZNS1_9scan_implILNS1_25lookback_scan_determinismE0ELb0ELb0ES3_PKS6_PS6_S6_ZZZN2at6native31launch_logcumsumexp_cuda_kernelERKNSD_10TensorBaseESH_lENKUlvE_clEvENKUlvE3_clEvEUlS6_S6_E_S6_EEDaPvRmT3_T4_T5_mT6_P12ihipStream_tbENKUlT_T0_E_clISt17integral_constantIbLb0EESX_IbLb1EEEEDaST_SU_EUlST_E_NS1_11comp_targetILNS1_3genE2ELNS1_11target_archE906ELNS1_3gpuE6ELNS1_3repE0EEENS1_30default_config_static_selectorELNS0_4arch9wavefront6targetE1EEEvT1_.kd
    .uniform_work_group_size: 1
    .uses_dynamic_stack: false
    .vgpr_count:     76
    .vgpr_spill_count: 0
    .wavefront_size: 64
  - .args:
      - .offset:         0
        .size:           96
        .value_kind:     by_value
    .group_segment_fixed_size: 0
    .kernarg_segment_align: 8
    .kernarg_segment_size: 96
    .language:       OpenCL C
    .language_version:
      - 2
      - 0
    .max_flat_workgroup_size: 256
    .name:           _ZN7rocprim17ROCPRIM_400000_NS6detail17trampoline_kernelINS0_14default_configENS1_20scan_config_selectorIN3c104HalfEEEZZNS1_9scan_implILNS1_25lookback_scan_determinismE0ELb0ELb0ES3_PKS6_PS6_S6_ZZZN2at6native31launch_logcumsumexp_cuda_kernelERKNSD_10TensorBaseESH_lENKUlvE_clEvENKUlvE3_clEvEUlS6_S6_E_S6_EEDaPvRmT3_T4_T5_mT6_P12ihipStream_tbENKUlT_T0_E_clISt17integral_constantIbLb0EESX_IbLb1EEEEDaST_SU_EUlST_E_NS1_11comp_targetILNS1_3genE10ELNS1_11target_archE1201ELNS1_3gpuE5ELNS1_3repE0EEENS1_30default_config_static_selectorELNS0_4arch9wavefront6targetE1EEEvT1_
    .private_segment_fixed_size: 0
    .sgpr_count:     4
    .sgpr_spill_count: 0
    .symbol:         _ZN7rocprim17ROCPRIM_400000_NS6detail17trampoline_kernelINS0_14default_configENS1_20scan_config_selectorIN3c104HalfEEEZZNS1_9scan_implILNS1_25lookback_scan_determinismE0ELb0ELb0ES3_PKS6_PS6_S6_ZZZN2at6native31launch_logcumsumexp_cuda_kernelERKNSD_10TensorBaseESH_lENKUlvE_clEvENKUlvE3_clEvEUlS6_S6_E_S6_EEDaPvRmT3_T4_T5_mT6_P12ihipStream_tbENKUlT_T0_E_clISt17integral_constantIbLb0EESX_IbLb1EEEEDaST_SU_EUlST_E_NS1_11comp_targetILNS1_3genE10ELNS1_11target_archE1201ELNS1_3gpuE5ELNS1_3repE0EEENS1_30default_config_static_selectorELNS0_4arch9wavefront6targetE1EEEvT1_.kd
    .uniform_work_group_size: 1
    .uses_dynamic_stack: false
    .vgpr_count:     0
    .vgpr_spill_count: 0
    .wavefront_size: 64
  - .args:
      - .offset:         0
        .size:           96
        .value_kind:     by_value
    .group_segment_fixed_size: 0
    .kernarg_segment_align: 8
    .kernarg_segment_size: 96
    .language:       OpenCL C
    .language_version:
      - 2
      - 0
    .max_flat_workgroup_size: 256
    .name:           _ZN7rocprim17ROCPRIM_400000_NS6detail17trampoline_kernelINS0_14default_configENS1_20scan_config_selectorIN3c104HalfEEEZZNS1_9scan_implILNS1_25lookback_scan_determinismE0ELb0ELb0ES3_PKS6_PS6_S6_ZZZN2at6native31launch_logcumsumexp_cuda_kernelERKNSD_10TensorBaseESH_lENKUlvE_clEvENKUlvE3_clEvEUlS6_S6_E_S6_EEDaPvRmT3_T4_T5_mT6_P12ihipStream_tbENKUlT_T0_E_clISt17integral_constantIbLb0EESX_IbLb1EEEEDaST_SU_EUlST_E_NS1_11comp_targetILNS1_3genE10ELNS1_11target_archE1200ELNS1_3gpuE4ELNS1_3repE0EEENS1_30default_config_static_selectorELNS0_4arch9wavefront6targetE1EEEvT1_
    .private_segment_fixed_size: 0
    .sgpr_count:     4
    .sgpr_spill_count: 0
    .symbol:         _ZN7rocprim17ROCPRIM_400000_NS6detail17trampoline_kernelINS0_14default_configENS1_20scan_config_selectorIN3c104HalfEEEZZNS1_9scan_implILNS1_25lookback_scan_determinismE0ELb0ELb0ES3_PKS6_PS6_S6_ZZZN2at6native31launch_logcumsumexp_cuda_kernelERKNSD_10TensorBaseESH_lENKUlvE_clEvENKUlvE3_clEvEUlS6_S6_E_S6_EEDaPvRmT3_T4_T5_mT6_P12ihipStream_tbENKUlT_T0_E_clISt17integral_constantIbLb0EESX_IbLb1EEEEDaST_SU_EUlST_E_NS1_11comp_targetILNS1_3genE10ELNS1_11target_archE1200ELNS1_3gpuE4ELNS1_3repE0EEENS1_30default_config_static_selectorELNS0_4arch9wavefront6targetE1EEEvT1_.kd
    .uniform_work_group_size: 1
    .uses_dynamic_stack: false
    .vgpr_count:     0
    .vgpr_spill_count: 0
    .wavefront_size: 64
  - .args:
      - .offset:         0
        .size:           96
        .value_kind:     by_value
    .group_segment_fixed_size: 0
    .kernarg_segment_align: 8
    .kernarg_segment_size: 96
    .language:       OpenCL C
    .language_version:
      - 2
      - 0
    .max_flat_workgroup_size: 64
    .name:           _ZN7rocprim17ROCPRIM_400000_NS6detail17trampoline_kernelINS0_14default_configENS1_20scan_config_selectorIN3c104HalfEEEZZNS1_9scan_implILNS1_25lookback_scan_determinismE0ELb0ELb0ES3_PKS6_PS6_S6_ZZZN2at6native31launch_logcumsumexp_cuda_kernelERKNSD_10TensorBaseESH_lENKUlvE_clEvENKUlvE3_clEvEUlS6_S6_E_S6_EEDaPvRmT3_T4_T5_mT6_P12ihipStream_tbENKUlT_T0_E_clISt17integral_constantIbLb0EESX_IbLb1EEEEDaST_SU_EUlST_E_NS1_11comp_targetILNS1_3genE9ELNS1_11target_archE1100ELNS1_3gpuE3ELNS1_3repE0EEENS1_30default_config_static_selectorELNS0_4arch9wavefront6targetE1EEEvT1_
    .private_segment_fixed_size: 0
    .sgpr_count:     4
    .sgpr_spill_count: 0
    .symbol:         _ZN7rocprim17ROCPRIM_400000_NS6detail17trampoline_kernelINS0_14default_configENS1_20scan_config_selectorIN3c104HalfEEEZZNS1_9scan_implILNS1_25lookback_scan_determinismE0ELb0ELb0ES3_PKS6_PS6_S6_ZZZN2at6native31launch_logcumsumexp_cuda_kernelERKNSD_10TensorBaseESH_lENKUlvE_clEvENKUlvE3_clEvEUlS6_S6_E_S6_EEDaPvRmT3_T4_T5_mT6_P12ihipStream_tbENKUlT_T0_E_clISt17integral_constantIbLb0EESX_IbLb1EEEEDaST_SU_EUlST_E_NS1_11comp_targetILNS1_3genE9ELNS1_11target_archE1100ELNS1_3gpuE3ELNS1_3repE0EEENS1_30default_config_static_selectorELNS0_4arch9wavefront6targetE1EEEvT1_.kd
    .uniform_work_group_size: 1
    .uses_dynamic_stack: false
    .vgpr_count:     0
    .vgpr_spill_count: 0
    .wavefront_size: 64
  - .args:
      - .offset:         0
        .size:           96
        .value_kind:     by_value
    .group_segment_fixed_size: 0
    .kernarg_segment_align: 8
    .kernarg_segment_size: 96
    .language:       OpenCL C
    .language_version:
      - 2
      - 0
    .max_flat_workgroup_size: 64
    .name:           _ZN7rocprim17ROCPRIM_400000_NS6detail17trampoline_kernelINS0_14default_configENS1_20scan_config_selectorIN3c104HalfEEEZZNS1_9scan_implILNS1_25lookback_scan_determinismE0ELb0ELb0ES3_PKS6_PS6_S6_ZZZN2at6native31launch_logcumsumexp_cuda_kernelERKNSD_10TensorBaseESH_lENKUlvE_clEvENKUlvE3_clEvEUlS6_S6_E_S6_EEDaPvRmT3_T4_T5_mT6_P12ihipStream_tbENKUlT_T0_E_clISt17integral_constantIbLb0EESX_IbLb1EEEEDaST_SU_EUlST_E_NS1_11comp_targetILNS1_3genE8ELNS1_11target_archE1030ELNS1_3gpuE2ELNS1_3repE0EEENS1_30default_config_static_selectorELNS0_4arch9wavefront6targetE1EEEvT1_
    .private_segment_fixed_size: 0
    .sgpr_count:     4
    .sgpr_spill_count: 0
    .symbol:         _ZN7rocprim17ROCPRIM_400000_NS6detail17trampoline_kernelINS0_14default_configENS1_20scan_config_selectorIN3c104HalfEEEZZNS1_9scan_implILNS1_25lookback_scan_determinismE0ELb0ELb0ES3_PKS6_PS6_S6_ZZZN2at6native31launch_logcumsumexp_cuda_kernelERKNSD_10TensorBaseESH_lENKUlvE_clEvENKUlvE3_clEvEUlS6_S6_E_S6_EEDaPvRmT3_T4_T5_mT6_P12ihipStream_tbENKUlT_T0_E_clISt17integral_constantIbLb0EESX_IbLb1EEEEDaST_SU_EUlST_E_NS1_11comp_targetILNS1_3genE8ELNS1_11target_archE1030ELNS1_3gpuE2ELNS1_3repE0EEENS1_30default_config_static_selectorELNS0_4arch9wavefront6targetE1EEEvT1_.kd
    .uniform_work_group_size: 1
    .uses_dynamic_stack: false
    .vgpr_count:     0
    .vgpr_spill_count: 0
    .wavefront_size: 64
  - .args:
      - .offset:         0
        .size:           32
        .value_kind:     by_value
    .group_segment_fixed_size: 0
    .kernarg_segment_align: 8
    .kernarg_segment_size: 32
    .language:       OpenCL C
    .language_version:
      - 2
      - 0
    .max_flat_workgroup_size: 128
    .name:           _ZN7rocprim17ROCPRIM_400000_NS6detail17trampoline_kernelINS0_14default_configENS1_20scan_config_selectorIN3c104HalfEEEZZNS1_9scan_implILNS1_25lookback_scan_determinismE0ELb0ELb0ES3_PKS6_PS6_S6_ZZZN2at6native31launch_logcumsumexp_cuda_kernelERKNSD_10TensorBaseESH_lENKUlvE_clEvENKUlvE3_clEvEUlS6_S6_E_S6_EEDaPvRmT3_T4_T5_mT6_P12ihipStream_tbENKUlT_T0_E_clISt17integral_constantIbLb0EESX_IbLb1EEEEDaST_SU_EUlST_E0_NS1_11comp_targetILNS1_3genE0ELNS1_11target_archE4294967295ELNS1_3gpuE0ELNS1_3repE0EEENS1_30default_config_static_selectorELNS0_4arch9wavefront6targetE1EEEvT1_
    .private_segment_fixed_size: 0
    .sgpr_count:     4
    .sgpr_spill_count: 0
    .symbol:         _ZN7rocprim17ROCPRIM_400000_NS6detail17trampoline_kernelINS0_14default_configENS1_20scan_config_selectorIN3c104HalfEEEZZNS1_9scan_implILNS1_25lookback_scan_determinismE0ELb0ELb0ES3_PKS6_PS6_S6_ZZZN2at6native31launch_logcumsumexp_cuda_kernelERKNSD_10TensorBaseESH_lENKUlvE_clEvENKUlvE3_clEvEUlS6_S6_E_S6_EEDaPvRmT3_T4_T5_mT6_P12ihipStream_tbENKUlT_T0_E_clISt17integral_constantIbLb0EESX_IbLb1EEEEDaST_SU_EUlST_E0_NS1_11comp_targetILNS1_3genE0ELNS1_11target_archE4294967295ELNS1_3gpuE0ELNS1_3repE0EEENS1_30default_config_static_selectorELNS0_4arch9wavefront6targetE1EEEvT1_.kd
    .uniform_work_group_size: 1
    .uses_dynamic_stack: false
    .vgpr_count:     0
    .vgpr_spill_count: 0
    .wavefront_size: 64
  - .args:
      - .offset:         0
        .size:           32
        .value_kind:     by_value
    .group_segment_fixed_size: 0
    .kernarg_segment_align: 8
    .kernarg_segment_size: 32
    .language:       OpenCL C
    .language_version:
      - 2
      - 0
    .max_flat_workgroup_size: 256
    .name:           _ZN7rocprim17ROCPRIM_400000_NS6detail17trampoline_kernelINS0_14default_configENS1_20scan_config_selectorIN3c104HalfEEEZZNS1_9scan_implILNS1_25lookback_scan_determinismE0ELb0ELb0ES3_PKS6_PS6_S6_ZZZN2at6native31launch_logcumsumexp_cuda_kernelERKNSD_10TensorBaseESH_lENKUlvE_clEvENKUlvE3_clEvEUlS6_S6_E_S6_EEDaPvRmT3_T4_T5_mT6_P12ihipStream_tbENKUlT_T0_E_clISt17integral_constantIbLb0EESX_IbLb1EEEEDaST_SU_EUlST_E0_NS1_11comp_targetILNS1_3genE5ELNS1_11target_archE942ELNS1_3gpuE9ELNS1_3repE0EEENS1_30default_config_static_selectorELNS0_4arch9wavefront6targetE1EEEvT1_
    .private_segment_fixed_size: 0
    .sgpr_count:     4
    .sgpr_spill_count: 0
    .symbol:         _ZN7rocprim17ROCPRIM_400000_NS6detail17trampoline_kernelINS0_14default_configENS1_20scan_config_selectorIN3c104HalfEEEZZNS1_9scan_implILNS1_25lookback_scan_determinismE0ELb0ELb0ES3_PKS6_PS6_S6_ZZZN2at6native31launch_logcumsumexp_cuda_kernelERKNSD_10TensorBaseESH_lENKUlvE_clEvENKUlvE3_clEvEUlS6_S6_E_S6_EEDaPvRmT3_T4_T5_mT6_P12ihipStream_tbENKUlT_T0_E_clISt17integral_constantIbLb0EESX_IbLb1EEEEDaST_SU_EUlST_E0_NS1_11comp_targetILNS1_3genE5ELNS1_11target_archE942ELNS1_3gpuE9ELNS1_3repE0EEENS1_30default_config_static_selectorELNS0_4arch9wavefront6targetE1EEEvT1_.kd
    .uniform_work_group_size: 1
    .uses_dynamic_stack: false
    .vgpr_count:     0
    .vgpr_spill_count: 0
    .wavefront_size: 64
  - .args:
      - .offset:         0
        .size:           32
        .value_kind:     by_value
    .group_segment_fixed_size: 0
    .kernarg_segment_align: 8
    .kernarg_segment_size: 32
    .language:       OpenCL C
    .language_version:
      - 2
      - 0
    .max_flat_workgroup_size: 64
    .name:           _ZN7rocprim17ROCPRIM_400000_NS6detail17trampoline_kernelINS0_14default_configENS1_20scan_config_selectorIN3c104HalfEEEZZNS1_9scan_implILNS1_25lookback_scan_determinismE0ELb0ELb0ES3_PKS6_PS6_S6_ZZZN2at6native31launch_logcumsumexp_cuda_kernelERKNSD_10TensorBaseESH_lENKUlvE_clEvENKUlvE3_clEvEUlS6_S6_E_S6_EEDaPvRmT3_T4_T5_mT6_P12ihipStream_tbENKUlT_T0_E_clISt17integral_constantIbLb0EESX_IbLb1EEEEDaST_SU_EUlST_E0_NS1_11comp_targetILNS1_3genE4ELNS1_11target_archE910ELNS1_3gpuE8ELNS1_3repE0EEENS1_30default_config_static_selectorELNS0_4arch9wavefront6targetE1EEEvT1_
    .private_segment_fixed_size: 0
    .sgpr_count:     4
    .sgpr_spill_count: 0
    .symbol:         _ZN7rocprim17ROCPRIM_400000_NS6detail17trampoline_kernelINS0_14default_configENS1_20scan_config_selectorIN3c104HalfEEEZZNS1_9scan_implILNS1_25lookback_scan_determinismE0ELb0ELb0ES3_PKS6_PS6_S6_ZZZN2at6native31launch_logcumsumexp_cuda_kernelERKNSD_10TensorBaseESH_lENKUlvE_clEvENKUlvE3_clEvEUlS6_S6_E_S6_EEDaPvRmT3_T4_T5_mT6_P12ihipStream_tbENKUlT_T0_E_clISt17integral_constantIbLb0EESX_IbLb1EEEEDaST_SU_EUlST_E0_NS1_11comp_targetILNS1_3genE4ELNS1_11target_archE910ELNS1_3gpuE8ELNS1_3repE0EEENS1_30default_config_static_selectorELNS0_4arch9wavefront6targetE1EEEvT1_.kd
    .uniform_work_group_size: 1
    .uses_dynamic_stack: false
    .vgpr_count:     0
    .vgpr_spill_count: 0
    .wavefront_size: 64
  - .args:
      - .offset:         0
        .size:           32
        .value_kind:     by_value
    .group_segment_fixed_size: 0
    .kernarg_segment_align: 8
    .kernarg_segment_size: 32
    .language:       OpenCL C
    .language_version:
      - 2
      - 0
    .max_flat_workgroup_size: 128
    .name:           _ZN7rocprim17ROCPRIM_400000_NS6detail17trampoline_kernelINS0_14default_configENS1_20scan_config_selectorIN3c104HalfEEEZZNS1_9scan_implILNS1_25lookback_scan_determinismE0ELb0ELb0ES3_PKS6_PS6_S6_ZZZN2at6native31launch_logcumsumexp_cuda_kernelERKNSD_10TensorBaseESH_lENKUlvE_clEvENKUlvE3_clEvEUlS6_S6_E_S6_EEDaPvRmT3_T4_T5_mT6_P12ihipStream_tbENKUlT_T0_E_clISt17integral_constantIbLb0EESX_IbLb1EEEEDaST_SU_EUlST_E0_NS1_11comp_targetILNS1_3genE3ELNS1_11target_archE908ELNS1_3gpuE7ELNS1_3repE0EEENS1_30default_config_static_selectorELNS0_4arch9wavefront6targetE1EEEvT1_
    .private_segment_fixed_size: 0
    .sgpr_count:     4
    .sgpr_spill_count: 0
    .symbol:         _ZN7rocprim17ROCPRIM_400000_NS6detail17trampoline_kernelINS0_14default_configENS1_20scan_config_selectorIN3c104HalfEEEZZNS1_9scan_implILNS1_25lookback_scan_determinismE0ELb0ELb0ES3_PKS6_PS6_S6_ZZZN2at6native31launch_logcumsumexp_cuda_kernelERKNSD_10TensorBaseESH_lENKUlvE_clEvENKUlvE3_clEvEUlS6_S6_E_S6_EEDaPvRmT3_T4_T5_mT6_P12ihipStream_tbENKUlT_T0_E_clISt17integral_constantIbLb0EESX_IbLb1EEEEDaST_SU_EUlST_E0_NS1_11comp_targetILNS1_3genE3ELNS1_11target_archE908ELNS1_3gpuE7ELNS1_3repE0EEENS1_30default_config_static_selectorELNS0_4arch9wavefront6targetE1EEEvT1_.kd
    .uniform_work_group_size: 1
    .uses_dynamic_stack: false
    .vgpr_count:     0
    .vgpr_spill_count: 0
    .wavefront_size: 64
  - .args:
      - .offset:         0
        .size:           32
        .value_kind:     by_value
    .group_segment_fixed_size: 12288
    .kernarg_segment_align: 8
    .kernarg_segment_size: 32
    .language:       OpenCL C
    .language_version:
      - 2
      - 0
    .max_flat_workgroup_size: 256
    .name:           _ZN7rocprim17ROCPRIM_400000_NS6detail17trampoline_kernelINS0_14default_configENS1_20scan_config_selectorIN3c104HalfEEEZZNS1_9scan_implILNS1_25lookback_scan_determinismE0ELb0ELb0ES3_PKS6_PS6_S6_ZZZN2at6native31launch_logcumsumexp_cuda_kernelERKNSD_10TensorBaseESH_lENKUlvE_clEvENKUlvE3_clEvEUlS6_S6_E_S6_EEDaPvRmT3_T4_T5_mT6_P12ihipStream_tbENKUlT_T0_E_clISt17integral_constantIbLb0EESX_IbLb1EEEEDaST_SU_EUlST_E0_NS1_11comp_targetILNS1_3genE2ELNS1_11target_archE906ELNS1_3gpuE6ELNS1_3repE0EEENS1_30default_config_static_selectorELNS0_4arch9wavefront6targetE1EEEvT1_
    .private_segment_fixed_size: 0
    .sgpr_count:     100
    .sgpr_spill_count: 14
    .symbol:         _ZN7rocprim17ROCPRIM_400000_NS6detail17trampoline_kernelINS0_14default_configENS1_20scan_config_selectorIN3c104HalfEEEZZNS1_9scan_implILNS1_25lookback_scan_determinismE0ELb0ELb0ES3_PKS6_PS6_S6_ZZZN2at6native31launch_logcumsumexp_cuda_kernelERKNSD_10TensorBaseESH_lENKUlvE_clEvENKUlvE3_clEvEUlS6_S6_E_S6_EEDaPvRmT3_T4_T5_mT6_P12ihipStream_tbENKUlT_T0_E_clISt17integral_constantIbLb0EESX_IbLb1EEEEDaST_SU_EUlST_E0_NS1_11comp_targetILNS1_3genE2ELNS1_11target_archE906ELNS1_3gpuE6ELNS1_3repE0EEENS1_30default_config_static_selectorELNS0_4arch9wavefront6targetE1EEEvT1_.kd
    .uniform_work_group_size: 1
    .uses_dynamic_stack: false
    .vgpr_count:     49
    .vgpr_spill_count: 0
    .wavefront_size: 64
  - .args:
      - .offset:         0
        .size:           32
        .value_kind:     by_value
    .group_segment_fixed_size: 0
    .kernarg_segment_align: 8
    .kernarg_segment_size: 32
    .language:       OpenCL C
    .language_version:
      - 2
      - 0
    .max_flat_workgroup_size: 256
    .name:           _ZN7rocprim17ROCPRIM_400000_NS6detail17trampoline_kernelINS0_14default_configENS1_20scan_config_selectorIN3c104HalfEEEZZNS1_9scan_implILNS1_25lookback_scan_determinismE0ELb0ELb0ES3_PKS6_PS6_S6_ZZZN2at6native31launch_logcumsumexp_cuda_kernelERKNSD_10TensorBaseESH_lENKUlvE_clEvENKUlvE3_clEvEUlS6_S6_E_S6_EEDaPvRmT3_T4_T5_mT6_P12ihipStream_tbENKUlT_T0_E_clISt17integral_constantIbLb0EESX_IbLb1EEEEDaST_SU_EUlST_E0_NS1_11comp_targetILNS1_3genE10ELNS1_11target_archE1201ELNS1_3gpuE5ELNS1_3repE0EEENS1_30default_config_static_selectorELNS0_4arch9wavefront6targetE1EEEvT1_
    .private_segment_fixed_size: 0
    .sgpr_count:     4
    .sgpr_spill_count: 0
    .symbol:         _ZN7rocprim17ROCPRIM_400000_NS6detail17trampoline_kernelINS0_14default_configENS1_20scan_config_selectorIN3c104HalfEEEZZNS1_9scan_implILNS1_25lookback_scan_determinismE0ELb0ELb0ES3_PKS6_PS6_S6_ZZZN2at6native31launch_logcumsumexp_cuda_kernelERKNSD_10TensorBaseESH_lENKUlvE_clEvENKUlvE3_clEvEUlS6_S6_E_S6_EEDaPvRmT3_T4_T5_mT6_P12ihipStream_tbENKUlT_T0_E_clISt17integral_constantIbLb0EESX_IbLb1EEEEDaST_SU_EUlST_E0_NS1_11comp_targetILNS1_3genE10ELNS1_11target_archE1201ELNS1_3gpuE5ELNS1_3repE0EEENS1_30default_config_static_selectorELNS0_4arch9wavefront6targetE1EEEvT1_.kd
    .uniform_work_group_size: 1
    .uses_dynamic_stack: false
    .vgpr_count:     0
    .vgpr_spill_count: 0
    .wavefront_size: 64
  - .args:
      - .offset:         0
        .size:           32
        .value_kind:     by_value
    .group_segment_fixed_size: 0
    .kernarg_segment_align: 8
    .kernarg_segment_size: 32
    .language:       OpenCL C
    .language_version:
      - 2
      - 0
    .max_flat_workgroup_size: 256
    .name:           _ZN7rocprim17ROCPRIM_400000_NS6detail17trampoline_kernelINS0_14default_configENS1_20scan_config_selectorIN3c104HalfEEEZZNS1_9scan_implILNS1_25lookback_scan_determinismE0ELb0ELb0ES3_PKS6_PS6_S6_ZZZN2at6native31launch_logcumsumexp_cuda_kernelERKNSD_10TensorBaseESH_lENKUlvE_clEvENKUlvE3_clEvEUlS6_S6_E_S6_EEDaPvRmT3_T4_T5_mT6_P12ihipStream_tbENKUlT_T0_E_clISt17integral_constantIbLb0EESX_IbLb1EEEEDaST_SU_EUlST_E0_NS1_11comp_targetILNS1_3genE10ELNS1_11target_archE1200ELNS1_3gpuE4ELNS1_3repE0EEENS1_30default_config_static_selectorELNS0_4arch9wavefront6targetE1EEEvT1_
    .private_segment_fixed_size: 0
    .sgpr_count:     4
    .sgpr_spill_count: 0
    .symbol:         _ZN7rocprim17ROCPRIM_400000_NS6detail17trampoline_kernelINS0_14default_configENS1_20scan_config_selectorIN3c104HalfEEEZZNS1_9scan_implILNS1_25lookback_scan_determinismE0ELb0ELb0ES3_PKS6_PS6_S6_ZZZN2at6native31launch_logcumsumexp_cuda_kernelERKNSD_10TensorBaseESH_lENKUlvE_clEvENKUlvE3_clEvEUlS6_S6_E_S6_EEDaPvRmT3_T4_T5_mT6_P12ihipStream_tbENKUlT_T0_E_clISt17integral_constantIbLb0EESX_IbLb1EEEEDaST_SU_EUlST_E0_NS1_11comp_targetILNS1_3genE10ELNS1_11target_archE1200ELNS1_3gpuE4ELNS1_3repE0EEENS1_30default_config_static_selectorELNS0_4arch9wavefront6targetE1EEEvT1_.kd
    .uniform_work_group_size: 1
    .uses_dynamic_stack: false
    .vgpr_count:     0
    .vgpr_spill_count: 0
    .wavefront_size: 64
  - .args:
      - .offset:         0
        .size:           32
        .value_kind:     by_value
    .group_segment_fixed_size: 0
    .kernarg_segment_align: 8
    .kernarg_segment_size: 32
    .language:       OpenCL C
    .language_version:
      - 2
      - 0
    .max_flat_workgroup_size: 64
    .name:           _ZN7rocprim17ROCPRIM_400000_NS6detail17trampoline_kernelINS0_14default_configENS1_20scan_config_selectorIN3c104HalfEEEZZNS1_9scan_implILNS1_25lookback_scan_determinismE0ELb0ELb0ES3_PKS6_PS6_S6_ZZZN2at6native31launch_logcumsumexp_cuda_kernelERKNSD_10TensorBaseESH_lENKUlvE_clEvENKUlvE3_clEvEUlS6_S6_E_S6_EEDaPvRmT3_T4_T5_mT6_P12ihipStream_tbENKUlT_T0_E_clISt17integral_constantIbLb0EESX_IbLb1EEEEDaST_SU_EUlST_E0_NS1_11comp_targetILNS1_3genE9ELNS1_11target_archE1100ELNS1_3gpuE3ELNS1_3repE0EEENS1_30default_config_static_selectorELNS0_4arch9wavefront6targetE1EEEvT1_
    .private_segment_fixed_size: 0
    .sgpr_count:     4
    .sgpr_spill_count: 0
    .symbol:         _ZN7rocprim17ROCPRIM_400000_NS6detail17trampoline_kernelINS0_14default_configENS1_20scan_config_selectorIN3c104HalfEEEZZNS1_9scan_implILNS1_25lookback_scan_determinismE0ELb0ELb0ES3_PKS6_PS6_S6_ZZZN2at6native31launch_logcumsumexp_cuda_kernelERKNSD_10TensorBaseESH_lENKUlvE_clEvENKUlvE3_clEvEUlS6_S6_E_S6_EEDaPvRmT3_T4_T5_mT6_P12ihipStream_tbENKUlT_T0_E_clISt17integral_constantIbLb0EESX_IbLb1EEEEDaST_SU_EUlST_E0_NS1_11comp_targetILNS1_3genE9ELNS1_11target_archE1100ELNS1_3gpuE3ELNS1_3repE0EEENS1_30default_config_static_selectorELNS0_4arch9wavefront6targetE1EEEvT1_.kd
    .uniform_work_group_size: 1
    .uses_dynamic_stack: false
    .vgpr_count:     0
    .vgpr_spill_count: 0
    .wavefront_size: 64
  - .args:
      - .offset:         0
        .size:           32
        .value_kind:     by_value
    .group_segment_fixed_size: 0
    .kernarg_segment_align: 8
    .kernarg_segment_size: 32
    .language:       OpenCL C
    .language_version:
      - 2
      - 0
    .max_flat_workgroup_size: 64
    .name:           _ZN7rocprim17ROCPRIM_400000_NS6detail17trampoline_kernelINS0_14default_configENS1_20scan_config_selectorIN3c104HalfEEEZZNS1_9scan_implILNS1_25lookback_scan_determinismE0ELb0ELb0ES3_PKS6_PS6_S6_ZZZN2at6native31launch_logcumsumexp_cuda_kernelERKNSD_10TensorBaseESH_lENKUlvE_clEvENKUlvE3_clEvEUlS6_S6_E_S6_EEDaPvRmT3_T4_T5_mT6_P12ihipStream_tbENKUlT_T0_E_clISt17integral_constantIbLb0EESX_IbLb1EEEEDaST_SU_EUlST_E0_NS1_11comp_targetILNS1_3genE8ELNS1_11target_archE1030ELNS1_3gpuE2ELNS1_3repE0EEENS1_30default_config_static_selectorELNS0_4arch9wavefront6targetE1EEEvT1_
    .private_segment_fixed_size: 0
    .sgpr_count:     4
    .sgpr_spill_count: 0
    .symbol:         _ZN7rocprim17ROCPRIM_400000_NS6detail17trampoline_kernelINS0_14default_configENS1_20scan_config_selectorIN3c104HalfEEEZZNS1_9scan_implILNS1_25lookback_scan_determinismE0ELb0ELb0ES3_PKS6_PS6_S6_ZZZN2at6native31launch_logcumsumexp_cuda_kernelERKNSD_10TensorBaseESH_lENKUlvE_clEvENKUlvE3_clEvEUlS6_S6_E_S6_EEDaPvRmT3_T4_T5_mT6_P12ihipStream_tbENKUlT_T0_E_clISt17integral_constantIbLb0EESX_IbLb1EEEEDaST_SU_EUlST_E0_NS1_11comp_targetILNS1_3genE8ELNS1_11target_archE1030ELNS1_3gpuE2ELNS1_3repE0EEENS1_30default_config_static_selectorELNS0_4arch9wavefront6targetE1EEEvT1_.kd
    .uniform_work_group_size: 1
    .uses_dynamic_stack: false
    .vgpr_count:     0
    .vgpr_spill_count: 0
    .wavefront_size: 64
  - .args:
      - .address_space:  global
        .offset:         0
        .size:           8
        .value_kind:     global_buffer
      - .address_space:  global
        .offset:         8
        .size:           8
        .value_kind:     global_buffer
      - .offset:         16
        .size:           4
        .value_kind:     by_value
      - .offset:         20
        .size:           4
        .value_kind:     by_value
      - .offset:         24
        .size:           4
        .value_kind:     by_value
      - .offset:         28
        .size:           2
        .value_kind:     by_value
      - .offset:         30
        .size:           1
        .value_kind:     by_value
      - .offset:         32
        .size:           4
        .value_kind:     hidden_block_count_x
      - .offset:         36
        .size:           4
        .value_kind:     hidden_block_count_y
      - .offset:         40
        .size:           4
        .value_kind:     hidden_block_count_z
      - .offset:         44
        .size:           2
        .value_kind:     hidden_group_size_x
      - .offset:         46
        .size:           2
        .value_kind:     hidden_group_size_y
      - .offset:         48
        .size:           2
        .value_kind:     hidden_group_size_z
      - .offset:         50
        .size:           2
        .value_kind:     hidden_remainder_x
      - .offset:         52
        .size:           2
        .value_kind:     hidden_remainder_y
      - .offset:         54
        .size:           2
        .value_kind:     hidden_remainder_z
      - .offset:         72
        .size:           8
        .value_kind:     hidden_global_offset_x
      - .offset:         80
        .size:           8
        .value_kind:     hidden_global_offset_y
      - .offset:         88
        .size:           8
        .value_kind:     hidden_global_offset_z
      - .offset:         96
        .size:           2
        .value_kind:     hidden_grid_dims
      - .offset:         152
        .size:           4
        .value_kind:     hidden_dynamic_lds_size
    .group_segment_fixed_size: 0
    .kernarg_segment_align: 8
    .kernarg_segment_size: 288
    .language:       OpenCL C
    .language_version:
      - 2
      - 0
    .max_flat_workgroup_size: 1024
    .name:           _ZN2at6native32tensor_kernel_scan_innermost_dimIN3c104HalfEZZZNS0_31launch_logcumsumexp_cuda_kernelERKNS_10TensorBaseES6_lENKUlvE_clEvENKUlvE3_clEvEUlS3_S3_E_EEvPT_PKSA_jjjSA_T0_
    .private_segment_fixed_size: 0
    .sgpr_count:     48
    .sgpr_spill_count: 0
    .symbol:         _ZN2at6native32tensor_kernel_scan_innermost_dimIN3c104HalfEZZZNS0_31launch_logcumsumexp_cuda_kernelERKNS_10TensorBaseES6_lENKUlvE_clEvENKUlvE3_clEvEUlS3_S3_E_EEvPT_PKSA_jjjSA_T0_.kd
    .uniform_work_group_size: 1
    .uses_dynamic_stack: false
    .vgpr_count:     32
    .vgpr_spill_count: 0
    .wavefront_size: 64
  - .args:
      - .address_space:  global
        .offset:         0
        .size:           8
        .value_kind:     global_buffer
      - .address_space:  global
        .offset:         8
        .size:           8
        .value_kind:     global_buffer
      - .offset:         16
        .size:           4
        .value_kind:     by_value
      - .offset:         20
        .size:           4
        .value_kind:     by_value
      - .offset:         24
        .size:           4
        .value_kind:     by_value
      - .offset:         28
        .size:           2
        .value_kind:     by_value
      - .offset:         30
        .size:           1
        .value_kind:     by_value
      - .offset:         32
        .size:           4
        .value_kind:     hidden_block_count_x
      - .offset:         36
        .size:           4
        .value_kind:     hidden_block_count_y
      - .offset:         40
        .size:           4
        .value_kind:     hidden_block_count_z
      - .offset:         44
        .size:           2
        .value_kind:     hidden_group_size_x
      - .offset:         46
        .size:           2
        .value_kind:     hidden_group_size_y
      - .offset:         48
        .size:           2
        .value_kind:     hidden_group_size_z
      - .offset:         50
        .size:           2
        .value_kind:     hidden_remainder_x
      - .offset:         52
        .size:           2
        .value_kind:     hidden_remainder_y
      - .offset:         54
        .size:           2
        .value_kind:     hidden_remainder_z
      - .offset:         72
        .size:           8
        .value_kind:     hidden_global_offset_x
      - .offset:         80
        .size:           8
        .value_kind:     hidden_global_offset_y
      - .offset:         88
        .size:           8
        .value_kind:     hidden_global_offset_z
      - .offset:         96
        .size:           2
        .value_kind:     hidden_grid_dims
    .group_segment_fixed_size: 0
    .kernarg_segment_align: 8
    .kernarg_segment_size: 288
    .language:       OpenCL C
    .language_version:
      - 2
      - 0
    .max_flat_workgroup_size: 1024
    .name:           _ZN2at6native28tensor_kernel_scan_outer_dimIN3c104HalfEjZZZNS0_31launch_logcumsumexp_cuda_kernelERKNS_10TensorBaseES6_lENKUlvE_clEvENKUlvE3_clEvEUlS3_S3_E_EEvPT_PKSA_jjjSA_T1_
    .private_segment_fixed_size: 0
    .sgpr_count:     48
    .sgpr_spill_count: 0
    .symbol:         _ZN2at6native28tensor_kernel_scan_outer_dimIN3c104HalfEjZZZNS0_31launch_logcumsumexp_cuda_kernelERKNS_10TensorBaseES6_lENKUlvE_clEvENKUlvE3_clEvEUlS3_S3_E_EEvPT_PKSA_jjjSA_T1_.kd
    .uniform_work_group_size: 1
    .uses_dynamic_stack: false
    .vgpr_count:     20
    .vgpr_spill_count: 0
    .wavefront_size: 64
  - .args:
      - .address_space:  global
        .offset:         0
        .size:           8
        .value_kind:     global_buffer
      - .address_space:  global
        .offset:         8
        .size:           8
        .value_kind:     global_buffer
      - .offset:         16
        .size:           4
        .value_kind:     by_value
      - .offset:         20
        .size:           4
        .value_kind:     by_value
      - .offset:         24
        .size:           4
        .value_kind:     by_value
      - .offset:         28
        .size:           2
        .value_kind:     by_value
      - .offset:         30
        .size:           1
        .value_kind:     by_value
      - .offset:         32
        .size:           4
        .value_kind:     hidden_block_count_x
      - .offset:         36
        .size:           4
        .value_kind:     hidden_block_count_y
      - .offset:         40
        .size:           4
        .value_kind:     hidden_block_count_z
      - .offset:         44
        .size:           2
        .value_kind:     hidden_group_size_x
      - .offset:         46
        .size:           2
        .value_kind:     hidden_group_size_y
      - .offset:         48
        .size:           2
        .value_kind:     hidden_group_size_z
      - .offset:         50
        .size:           2
        .value_kind:     hidden_remainder_x
      - .offset:         52
        .size:           2
        .value_kind:     hidden_remainder_y
      - .offset:         54
        .size:           2
        .value_kind:     hidden_remainder_z
      - .offset:         72
        .size:           8
        .value_kind:     hidden_global_offset_x
      - .offset:         80
        .size:           8
        .value_kind:     hidden_global_offset_y
      - .offset:         88
        .size:           8
        .value_kind:     hidden_global_offset_z
      - .offset:         96
        .size:           2
        .value_kind:     hidden_grid_dims
    .group_segment_fixed_size: 0
    .kernarg_segment_align: 8
    .kernarg_segment_size: 288
    .language:       OpenCL C
    .language_version:
      - 2
      - 0
    .max_flat_workgroup_size: 1024
    .name:           _ZN2at6native28tensor_kernel_scan_outer_dimIN3c104HalfEmZZZNS0_31launch_logcumsumexp_cuda_kernelERKNS_10TensorBaseES6_lENKUlvE_clEvENKUlvE3_clEvEUlS3_S3_E_EEvPT_PKSA_jjjSA_T1_
    .private_segment_fixed_size: 0
    .sgpr_count:     46
    .sgpr_spill_count: 0
    .symbol:         _ZN2at6native28tensor_kernel_scan_outer_dimIN3c104HalfEmZZZNS0_31launch_logcumsumexp_cuda_kernelERKNS_10TensorBaseES6_lENKUlvE_clEvENKUlvE3_clEvEUlS3_S3_E_EEvPT_PKSA_jjjSA_T1_.kd
    .uniform_work_group_size: 1
    .uses_dynamic_stack: false
    .vgpr_count:     20
    .vgpr_spill_count: 0
    .wavefront_size: 64
  - .args:
      - .address_space:  global
        .offset:         0
        .size:           8
        .value_kind:     global_buffer
      - .offset:         8
        .size:           4
        .value_kind:     by_value
      - .offset:         12
        .size:           1
        .value_kind:     by_value
      - .offset:         16
        .size:           4
        .value_kind:     by_value
      - .address_space:  global
        .offset:         24
        .size:           8
        .value_kind:     global_buffer
      - .offset:         32
        .size:           4
        .value_kind:     hidden_block_count_x
      - .offset:         36
        .size:           4
        .value_kind:     hidden_block_count_y
      - .offset:         40
        .size:           4
        .value_kind:     hidden_block_count_z
      - .offset:         44
        .size:           2
        .value_kind:     hidden_group_size_x
      - .offset:         46
        .size:           2
        .value_kind:     hidden_group_size_y
      - .offset:         48
        .size:           2
        .value_kind:     hidden_group_size_z
      - .offset:         50
        .size:           2
        .value_kind:     hidden_remainder_x
      - .offset:         52
        .size:           2
        .value_kind:     hidden_remainder_y
      - .offset:         54
        .size:           2
        .value_kind:     hidden_remainder_z
      - .offset:         72
        .size:           8
        .value_kind:     hidden_global_offset_x
      - .offset:         80
        .size:           8
        .value_kind:     hidden_global_offset_y
      - .offset:         88
        .size:           8
        .value_kind:     hidden_global_offset_z
      - .offset:         96
        .size:           2
        .value_kind:     hidden_grid_dims
    .group_segment_fixed_size: 0
    .kernarg_segment_align: 8
    .kernarg_segment_size: 288
    .language:       OpenCL C
    .language_version:
      - 2
      - 0
    .max_flat_workgroup_size: 256
    .name:           _ZN7rocprim17ROCPRIM_400000_NS6detail31init_lookback_scan_state_kernelINS1_19lookback_scan_stateIN3c108BFloat16ELb0ELb1EEENS1_16block_id_wrapperIjLb0EEEEEvT_jT0_jPNS9_10value_typeE
    .private_segment_fixed_size: 0
    .sgpr_count:     13
    .sgpr_spill_count: 0
    .symbol:         _ZN7rocprim17ROCPRIM_400000_NS6detail31init_lookback_scan_state_kernelINS1_19lookback_scan_stateIN3c108BFloat16ELb0ELb1EEENS1_16block_id_wrapperIjLb0EEEEEvT_jT0_jPNS9_10value_typeE.kd
    .uniform_work_group_size: 1
    .uses_dynamic_stack: false
    .vgpr_count:     5
    .vgpr_spill_count: 0
    .wavefront_size: 64
  - .args:
      - .offset:         0
        .size:           96
        .value_kind:     by_value
    .group_segment_fixed_size: 0
    .kernarg_segment_align: 8
    .kernarg_segment_size: 96
    .language:       OpenCL C
    .language_version:
      - 2
      - 0
    .max_flat_workgroup_size: 128
    .name:           _ZN7rocprim17ROCPRIM_400000_NS6detail17trampoline_kernelINS0_14default_configENS1_20scan_config_selectorIN3c108BFloat16EEEZZNS1_9scan_implILNS1_25lookback_scan_determinismE0ELb0ELb0ES3_PKS6_PS6_S6_ZZZN2at6native31launch_logcumsumexp_cuda_kernelERKNSD_10TensorBaseESH_lENKUlvE_clEvENKUlvE4_clEvEUlS6_S6_E_S6_EEDaPvRmT3_T4_T5_mT6_P12ihipStream_tbENKUlT_T0_E_clISt17integral_constantIbLb0EESY_EEDaST_SU_EUlST_E_NS1_11comp_targetILNS1_3genE0ELNS1_11target_archE4294967295ELNS1_3gpuE0ELNS1_3repE0EEENS1_30default_config_static_selectorELNS0_4arch9wavefront6targetE1EEEvT1_
    .private_segment_fixed_size: 0
    .sgpr_count:     4
    .sgpr_spill_count: 0
    .symbol:         _ZN7rocprim17ROCPRIM_400000_NS6detail17trampoline_kernelINS0_14default_configENS1_20scan_config_selectorIN3c108BFloat16EEEZZNS1_9scan_implILNS1_25lookback_scan_determinismE0ELb0ELb0ES3_PKS6_PS6_S6_ZZZN2at6native31launch_logcumsumexp_cuda_kernelERKNSD_10TensorBaseESH_lENKUlvE_clEvENKUlvE4_clEvEUlS6_S6_E_S6_EEDaPvRmT3_T4_T5_mT6_P12ihipStream_tbENKUlT_T0_E_clISt17integral_constantIbLb0EESY_EEDaST_SU_EUlST_E_NS1_11comp_targetILNS1_3genE0ELNS1_11target_archE4294967295ELNS1_3gpuE0ELNS1_3repE0EEENS1_30default_config_static_selectorELNS0_4arch9wavefront6targetE1EEEvT1_.kd
    .uniform_work_group_size: 1
    .uses_dynamic_stack: false
    .vgpr_count:     0
    .vgpr_spill_count: 0
    .wavefront_size: 64
  - .args:
      - .offset:         0
        .size:           96
        .value_kind:     by_value
    .group_segment_fixed_size: 0
    .kernarg_segment_align: 8
    .kernarg_segment_size: 96
    .language:       OpenCL C
    .language_version:
      - 2
      - 0
    .max_flat_workgroup_size: 256
    .name:           _ZN7rocprim17ROCPRIM_400000_NS6detail17trampoline_kernelINS0_14default_configENS1_20scan_config_selectorIN3c108BFloat16EEEZZNS1_9scan_implILNS1_25lookback_scan_determinismE0ELb0ELb0ES3_PKS6_PS6_S6_ZZZN2at6native31launch_logcumsumexp_cuda_kernelERKNSD_10TensorBaseESH_lENKUlvE_clEvENKUlvE4_clEvEUlS6_S6_E_S6_EEDaPvRmT3_T4_T5_mT6_P12ihipStream_tbENKUlT_T0_E_clISt17integral_constantIbLb0EESY_EEDaST_SU_EUlST_E_NS1_11comp_targetILNS1_3genE5ELNS1_11target_archE942ELNS1_3gpuE9ELNS1_3repE0EEENS1_30default_config_static_selectorELNS0_4arch9wavefront6targetE1EEEvT1_
    .private_segment_fixed_size: 0
    .sgpr_count:     4
    .sgpr_spill_count: 0
    .symbol:         _ZN7rocprim17ROCPRIM_400000_NS6detail17trampoline_kernelINS0_14default_configENS1_20scan_config_selectorIN3c108BFloat16EEEZZNS1_9scan_implILNS1_25lookback_scan_determinismE0ELb0ELb0ES3_PKS6_PS6_S6_ZZZN2at6native31launch_logcumsumexp_cuda_kernelERKNSD_10TensorBaseESH_lENKUlvE_clEvENKUlvE4_clEvEUlS6_S6_E_S6_EEDaPvRmT3_T4_T5_mT6_P12ihipStream_tbENKUlT_T0_E_clISt17integral_constantIbLb0EESY_EEDaST_SU_EUlST_E_NS1_11comp_targetILNS1_3genE5ELNS1_11target_archE942ELNS1_3gpuE9ELNS1_3repE0EEENS1_30default_config_static_selectorELNS0_4arch9wavefront6targetE1EEEvT1_.kd
    .uniform_work_group_size: 1
    .uses_dynamic_stack: false
    .vgpr_count:     0
    .vgpr_spill_count: 0
    .wavefront_size: 64
  - .args:
      - .offset:         0
        .size:           96
        .value_kind:     by_value
    .group_segment_fixed_size: 0
    .kernarg_segment_align: 8
    .kernarg_segment_size: 96
    .language:       OpenCL C
    .language_version:
      - 2
      - 0
    .max_flat_workgroup_size: 64
    .name:           _ZN7rocprim17ROCPRIM_400000_NS6detail17trampoline_kernelINS0_14default_configENS1_20scan_config_selectorIN3c108BFloat16EEEZZNS1_9scan_implILNS1_25lookback_scan_determinismE0ELb0ELb0ES3_PKS6_PS6_S6_ZZZN2at6native31launch_logcumsumexp_cuda_kernelERKNSD_10TensorBaseESH_lENKUlvE_clEvENKUlvE4_clEvEUlS6_S6_E_S6_EEDaPvRmT3_T4_T5_mT6_P12ihipStream_tbENKUlT_T0_E_clISt17integral_constantIbLb0EESY_EEDaST_SU_EUlST_E_NS1_11comp_targetILNS1_3genE4ELNS1_11target_archE910ELNS1_3gpuE8ELNS1_3repE0EEENS1_30default_config_static_selectorELNS0_4arch9wavefront6targetE1EEEvT1_
    .private_segment_fixed_size: 0
    .sgpr_count:     4
    .sgpr_spill_count: 0
    .symbol:         _ZN7rocprim17ROCPRIM_400000_NS6detail17trampoline_kernelINS0_14default_configENS1_20scan_config_selectorIN3c108BFloat16EEEZZNS1_9scan_implILNS1_25lookback_scan_determinismE0ELb0ELb0ES3_PKS6_PS6_S6_ZZZN2at6native31launch_logcumsumexp_cuda_kernelERKNSD_10TensorBaseESH_lENKUlvE_clEvENKUlvE4_clEvEUlS6_S6_E_S6_EEDaPvRmT3_T4_T5_mT6_P12ihipStream_tbENKUlT_T0_E_clISt17integral_constantIbLb0EESY_EEDaST_SU_EUlST_E_NS1_11comp_targetILNS1_3genE4ELNS1_11target_archE910ELNS1_3gpuE8ELNS1_3repE0EEENS1_30default_config_static_selectorELNS0_4arch9wavefront6targetE1EEEvT1_.kd
    .uniform_work_group_size: 1
    .uses_dynamic_stack: false
    .vgpr_count:     0
    .vgpr_spill_count: 0
    .wavefront_size: 64
  - .args:
      - .offset:         0
        .size:           96
        .value_kind:     by_value
    .group_segment_fixed_size: 0
    .kernarg_segment_align: 8
    .kernarg_segment_size: 96
    .language:       OpenCL C
    .language_version:
      - 2
      - 0
    .max_flat_workgroup_size: 128
    .name:           _ZN7rocprim17ROCPRIM_400000_NS6detail17trampoline_kernelINS0_14default_configENS1_20scan_config_selectorIN3c108BFloat16EEEZZNS1_9scan_implILNS1_25lookback_scan_determinismE0ELb0ELb0ES3_PKS6_PS6_S6_ZZZN2at6native31launch_logcumsumexp_cuda_kernelERKNSD_10TensorBaseESH_lENKUlvE_clEvENKUlvE4_clEvEUlS6_S6_E_S6_EEDaPvRmT3_T4_T5_mT6_P12ihipStream_tbENKUlT_T0_E_clISt17integral_constantIbLb0EESY_EEDaST_SU_EUlST_E_NS1_11comp_targetILNS1_3genE3ELNS1_11target_archE908ELNS1_3gpuE7ELNS1_3repE0EEENS1_30default_config_static_selectorELNS0_4arch9wavefront6targetE1EEEvT1_
    .private_segment_fixed_size: 0
    .sgpr_count:     4
    .sgpr_spill_count: 0
    .symbol:         _ZN7rocprim17ROCPRIM_400000_NS6detail17trampoline_kernelINS0_14default_configENS1_20scan_config_selectorIN3c108BFloat16EEEZZNS1_9scan_implILNS1_25lookback_scan_determinismE0ELb0ELb0ES3_PKS6_PS6_S6_ZZZN2at6native31launch_logcumsumexp_cuda_kernelERKNSD_10TensorBaseESH_lENKUlvE_clEvENKUlvE4_clEvEUlS6_S6_E_S6_EEDaPvRmT3_T4_T5_mT6_P12ihipStream_tbENKUlT_T0_E_clISt17integral_constantIbLb0EESY_EEDaST_SU_EUlST_E_NS1_11comp_targetILNS1_3genE3ELNS1_11target_archE908ELNS1_3gpuE7ELNS1_3repE0EEENS1_30default_config_static_selectorELNS0_4arch9wavefront6targetE1EEEvT1_.kd
    .uniform_work_group_size: 1
    .uses_dynamic_stack: false
    .vgpr_count:     0
    .vgpr_spill_count: 0
    .wavefront_size: 64
  - .args:
      - .offset:         0
        .size:           96
        .value_kind:     by_value
    .group_segment_fixed_size: 12288
    .kernarg_segment_align: 8
    .kernarg_segment_size: 96
    .language:       OpenCL C
    .language_version:
      - 2
      - 0
    .max_flat_workgroup_size: 256
    .name:           _ZN7rocprim17ROCPRIM_400000_NS6detail17trampoline_kernelINS0_14default_configENS1_20scan_config_selectorIN3c108BFloat16EEEZZNS1_9scan_implILNS1_25lookback_scan_determinismE0ELb0ELb0ES3_PKS6_PS6_S6_ZZZN2at6native31launch_logcumsumexp_cuda_kernelERKNSD_10TensorBaseESH_lENKUlvE_clEvENKUlvE4_clEvEUlS6_S6_E_S6_EEDaPvRmT3_T4_T5_mT6_P12ihipStream_tbENKUlT_T0_E_clISt17integral_constantIbLb0EESY_EEDaST_SU_EUlST_E_NS1_11comp_targetILNS1_3genE2ELNS1_11target_archE906ELNS1_3gpuE6ELNS1_3repE0EEENS1_30default_config_static_selectorELNS0_4arch9wavefront6targetE1EEEvT1_
    .private_segment_fixed_size: 0
    .sgpr_count:     92
    .sgpr_spill_count: 0
    .symbol:         _ZN7rocprim17ROCPRIM_400000_NS6detail17trampoline_kernelINS0_14default_configENS1_20scan_config_selectorIN3c108BFloat16EEEZZNS1_9scan_implILNS1_25lookback_scan_determinismE0ELb0ELb0ES3_PKS6_PS6_S6_ZZZN2at6native31launch_logcumsumexp_cuda_kernelERKNSD_10TensorBaseESH_lENKUlvE_clEvENKUlvE4_clEvEUlS6_S6_E_S6_EEDaPvRmT3_T4_T5_mT6_P12ihipStream_tbENKUlT_T0_E_clISt17integral_constantIbLb0EESY_EEDaST_SU_EUlST_E_NS1_11comp_targetILNS1_3genE2ELNS1_11target_archE906ELNS1_3gpuE6ELNS1_3repE0EEENS1_30default_config_static_selectorELNS0_4arch9wavefront6targetE1EEEvT1_.kd
    .uniform_work_group_size: 1
    .uses_dynamic_stack: false
    .vgpr_count:     101
    .vgpr_spill_count: 0
    .wavefront_size: 64
  - .args:
      - .offset:         0
        .size:           96
        .value_kind:     by_value
    .group_segment_fixed_size: 0
    .kernarg_segment_align: 8
    .kernarg_segment_size: 96
    .language:       OpenCL C
    .language_version:
      - 2
      - 0
    .max_flat_workgroup_size: 256
    .name:           _ZN7rocprim17ROCPRIM_400000_NS6detail17trampoline_kernelINS0_14default_configENS1_20scan_config_selectorIN3c108BFloat16EEEZZNS1_9scan_implILNS1_25lookback_scan_determinismE0ELb0ELb0ES3_PKS6_PS6_S6_ZZZN2at6native31launch_logcumsumexp_cuda_kernelERKNSD_10TensorBaseESH_lENKUlvE_clEvENKUlvE4_clEvEUlS6_S6_E_S6_EEDaPvRmT3_T4_T5_mT6_P12ihipStream_tbENKUlT_T0_E_clISt17integral_constantIbLb0EESY_EEDaST_SU_EUlST_E_NS1_11comp_targetILNS1_3genE10ELNS1_11target_archE1201ELNS1_3gpuE5ELNS1_3repE0EEENS1_30default_config_static_selectorELNS0_4arch9wavefront6targetE1EEEvT1_
    .private_segment_fixed_size: 0
    .sgpr_count:     4
    .sgpr_spill_count: 0
    .symbol:         _ZN7rocprim17ROCPRIM_400000_NS6detail17trampoline_kernelINS0_14default_configENS1_20scan_config_selectorIN3c108BFloat16EEEZZNS1_9scan_implILNS1_25lookback_scan_determinismE0ELb0ELb0ES3_PKS6_PS6_S6_ZZZN2at6native31launch_logcumsumexp_cuda_kernelERKNSD_10TensorBaseESH_lENKUlvE_clEvENKUlvE4_clEvEUlS6_S6_E_S6_EEDaPvRmT3_T4_T5_mT6_P12ihipStream_tbENKUlT_T0_E_clISt17integral_constantIbLb0EESY_EEDaST_SU_EUlST_E_NS1_11comp_targetILNS1_3genE10ELNS1_11target_archE1201ELNS1_3gpuE5ELNS1_3repE0EEENS1_30default_config_static_selectorELNS0_4arch9wavefront6targetE1EEEvT1_.kd
    .uniform_work_group_size: 1
    .uses_dynamic_stack: false
    .vgpr_count:     0
    .vgpr_spill_count: 0
    .wavefront_size: 64
  - .args:
      - .offset:         0
        .size:           96
        .value_kind:     by_value
    .group_segment_fixed_size: 0
    .kernarg_segment_align: 8
    .kernarg_segment_size: 96
    .language:       OpenCL C
    .language_version:
      - 2
      - 0
    .max_flat_workgroup_size: 256
    .name:           _ZN7rocprim17ROCPRIM_400000_NS6detail17trampoline_kernelINS0_14default_configENS1_20scan_config_selectorIN3c108BFloat16EEEZZNS1_9scan_implILNS1_25lookback_scan_determinismE0ELb0ELb0ES3_PKS6_PS6_S6_ZZZN2at6native31launch_logcumsumexp_cuda_kernelERKNSD_10TensorBaseESH_lENKUlvE_clEvENKUlvE4_clEvEUlS6_S6_E_S6_EEDaPvRmT3_T4_T5_mT6_P12ihipStream_tbENKUlT_T0_E_clISt17integral_constantIbLb0EESY_EEDaST_SU_EUlST_E_NS1_11comp_targetILNS1_3genE10ELNS1_11target_archE1200ELNS1_3gpuE4ELNS1_3repE0EEENS1_30default_config_static_selectorELNS0_4arch9wavefront6targetE1EEEvT1_
    .private_segment_fixed_size: 0
    .sgpr_count:     4
    .sgpr_spill_count: 0
    .symbol:         _ZN7rocprim17ROCPRIM_400000_NS6detail17trampoline_kernelINS0_14default_configENS1_20scan_config_selectorIN3c108BFloat16EEEZZNS1_9scan_implILNS1_25lookback_scan_determinismE0ELb0ELb0ES3_PKS6_PS6_S6_ZZZN2at6native31launch_logcumsumexp_cuda_kernelERKNSD_10TensorBaseESH_lENKUlvE_clEvENKUlvE4_clEvEUlS6_S6_E_S6_EEDaPvRmT3_T4_T5_mT6_P12ihipStream_tbENKUlT_T0_E_clISt17integral_constantIbLb0EESY_EEDaST_SU_EUlST_E_NS1_11comp_targetILNS1_3genE10ELNS1_11target_archE1200ELNS1_3gpuE4ELNS1_3repE0EEENS1_30default_config_static_selectorELNS0_4arch9wavefront6targetE1EEEvT1_.kd
    .uniform_work_group_size: 1
    .uses_dynamic_stack: false
    .vgpr_count:     0
    .vgpr_spill_count: 0
    .wavefront_size: 64
  - .args:
      - .offset:         0
        .size:           96
        .value_kind:     by_value
    .group_segment_fixed_size: 0
    .kernarg_segment_align: 8
    .kernarg_segment_size: 96
    .language:       OpenCL C
    .language_version:
      - 2
      - 0
    .max_flat_workgroup_size: 64
    .name:           _ZN7rocprim17ROCPRIM_400000_NS6detail17trampoline_kernelINS0_14default_configENS1_20scan_config_selectorIN3c108BFloat16EEEZZNS1_9scan_implILNS1_25lookback_scan_determinismE0ELb0ELb0ES3_PKS6_PS6_S6_ZZZN2at6native31launch_logcumsumexp_cuda_kernelERKNSD_10TensorBaseESH_lENKUlvE_clEvENKUlvE4_clEvEUlS6_S6_E_S6_EEDaPvRmT3_T4_T5_mT6_P12ihipStream_tbENKUlT_T0_E_clISt17integral_constantIbLb0EESY_EEDaST_SU_EUlST_E_NS1_11comp_targetILNS1_3genE9ELNS1_11target_archE1100ELNS1_3gpuE3ELNS1_3repE0EEENS1_30default_config_static_selectorELNS0_4arch9wavefront6targetE1EEEvT1_
    .private_segment_fixed_size: 0
    .sgpr_count:     4
    .sgpr_spill_count: 0
    .symbol:         _ZN7rocprim17ROCPRIM_400000_NS6detail17trampoline_kernelINS0_14default_configENS1_20scan_config_selectorIN3c108BFloat16EEEZZNS1_9scan_implILNS1_25lookback_scan_determinismE0ELb0ELb0ES3_PKS6_PS6_S6_ZZZN2at6native31launch_logcumsumexp_cuda_kernelERKNSD_10TensorBaseESH_lENKUlvE_clEvENKUlvE4_clEvEUlS6_S6_E_S6_EEDaPvRmT3_T4_T5_mT6_P12ihipStream_tbENKUlT_T0_E_clISt17integral_constantIbLb0EESY_EEDaST_SU_EUlST_E_NS1_11comp_targetILNS1_3genE9ELNS1_11target_archE1100ELNS1_3gpuE3ELNS1_3repE0EEENS1_30default_config_static_selectorELNS0_4arch9wavefront6targetE1EEEvT1_.kd
    .uniform_work_group_size: 1
    .uses_dynamic_stack: false
    .vgpr_count:     0
    .vgpr_spill_count: 0
    .wavefront_size: 64
  - .args:
      - .offset:         0
        .size:           96
        .value_kind:     by_value
    .group_segment_fixed_size: 0
    .kernarg_segment_align: 8
    .kernarg_segment_size: 96
    .language:       OpenCL C
    .language_version:
      - 2
      - 0
    .max_flat_workgroup_size: 64
    .name:           _ZN7rocprim17ROCPRIM_400000_NS6detail17trampoline_kernelINS0_14default_configENS1_20scan_config_selectorIN3c108BFloat16EEEZZNS1_9scan_implILNS1_25lookback_scan_determinismE0ELb0ELb0ES3_PKS6_PS6_S6_ZZZN2at6native31launch_logcumsumexp_cuda_kernelERKNSD_10TensorBaseESH_lENKUlvE_clEvENKUlvE4_clEvEUlS6_S6_E_S6_EEDaPvRmT3_T4_T5_mT6_P12ihipStream_tbENKUlT_T0_E_clISt17integral_constantIbLb0EESY_EEDaST_SU_EUlST_E_NS1_11comp_targetILNS1_3genE8ELNS1_11target_archE1030ELNS1_3gpuE2ELNS1_3repE0EEENS1_30default_config_static_selectorELNS0_4arch9wavefront6targetE1EEEvT1_
    .private_segment_fixed_size: 0
    .sgpr_count:     4
    .sgpr_spill_count: 0
    .symbol:         _ZN7rocprim17ROCPRIM_400000_NS6detail17trampoline_kernelINS0_14default_configENS1_20scan_config_selectorIN3c108BFloat16EEEZZNS1_9scan_implILNS1_25lookback_scan_determinismE0ELb0ELb0ES3_PKS6_PS6_S6_ZZZN2at6native31launch_logcumsumexp_cuda_kernelERKNSD_10TensorBaseESH_lENKUlvE_clEvENKUlvE4_clEvEUlS6_S6_E_S6_EEDaPvRmT3_T4_T5_mT6_P12ihipStream_tbENKUlT_T0_E_clISt17integral_constantIbLb0EESY_EEDaST_SU_EUlST_E_NS1_11comp_targetILNS1_3genE8ELNS1_11target_archE1030ELNS1_3gpuE2ELNS1_3repE0EEENS1_30default_config_static_selectorELNS0_4arch9wavefront6targetE1EEEvT1_.kd
    .uniform_work_group_size: 1
    .uses_dynamic_stack: false
    .vgpr_count:     0
    .vgpr_spill_count: 0
    .wavefront_size: 64
  - .args:
      - .offset:         0
        .size:           40
        .value_kind:     by_value
    .group_segment_fixed_size: 0
    .kernarg_segment_align: 8
    .kernarg_segment_size: 40
    .language:       OpenCL C
    .language_version:
      - 2
      - 0
    .max_flat_workgroup_size: 128
    .name:           _ZN7rocprim17ROCPRIM_400000_NS6detail17trampoline_kernelINS0_14default_configENS1_25transform_config_selectorIN3c108BFloat16ELb1EEEZNS1_14transform_implILb1ES3_S7_PS6_S9_NS0_8identityIS6_EEEE10hipError_tT2_T3_mT4_P12ihipStream_tbEUlT_E_NS1_11comp_targetILNS1_3genE0ELNS1_11target_archE4294967295ELNS1_3gpuE0ELNS1_3repE0EEENS1_30default_config_static_selectorELNS0_4arch9wavefront6targetE1EEEvT1_
    .private_segment_fixed_size: 0
    .sgpr_count:     4
    .sgpr_spill_count: 0
    .symbol:         _ZN7rocprim17ROCPRIM_400000_NS6detail17trampoline_kernelINS0_14default_configENS1_25transform_config_selectorIN3c108BFloat16ELb1EEEZNS1_14transform_implILb1ES3_S7_PS6_S9_NS0_8identityIS6_EEEE10hipError_tT2_T3_mT4_P12ihipStream_tbEUlT_E_NS1_11comp_targetILNS1_3genE0ELNS1_11target_archE4294967295ELNS1_3gpuE0ELNS1_3repE0EEENS1_30default_config_static_selectorELNS0_4arch9wavefront6targetE1EEEvT1_.kd
    .uniform_work_group_size: 1
    .uses_dynamic_stack: false
    .vgpr_count:     0
    .vgpr_spill_count: 0
    .wavefront_size: 64
  - .args:
      - .offset:         0
        .size:           40
        .value_kind:     by_value
    .group_segment_fixed_size: 0
    .kernarg_segment_align: 8
    .kernarg_segment_size: 40
    .language:       OpenCL C
    .language_version:
      - 2
      - 0
    .max_flat_workgroup_size: 64
    .name:           _ZN7rocprim17ROCPRIM_400000_NS6detail17trampoline_kernelINS0_14default_configENS1_25transform_config_selectorIN3c108BFloat16ELb1EEEZNS1_14transform_implILb1ES3_S7_PS6_S9_NS0_8identityIS6_EEEE10hipError_tT2_T3_mT4_P12ihipStream_tbEUlT_E_NS1_11comp_targetILNS1_3genE10ELNS1_11target_archE1201ELNS1_3gpuE5ELNS1_3repE0EEENS1_30default_config_static_selectorELNS0_4arch9wavefront6targetE1EEEvT1_
    .private_segment_fixed_size: 0
    .sgpr_count:     4
    .sgpr_spill_count: 0
    .symbol:         _ZN7rocprim17ROCPRIM_400000_NS6detail17trampoline_kernelINS0_14default_configENS1_25transform_config_selectorIN3c108BFloat16ELb1EEEZNS1_14transform_implILb1ES3_S7_PS6_S9_NS0_8identityIS6_EEEE10hipError_tT2_T3_mT4_P12ihipStream_tbEUlT_E_NS1_11comp_targetILNS1_3genE10ELNS1_11target_archE1201ELNS1_3gpuE5ELNS1_3repE0EEENS1_30default_config_static_selectorELNS0_4arch9wavefront6targetE1EEEvT1_.kd
    .uniform_work_group_size: 1
    .uses_dynamic_stack: false
    .vgpr_count:     0
    .vgpr_spill_count: 0
    .wavefront_size: 64
  - .args:
      - .offset:         0
        .size:           40
        .value_kind:     by_value
    .group_segment_fixed_size: 0
    .kernarg_segment_align: 8
    .kernarg_segment_size: 40
    .language:       OpenCL C
    .language_version:
      - 2
      - 0
    .max_flat_workgroup_size: 256
    .name:           _ZN7rocprim17ROCPRIM_400000_NS6detail17trampoline_kernelINS0_14default_configENS1_25transform_config_selectorIN3c108BFloat16ELb1EEEZNS1_14transform_implILb1ES3_S7_PS6_S9_NS0_8identityIS6_EEEE10hipError_tT2_T3_mT4_P12ihipStream_tbEUlT_E_NS1_11comp_targetILNS1_3genE5ELNS1_11target_archE942ELNS1_3gpuE9ELNS1_3repE0EEENS1_30default_config_static_selectorELNS0_4arch9wavefront6targetE1EEEvT1_
    .private_segment_fixed_size: 0
    .sgpr_count:     4
    .sgpr_spill_count: 0
    .symbol:         _ZN7rocprim17ROCPRIM_400000_NS6detail17trampoline_kernelINS0_14default_configENS1_25transform_config_selectorIN3c108BFloat16ELb1EEEZNS1_14transform_implILb1ES3_S7_PS6_S9_NS0_8identityIS6_EEEE10hipError_tT2_T3_mT4_P12ihipStream_tbEUlT_E_NS1_11comp_targetILNS1_3genE5ELNS1_11target_archE942ELNS1_3gpuE9ELNS1_3repE0EEENS1_30default_config_static_selectorELNS0_4arch9wavefront6targetE1EEEvT1_.kd
    .uniform_work_group_size: 1
    .uses_dynamic_stack: false
    .vgpr_count:     0
    .vgpr_spill_count: 0
    .wavefront_size: 64
  - .args:
      - .offset:         0
        .size:           40
        .value_kind:     by_value
    .group_segment_fixed_size: 0
    .kernarg_segment_align: 8
    .kernarg_segment_size: 40
    .language:       OpenCL C
    .language_version:
      - 2
      - 0
    .max_flat_workgroup_size: 1024
    .name:           _ZN7rocprim17ROCPRIM_400000_NS6detail17trampoline_kernelINS0_14default_configENS1_25transform_config_selectorIN3c108BFloat16ELb1EEEZNS1_14transform_implILb1ES3_S7_PS6_S9_NS0_8identityIS6_EEEE10hipError_tT2_T3_mT4_P12ihipStream_tbEUlT_E_NS1_11comp_targetILNS1_3genE4ELNS1_11target_archE910ELNS1_3gpuE8ELNS1_3repE0EEENS1_30default_config_static_selectorELNS0_4arch9wavefront6targetE1EEEvT1_
    .private_segment_fixed_size: 0
    .sgpr_count:     4
    .sgpr_spill_count: 0
    .symbol:         _ZN7rocprim17ROCPRIM_400000_NS6detail17trampoline_kernelINS0_14default_configENS1_25transform_config_selectorIN3c108BFloat16ELb1EEEZNS1_14transform_implILb1ES3_S7_PS6_S9_NS0_8identityIS6_EEEE10hipError_tT2_T3_mT4_P12ihipStream_tbEUlT_E_NS1_11comp_targetILNS1_3genE4ELNS1_11target_archE910ELNS1_3gpuE8ELNS1_3repE0EEENS1_30default_config_static_selectorELNS0_4arch9wavefront6targetE1EEEvT1_.kd
    .uniform_work_group_size: 1
    .uses_dynamic_stack: false
    .vgpr_count:     0
    .vgpr_spill_count: 0
    .wavefront_size: 64
  - .args:
      - .offset:         0
        .size:           40
        .value_kind:     by_value
    .group_segment_fixed_size: 0
    .kernarg_segment_align: 8
    .kernarg_segment_size: 40
    .language:       OpenCL C
    .language_version:
      - 2
      - 0
    .max_flat_workgroup_size: 128
    .name:           _ZN7rocprim17ROCPRIM_400000_NS6detail17trampoline_kernelINS0_14default_configENS1_25transform_config_selectorIN3c108BFloat16ELb1EEEZNS1_14transform_implILb1ES3_S7_PS6_S9_NS0_8identityIS6_EEEE10hipError_tT2_T3_mT4_P12ihipStream_tbEUlT_E_NS1_11comp_targetILNS1_3genE3ELNS1_11target_archE908ELNS1_3gpuE7ELNS1_3repE0EEENS1_30default_config_static_selectorELNS0_4arch9wavefront6targetE1EEEvT1_
    .private_segment_fixed_size: 0
    .sgpr_count:     4
    .sgpr_spill_count: 0
    .symbol:         _ZN7rocprim17ROCPRIM_400000_NS6detail17trampoline_kernelINS0_14default_configENS1_25transform_config_selectorIN3c108BFloat16ELb1EEEZNS1_14transform_implILb1ES3_S7_PS6_S9_NS0_8identityIS6_EEEE10hipError_tT2_T3_mT4_P12ihipStream_tbEUlT_E_NS1_11comp_targetILNS1_3genE3ELNS1_11target_archE908ELNS1_3gpuE7ELNS1_3repE0EEENS1_30default_config_static_selectorELNS0_4arch9wavefront6targetE1EEEvT1_.kd
    .uniform_work_group_size: 1
    .uses_dynamic_stack: false
    .vgpr_count:     0
    .vgpr_spill_count: 0
    .wavefront_size: 64
  - .args:
      - .offset:         0
        .size:           40
        .value_kind:     by_value
      - .offset:         40
        .size:           4
        .value_kind:     hidden_block_count_x
      - .offset:         44
        .size:           4
        .value_kind:     hidden_block_count_y
      - .offset:         48
        .size:           4
        .value_kind:     hidden_block_count_z
      - .offset:         52
        .size:           2
        .value_kind:     hidden_group_size_x
      - .offset:         54
        .size:           2
        .value_kind:     hidden_group_size_y
      - .offset:         56
        .size:           2
        .value_kind:     hidden_group_size_z
      - .offset:         58
        .size:           2
        .value_kind:     hidden_remainder_x
      - .offset:         60
        .size:           2
        .value_kind:     hidden_remainder_y
      - .offset:         62
        .size:           2
        .value_kind:     hidden_remainder_z
      - .offset:         80
        .size:           8
        .value_kind:     hidden_global_offset_x
      - .offset:         88
        .size:           8
        .value_kind:     hidden_global_offset_y
      - .offset:         96
        .size:           8
        .value_kind:     hidden_global_offset_z
      - .offset:         104
        .size:           2
        .value_kind:     hidden_grid_dims
    .group_segment_fixed_size: 0
    .kernarg_segment_align: 8
    .kernarg_segment_size: 296
    .language:       OpenCL C
    .language_version:
      - 2
      - 0
    .max_flat_workgroup_size: 1024
    .name:           _ZN7rocprim17ROCPRIM_400000_NS6detail17trampoline_kernelINS0_14default_configENS1_25transform_config_selectorIN3c108BFloat16ELb1EEEZNS1_14transform_implILb1ES3_S7_PS6_S9_NS0_8identityIS6_EEEE10hipError_tT2_T3_mT4_P12ihipStream_tbEUlT_E_NS1_11comp_targetILNS1_3genE2ELNS1_11target_archE906ELNS1_3gpuE6ELNS1_3repE0EEENS1_30default_config_static_selectorELNS0_4arch9wavefront6targetE1EEEvT1_
    .private_segment_fixed_size: 0
    .sgpr_count:     26
    .sgpr_spill_count: 0
    .symbol:         _ZN7rocprim17ROCPRIM_400000_NS6detail17trampoline_kernelINS0_14default_configENS1_25transform_config_selectorIN3c108BFloat16ELb1EEEZNS1_14transform_implILb1ES3_S7_PS6_S9_NS0_8identityIS6_EEEE10hipError_tT2_T3_mT4_P12ihipStream_tbEUlT_E_NS1_11comp_targetILNS1_3genE2ELNS1_11target_archE906ELNS1_3gpuE6ELNS1_3repE0EEENS1_30default_config_static_selectorELNS0_4arch9wavefront6targetE1EEEvT1_.kd
    .uniform_work_group_size: 1
    .uses_dynamic_stack: false
    .vgpr_count:     11
    .vgpr_spill_count: 0
    .wavefront_size: 64
  - .args:
      - .offset:         0
        .size:           40
        .value_kind:     by_value
    .group_segment_fixed_size: 0
    .kernarg_segment_align: 8
    .kernarg_segment_size: 40
    .language:       OpenCL C
    .language_version:
      - 2
      - 0
    .max_flat_workgroup_size: 1024
    .name:           _ZN7rocprim17ROCPRIM_400000_NS6detail17trampoline_kernelINS0_14default_configENS1_25transform_config_selectorIN3c108BFloat16ELb1EEEZNS1_14transform_implILb1ES3_S7_PS6_S9_NS0_8identityIS6_EEEE10hipError_tT2_T3_mT4_P12ihipStream_tbEUlT_E_NS1_11comp_targetILNS1_3genE9ELNS1_11target_archE1100ELNS1_3gpuE3ELNS1_3repE0EEENS1_30default_config_static_selectorELNS0_4arch9wavefront6targetE1EEEvT1_
    .private_segment_fixed_size: 0
    .sgpr_count:     4
    .sgpr_spill_count: 0
    .symbol:         _ZN7rocprim17ROCPRIM_400000_NS6detail17trampoline_kernelINS0_14default_configENS1_25transform_config_selectorIN3c108BFloat16ELb1EEEZNS1_14transform_implILb1ES3_S7_PS6_S9_NS0_8identityIS6_EEEE10hipError_tT2_T3_mT4_P12ihipStream_tbEUlT_E_NS1_11comp_targetILNS1_3genE9ELNS1_11target_archE1100ELNS1_3gpuE3ELNS1_3repE0EEENS1_30default_config_static_selectorELNS0_4arch9wavefront6targetE1EEEvT1_.kd
    .uniform_work_group_size: 1
    .uses_dynamic_stack: false
    .vgpr_count:     0
    .vgpr_spill_count: 0
    .wavefront_size: 64
  - .args:
      - .offset:         0
        .size:           40
        .value_kind:     by_value
    .group_segment_fixed_size: 0
    .kernarg_segment_align: 8
    .kernarg_segment_size: 40
    .language:       OpenCL C
    .language_version:
      - 2
      - 0
    .max_flat_workgroup_size: 1024
    .name:           _ZN7rocprim17ROCPRIM_400000_NS6detail17trampoline_kernelINS0_14default_configENS1_25transform_config_selectorIN3c108BFloat16ELb1EEEZNS1_14transform_implILb1ES3_S7_PS6_S9_NS0_8identityIS6_EEEE10hipError_tT2_T3_mT4_P12ihipStream_tbEUlT_E_NS1_11comp_targetILNS1_3genE8ELNS1_11target_archE1030ELNS1_3gpuE2ELNS1_3repE0EEENS1_30default_config_static_selectorELNS0_4arch9wavefront6targetE1EEEvT1_
    .private_segment_fixed_size: 0
    .sgpr_count:     4
    .sgpr_spill_count: 0
    .symbol:         _ZN7rocprim17ROCPRIM_400000_NS6detail17trampoline_kernelINS0_14default_configENS1_25transform_config_selectorIN3c108BFloat16ELb1EEEZNS1_14transform_implILb1ES3_S7_PS6_S9_NS0_8identityIS6_EEEE10hipError_tT2_T3_mT4_P12ihipStream_tbEUlT_E_NS1_11comp_targetILNS1_3genE8ELNS1_11target_archE1030ELNS1_3gpuE2ELNS1_3repE0EEENS1_30default_config_static_selectorELNS0_4arch9wavefront6targetE1EEEvT1_.kd
    .uniform_work_group_size: 1
    .uses_dynamic_stack: false
    .vgpr_count:     0
    .vgpr_spill_count: 0
    .wavefront_size: 64
  - .args:
      - .offset:         0
        .size:           32
        .value_kind:     by_value
    .group_segment_fixed_size: 0
    .kernarg_segment_align: 8
    .kernarg_segment_size: 32
    .language:       OpenCL C
    .language_version:
      - 2
      - 0
    .max_flat_workgroup_size: 128
    .name:           _ZN7rocprim17ROCPRIM_400000_NS6detail17trampoline_kernelINS0_14default_configENS1_20scan_config_selectorIN3c108BFloat16EEEZZNS1_9scan_implILNS1_25lookback_scan_determinismE0ELb0ELb0ES3_PKS6_PS6_S6_ZZZN2at6native31launch_logcumsumexp_cuda_kernelERKNSD_10TensorBaseESH_lENKUlvE_clEvENKUlvE4_clEvEUlS6_S6_E_S6_EEDaPvRmT3_T4_T5_mT6_P12ihipStream_tbENKUlT_T0_E_clISt17integral_constantIbLb0EESY_EEDaST_SU_EUlST_E0_NS1_11comp_targetILNS1_3genE0ELNS1_11target_archE4294967295ELNS1_3gpuE0ELNS1_3repE0EEENS1_30default_config_static_selectorELNS0_4arch9wavefront6targetE1EEEvT1_
    .private_segment_fixed_size: 0
    .sgpr_count:     4
    .sgpr_spill_count: 0
    .symbol:         _ZN7rocprim17ROCPRIM_400000_NS6detail17trampoline_kernelINS0_14default_configENS1_20scan_config_selectorIN3c108BFloat16EEEZZNS1_9scan_implILNS1_25lookback_scan_determinismE0ELb0ELb0ES3_PKS6_PS6_S6_ZZZN2at6native31launch_logcumsumexp_cuda_kernelERKNSD_10TensorBaseESH_lENKUlvE_clEvENKUlvE4_clEvEUlS6_S6_E_S6_EEDaPvRmT3_T4_T5_mT6_P12ihipStream_tbENKUlT_T0_E_clISt17integral_constantIbLb0EESY_EEDaST_SU_EUlST_E0_NS1_11comp_targetILNS1_3genE0ELNS1_11target_archE4294967295ELNS1_3gpuE0ELNS1_3repE0EEENS1_30default_config_static_selectorELNS0_4arch9wavefront6targetE1EEEvT1_.kd
    .uniform_work_group_size: 1
    .uses_dynamic_stack: false
    .vgpr_count:     0
    .vgpr_spill_count: 0
    .wavefront_size: 64
  - .args:
      - .offset:         0
        .size:           32
        .value_kind:     by_value
    .group_segment_fixed_size: 0
    .kernarg_segment_align: 8
    .kernarg_segment_size: 32
    .language:       OpenCL C
    .language_version:
      - 2
      - 0
    .max_flat_workgroup_size: 256
    .name:           _ZN7rocprim17ROCPRIM_400000_NS6detail17trampoline_kernelINS0_14default_configENS1_20scan_config_selectorIN3c108BFloat16EEEZZNS1_9scan_implILNS1_25lookback_scan_determinismE0ELb0ELb0ES3_PKS6_PS6_S6_ZZZN2at6native31launch_logcumsumexp_cuda_kernelERKNSD_10TensorBaseESH_lENKUlvE_clEvENKUlvE4_clEvEUlS6_S6_E_S6_EEDaPvRmT3_T4_T5_mT6_P12ihipStream_tbENKUlT_T0_E_clISt17integral_constantIbLb0EESY_EEDaST_SU_EUlST_E0_NS1_11comp_targetILNS1_3genE5ELNS1_11target_archE942ELNS1_3gpuE9ELNS1_3repE0EEENS1_30default_config_static_selectorELNS0_4arch9wavefront6targetE1EEEvT1_
    .private_segment_fixed_size: 0
    .sgpr_count:     4
    .sgpr_spill_count: 0
    .symbol:         _ZN7rocprim17ROCPRIM_400000_NS6detail17trampoline_kernelINS0_14default_configENS1_20scan_config_selectorIN3c108BFloat16EEEZZNS1_9scan_implILNS1_25lookback_scan_determinismE0ELb0ELb0ES3_PKS6_PS6_S6_ZZZN2at6native31launch_logcumsumexp_cuda_kernelERKNSD_10TensorBaseESH_lENKUlvE_clEvENKUlvE4_clEvEUlS6_S6_E_S6_EEDaPvRmT3_T4_T5_mT6_P12ihipStream_tbENKUlT_T0_E_clISt17integral_constantIbLb0EESY_EEDaST_SU_EUlST_E0_NS1_11comp_targetILNS1_3genE5ELNS1_11target_archE942ELNS1_3gpuE9ELNS1_3repE0EEENS1_30default_config_static_selectorELNS0_4arch9wavefront6targetE1EEEvT1_.kd
    .uniform_work_group_size: 1
    .uses_dynamic_stack: false
    .vgpr_count:     0
    .vgpr_spill_count: 0
    .wavefront_size: 64
  - .args:
      - .offset:         0
        .size:           32
        .value_kind:     by_value
    .group_segment_fixed_size: 0
    .kernarg_segment_align: 8
    .kernarg_segment_size: 32
    .language:       OpenCL C
    .language_version:
      - 2
      - 0
    .max_flat_workgroup_size: 64
    .name:           _ZN7rocprim17ROCPRIM_400000_NS6detail17trampoline_kernelINS0_14default_configENS1_20scan_config_selectorIN3c108BFloat16EEEZZNS1_9scan_implILNS1_25lookback_scan_determinismE0ELb0ELb0ES3_PKS6_PS6_S6_ZZZN2at6native31launch_logcumsumexp_cuda_kernelERKNSD_10TensorBaseESH_lENKUlvE_clEvENKUlvE4_clEvEUlS6_S6_E_S6_EEDaPvRmT3_T4_T5_mT6_P12ihipStream_tbENKUlT_T0_E_clISt17integral_constantIbLb0EESY_EEDaST_SU_EUlST_E0_NS1_11comp_targetILNS1_3genE4ELNS1_11target_archE910ELNS1_3gpuE8ELNS1_3repE0EEENS1_30default_config_static_selectorELNS0_4arch9wavefront6targetE1EEEvT1_
    .private_segment_fixed_size: 0
    .sgpr_count:     4
    .sgpr_spill_count: 0
    .symbol:         _ZN7rocprim17ROCPRIM_400000_NS6detail17trampoline_kernelINS0_14default_configENS1_20scan_config_selectorIN3c108BFloat16EEEZZNS1_9scan_implILNS1_25lookback_scan_determinismE0ELb0ELb0ES3_PKS6_PS6_S6_ZZZN2at6native31launch_logcumsumexp_cuda_kernelERKNSD_10TensorBaseESH_lENKUlvE_clEvENKUlvE4_clEvEUlS6_S6_E_S6_EEDaPvRmT3_T4_T5_mT6_P12ihipStream_tbENKUlT_T0_E_clISt17integral_constantIbLb0EESY_EEDaST_SU_EUlST_E0_NS1_11comp_targetILNS1_3genE4ELNS1_11target_archE910ELNS1_3gpuE8ELNS1_3repE0EEENS1_30default_config_static_selectorELNS0_4arch9wavefront6targetE1EEEvT1_.kd
    .uniform_work_group_size: 1
    .uses_dynamic_stack: false
    .vgpr_count:     0
    .vgpr_spill_count: 0
    .wavefront_size: 64
  - .args:
      - .offset:         0
        .size:           32
        .value_kind:     by_value
    .group_segment_fixed_size: 0
    .kernarg_segment_align: 8
    .kernarg_segment_size: 32
    .language:       OpenCL C
    .language_version:
      - 2
      - 0
    .max_flat_workgroup_size: 128
    .name:           _ZN7rocprim17ROCPRIM_400000_NS6detail17trampoline_kernelINS0_14default_configENS1_20scan_config_selectorIN3c108BFloat16EEEZZNS1_9scan_implILNS1_25lookback_scan_determinismE0ELb0ELb0ES3_PKS6_PS6_S6_ZZZN2at6native31launch_logcumsumexp_cuda_kernelERKNSD_10TensorBaseESH_lENKUlvE_clEvENKUlvE4_clEvEUlS6_S6_E_S6_EEDaPvRmT3_T4_T5_mT6_P12ihipStream_tbENKUlT_T0_E_clISt17integral_constantIbLb0EESY_EEDaST_SU_EUlST_E0_NS1_11comp_targetILNS1_3genE3ELNS1_11target_archE908ELNS1_3gpuE7ELNS1_3repE0EEENS1_30default_config_static_selectorELNS0_4arch9wavefront6targetE1EEEvT1_
    .private_segment_fixed_size: 0
    .sgpr_count:     4
    .sgpr_spill_count: 0
    .symbol:         _ZN7rocprim17ROCPRIM_400000_NS6detail17trampoline_kernelINS0_14default_configENS1_20scan_config_selectorIN3c108BFloat16EEEZZNS1_9scan_implILNS1_25lookback_scan_determinismE0ELb0ELb0ES3_PKS6_PS6_S6_ZZZN2at6native31launch_logcumsumexp_cuda_kernelERKNSD_10TensorBaseESH_lENKUlvE_clEvENKUlvE4_clEvEUlS6_S6_E_S6_EEDaPvRmT3_T4_T5_mT6_P12ihipStream_tbENKUlT_T0_E_clISt17integral_constantIbLb0EESY_EEDaST_SU_EUlST_E0_NS1_11comp_targetILNS1_3genE3ELNS1_11target_archE908ELNS1_3gpuE7ELNS1_3repE0EEENS1_30default_config_static_selectorELNS0_4arch9wavefront6targetE1EEEvT1_.kd
    .uniform_work_group_size: 1
    .uses_dynamic_stack: false
    .vgpr_count:     0
    .vgpr_spill_count: 0
    .wavefront_size: 64
  - .args:
      - .offset:         0
        .size:           32
        .value_kind:     by_value
    .group_segment_fixed_size: 12288
    .kernarg_segment_align: 8
    .kernarg_segment_size: 32
    .language:       OpenCL C
    .language_version:
      - 2
      - 0
    .max_flat_workgroup_size: 256
    .name:           _ZN7rocprim17ROCPRIM_400000_NS6detail17trampoline_kernelINS0_14default_configENS1_20scan_config_selectorIN3c108BFloat16EEEZZNS1_9scan_implILNS1_25lookback_scan_determinismE0ELb0ELb0ES3_PKS6_PS6_S6_ZZZN2at6native31launch_logcumsumexp_cuda_kernelERKNSD_10TensorBaseESH_lENKUlvE_clEvENKUlvE4_clEvEUlS6_S6_E_S6_EEDaPvRmT3_T4_T5_mT6_P12ihipStream_tbENKUlT_T0_E_clISt17integral_constantIbLb0EESY_EEDaST_SU_EUlST_E0_NS1_11comp_targetILNS1_3genE2ELNS1_11target_archE906ELNS1_3gpuE6ELNS1_3repE0EEENS1_30default_config_static_selectorELNS0_4arch9wavefront6targetE1EEEvT1_
    .private_segment_fixed_size: 0
    .sgpr_count:     100
    .sgpr_spill_count: 14
    .symbol:         _ZN7rocprim17ROCPRIM_400000_NS6detail17trampoline_kernelINS0_14default_configENS1_20scan_config_selectorIN3c108BFloat16EEEZZNS1_9scan_implILNS1_25lookback_scan_determinismE0ELb0ELb0ES3_PKS6_PS6_S6_ZZZN2at6native31launch_logcumsumexp_cuda_kernelERKNSD_10TensorBaseESH_lENKUlvE_clEvENKUlvE4_clEvEUlS6_S6_E_S6_EEDaPvRmT3_T4_T5_mT6_P12ihipStream_tbENKUlT_T0_E_clISt17integral_constantIbLb0EESY_EEDaST_SU_EUlST_E0_NS1_11comp_targetILNS1_3genE2ELNS1_11target_archE906ELNS1_3gpuE6ELNS1_3repE0EEENS1_30default_config_static_selectorELNS0_4arch9wavefront6targetE1EEEvT1_.kd
    .uniform_work_group_size: 1
    .uses_dynamic_stack: false
    .vgpr_count:     74
    .vgpr_spill_count: 0
    .wavefront_size: 64
  - .args:
      - .offset:         0
        .size:           32
        .value_kind:     by_value
    .group_segment_fixed_size: 0
    .kernarg_segment_align: 8
    .kernarg_segment_size: 32
    .language:       OpenCL C
    .language_version:
      - 2
      - 0
    .max_flat_workgroup_size: 256
    .name:           _ZN7rocprim17ROCPRIM_400000_NS6detail17trampoline_kernelINS0_14default_configENS1_20scan_config_selectorIN3c108BFloat16EEEZZNS1_9scan_implILNS1_25lookback_scan_determinismE0ELb0ELb0ES3_PKS6_PS6_S6_ZZZN2at6native31launch_logcumsumexp_cuda_kernelERKNSD_10TensorBaseESH_lENKUlvE_clEvENKUlvE4_clEvEUlS6_S6_E_S6_EEDaPvRmT3_T4_T5_mT6_P12ihipStream_tbENKUlT_T0_E_clISt17integral_constantIbLb0EESY_EEDaST_SU_EUlST_E0_NS1_11comp_targetILNS1_3genE10ELNS1_11target_archE1201ELNS1_3gpuE5ELNS1_3repE0EEENS1_30default_config_static_selectorELNS0_4arch9wavefront6targetE1EEEvT1_
    .private_segment_fixed_size: 0
    .sgpr_count:     4
    .sgpr_spill_count: 0
    .symbol:         _ZN7rocprim17ROCPRIM_400000_NS6detail17trampoline_kernelINS0_14default_configENS1_20scan_config_selectorIN3c108BFloat16EEEZZNS1_9scan_implILNS1_25lookback_scan_determinismE0ELb0ELb0ES3_PKS6_PS6_S6_ZZZN2at6native31launch_logcumsumexp_cuda_kernelERKNSD_10TensorBaseESH_lENKUlvE_clEvENKUlvE4_clEvEUlS6_S6_E_S6_EEDaPvRmT3_T4_T5_mT6_P12ihipStream_tbENKUlT_T0_E_clISt17integral_constantIbLb0EESY_EEDaST_SU_EUlST_E0_NS1_11comp_targetILNS1_3genE10ELNS1_11target_archE1201ELNS1_3gpuE5ELNS1_3repE0EEENS1_30default_config_static_selectorELNS0_4arch9wavefront6targetE1EEEvT1_.kd
    .uniform_work_group_size: 1
    .uses_dynamic_stack: false
    .vgpr_count:     0
    .vgpr_spill_count: 0
    .wavefront_size: 64
  - .args:
      - .offset:         0
        .size:           32
        .value_kind:     by_value
    .group_segment_fixed_size: 0
    .kernarg_segment_align: 8
    .kernarg_segment_size: 32
    .language:       OpenCL C
    .language_version:
      - 2
      - 0
    .max_flat_workgroup_size: 256
    .name:           _ZN7rocprim17ROCPRIM_400000_NS6detail17trampoline_kernelINS0_14default_configENS1_20scan_config_selectorIN3c108BFloat16EEEZZNS1_9scan_implILNS1_25lookback_scan_determinismE0ELb0ELb0ES3_PKS6_PS6_S6_ZZZN2at6native31launch_logcumsumexp_cuda_kernelERKNSD_10TensorBaseESH_lENKUlvE_clEvENKUlvE4_clEvEUlS6_S6_E_S6_EEDaPvRmT3_T4_T5_mT6_P12ihipStream_tbENKUlT_T0_E_clISt17integral_constantIbLb0EESY_EEDaST_SU_EUlST_E0_NS1_11comp_targetILNS1_3genE10ELNS1_11target_archE1200ELNS1_3gpuE4ELNS1_3repE0EEENS1_30default_config_static_selectorELNS0_4arch9wavefront6targetE1EEEvT1_
    .private_segment_fixed_size: 0
    .sgpr_count:     4
    .sgpr_spill_count: 0
    .symbol:         _ZN7rocprim17ROCPRIM_400000_NS6detail17trampoline_kernelINS0_14default_configENS1_20scan_config_selectorIN3c108BFloat16EEEZZNS1_9scan_implILNS1_25lookback_scan_determinismE0ELb0ELb0ES3_PKS6_PS6_S6_ZZZN2at6native31launch_logcumsumexp_cuda_kernelERKNSD_10TensorBaseESH_lENKUlvE_clEvENKUlvE4_clEvEUlS6_S6_E_S6_EEDaPvRmT3_T4_T5_mT6_P12ihipStream_tbENKUlT_T0_E_clISt17integral_constantIbLb0EESY_EEDaST_SU_EUlST_E0_NS1_11comp_targetILNS1_3genE10ELNS1_11target_archE1200ELNS1_3gpuE4ELNS1_3repE0EEENS1_30default_config_static_selectorELNS0_4arch9wavefront6targetE1EEEvT1_.kd
    .uniform_work_group_size: 1
    .uses_dynamic_stack: false
    .vgpr_count:     0
    .vgpr_spill_count: 0
    .wavefront_size: 64
  - .args:
      - .offset:         0
        .size:           32
        .value_kind:     by_value
    .group_segment_fixed_size: 0
    .kernarg_segment_align: 8
    .kernarg_segment_size: 32
    .language:       OpenCL C
    .language_version:
      - 2
      - 0
    .max_flat_workgroup_size: 64
    .name:           _ZN7rocprim17ROCPRIM_400000_NS6detail17trampoline_kernelINS0_14default_configENS1_20scan_config_selectorIN3c108BFloat16EEEZZNS1_9scan_implILNS1_25lookback_scan_determinismE0ELb0ELb0ES3_PKS6_PS6_S6_ZZZN2at6native31launch_logcumsumexp_cuda_kernelERKNSD_10TensorBaseESH_lENKUlvE_clEvENKUlvE4_clEvEUlS6_S6_E_S6_EEDaPvRmT3_T4_T5_mT6_P12ihipStream_tbENKUlT_T0_E_clISt17integral_constantIbLb0EESY_EEDaST_SU_EUlST_E0_NS1_11comp_targetILNS1_3genE9ELNS1_11target_archE1100ELNS1_3gpuE3ELNS1_3repE0EEENS1_30default_config_static_selectorELNS0_4arch9wavefront6targetE1EEEvT1_
    .private_segment_fixed_size: 0
    .sgpr_count:     4
    .sgpr_spill_count: 0
    .symbol:         _ZN7rocprim17ROCPRIM_400000_NS6detail17trampoline_kernelINS0_14default_configENS1_20scan_config_selectorIN3c108BFloat16EEEZZNS1_9scan_implILNS1_25lookback_scan_determinismE0ELb0ELb0ES3_PKS6_PS6_S6_ZZZN2at6native31launch_logcumsumexp_cuda_kernelERKNSD_10TensorBaseESH_lENKUlvE_clEvENKUlvE4_clEvEUlS6_S6_E_S6_EEDaPvRmT3_T4_T5_mT6_P12ihipStream_tbENKUlT_T0_E_clISt17integral_constantIbLb0EESY_EEDaST_SU_EUlST_E0_NS1_11comp_targetILNS1_3genE9ELNS1_11target_archE1100ELNS1_3gpuE3ELNS1_3repE0EEENS1_30default_config_static_selectorELNS0_4arch9wavefront6targetE1EEEvT1_.kd
    .uniform_work_group_size: 1
    .uses_dynamic_stack: false
    .vgpr_count:     0
    .vgpr_spill_count: 0
    .wavefront_size: 64
  - .args:
      - .offset:         0
        .size:           32
        .value_kind:     by_value
    .group_segment_fixed_size: 0
    .kernarg_segment_align: 8
    .kernarg_segment_size: 32
    .language:       OpenCL C
    .language_version:
      - 2
      - 0
    .max_flat_workgroup_size: 64
    .name:           _ZN7rocprim17ROCPRIM_400000_NS6detail17trampoline_kernelINS0_14default_configENS1_20scan_config_selectorIN3c108BFloat16EEEZZNS1_9scan_implILNS1_25lookback_scan_determinismE0ELb0ELb0ES3_PKS6_PS6_S6_ZZZN2at6native31launch_logcumsumexp_cuda_kernelERKNSD_10TensorBaseESH_lENKUlvE_clEvENKUlvE4_clEvEUlS6_S6_E_S6_EEDaPvRmT3_T4_T5_mT6_P12ihipStream_tbENKUlT_T0_E_clISt17integral_constantIbLb0EESY_EEDaST_SU_EUlST_E0_NS1_11comp_targetILNS1_3genE8ELNS1_11target_archE1030ELNS1_3gpuE2ELNS1_3repE0EEENS1_30default_config_static_selectorELNS0_4arch9wavefront6targetE1EEEvT1_
    .private_segment_fixed_size: 0
    .sgpr_count:     4
    .sgpr_spill_count: 0
    .symbol:         _ZN7rocprim17ROCPRIM_400000_NS6detail17trampoline_kernelINS0_14default_configENS1_20scan_config_selectorIN3c108BFloat16EEEZZNS1_9scan_implILNS1_25lookback_scan_determinismE0ELb0ELb0ES3_PKS6_PS6_S6_ZZZN2at6native31launch_logcumsumexp_cuda_kernelERKNSD_10TensorBaseESH_lENKUlvE_clEvENKUlvE4_clEvEUlS6_S6_E_S6_EEDaPvRmT3_T4_T5_mT6_P12ihipStream_tbENKUlT_T0_E_clISt17integral_constantIbLb0EESY_EEDaST_SU_EUlST_E0_NS1_11comp_targetILNS1_3genE8ELNS1_11target_archE1030ELNS1_3gpuE2ELNS1_3repE0EEENS1_30default_config_static_selectorELNS0_4arch9wavefront6targetE1EEEvT1_.kd
    .uniform_work_group_size: 1
    .uses_dynamic_stack: false
    .vgpr_count:     0
    .vgpr_spill_count: 0
    .wavefront_size: 64
  - .args:
      - .address_space:  global
        .offset:         0
        .size:           8
        .value_kind:     global_buffer
      - .offset:         8
        .size:           4
        .value_kind:     by_value
      - .address_space:  global
        .offset:         16
        .size:           8
        .value_kind:     global_buffer
      - .offset:         24
        .size:           4
        .value_kind:     by_value
      - .address_space:  global
        .offset:         32
        .size:           8
        .value_kind:     global_buffer
      - .offset:         40
        .size:           4
        .value_kind:     hidden_block_count_x
      - .offset:         44
        .size:           4
        .value_kind:     hidden_block_count_y
      - .offset:         48
        .size:           4
        .value_kind:     hidden_block_count_z
      - .offset:         52
        .size:           2
        .value_kind:     hidden_group_size_x
      - .offset:         54
        .size:           2
        .value_kind:     hidden_group_size_y
      - .offset:         56
        .size:           2
        .value_kind:     hidden_group_size_z
      - .offset:         58
        .size:           2
        .value_kind:     hidden_remainder_x
      - .offset:         60
        .size:           2
        .value_kind:     hidden_remainder_y
      - .offset:         62
        .size:           2
        .value_kind:     hidden_remainder_z
      - .offset:         80
        .size:           8
        .value_kind:     hidden_global_offset_x
      - .offset:         88
        .size:           8
        .value_kind:     hidden_global_offset_y
      - .offset:         96
        .size:           8
        .value_kind:     hidden_global_offset_z
      - .offset:         104
        .size:           2
        .value_kind:     hidden_grid_dims
    .group_segment_fixed_size: 0
    .kernarg_segment_align: 8
    .kernarg_segment_size: 296
    .language:       OpenCL C
    .language_version:
      - 2
      - 0
    .max_flat_workgroup_size: 256
    .name:           _ZN7rocprim17ROCPRIM_400000_NS6detail31init_lookback_scan_state_kernelINS1_19lookback_scan_stateIN3c108BFloat16ELb1ELb1EEENS1_16block_id_wrapperIjLb1EEEEEvT_jT0_jPNS9_10value_typeE
    .private_segment_fixed_size: 0
    .sgpr_count:     18
    .sgpr_spill_count: 0
    .symbol:         _ZN7rocprim17ROCPRIM_400000_NS6detail31init_lookback_scan_state_kernelINS1_19lookback_scan_stateIN3c108BFloat16ELb1ELb1EEENS1_16block_id_wrapperIjLb1EEEEEvT_jT0_jPNS9_10value_typeE.kd
    .uniform_work_group_size: 1
    .uses_dynamic_stack: false
    .vgpr_count:     5
    .vgpr_spill_count: 0
    .wavefront_size: 64
  - .args:
      - .offset:         0
        .size:           96
        .value_kind:     by_value
    .group_segment_fixed_size: 0
    .kernarg_segment_align: 8
    .kernarg_segment_size: 96
    .language:       OpenCL C
    .language_version:
      - 2
      - 0
    .max_flat_workgroup_size: 128
    .name:           _ZN7rocprim17ROCPRIM_400000_NS6detail17trampoline_kernelINS0_14default_configENS1_20scan_config_selectorIN3c108BFloat16EEEZZNS1_9scan_implILNS1_25lookback_scan_determinismE0ELb0ELb0ES3_PKS6_PS6_S6_ZZZN2at6native31launch_logcumsumexp_cuda_kernelERKNSD_10TensorBaseESH_lENKUlvE_clEvENKUlvE4_clEvEUlS6_S6_E_S6_EEDaPvRmT3_T4_T5_mT6_P12ihipStream_tbENKUlT_T0_E_clISt17integral_constantIbLb1EESY_EEDaST_SU_EUlST_E_NS1_11comp_targetILNS1_3genE0ELNS1_11target_archE4294967295ELNS1_3gpuE0ELNS1_3repE0EEENS1_30default_config_static_selectorELNS0_4arch9wavefront6targetE1EEEvT1_
    .private_segment_fixed_size: 0
    .sgpr_count:     4
    .sgpr_spill_count: 0
    .symbol:         _ZN7rocprim17ROCPRIM_400000_NS6detail17trampoline_kernelINS0_14default_configENS1_20scan_config_selectorIN3c108BFloat16EEEZZNS1_9scan_implILNS1_25lookback_scan_determinismE0ELb0ELb0ES3_PKS6_PS6_S6_ZZZN2at6native31launch_logcumsumexp_cuda_kernelERKNSD_10TensorBaseESH_lENKUlvE_clEvENKUlvE4_clEvEUlS6_S6_E_S6_EEDaPvRmT3_T4_T5_mT6_P12ihipStream_tbENKUlT_T0_E_clISt17integral_constantIbLb1EESY_EEDaST_SU_EUlST_E_NS1_11comp_targetILNS1_3genE0ELNS1_11target_archE4294967295ELNS1_3gpuE0ELNS1_3repE0EEENS1_30default_config_static_selectorELNS0_4arch9wavefront6targetE1EEEvT1_.kd
    .uniform_work_group_size: 1
    .uses_dynamic_stack: false
    .vgpr_count:     0
    .vgpr_spill_count: 0
    .wavefront_size: 64
  - .args:
      - .offset:         0
        .size:           96
        .value_kind:     by_value
    .group_segment_fixed_size: 0
    .kernarg_segment_align: 8
    .kernarg_segment_size: 96
    .language:       OpenCL C
    .language_version:
      - 2
      - 0
    .max_flat_workgroup_size: 256
    .name:           _ZN7rocprim17ROCPRIM_400000_NS6detail17trampoline_kernelINS0_14default_configENS1_20scan_config_selectorIN3c108BFloat16EEEZZNS1_9scan_implILNS1_25lookback_scan_determinismE0ELb0ELb0ES3_PKS6_PS6_S6_ZZZN2at6native31launch_logcumsumexp_cuda_kernelERKNSD_10TensorBaseESH_lENKUlvE_clEvENKUlvE4_clEvEUlS6_S6_E_S6_EEDaPvRmT3_T4_T5_mT6_P12ihipStream_tbENKUlT_T0_E_clISt17integral_constantIbLb1EESY_EEDaST_SU_EUlST_E_NS1_11comp_targetILNS1_3genE5ELNS1_11target_archE942ELNS1_3gpuE9ELNS1_3repE0EEENS1_30default_config_static_selectorELNS0_4arch9wavefront6targetE1EEEvT1_
    .private_segment_fixed_size: 0
    .sgpr_count:     4
    .sgpr_spill_count: 0
    .symbol:         _ZN7rocprim17ROCPRIM_400000_NS6detail17trampoline_kernelINS0_14default_configENS1_20scan_config_selectorIN3c108BFloat16EEEZZNS1_9scan_implILNS1_25lookback_scan_determinismE0ELb0ELb0ES3_PKS6_PS6_S6_ZZZN2at6native31launch_logcumsumexp_cuda_kernelERKNSD_10TensorBaseESH_lENKUlvE_clEvENKUlvE4_clEvEUlS6_S6_E_S6_EEDaPvRmT3_T4_T5_mT6_P12ihipStream_tbENKUlT_T0_E_clISt17integral_constantIbLb1EESY_EEDaST_SU_EUlST_E_NS1_11comp_targetILNS1_3genE5ELNS1_11target_archE942ELNS1_3gpuE9ELNS1_3repE0EEENS1_30default_config_static_selectorELNS0_4arch9wavefront6targetE1EEEvT1_.kd
    .uniform_work_group_size: 1
    .uses_dynamic_stack: false
    .vgpr_count:     0
    .vgpr_spill_count: 0
    .wavefront_size: 64
  - .args:
      - .offset:         0
        .size:           96
        .value_kind:     by_value
    .group_segment_fixed_size: 0
    .kernarg_segment_align: 8
    .kernarg_segment_size: 96
    .language:       OpenCL C
    .language_version:
      - 2
      - 0
    .max_flat_workgroup_size: 64
    .name:           _ZN7rocprim17ROCPRIM_400000_NS6detail17trampoline_kernelINS0_14default_configENS1_20scan_config_selectorIN3c108BFloat16EEEZZNS1_9scan_implILNS1_25lookback_scan_determinismE0ELb0ELb0ES3_PKS6_PS6_S6_ZZZN2at6native31launch_logcumsumexp_cuda_kernelERKNSD_10TensorBaseESH_lENKUlvE_clEvENKUlvE4_clEvEUlS6_S6_E_S6_EEDaPvRmT3_T4_T5_mT6_P12ihipStream_tbENKUlT_T0_E_clISt17integral_constantIbLb1EESY_EEDaST_SU_EUlST_E_NS1_11comp_targetILNS1_3genE4ELNS1_11target_archE910ELNS1_3gpuE8ELNS1_3repE0EEENS1_30default_config_static_selectorELNS0_4arch9wavefront6targetE1EEEvT1_
    .private_segment_fixed_size: 0
    .sgpr_count:     4
    .sgpr_spill_count: 0
    .symbol:         _ZN7rocprim17ROCPRIM_400000_NS6detail17trampoline_kernelINS0_14default_configENS1_20scan_config_selectorIN3c108BFloat16EEEZZNS1_9scan_implILNS1_25lookback_scan_determinismE0ELb0ELb0ES3_PKS6_PS6_S6_ZZZN2at6native31launch_logcumsumexp_cuda_kernelERKNSD_10TensorBaseESH_lENKUlvE_clEvENKUlvE4_clEvEUlS6_S6_E_S6_EEDaPvRmT3_T4_T5_mT6_P12ihipStream_tbENKUlT_T0_E_clISt17integral_constantIbLb1EESY_EEDaST_SU_EUlST_E_NS1_11comp_targetILNS1_3genE4ELNS1_11target_archE910ELNS1_3gpuE8ELNS1_3repE0EEENS1_30default_config_static_selectorELNS0_4arch9wavefront6targetE1EEEvT1_.kd
    .uniform_work_group_size: 1
    .uses_dynamic_stack: false
    .vgpr_count:     0
    .vgpr_spill_count: 0
    .wavefront_size: 64
  - .args:
      - .offset:         0
        .size:           96
        .value_kind:     by_value
    .group_segment_fixed_size: 0
    .kernarg_segment_align: 8
    .kernarg_segment_size: 96
    .language:       OpenCL C
    .language_version:
      - 2
      - 0
    .max_flat_workgroup_size: 128
    .name:           _ZN7rocprim17ROCPRIM_400000_NS6detail17trampoline_kernelINS0_14default_configENS1_20scan_config_selectorIN3c108BFloat16EEEZZNS1_9scan_implILNS1_25lookback_scan_determinismE0ELb0ELb0ES3_PKS6_PS6_S6_ZZZN2at6native31launch_logcumsumexp_cuda_kernelERKNSD_10TensorBaseESH_lENKUlvE_clEvENKUlvE4_clEvEUlS6_S6_E_S6_EEDaPvRmT3_T4_T5_mT6_P12ihipStream_tbENKUlT_T0_E_clISt17integral_constantIbLb1EESY_EEDaST_SU_EUlST_E_NS1_11comp_targetILNS1_3genE3ELNS1_11target_archE908ELNS1_3gpuE7ELNS1_3repE0EEENS1_30default_config_static_selectorELNS0_4arch9wavefront6targetE1EEEvT1_
    .private_segment_fixed_size: 0
    .sgpr_count:     4
    .sgpr_spill_count: 0
    .symbol:         _ZN7rocprim17ROCPRIM_400000_NS6detail17trampoline_kernelINS0_14default_configENS1_20scan_config_selectorIN3c108BFloat16EEEZZNS1_9scan_implILNS1_25lookback_scan_determinismE0ELb0ELb0ES3_PKS6_PS6_S6_ZZZN2at6native31launch_logcumsumexp_cuda_kernelERKNSD_10TensorBaseESH_lENKUlvE_clEvENKUlvE4_clEvEUlS6_S6_E_S6_EEDaPvRmT3_T4_T5_mT6_P12ihipStream_tbENKUlT_T0_E_clISt17integral_constantIbLb1EESY_EEDaST_SU_EUlST_E_NS1_11comp_targetILNS1_3genE3ELNS1_11target_archE908ELNS1_3gpuE7ELNS1_3repE0EEENS1_30default_config_static_selectorELNS0_4arch9wavefront6targetE1EEEvT1_.kd
    .uniform_work_group_size: 1
    .uses_dynamic_stack: false
    .vgpr_count:     0
    .vgpr_spill_count: 0
    .wavefront_size: 64
  - .args:
      - .offset:         0
        .size:           96
        .value_kind:     by_value
    .group_segment_fixed_size: 0
    .kernarg_segment_align: 8
    .kernarg_segment_size: 96
    .language:       OpenCL C
    .language_version:
      - 2
      - 0
    .max_flat_workgroup_size: 256
    .name:           _ZN7rocprim17ROCPRIM_400000_NS6detail17trampoline_kernelINS0_14default_configENS1_20scan_config_selectorIN3c108BFloat16EEEZZNS1_9scan_implILNS1_25lookback_scan_determinismE0ELb0ELb0ES3_PKS6_PS6_S6_ZZZN2at6native31launch_logcumsumexp_cuda_kernelERKNSD_10TensorBaseESH_lENKUlvE_clEvENKUlvE4_clEvEUlS6_S6_E_S6_EEDaPvRmT3_T4_T5_mT6_P12ihipStream_tbENKUlT_T0_E_clISt17integral_constantIbLb1EESY_EEDaST_SU_EUlST_E_NS1_11comp_targetILNS1_3genE2ELNS1_11target_archE906ELNS1_3gpuE6ELNS1_3repE0EEENS1_30default_config_static_selectorELNS0_4arch9wavefront6targetE1EEEvT1_
    .private_segment_fixed_size: 0
    .sgpr_count:     4
    .sgpr_spill_count: 0
    .symbol:         _ZN7rocprim17ROCPRIM_400000_NS6detail17trampoline_kernelINS0_14default_configENS1_20scan_config_selectorIN3c108BFloat16EEEZZNS1_9scan_implILNS1_25lookback_scan_determinismE0ELb0ELb0ES3_PKS6_PS6_S6_ZZZN2at6native31launch_logcumsumexp_cuda_kernelERKNSD_10TensorBaseESH_lENKUlvE_clEvENKUlvE4_clEvEUlS6_S6_E_S6_EEDaPvRmT3_T4_T5_mT6_P12ihipStream_tbENKUlT_T0_E_clISt17integral_constantIbLb1EESY_EEDaST_SU_EUlST_E_NS1_11comp_targetILNS1_3genE2ELNS1_11target_archE906ELNS1_3gpuE6ELNS1_3repE0EEENS1_30default_config_static_selectorELNS0_4arch9wavefront6targetE1EEEvT1_.kd
    .uniform_work_group_size: 1
    .uses_dynamic_stack: false
    .vgpr_count:     0
    .vgpr_spill_count: 0
    .wavefront_size: 64
  - .args:
      - .offset:         0
        .size:           96
        .value_kind:     by_value
    .group_segment_fixed_size: 0
    .kernarg_segment_align: 8
    .kernarg_segment_size: 96
    .language:       OpenCL C
    .language_version:
      - 2
      - 0
    .max_flat_workgroup_size: 256
    .name:           _ZN7rocprim17ROCPRIM_400000_NS6detail17trampoline_kernelINS0_14default_configENS1_20scan_config_selectorIN3c108BFloat16EEEZZNS1_9scan_implILNS1_25lookback_scan_determinismE0ELb0ELb0ES3_PKS6_PS6_S6_ZZZN2at6native31launch_logcumsumexp_cuda_kernelERKNSD_10TensorBaseESH_lENKUlvE_clEvENKUlvE4_clEvEUlS6_S6_E_S6_EEDaPvRmT3_T4_T5_mT6_P12ihipStream_tbENKUlT_T0_E_clISt17integral_constantIbLb1EESY_EEDaST_SU_EUlST_E_NS1_11comp_targetILNS1_3genE10ELNS1_11target_archE1201ELNS1_3gpuE5ELNS1_3repE0EEENS1_30default_config_static_selectorELNS0_4arch9wavefront6targetE1EEEvT1_
    .private_segment_fixed_size: 0
    .sgpr_count:     4
    .sgpr_spill_count: 0
    .symbol:         _ZN7rocprim17ROCPRIM_400000_NS6detail17trampoline_kernelINS0_14default_configENS1_20scan_config_selectorIN3c108BFloat16EEEZZNS1_9scan_implILNS1_25lookback_scan_determinismE0ELb0ELb0ES3_PKS6_PS6_S6_ZZZN2at6native31launch_logcumsumexp_cuda_kernelERKNSD_10TensorBaseESH_lENKUlvE_clEvENKUlvE4_clEvEUlS6_S6_E_S6_EEDaPvRmT3_T4_T5_mT6_P12ihipStream_tbENKUlT_T0_E_clISt17integral_constantIbLb1EESY_EEDaST_SU_EUlST_E_NS1_11comp_targetILNS1_3genE10ELNS1_11target_archE1201ELNS1_3gpuE5ELNS1_3repE0EEENS1_30default_config_static_selectorELNS0_4arch9wavefront6targetE1EEEvT1_.kd
    .uniform_work_group_size: 1
    .uses_dynamic_stack: false
    .vgpr_count:     0
    .vgpr_spill_count: 0
    .wavefront_size: 64
  - .args:
      - .offset:         0
        .size:           96
        .value_kind:     by_value
    .group_segment_fixed_size: 0
    .kernarg_segment_align: 8
    .kernarg_segment_size: 96
    .language:       OpenCL C
    .language_version:
      - 2
      - 0
    .max_flat_workgroup_size: 256
    .name:           _ZN7rocprim17ROCPRIM_400000_NS6detail17trampoline_kernelINS0_14default_configENS1_20scan_config_selectorIN3c108BFloat16EEEZZNS1_9scan_implILNS1_25lookback_scan_determinismE0ELb0ELb0ES3_PKS6_PS6_S6_ZZZN2at6native31launch_logcumsumexp_cuda_kernelERKNSD_10TensorBaseESH_lENKUlvE_clEvENKUlvE4_clEvEUlS6_S6_E_S6_EEDaPvRmT3_T4_T5_mT6_P12ihipStream_tbENKUlT_T0_E_clISt17integral_constantIbLb1EESY_EEDaST_SU_EUlST_E_NS1_11comp_targetILNS1_3genE10ELNS1_11target_archE1200ELNS1_3gpuE4ELNS1_3repE0EEENS1_30default_config_static_selectorELNS0_4arch9wavefront6targetE1EEEvT1_
    .private_segment_fixed_size: 0
    .sgpr_count:     4
    .sgpr_spill_count: 0
    .symbol:         _ZN7rocprim17ROCPRIM_400000_NS6detail17trampoline_kernelINS0_14default_configENS1_20scan_config_selectorIN3c108BFloat16EEEZZNS1_9scan_implILNS1_25lookback_scan_determinismE0ELb0ELb0ES3_PKS6_PS6_S6_ZZZN2at6native31launch_logcumsumexp_cuda_kernelERKNSD_10TensorBaseESH_lENKUlvE_clEvENKUlvE4_clEvEUlS6_S6_E_S6_EEDaPvRmT3_T4_T5_mT6_P12ihipStream_tbENKUlT_T0_E_clISt17integral_constantIbLb1EESY_EEDaST_SU_EUlST_E_NS1_11comp_targetILNS1_3genE10ELNS1_11target_archE1200ELNS1_3gpuE4ELNS1_3repE0EEENS1_30default_config_static_selectorELNS0_4arch9wavefront6targetE1EEEvT1_.kd
    .uniform_work_group_size: 1
    .uses_dynamic_stack: false
    .vgpr_count:     0
    .vgpr_spill_count: 0
    .wavefront_size: 64
  - .args:
      - .offset:         0
        .size:           96
        .value_kind:     by_value
    .group_segment_fixed_size: 0
    .kernarg_segment_align: 8
    .kernarg_segment_size: 96
    .language:       OpenCL C
    .language_version:
      - 2
      - 0
    .max_flat_workgroup_size: 64
    .name:           _ZN7rocprim17ROCPRIM_400000_NS6detail17trampoline_kernelINS0_14default_configENS1_20scan_config_selectorIN3c108BFloat16EEEZZNS1_9scan_implILNS1_25lookback_scan_determinismE0ELb0ELb0ES3_PKS6_PS6_S6_ZZZN2at6native31launch_logcumsumexp_cuda_kernelERKNSD_10TensorBaseESH_lENKUlvE_clEvENKUlvE4_clEvEUlS6_S6_E_S6_EEDaPvRmT3_T4_T5_mT6_P12ihipStream_tbENKUlT_T0_E_clISt17integral_constantIbLb1EESY_EEDaST_SU_EUlST_E_NS1_11comp_targetILNS1_3genE9ELNS1_11target_archE1100ELNS1_3gpuE3ELNS1_3repE0EEENS1_30default_config_static_selectorELNS0_4arch9wavefront6targetE1EEEvT1_
    .private_segment_fixed_size: 0
    .sgpr_count:     4
    .sgpr_spill_count: 0
    .symbol:         _ZN7rocprim17ROCPRIM_400000_NS6detail17trampoline_kernelINS0_14default_configENS1_20scan_config_selectorIN3c108BFloat16EEEZZNS1_9scan_implILNS1_25lookback_scan_determinismE0ELb0ELb0ES3_PKS6_PS6_S6_ZZZN2at6native31launch_logcumsumexp_cuda_kernelERKNSD_10TensorBaseESH_lENKUlvE_clEvENKUlvE4_clEvEUlS6_S6_E_S6_EEDaPvRmT3_T4_T5_mT6_P12ihipStream_tbENKUlT_T0_E_clISt17integral_constantIbLb1EESY_EEDaST_SU_EUlST_E_NS1_11comp_targetILNS1_3genE9ELNS1_11target_archE1100ELNS1_3gpuE3ELNS1_3repE0EEENS1_30default_config_static_selectorELNS0_4arch9wavefront6targetE1EEEvT1_.kd
    .uniform_work_group_size: 1
    .uses_dynamic_stack: false
    .vgpr_count:     0
    .vgpr_spill_count: 0
    .wavefront_size: 64
  - .args:
      - .offset:         0
        .size:           96
        .value_kind:     by_value
    .group_segment_fixed_size: 0
    .kernarg_segment_align: 8
    .kernarg_segment_size: 96
    .language:       OpenCL C
    .language_version:
      - 2
      - 0
    .max_flat_workgroup_size: 64
    .name:           _ZN7rocprim17ROCPRIM_400000_NS6detail17trampoline_kernelINS0_14default_configENS1_20scan_config_selectorIN3c108BFloat16EEEZZNS1_9scan_implILNS1_25lookback_scan_determinismE0ELb0ELb0ES3_PKS6_PS6_S6_ZZZN2at6native31launch_logcumsumexp_cuda_kernelERKNSD_10TensorBaseESH_lENKUlvE_clEvENKUlvE4_clEvEUlS6_S6_E_S6_EEDaPvRmT3_T4_T5_mT6_P12ihipStream_tbENKUlT_T0_E_clISt17integral_constantIbLb1EESY_EEDaST_SU_EUlST_E_NS1_11comp_targetILNS1_3genE8ELNS1_11target_archE1030ELNS1_3gpuE2ELNS1_3repE0EEENS1_30default_config_static_selectorELNS0_4arch9wavefront6targetE1EEEvT1_
    .private_segment_fixed_size: 0
    .sgpr_count:     4
    .sgpr_spill_count: 0
    .symbol:         _ZN7rocprim17ROCPRIM_400000_NS6detail17trampoline_kernelINS0_14default_configENS1_20scan_config_selectorIN3c108BFloat16EEEZZNS1_9scan_implILNS1_25lookback_scan_determinismE0ELb0ELb0ES3_PKS6_PS6_S6_ZZZN2at6native31launch_logcumsumexp_cuda_kernelERKNSD_10TensorBaseESH_lENKUlvE_clEvENKUlvE4_clEvEUlS6_S6_E_S6_EEDaPvRmT3_T4_T5_mT6_P12ihipStream_tbENKUlT_T0_E_clISt17integral_constantIbLb1EESY_EEDaST_SU_EUlST_E_NS1_11comp_targetILNS1_3genE8ELNS1_11target_archE1030ELNS1_3gpuE2ELNS1_3repE0EEENS1_30default_config_static_selectorELNS0_4arch9wavefront6targetE1EEEvT1_.kd
    .uniform_work_group_size: 1
    .uses_dynamic_stack: false
    .vgpr_count:     0
    .vgpr_spill_count: 0
    .wavefront_size: 64
  - .args:
      - .offset:         0
        .size:           32
        .value_kind:     by_value
    .group_segment_fixed_size: 0
    .kernarg_segment_align: 8
    .kernarg_segment_size: 32
    .language:       OpenCL C
    .language_version:
      - 2
      - 0
    .max_flat_workgroup_size: 128
    .name:           _ZN7rocprim17ROCPRIM_400000_NS6detail17trampoline_kernelINS0_14default_configENS1_20scan_config_selectorIN3c108BFloat16EEEZZNS1_9scan_implILNS1_25lookback_scan_determinismE0ELb0ELb0ES3_PKS6_PS6_S6_ZZZN2at6native31launch_logcumsumexp_cuda_kernelERKNSD_10TensorBaseESH_lENKUlvE_clEvENKUlvE4_clEvEUlS6_S6_E_S6_EEDaPvRmT3_T4_T5_mT6_P12ihipStream_tbENKUlT_T0_E_clISt17integral_constantIbLb1EESY_EEDaST_SU_EUlST_E0_NS1_11comp_targetILNS1_3genE0ELNS1_11target_archE4294967295ELNS1_3gpuE0ELNS1_3repE0EEENS1_30default_config_static_selectorELNS0_4arch9wavefront6targetE1EEEvT1_
    .private_segment_fixed_size: 0
    .sgpr_count:     4
    .sgpr_spill_count: 0
    .symbol:         _ZN7rocprim17ROCPRIM_400000_NS6detail17trampoline_kernelINS0_14default_configENS1_20scan_config_selectorIN3c108BFloat16EEEZZNS1_9scan_implILNS1_25lookback_scan_determinismE0ELb0ELb0ES3_PKS6_PS6_S6_ZZZN2at6native31launch_logcumsumexp_cuda_kernelERKNSD_10TensorBaseESH_lENKUlvE_clEvENKUlvE4_clEvEUlS6_S6_E_S6_EEDaPvRmT3_T4_T5_mT6_P12ihipStream_tbENKUlT_T0_E_clISt17integral_constantIbLb1EESY_EEDaST_SU_EUlST_E0_NS1_11comp_targetILNS1_3genE0ELNS1_11target_archE4294967295ELNS1_3gpuE0ELNS1_3repE0EEENS1_30default_config_static_selectorELNS0_4arch9wavefront6targetE1EEEvT1_.kd
    .uniform_work_group_size: 1
    .uses_dynamic_stack: false
    .vgpr_count:     0
    .vgpr_spill_count: 0
    .wavefront_size: 64
  - .args:
      - .offset:         0
        .size:           32
        .value_kind:     by_value
    .group_segment_fixed_size: 0
    .kernarg_segment_align: 8
    .kernarg_segment_size: 32
    .language:       OpenCL C
    .language_version:
      - 2
      - 0
    .max_flat_workgroup_size: 256
    .name:           _ZN7rocprim17ROCPRIM_400000_NS6detail17trampoline_kernelINS0_14default_configENS1_20scan_config_selectorIN3c108BFloat16EEEZZNS1_9scan_implILNS1_25lookback_scan_determinismE0ELb0ELb0ES3_PKS6_PS6_S6_ZZZN2at6native31launch_logcumsumexp_cuda_kernelERKNSD_10TensorBaseESH_lENKUlvE_clEvENKUlvE4_clEvEUlS6_S6_E_S6_EEDaPvRmT3_T4_T5_mT6_P12ihipStream_tbENKUlT_T0_E_clISt17integral_constantIbLb1EESY_EEDaST_SU_EUlST_E0_NS1_11comp_targetILNS1_3genE5ELNS1_11target_archE942ELNS1_3gpuE9ELNS1_3repE0EEENS1_30default_config_static_selectorELNS0_4arch9wavefront6targetE1EEEvT1_
    .private_segment_fixed_size: 0
    .sgpr_count:     4
    .sgpr_spill_count: 0
    .symbol:         _ZN7rocprim17ROCPRIM_400000_NS6detail17trampoline_kernelINS0_14default_configENS1_20scan_config_selectorIN3c108BFloat16EEEZZNS1_9scan_implILNS1_25lookback_scan_determinismE0ELb0ELb0ES3_PKS6_PS6_S6_ZZZN2at6native31launch_logcumsumexp_cuda_kernelERKNSD_10TensorBaseESH_lENKUlvE_clEvENKUlvE4_clEvEUlS6_S6_E_S6_EEDaPvRmT3_T4_T5_mT6_P12ihipStream_tbENKUlT_T0_E_clISt17integral_constantIbLb1EESY_EEDaST_SU_EUlST_E0_NS1_11comp_targetILNS1_3genE5ELNS1_11target_archE942ELNS1_3gpuE9ELNS1_3repE0EEENS1_30default_config_static_selectorELNS0_4arch9wavefront6targetE1EEEvT1_.kd
    .uniform_work_group_size: 1
    .uses_dynamic_stack: false
    .vgpr_count:     0
    .vgpr_spill_count: 0
    .wavefront_size: 64
  - .args:
      - .offset:         0
        .size:           32
        .value_kind:     by_value
    .group_segment_fixed_size: 0
    .kernarg_segment_align: 8
    .kernarg_segment_size: 32
    .language:       OpenCL C
    .language_version:
      - 2
      - 0
    .max_flat_workgroup_size: 64
    .name:           _ZN7rocprim17ROCPRIM_400000_NS6detail17trampoline_kernelINS0_14default_configENS1_20scan_config_selectorIN3c108BFloat16EEEZZNS1_9scan_implILNS1_25lookback_scan_determinismE0ELb0ELb0ES3_PKS6_PS6_S6_ZZZN2at6native31launch_logcumsumexp_cuda_kernelERKNSD_10TensorBaseESH_lENKUlvE_clEvENKUlvE4_clEvEUlS6_S6_E_S6_EEDaPvRmT3_T4_T5_mT6_P12ihipStream_tbENKUlT_T0_E_clISt17integral_constantIbLb1EESY_EEDaST_SU_EUlST_E0_NS1_11comp_targetILNS1_3genE4ELNS1_11target_archE910ELNS1_3gpuE8ELNS1_3repE0EEENS1_30default_config_static_selectorELNS0_4arch9wavefront6targetE1EEEvT1_
    .private_segment_fixed_size: 0
    .sgpr_count:     4
    .sgpr_spill_count: 0
    .symbol:         _ZN7rocprim17ROCPRIM_400000_NS6detail17trampoline_kernelINS0_14default_configENS1_20scan_config_selectorIN3c108BFloat16EEEZZNS1_9scan_implILNS1_25lookback_scan_determinismE0ELb0ELb0ES3_PKS6_PS6_S6_ZZZN2at6native31launch_logcumsumexp_cuda_kernelERKNSD_10TensorBaseESH_lENKUlvE_clEvENKUlvE4_clEvEUlS6_S6_E_S6_EEDaPvRmT3_T4_T5_mT6_P12ihipStream_tbENKUlT_T0_E_clISt17integral_constantIbLb1EESY_EEDaST_SU_EUlST_E0_NS1_11comp_targetILNS1_3genE4ELNS1_11target_archE910ELNS1_3gpuE8ELNS1_3repE0EEENS1_30default_config_static_selectorELNS0_4arch9wavefront6targetE1EEEvT1_.kd
    .uniform_work_group_size: 1
    .uses_dynamic_stack: false
    .vgpr_count:     0
    .vgpr_spill_count: 0
    .wavefront_size: 64
  - .args:
      - .offset:         0
        .size:           32
        .value_kind:     by_value
    .group_segment_fixed_size: 0
    .kernarg_segment_align: 8
    .kernarg_segment_size: 32
    .language:       OpenCL C
    .language_version:
      - 2
      - 0
    .max_flat_workgroup_size: 128
    .name:           _ZN7rocprim17ROCPRIM_400000_NS6detail17trampoline_kernelINS0_14default_configENS1_20scan_config_selectorIN3c108BFloat16EEEZZNS1_9scan_implILNS1_25lookback_scan_determinismE0ELb0ELb0ES3_PKS6_PS6_S6_ZZZN2at6native31launch_logcumsumexp_cuda_kernelERKNSD_10TensorBaseESH_lENKUlvE_clEvENKUlvE4_clEvEUlS6_S6_E_S6_EEDaPvRmT3_T4_T5_mT6_P12ihipStream_tbENKUlT_T0_E_clISt17integral_constantIbLb1EESY_EEDaST_SU_EUlST_E0_NS1_11comp_targetILNS1_3genE3ELNS1_11target_archE908ELNS1_3gpuE7ELNS1_3repE0EEENS1_30default_config_static_selectorELNS0_4arch9wavefront6targetE1EEEvT1_
    .private_segment_fixed_size: 0
    .sgpr_count:     4
    .sgpr_spill_count: 0
    .symbol:         _ZN7rocprim17ROCPRIM_400000_NS6detail17trampoline_kernelINS0_14default_configENS1_20scan_config_selectorIN3c108BFloat16EEEZZNS1_9scan_implILNS1_25lookback_scan_determinismE0ELb0ELb0ES3_PKS6_PS6_S6_ZZZN2at6native31launch_logcumsumexp_cuda_kernelERKNSD_10TensorBaseESH_lENKUlvE_clEvENKUlvE4_clEvEUlS6_S6_E_S6_EEDaPvRmT3_T4_T5_mT6_P12ihipStream_tbENKUlT_T0_E_clISt17integral_constantIbLb1EESY_EEDaST_SU_EUlST_E0_NS1_11comp_targetILNS1_3genE3ELNS1_11target_archE908ELNS1_3gpuE7ELNS1_3repE0EEENS1_30default_config_static_selectorELNS0_4arch9wavefront6targetE1EEEvT1_.kd
    .uniform_work_group_size: 1
    .uses_dynamic_stack: false
    .vgpr_count:     0
    .vgpr_spill_count: 0
    .wavefront_size: 64
  - .args:
      - .offset:         0
        .size:           32
        .value_kind:     by_value
    .group_segment_fixed_size: 12288
    .kernarg_segment_align: 8
    .kernarg_segment_size: 32
    .language:       OpenCL C
    .language_version:
      - 2
      - 0
    .max_flat_workgroup_size: 256
    .name:           _ZN7rocprim17ROCPRIM_400000_NS6detail17trampoline_kernelINS0_14default_configENS1_20scan_config_selectorIN3c108BFloat16EEEZZNS1_9scan_implILNS1_25lookback_scan_determinismE0ELb0ELb0ES3_PKS6_PS6_S6_ZZZN2at6native31launch_logcumsumexp_cuda_kernelERKNSD_10TensorBaseESH_lENKUlvE_clEvENKUlvE4_clEvEUlS6_S6_E_S6_EEDaPvRmT3_T4_T5_mT6_P12ihipStream_tbENKUlT_T0_E_clISt17integral_constantIbLb1EESY_EEDaST_SU_EUlST_E0_NS1_11comp_targetILNS1_3genE2ELNS1_11target_archE906ELNS1_3gpuE6ELNS1_3repE0EEENS1_30default_config_static_selectorELNS0_4arch9wavefront6targetE1EEEvT1_
    .private_segment_fixed_size: 0
    .sgpr_count:     100
    .sgpr_spill_count: 14
    .symbol:         _ZN7rocprim17ROCPRIM_400000_NS6detail17trampoline_kernelINS0_14default_configENS1_20scan_config_selectorIN3c108BFloat16EEEZZNS1_9scan_implILNS1_25lookback_scan_determinismE0ELb0ELb0ES3_PKS6_PS6_S6_ZZZN2at6native31launch_logcumsumexp_cuda_kernelERKNSD_10TensorBaseESH_lENKUlvE_clEvENKUlvE4_clEvEUlS6_S6_E_S6_EEDaPvRmT3_T4_T5_mT6_P12ihipStream_tbENKUlT_T0_E_clISt17integral_constantIbLb1EESY_EEDaST_SU_EUlST_E0_NS1_11comp_targetILNS1_3genE2ELNS1_11target_archE906ELNS1_3gpuE6ELNS1_3repE0EEENS1_30default_config_static_selectorELNS0_4arch9wavefront6targetE1EEEvT1_.kd
    .uniform_work_group_size: 1
    .uses_dynamic_stack: false
    .vgpr_count:     74
    .vgpr_spill_count: 0
    .wavefront_size: 64
  - .args:
      - .offset:         0
        .size:           32
        .value_kind:     by_value
    .group_segment_fixed_size: 0
    .kernarg_segment_align: 8
    .kernarg_segment_size: 32
    .language:       OpenCL C
    .language_version:
      - 2
      - 0
    .max_flat_workgroup_size: 256
    .name:           _ZN7rocprim17ROCPRIM_400000_NS6detail17trampoline_kernelINS0_14default_configENS1_20scan_config_selectorIN3c108BFloat16EEEZZNS1_9scan_implILNS1_25lookback_scan_determinismE0ELb0ELb0ES3_PKS6_PS6_S6_ZZZN2at6native31launch_logcumsumexp_cuda_kernelERKNSD_10TensorBaseESH_lENKUlvE_clEvENKUlvE4_clEvEUlS6_S6_E_S6_EEDaPvRmT3_T4_T5_mT6_P12ihipStream_tbENKUlT_T0_E_clISt17integral_constantIbLb1EESY_EEDaST_SU_EUlST_E0_NS1_11comp_targetILNS1_3genE10ELNS1_11target_archE1201ELNS1_3gpuE5ELNS1_3repE0EEENS1_30default_config_static_selectorELNS0_4arch9wavefront6targetE1EEEvT1_
    .private_segment_fixed_size: 0
    .sgpr_count:     4
    .sgpr_spill_count: 0
    .symbol:         _ZN7rocprim17ROCPRIM_400000_NS6detail17trampoline_kernelINS0_14default_configENS1_20scan_config_selectorIN3c108BFloat16EEEZZNS1_9scan_implILNS1_25lookback_scan_determinismE0ELb0ELb0ES3_PKS6_PS6_S6_ZZZN2at6native31launch_logcumsumexp_cuda_kernelERKNSD_10TensorBaseESH_lENKUlvE_clEvENKUlvE4_clEvEUlS6_S6_E_S6_EEDaPvRmT3_T4_T5_mT6_P12ihipStream_tbENKUlT_T0_E_clISt17integral_constantIbLb1EESY_EEDaST_SU_EUlST_E0_NS1_11comp_targetILNS1_3genE10ELNS1_11target_archE1201ELNS1_3gpuE5ELNS1_3repE0EEENS1_30default_config_static_selectorELNS0_4arch9wavefront6targetE1EEEvT1_.kd
    .uniform_work_group_size: 1
    .uses_dynamic_stack: false
    .vgpr_count:     0
    .vgpr_spill_count: 0
    .wavefront_size: 64
  - .args:
      - .offset:         0
        .size:           32
        .value_kind:     by_value
    .group_segment_fixed_size: 0
    .kernarg_segment_align: 8
    .kernarg_segment_size: 32
    .language:       OpenCL C
    .language_version:
      - 2
      - 0
    .max_flat_workgroup_size: 256
    .name:           _ZN7rocprim17ROCPRIM_400000_NS6detail17trampoline_kernelINS0_14default_configENS1_20scan_config_selectorIN3c108BFloat16EEEZZNS1_9scan_implILNS1_25lookback_scan_determinismE0ELb0ELb0ES3_PKS6_PS6_S6_ZZZN2at6native31launch_logcumsumexp_cuda_kernelERKNSD_10TensorBaseESH_lENKUlvE_clEvENKUlvE4_clEvEUlS6_S6_E_S6_EEDaPvRmT3_T4_T5_mT6_P12ihipStream_tbENKUlT_T0_E_clISt17integral_constantIbLb1EESY_EEDaST_SU_EUlST_E0_NS1_11comp_targetILNS1_3genE10ELNS1_11target_archE1200ELNS1_3gpuE4ELNS1_3repE0EEENS1_30default_config_static_selectorELNS0_4arch9wavefront6targetE1EEEvT1_
    .private_segment_fixed_size: 0
    .sgpr_count:     4
    .sgpr_spill_count: 0
    .symbol:         _ZN7rocprim17ROCPRIM_400000_NS6detail17trampoline_kernelINS0_14default_configENS1_20scan_config_selectorIN3c108BFloat16EEEZZNS1_9scan_implILNS1_25lookback_scan_determinismE0ELb0ELb0ES3_PKS6_PS6_S6_ZZZN2at6native31launch_logcumsumexp_cuda_kernelERKNSD_10TensorBaseESH_lENKUlvE_clEvENKUlvE4_clEvEUlS6_S6_E_S6_EEDaPvRmT3_T4_T5_mT6_P12ihipStream_tbENKUlT_T0_E_clISt17integral_constantIbLb1EESY_EEDaST_SU_EUlST_E0_NS1_11comp_targetILNS1_3genE10ELNS1_11target_archE1200ELNS1_3gpuE4ELNS1_3repE0EEENS1_30default_config_static_selectorELNS0_4arch9wavefront6targetE1EEEvT1_.kd
    .uniform_work_group_size: 1
    .uses_dynamic_stack: false
    .vgpr_count:     0
    .vgpr_spill_count: 0
    .wavefront_size: 64
  - .args:
      - .offset:         0
        .size:           32
        .value_kind:     by_value
    .group_segment_fixed_size: 0
    .kernarg_segment_align: 8
    .kernarg_segment_size: 32
    .language:       OpenCL C
    .language_version:
      - 2
      - 0
    .max_flat_workgroup_size: 64
    .name:           _ZN7rocprim17ROCPRIM_400000_NS6detail17trampoline_kernelINS0_14default_configENS1_20scan_config_selectorIN3c108BFloat16EEEZZNS1_9scan_implILNS1_25lookback_scan_determinismE0ELb0ELb0ES3_PKS6_PS6_S6_ZZZN2at6native31launch_logcumsumexp_cuda_kernelERKNSD_10TensorBaseESH_lENKUlvE_clEvENKUlvE4_clEvEUlS6_S6_E_S6_EEDaPvRmT3_T4_T5_mT6_P12ihipStream_tbENKUlT_T0_E_clISt17integral_constantIbLb1EESY_EEDaST_SU_EUlST_E0_NS1_11comp_targetILNS1_3genE9ELNS1_11target_archE1100ELNS1_3gpuE3ELNS1_3repE0EEENS1_30default_config_static_selectorELNS0_4arch9wavefront6targetE1EEEvT1_
    .private_segment_fixed_size: 0
    .sgpr_count:     4
    .sgpr_spill_count: 0
    .symbol:         _ZN7rocprim17ROCPRIM_400000_NS6detail17trampoline_kernelINS0_14default_configENS1_20scan_config_selectorIN3c108BFloat16EEEZZNS1_9scan_implILNS1_25lookback_scan_determinismE0ELb0ELb0ES3_PKS6_PS6_S6_ZZZN2at6native31launch_logcumsumexp_cuda_kernelERKNSD_10TensorBaseESH_lENKUlvE_clEvENKUlvE4_clEvEUlS6_S6_E_S6_EEDaPvRmT3_T4_T5_mT6_P12ihipStream_tbENKUlT_T0_E_clISt17integral_constantIbLb1EESY_EEDaST_SU_EUlST_E0_NS1_11comp_targetILNS1_3genE9ELNS1_11target_archE1100ELNS1_3gpuE3ELNS1_3repE0EEENS1_30default_config_static_selectorELNS0_4arch9wavefront6targetE1EEEvT1_.kd
    .uniform_work_group_size: 1
    .uses_dynamic_stack: false
    .vgpr_count:     0
    .vgpr_spill_count: 0
    .wavefront_size: 64
  - .args:
      - .offset:         0
        .size:           32
        .value_kind:     by_value
    .group_segment_fixed_size: 0
    .kernarg_segment_align: 8
    .kernarg_segment_size: 32
    .language:       OpenCL C
    .language_version:
      - 2
      - 0
    .max_flat_workgroup_size: 64
    .name:           _ZN7rocprim17ROCPRIM_400000_NS6detail17trampoline_kernelINS0_14default_configENS1_20scan_config_selectorIN3c108BFloat16EEEZZNS1_9scan_implILNS1_25lookback_scan_determinismE0ELb0ELb0ES3_PKS6_PS6_S6_ZZZN2at6native31launch_logcumsumexp_cuda_kernelERKNSD_10TensorBaseESH_lENKUlvE_clEvENKUlvE4_clEvEUlS6_S6_E_S6_EEDaPvRmT3_T4_T5_mT6_P12ihipStream_tbENKUlT_T0_E_clISt17integral_constantIbLb1EESY_EEDaST_SU_EUlST_E0_NS1_11comp_targetILNS1_3genE8ELNS1_11target_archE1030ELNS1_3gpuE2ELNS1_3repE0EEENS1_30default_config_static_selectorELNS0_4arch9wavefront6targetE1EEEvT1_
    .private_segment_fixed_size: 0
    .sgpr_count:     4
    .sgpr_spill_count: 0
    .symbol:         _ZN7rocprim17ROCPRIM_400000_NS6detail17trampoline_kernelINS0_14default_configENS1_20scan_config_selectorIN3c108BFloat16EEEZZNS1_9scan_implILNS1_25lookback_scan_determinismE0ELb0ELb0ES3_PKS6_PS6_S6_ZZZN2at6native31launch_logcumsumexp_cuda_kernelERKNSD_10TensorBaseESH_lENKUlvE_clEvENKUlvE4_clEvEUlS6_S6_E_S6_EEDaPvRmT3_T4_T5_mT6_P12ihipStream_tbENKUlT_T0_E_clISt17integral_constantIbLb1EESY_EEDaST_SU_EUlST_E0_NS1_11comp_targetILNS1_3genE8ELNS1_11target_archE1030ELNS1_3gpuE2ELNS1_3repE0EEENS1_30default_config_static_selectorELNS0_4arch9wavefront6targetE1EEEvT1_.kd
    .uniform_work_group_size: 1
    .uses_dynamic_stack: false
    .vgpr_count:     0
    .vgpr_spill_count: 0
    .wavefront_size: 64
  - .args:
      - .address_space:  global
        .offset:         0
        .size:           8
        .value_kind:     global_buffer
      - .offset:         8
        .size:           4
        .value_kind:     by_value
      - .offset:         12
        .size:           1
        .value_kind:     by_value
      - .offset:         16
        .size:           4
        .value_kind:     by_value
      - .address_space:  global
        .offset:         24
        .size:           8
        .value_kind:     global_buffer
      - .offset:         32
        .size:           4
        .value_kind:     hidden_block_count_x
      - .offset:         36
        .size:           4
        .value_kind:     hidden_block_count_y
      - .offset:         40
        .size:           4
        .value_kind:     hidden_block_count_z
      - .offset:         44
        .size:           2
        .value_kind:     hidden_group_size_x
      - .offset:         46
        .size:           2
        .value_kind:     hidden_group_size_y
      - .offset:         48
        .size:           2
        .value_kind:     hidden_group_size_z
      - .offset:         50
        .size:           2
        .value_kind:     hidden_remainder_x
      - .offset:         52
        .size:           2
        .value_kind:     hidden_remainder_y
      - .offset:         54
        .size:           2
        .value_kind:     hidden_remainder_z
      - .offset:         72
        .size:           8
        .value_kind:     hidden_global_offset_x
      - .offset:         80
        .size:           8
        .value_kind:     hidden_global_offset_y
      - .offset:         88
        .size:           8
        .value_kind:     hidden_global_offset_z
      - .offset:         96
        .size:           2
        .value_kind:     hidden_grid_dims
    .group_segment_fixed_size: 0
    .kernarg_segment_align: 8
    .kernarg_segment_size: 288
    .language:       OpenCL C
    .language_version:
      - 2
      - 0
    .max_flat_workgroup_size: 256
    .name:           _ZN7rocprim17ROCPRIM_400000_NS6detail31init_lookback_scan_state_kernelINS1_19lookback_scan_stateIN3c108BFloat16ELb1ELb1EEENS1_16block_id_wrapperIjLb0EEEEEvT_jT0_jPNS9_10value_typeE
    .private_segment_fixed_size: 0
    .sgpr_count:     16
    .sgpr_spill_count: 0
    .symbol:         _ZN7rocprim17ROCPRIM_400000_NS6detail31init_lookback_scan_state_kernelINS1_19lookback_scan_stateIN3c108BFloat16ELb1ELb1EEENS1_16block_id_wrapperIjLb0EEEEEvT_jT0_jPNS9_10value_typeE.kd
    .uniform_work_group_size: 1
    .uses_dynamic_stack: false
    .vgpr_count:     5
    .vgpr_spill_count: 0
    .wavefront_size: 64
  - .args:
      - .offset:         0
        .size:           96
        .value_kind:     by_value
    .group_segment_fixed_size: 0
    .kernarg_segment_align: 8
    .kernarg_segment_size: 96
    .language:       OpenCL C
    .language_version:
      - 2
      - 0
    .max_flat_workgroup_size: 128
    .name:           _ZN7rocprim17ROCPRIM_400000_NS6detail17trampoline_kernelINS0_14default_configENS1_20scan_config_selectorIN3c108BFloat16EEEZZNS1_9scan_implILNS1_25lookback_scan_determinismE0ELb0ELb0ES3_PKS6_PS6_S6_ZZZN2at6native31launch_logcumsumexp_cuda_kernelERKNSD_10TensorBaseESH_lENKUlvE_clEvENKUlvE4_clEvEUlS6_S6_E_S6_EEDaPvRmT3_T4_T5_mT6_P12ihipStream_tbENKUlT_T0_E_clISt17integral_constantIbLb1EESX_IbLb0EEEEDaST_SU_EUlST_E_NS1_11comp_targetILNS1_3genE0ELNS1_11target_archE4294967295ELNS1_3gpuE0ELNS1_3repE0EEENS1_30default_config_static_selectorELNS0_4arch9wavefront6targetE1EEEvT1_
    .private_segment_fixed_size: 0
    .sgpr_count:     4
    .sgpr_spill_count: 0
    .symbol:         _ZN7rocprim17ROCPRIM_400000_NS6detail17trampoline_kernelINS0_14default_configENS1_20scan_config_selectorIN3c108BFloat16EEEZZNS1_9scan_implILNS1_25lookback_scan_determinismE0ELb0ELb0ES3_PKS6_PS6_S6_ZZZN2at6native31launch_logcumsumexp_cuda_kernelERKNSD_10TensorBaseESH_lENKUlvE_clEvENKUlvE4_clEvEUlS6_S6_E_S6_EEDaPvRmT3_T4_T5_mT6_P12ihipStream_tbENKUlT_T0_E_clISt17integral_constantIbLb1EESX_IbLb0EEEEDaST_SU_EUlST_E_NS1_11comp_targetILNS1_3genE0ELNS1_11target_archE4294967295ELNS1_3gpuE0ELNS1_3repE0EEENS1_30default_config_static_selectorELNS0_4arch9wavefront6targetE1EEEvT1_.kd
    .uniform_work_group_size: 1
    .uses_dynamic_stack: false
    .vgpr_count:     0
    .vgpr_spill_count: 0
    .wavefront_size: 64
  - .args:
      - .offset:         0
        .size:           96
        .value_kind:     by_value
    .group_segment_fixed_size: 0
    .kernarg_segment_align: 8
    .kernarg_segment_size: 96
    .language:       OpenCL C
    .language_version:
      - 2
      - 0
    .max_flat_workgroup_size: 256
    .name:           _ZN7rocprim17ROCPRIM_400000_NS6detail17trampoline_kernelINS0_14default_configENS1_20scan_config_selectorIN3c108BFloat16EEEZZNS1_9scan_implILNS1_25lookback_scan_determinismE0ELb0ELb0ES3_PKS6_PS6_S6_ZZZN2at6native31launch_logcumsumexp_cuda_kernelERKNSD_10TensorBaseESH_lENKUlvE_clEvENKUlvE4_clEvEUlS6_S6_E_S6_EEDaPvRmT3_T4_T5_mT6_P12ihipStream_tbENKUlT_T0_E_clISt17integral_constantIbLb1EESX_IbLb0EEEEDaST_SU_EUlST_E_NS1_11comp_targetILNS1_3genE5ELNS1_11target_archE942ELNS1_3gpuE9ELNS1_3repE0EEENS1_30default_config_static_selectorELNS0_4arch9wavefront6targetE1EEEvT1_
    .private_segment_fixed_size: 0
    .sgpr_count:     4
    .sgpr_spill_count: 0
    .symbol:         _ZN7rocprim17ROCPRIM_400000_NS6detail17trampoline_kernelINS0_14default_configENS1_20scan_config_selectorIN3c108BFloat16EEEZZNS1_9scan_implILNS1_25lookback_scan_determinismE0ELb0ELb0ES3_PKS6_PS6_S6_ZZZN2at6native31launch_logcumsumexp_cuda_kernelERKNSD_10TensorBaseESH_lENKUlvE_clEvENKUlvE4_clEvEUlS6_S6_E_S6_EEDaPvRmT3_T4_T5_mT6_P12ihipStream_tbENKUlT_T0_E_clISt17integral_constantIbLb1EESX_IbLb0EEEEDaST_SU_EUlST_E_NS1_11comp_targetILNS1_3genE5ELNS1_11target_archE942ELNS1_3gpuE9ELNS1_3repE0EEENS1_30default_config_static_selectorELNS0_4arch9wavefront6targetE1EEEvT1_.kd
    .uniform_work_group_size: 1
    .uses_dynamic_stack: false
    .vgpr_count:     0
    .vgpr_spill_count: 0
    .wavefront_size: 64
  - .args:
      - .offset:         0
        .size:           96
        .value_kind:     by_value
    .group_segment_fixed_size: 0
    .kernarg_segment_align: 8
    .kernarg_segment_size: 96
    .language:       OpenCL C
    .language_version:
      - 2
      - 0
    .max_flat_workgroup_size: 64
    .name:           _ZN7rocprim17ROCPRIM_400000_NS6detail17trampoline_kernelINS0_14default_configENS1_20scan_config_selectorIN3c108BFloat16EEEZZNS1_9scan_implILNS1_25lookback_scan_determinismE0ELb0ELb0ES3_PKS6_PS6_S6_ZZZN2at6native31launch_logcumsumexp_cuda_kernelERKNSD_10TensorBaseESH_lENKUlvE_clEvENKUlvE4_clEvEUlS6_S6_E_S6_EEDaPvRmT3_T4_T5_mT6_P12ihipStream_tbENKUlT_T0_E_clISt17integral_constantIbLb1EESX_IbLb0EEEEDaST_SU_EUlST_E_NS1_11comp_targetILNS1_3genE4ELNS1_11target_archE910ELNS1_3gpuE8ELNS1_3repE0EEENS1_30default_config_static_selectorELNS0_4arch9wavefront6targetE1EEEvT1_
    .private_segment_fixed_size: 0
    .sgpr_count:     4
    .sgpr_spill_count: 0
    .symbol:         _ZN7rocprim17ROCPRIM_400000_NS6detail17trampoline_kernelINS0_14default_configENS1_20scan_config_selectorIN3c108BFloat16EEEZZNS1_9scan_implILNS1_25lookback_scan_determinismE0ELb0ELb0ES3_PKS6_PS6_S6_ZZZN2at6native31launch_logcumsumexp_cuda_kernelERKNSD_10TensorBaseESH_lENKUlvE_clEvENKUlvE4_clEvEUlS6_S6_E_S6_EEDaPvRmT3_T4_T5_mT6_P12ihipStream_tbENKUlT_T0_E_clISt17integral_constantIbLb1EESX_IbLb0EEEEDaST_SU_EUlST_E_NS1_11comp_targetILNS1_3genE4ELNS1_11target_archE910ELNS1_3gpuE8ELNS1_3repE0EEENS1_30default_config_static_selectorELNS0_4arch9wavefront6targetE1EEEvT1_.kd
    .uniform_work_group_size: 1
    .uses_dynamic_stack: false
    .vgpr_count:     0
    .vgpr_spill_count: 0
    .wavefront_size: 64
  - .args:
      - .offset:         0
        .size:           96
        .value_kind:     by_value
    .group_segment_fixed_size: 0
    .kernarg_segment_align: 8
    .kernarg_segment_size: 96
    .language:       OpenCL C
    .language_version:
      - 2
      - 0
    .max_flat_workgroup_size: 128
    .name:           _ZN7rocprim17ROCPRIM_400000_NS6detail17trampoline_kernelINS0_14default_configENS1_20scan_config_selectorIN3c108BFloat16EEEZZNS1_9scan_implILNS1_25lookback_scan_determinismE0ELb0ELb0ES3_PKS6_PS6_S6_ZZZN2at6native31launch_logcumsumexp_cuda_kernelERKNSD_10TensorBaseESH_lENKUlvE_clEvENKUlvE4_clEvEUlS6_S6_E_S6_EEDaPvRmT3_T4_T5_mT6_P12ihipStream_tbENKUlT_T0_E_clISt17integral_constantIbLb1EESX_IbLb0EEEEDaST_SU_EUlST_E_NS1_11comp_targetILNS1_3genE3ELNS1_11target_archE908ELNS1_3gpuE7ELNS1_3repE0EEENS1_30default_config_static_selectorELNS0_4arch9wavefront6targetE1EEEvT1_
    .private_segment_fixed_size: 0
    .sgpr_count:     4
    .sgpr_spill_count: 0
    .symbol:         _ZN7rocprim17ROCPRIM_400000_NS6detail17trampoline_kernelINS0_14default_configENS1_20scan_config_selectorIN3c108BFloat16EEEZZNS1_9scan_implILNS1_25lookback_scan_determinismE0ELb0ELb0ES3_PKS6_PS6_S6_ZZZN2at6native31launch_logcumsumexp_cuda_kernelERKNSD_10TensorBaseESH_lENKUlvE_clEvENKUlvE4_clEvEUlS6_S6_E_S6_EEDaPvRmT3_T4_T5_mT6_P12ihipStream_tbENKUlT_T0_E_clISt17integral_constantIbLb1EESX_IbLb0EEEEDaST_SU_EUlST_E_NS1_11comp_targetILNS1_3genE3ELNS1_11target_archE908ELNS1_3gpuE7ELNS1_3repE0EEENS1_30default_config_static_selectorELNS0_4arch9wavefront6targetE1EEEvT1_.kd
    .uniform_work_group_size: 1
    .uses_dynamic_stack: false
    .vgpr_count:     0
    .vgpr_spill_count: 0
    .wavefront_size: 64
  - .args:
      - .offset:         0
        .size:           96
        .value_kind:     by_value
    .group_segment_fixed_size: 0
    .kernarg_segment_align: 8
    .kernarg_segment_size: 96
    .language:       OpenCL C
    .language_version:
      - 2
      - 0
    .max_flat_workgroup_size: 256
    .name:           _ZN7rocprim17ROCPRIM_400000_NS6detail17trampoline_kernelINS0_14default_configENS1_20scan_config_selectorIN3c108BFloat16EEEZZNS1_9scan_implILNS1_25lookback_scan_determinismE0ELb0ELb0ES3_PKS6_PS6_S6_ZZZN2at6native31launch_logcumsumexp_cuda_kernelERKNSD_10TensorBaseESH_lENKUlvE_clEvENKUlvE4_clEvEUlS6_S6_E_S6_EEDaPvRmT3_T4_T5_mT6_P12ihipStream_tbENKUlT_T0_E_clISt17integral_constantIbLb1EESX_IbLb0EEEEDaST_SU_EUlST_E_NS1_11comp_targetILNS1_3genE2ELNS1_11target_archE906ELNS1_3gpuE6ELNS1_3repE0EEENS1_30default_config_static_selectorELNS0_4arch9wavefront6targetE1EEEvT1_
    .private_segment_fixed_size: 0
    .sgpr_count:     4
    .sgpr_spill_count: 0
    .symbol:         _ZN7rocprim17ROCPRIM_400000_NS6detail17trampoline_kernelINS0_14default_configENS1_20scan_config_selectorIN3c108BFloat16EEEZZNS1_9scan_implILNS1_25lookback_scan_determinismE0ELb0ELb0ES3_PKS6_PS6_S6_ZZZN2at6native31launch_logcumsumexp_cuda_kernelERKNSD_10TensorBaseESH_lENKUlvE_clEvENKUlvE4_clEvEUlS6_S6_E_S6_EEDaPvRmT3_T4_T5_mT6_P12ihipStream_tbENKUlT_T0_E_clISt17integral_constantIbLb1EESX_IbLb0EEEEDaST_SU_EUlST_E_NS1_11comp_targetILNS1_3genE2ELNS1_11target_archE906ELNS1_3gpuE6ELNS1_3repE0EEENS1_30default_config_static_selectorELNS0_4arch9wavefront6targetE1EEEvT1_.kd
    .uniform_work_group_size: 1
    .uses_dynamic_stack: false
    .vgpr_count:     0
    .vgpr_spill_count: 0
    .wavefront_size: 64
  - .args:
      - .offset:         0
        .size:           96
        .value_kind:     by_value
    .group_segment_fixed_size: 0
    .kernarg_segment_align: 8
    .kernarg_segment_size: 96
    .language:       OpenCL C
    .language_version:
      - 2
      - 0
    .max_flat_workgroup_size: 256
    .name:           _ZN7rocprim17ROCPRIM_400000_NS6detail17trampoline_kernelINS0_14default_configENS1_20scan_config_selectorIN3c108BFloat16EEEZZNS1_9scan_implILNS1_25lookback_scan_determinismE0ELb0ELb0ES3_PKS6_PS6_S6_ZZZN2at6native31launch_logcumsumexp_cuda_kernelERKNSD_10TensorBaseESH_lENKUlvE_clEvENKUlvE4_clEvEUlS6_S6_E_S6_EEDaPvRmT3_T4_T5_mT6_P12ihipStream_tbENKUlT_T0_E_clISt17integral_constantIbLb1EESX_IbLb0EEEEDaST_SU_EUlST_E_NS1_11comp_targetILNS1_3genE10ELNS1_11target_archE1201ELNS1_3gpuE5ELNS1_3repE0EEENS1_30default_config_static_selectorELNS0_4arch9wavefront6targetE1EEEvT1_
    .private_segment_fixed_size: 0
    .sgpr_count:     4
    .sgpr_spill_count: 0
    .symbol:         _ZN7rocprim17ROCPRIM_400000_NS6detail17trampoline_kernelINS0_14default_configENS1_20scan_config_selectorIN3c108BFloat16EEEZZNS1_9scan_implILNS1_25lookback_scan_determinismE0ELb0ELb0ES3_PKS6_PS6_S6_ZZZN2at6native31launch_logcumsumexp_cuda_kernelERKNSD_10TensorBaseESH_lENKUlvE_clEvENKUlvE4_clEvEUlS6_S6_E_S6_EEDaPvRmT3_T4_T5_mT6_P12ihipStream_tbENKUlT_T0_E_clISt17integral_constantIbLb1EESX_IbLb0EEEEDaST_SU_EUlST_E_NS1_11comp_targetILNS1_3genE10ELNS1_11target_archE1201ELNS1_3gpuE5ELNS1_3repE0EEENS1_30default_config_static_selectorELNS0_4arch9wavefront6targetE1EEEvT1_.kd
    .uniform_work_group_size: 1
    .uses_dynamic_stack: false
    .vgpr_count:     0
    .vgpr_spill_count: 0
    .wavefront_size: 64
  - .args:
      - .offset:         0
        .size:           96
        .value_kind:     by_value
    .group_segment_fixed_size: 0
    .kernarg_segment_align: 8
    .kernarg_segment_size: 96
    .language:       OpenCL C
    .language_version:
      - 2
      - 0
    .max_flat_workgroup_size: 256
    .name:           _ZN7rocprim17ROCPRIM_400000_NS6detail17trampoline_kernelINS0_14default_configENS1_20scan_config_selectorIN3c108BFloat16EEEZZNS1_9scan_implILNS1_25lookback_scan_determinismE0ELb0ELb0ES3_PKS6_PS6_S6_ZZZN2at6native31launch_logcumsumexp_cuda_kernelERKNSD_10TensorBaseESH_lENKUlvE_clEvENKUlvE4_clEvEUlS6_S6_E_S6_EEDaPvRmT3_T4_T5_mT6_P12ihipStream_tbENKUlT_T0_E_clISt17integral_constantIbLb1EESX_IbLb0EEEEDaST_SU_EUlST_E_NS1_11comp_targetILNS1_3genE10ELNS1_11target_archE1200ELNS1_3gpuE4ELNS1_3repE0EEENS1_30default_config_static_selectorELNS0_4arch9wavefront6targetE1EEEvT1_
    .private_segment_fixed_size: 0
    .sgpr_count:     4
    .sgpr_spill_count: 0
    .symbol:         _ZN7rocprim17ROCPRIM_400000_NS6detail17trampoline_kernelINS0_14default_configENS1_20scan_config_selectorIN3c108BFloat16EEEZZNS1_9scan_implILNS1_25lookback_scan_determinismE0ELb0ELb0ES3_PKS6_PS6_S6_ZZZN2at6native31launch_logcumsumexp_cuda_kernelERKNSD_10TensorBaseESH_lENKUlvE_clEvENKUlvE4_clEvEUlS6_S6_E_S6_EEDaPvRmT3_T4_T5_mT6_P12ihipStream_tbENKUlT_T0_E_clISt17integral_constantIbLb1EESX_IbLb0EEEEDaST_SU_EUlST_E_NS1_11comp_targetILNS1_3genE10ELNS1_11target_archE1200ELNS1_3gpuE4ELNS1_3repE0EEENS1_30default_config_static_selectorELNS0_4arch9wavefront6targetE1EEEvT1_.kd
    .uniform_work_group_size: 1
    .uses_dynamic_stack: false
    .vgpr_count:     0
    .vgpr_spill_count: 0
    .wavefront_size: 64
  - .args:
      - .offset:         0
        .size:           96
        .value_kind:     by_value
    .group_segment_fixed_size: 0
    .kernarg_segment_align: 8
    .kernarg_segment_size: 96
    .language:       OpenCL C
    .language_version:
      - 2
      - 0
    .max_flat_workgroup_size: 64
    .name:           _ZN7rocprim17ROCPRIM_400000_NS6detail17trampoline_kernelINS0_14default_configENS1_20scan_config_selectorIN3c108BFloat16EEEZZNS1_9scan_implILNS1_25lookback_scan_determinismE0ELb0ELb0ES3_PKS6_PS6_S6_ZZZN2at6native31launch_logcumsumexp_cuda_kernelERKNSD_10TensorBaseESH_lENKUlvE_clEvENKUlvE4_clEvEUlS6_S6_E_S6_EEDaPvRmT3_T4_T5_mT6_P12ihipStream_tbENKUlT_T0_E_clISt17integral_constantIbLb1EESX_IbLb0EEEEDaST_SU_EUlST_E_NS1_11comp_targetILNS1_3genE9ELNS1_11target_archE1100ELNS1_3gpuE3ELNS1_3repE0EEENS1_30default_config_static_selectorELNS0_4arch9wavefront6targetE1EEEvT1_
    .private_segment_fixed_size: 0
    .sgpr_count:     4
    .sgpr_spill_count: 0
    .symbol:         _ZN7rocprim17ROCPRIM_400000_NS6detail17trampoline_kernelINS0_14default_configENS1_20scan_config_selectorIN3c108BFloat16EEEZZNS1_9scan_implILNS1_25lookback_scan_determinismE0ELb0ELb0ES3_PKS6_PS6_S6_ZZZN2at6native31launch_logcumsumexp_cuda_kernelERKNSD_10TensorBaseESH_lENKUlvE_clEvENKUlvE4_clEvEUlS6_S6_E_S6_EEDaPvRmT3_T4_T5_mT6_P12ihipStream_tbENKUlT_T0_E_clISt17integral_constantIbLb1EESX_IbLb0EEEEDaST_SU_EUlST_E_NS1_11comp_targetILNS1_3genE9ELNS1_11target_archE1100ELNS1_3gpuE3ELNS1_3repE0EEENS1_30default_config_static_selectorELNS0_4arch9wavefront6targetE1EEEvT1_.kd
    .uniform_work_group_size: 1
    .uses_dynamic_stack: false
    .vgpr_count:     0
    .vgpr_spill_count: 0
    .wavefront_size: 64
  - .args:
      - .offset:         0
        .size:           96
        .value_kind:     by_value
    .group_segment_fixed_size: 0
    .kernarg_segment_align: 8
    .kernarg_segment_size: 96
    .language:       OpenCL C
    .language_version:
      - 2
      - 0
    .max_flat_workgroup_size: 64
    .name:           _ZN7rocprim17ROCPRIM_400000_NS6detail17trampoline_kernelINS0_14default_configENS1_20scan_config_selectorIN3c108BFloat16EEEZZNS1_9scan_implILNS1_25lookback_scan_determinismE0ELb0ELb0ES3_PKS6_PS6_S6_ZZZN2at6native31launch_logcumsumexp_cuda_kernelERKNSD_10TensorBaseESH_lENKUlvE_clEvENKUlvE4_clEvEUlS6_S6_E_S6_EEDaPvRmT3_T4_T5_mT6_P12ihipStream_tbENKUlT_T0_E_clISt17integral_constantIbLb1EESX_IbLb0EEEEDaST_SU_EUlST_E_NS1_11comp_targetILNS1_3genE8ELNS1_11target_archE1030ELNS1_3gpuE2ELNS1_3repE0EEENS1_30default_config_static_selectorELNS0_4arch9wavefront6targetE1EEEvT1_
    .private_segment_fixed_size: 0
    .sgpr_count:     4
    .sgpr_spill_count: 0
    .symbol:         _ZN7rocprim17ROCPRIM_400000_NS6detail17trampoline_kernelINS0_14default_configENS1_20scan_config_selectorIN3c108BFloat16EEEZZNS1_9scan_implILNS1_25lookback_scan_determinismE0ELb0ELb0ES3_PKS6_PS6_S6_ZZZN2at6native31launch_logcumsumexp_cuda_kernelERKNSD_10TensorBaseESH_lENKUlvE_clEvENKUlvE4_clEvEUlS6_S6_E_S6_EEDaPvRmT3_T4_T5_mT6_P12ihipStream_tbENKUlT_T0_E_clISt17integral_constantIbLb1EESX_IbLb0EEEEDaST_SU_EUlST_E_NS1_11comp_targetILNS1_3genE8ELNS1_11target_archE1030ELNS1_3gpuE2ELNS1_3repE0EEENS1_30default_config_static_selectorELNS0_4arch9wavefront6targetE1EEEvT1_.kd
    .uniform_work_group_size: 1
    .uses_dynamic_stack: false
    .vgpr_count:     0
    .vgpr_spill_count: 0
    .wavefront_size: 64
  - .args:
      - .offset:         0
        .size:           32
        .value_kind:     by_value
    .group_segment_fixed_size: 0
    .kernarg_segment_align: 8
    .kernarg_segment_size: 32
    .language:       OpenCL C
    .language_version:
      - 2
      - 0
    .max_flat_workgroup_size: 128
    .name:           _ZN7rocprim17ROCPRIM_400000_NS6detail17trampoline_kernelINS0_14default_configENS1_20scan_config_selectorIN3c108BFloat16EEEZZNS1_9scan_implILNS1_25lookback_scan_determinismE0ELb0ELb0ES3_PKS6_PS6_S6_ZZZN2at6native31launch_logcumsumexp_cuda_kernelERKNSD_10TensorBaseESH_lENKUlvE_clEvENKUlvE4_clEvEUlS6_S6_E_S6_EEDaPvRmT3_T4_T5_mT6_P12ihipStream_tbENKUlT_T0_E_clISt17integral_constantIbLb1EESX_IbLb0EEEEDaST_SU_EUlST_E0_NS1_11comp_targetILNS1_3genE0ELNS1_11target_archE4294967295ELNS1_3gpuE0ELNS1_3repE0EEENS1_30default_config_static_selectorELNS0_4arch9wavefront6targetE1EEEvT1_
    .private_segment_fixed_size: 0
    .sgpr_count:     4
    .sgpr_spill_count: 0
    .symbol:         _ZN7rocprim17ROCPRIM_400000_NS6detail17trampoline_kernelINS0_14default_configENS1_20scan_config_selectorIN3c108BFloat16EEEZZNS1_9scan_implILNS1_25lookback_scan_determinismE0ELb0ELb0ES3_PKS6_PS6_S6_ZZZN2at6native31launch_logcumsumexp_cuda_kernelERKNSD_10TensorBaseESH_lENKUlvE_clEvENKUlvE4_clEvEUlS6_S6_E_S6_EEDaPvRmT3_T4_T5_mT6_P12ihipStream_tbENKUlT_T0_E_clISt17integral_constantIbLb1EESX_IbLb0EEEEDaST_SU_EUlST_E0_NS1_11comp_targetILNS1_3genE0ELNS1_11target_archE4294967295ELNS1_3gpuE0ELNS1_3repE0EEENS1_30default_config_static_selectorELNS0_4arch9wavefront6targetE1EEEvT1_.kd
    .uniform_work_group_size: 1
    .uses_dynamic_stack: false
    .vgpr_count:     0
    .vgpr_spill_count: 0
    .wavefront_size: 64
  - .args:
      - .offset:         0
        .size:           32
        .value_kind:     by_value
    .group_segment_fixed_size: 0
    .kernarg_segment_align: 8
    .kernarg_segment_size: 32
    .language:       OpenCL C
    .language_version:
      - 2
      - 0
    .max_flat_workgroup_size: 256
    .name:           _ZN7rocprim17ROCPRIM_400000_NS6detail17trampoline_kernelINS0_14default_configENS1_20scan_config_selectorIN3c108BFloat16EEEZZNS1_9scan_implILNS1_25lookback_scan_determinismE0ELb0ELb0ES3_PKS6_PS6_S6_ZZZN2at6native31launch_logcumsumexp_cuda_kernelERKNSD_10TensorBaseESH_lENKUlvE_clEvENKUlvE4_clEvEUlS6_S6_E_S6_EEDaPvRmT3_T4_T5_mT6_P12ihipStream_tbENKUlT_T0_E_clISt17integral_constantIbLb1EESX_IbLb0EEEEDaST_SU_EUlST_E0_NS1_11comp_targetILNS1_3genE5ELNS1_11target_archE942ELNS1_3gpuE9ELNS1_3repE0EEENS1_30default_config_static_selectorELNS0_4arch9wavefront6targetE1EEEvT1_
    .private_segment_fixed_size: 0
    .sgpr_count:     4
    .sgpr_spill_count: 0
    .symbol:         _ZN7rocprim17ROCPRIM_400000_NS6detail17trampoline_kernelINS0_14default_configENS1_20scan_config_selectorIN3c108BFloat16EEEZZNS1_9scan_implILNS1_25lookback_scan_determinismE0ELb0ELb0ES3_PKS6_PS6_S6_ZZZN2at6native31launch_logcumsumexp_cuda_kernelERKNSD_10TensorBaseESH_lENKUlvE_clEvENKUlvE4_clEvEUlS6_S6_E_S6_EEDaPvRmT3_T4_T5_mT6_P12ihipStream_tbENKUlT_T0_E_clISt17integral_constantIbLb1EESX_IbLb0EEEEDaST_SU_EUlST_E0_NS1_11comp_targetILNS1_3genE5ELNS1_11target_archE942ELNS1_3gpuE9ELNS1_3repE0EEENS1_30default_config_static_selectorELNS0_4arch9wavefront6targetE1EEEvT1_.kd
    .uniform_work_group_size: 1
    .uses_dynamic_stack: false
    .vgpr_count:     0
    .vgpr_spill_count: 0
    .wavefront_size: 64
  - .args:
      - .offset:         0
        .size:           32
        .value_kind:     by_value
    .group_segment_fixed_size: 0
    .kernarg_segment_align: 8
    .kernarg_segment_size: 32
    .language:       OpenCL C
    .language_version:
      - 2
      - 0
    .max_flat_workgroup_size: 64
    .name:           _ZN7rocprim17ROCPRIM_400000_NS6detail17trampoline_kernelINS0_14default_configENS1_20scan_config_selectorIN3c108BFloat16EEEZZNS1_9scan_implILNS1_25lookback_scan_determinismE0ELb0ELb0ES3_PKS6_PS6_S6_ZZZN2at6native31launch_logcumsumexp_cuda_kernelERKNSD_10TensorBaseESH_lENKUlvE_clEvENKUlvE4_clEvEUlS6_S6_E_S6_EEDaPvRmT3_T4_T5_mT6_P12ihipStream_tbENKUlT_T0_E_clISt17integral_constantIbLb1EESX_IbLb0EEEEDaST_SU_EUlST_E0_NS1_11comp_targetILNS1_3genE4ELNS1_11target_archE910ELNS1_3gpuE8ELNS1_3repE0EEENS1_30default_config_static_selectorELNS0_4arch9wavefront6targetE1EEEvT1_
    .private_segment_fixed_size: 0
    .sgpr_count:     4
    .sgpr_spill_count: 0
    .symbol:         _ZN7rocprim17ROCPRIM_400000_NS6detail17trampoline_kernelINS0_14default_configENS1_20scan_config_selectorIN3c108BFloat16EEEZZNS1_9scan_implILNS1_25lookback_scan_determinismE0ELb0ELb0ES3_PKS6_PS6_S6_ZZZN2at6native31launch_logcumsumexp_cuda_kernelERKNSD_10TensorBaseESH_lENKUlvE_clEvENKUlvE4_clEvEUlS6_S6_E_S6_EEDaPvRmT3_T4_T5_mT6_P12ihipStream_tbENKUlT_T0_E_clISt17integral_constantIbLb1EESX_IbLb0EEEEDaST_SU_EUlST_E0_NS1_11comp_targetILNS1_3genE4ELNS1_11target_archE910ELNS1_3gpuE8ELNS1_3repE0EEENS1_30default_config_static_selectorELNS0_4arch9wavefront6targetE1EEEvT1_.kd
    .uniform_work_group_size: 1
    .uses_dynamic_stack: false
    .vgpr_count:     0
    .vgpr_spill_count: 0
    .wavefront_size: 64
  - .args:
      - .offset:         0
        .size:           32
        .value_kind:     by_value
    .group_segment_fixed_size: 0
    .kernarg_segment_align: 8
    .kernarg_segment_size: 32
    .language:       OpenCL C
    .language_version:
      - 2
      - 0
    .max_flat_workgroup_size: 128
    .name:           _ZN7rocprim17ROCPRIM_400000_NS6detail17trampoline_kernelINS0_14default_configENS1_20scan_config_selectorIN3c108BFloat16EEEZZNS1_9scan_implILNS1_25lookback_scan_determinismE0ELb0ELb0ES3_PKS6_PS6_S6_ZZZN2at6native31launch_logcumsumexp_cuda_kernelERKNSD_10TensorBaseESH_lENKUlvE_clEvENKUlvE4_clEvEUlS6_S6_E_S6_EEDaPvRmT3_T4_T5_mT6_P12ihipStream_tbENKUlT_T0_E_clISt17integral_constantIbLb1EESX_IbLb0EEEEDaST_SU_EUlST_E0_NS1_11comp_targetILNS1_3genE3ELNS1_11target_archE908ELNS1_3gpuE7ELNS1_3repE0EEENS1_30default_config_static_selectorELNS0_4arch9wavefront6targetE1EEEvT1_
    .private_segment_fixed_size: 0
    .sgpr_count:     4
    .sgpr_spill_count: 0
    .symbol:         _ZN7rocprim17ROCPRIM_400000_NS6detail17trampoline_kernelINS0_14default_configENS1_20scan_config_selectorIN3c108BFloat16EEEZZNS1_9scan_implILNS1_25lookback_scan_determinismE0ELb0ELb0ES3_PKS6_PS6_S6_ZZZN2at6native31launch_logcumsumexp_cuda_kernelERKNSD_10TensorBaseESH_lENKUlvE_clEvENKUlvE4_clEvEUlS6_S6_E_S6_EEDaPvRmT3_T4_T5_mT6_P12ihipStream_tbENKUlT_T0_E_clISt17integral_constantIbLb1EESX_IbLb0EEEEDaST_SU_EUlST_E0_NS1_11comp_targetILNS1_3genE3ELNS1_11target_archE908ELNS1_3gpuE7ELNS1_3repE0EEENS1_30default_config_static_selectorELNS0_4arch9wavefront6targetE1EEEvT1_.kd
    .uniform_work_group_size: 1
    .uses_dynamic_stack: false
    .vgpr_count:     0
    .vgpr_spill_count: 0
    .wavefront_size: 64
  - .args:
      - .offset:         0
        .size:           32
        .value_kind:     by_value
    .group_segment_fixed_size: 12288
    .kernarg_segment_align: 8
    .kernarg_segment_size: 32
    .language:       OpenCL C
    .language_version:
      - 2
      - 0
    .max_flat_workgroup_size: 256
    .name:           _ZN7rocprim17ROCPRIM_400000_NS6detail17trampoline_kernelINS0_14default_configENS1_20scan_config_selectorIN3c108BFloat16EEEZZNS1_9scan_implILNS1_25lookback_scan_determinismE0ELb0ELb0ES3_PKS6_PS6_S6_ZZZN2at6native31launch_logcumsumexp_cuda_kernelERKNSD_10TensorBaseESH_lENKUlvE_clEvENKUlvE4_clEvEUlS6_S6_E_S6_EEDaPvRmT3_T4_T5_mT6_P12ihipStream_tbENKUlT_T0_E_clISt17integral_constantIbLb1EESX_IbLb0EEEEDaST_SU_EUlST_E0_NS1_11comp_targetILNS1_3genE2ELNS1_11target_archE906ELNS1_3gpuE6ELNS1_3repE0EEENS1_30default_config_static_selectorELNS0_4arch9wavefront6targetE1EEEvT1_
    .private_segment_fixed_size: 0
    .sgpr_count:     100
    .sgpr_spill_count: 14
    .symbol:         _ZN7rocprim17ROCPRIM_400000_NS6detail17trampoline_kernelINS0_14default_configENS1_20scan_config_selectorIN3c108BFloat16EEEZZNS1_9scan_implILNS1_25lookback_scan_determinismE0ELb0ELb0ES3_PKS6_PS6_S6_ZZZN2at6native31launch_logcumsumexp_cuda_kernelERKNSD_10TensorBaseESH_lENKUlvE_clEvENKUlvE4_clEvEUlS6_S6_E_S6_EEDaPvRmT3_T4_T5_mT6_P12ihipStream_tbENKUlT_T0_E_clISt17integral_constantIbLb1EESX_IbLb0EEEEDaST_SU_EUlST_E0_NS1_11comp_targetILNS1_3genE2ELNS1_11target_archE906ELNS1_3gpuE6ELNS1_3repE0EEENS1_30default_config_static_selectorELNS0_4arch9wavefront6targetE1EEEvT1_.kd
    .uniform_work_group_size: 1
    .uses_dynamic_stack: false
    .vgpr_count:     74
    .vgpr_spill_count: 0
    .wavefront_size: 64
  - .args:
      - .offset:         0
        .size:           32
        .value_kind:     by_value
    .group_segment_fixed_size: 0
    .kernarg_segment_align: 8
    .kernarg_segment_size: 32
    .language:       OpenCL C
    .language_version:
      - 2
      - 0
    .max_flat_workgroup_size: 256
    .name:           _ZN7rocprim17ROCPRIM_400000_NS6detail17trampoline_kernelINS0_14default_configENS1_20scan_config_selectorIN3c108BFloat16EEEZZNS1_9scan_implILNS1_25lookback_scan_determinismE0ELb0ELb0ES3_PKS6_PS6_S6_ZZZN2at6native31launch_logcumsumexp_cuda_kernelERKNSD_10TensorBaseESH_lENKUlvE_clEvENKUlvE4_clEvEUlS6_S6_E_S6_EEDaPvRmT3_T4_T5_mT6_P12ihipStream_tbENKUlT_T0_E_clISt17integral_constantIbLb1EESX_IbLb0EEEEDaST_SU_EUlST_E0_NS1_11comp_targetILNS1_3genE10ELNS1_11target_archE1201ELNS1_3gpuE5ELNS1_3repE0EEENS1_30default_config_static_selectorELNS0_4arch9wavefront6targetE1EEEvT1_
    .private_segment_fixed_size: 0
    .sgpr_count:     4
    .sgpr_spill_count: 0
    .symbol:         _ZN7rocprim17ROCPRIM_400000_NS6detail17trampoline_kernelINS0_14default_configENS1_20scan_config_selectorIN3c108BFloat16EEEZZNS1_9scan_implILNS1_25lookback_scan_determinismE0ELb0ELb0ES3_PKS6_PS6_S6_ZZZN2at6native31launch_logcumsumexp_cuda_kernelERKNSD_10TensorBaseESH_lENKUlvE_clEvENKUlvE4_clEvEUlS6_S6_E_S6_EEDaPvRmT3_T4_T5_mT6_P12ihipStream_tbENKUlT_T0_E_clISt17integral_constantIbLb1EESX_IbLb0EEEEDaST_SU_EUlST_E0_NS1_11comp_targetILNS1_3genE10ELNS1_11target_archE1201ELNS1_3gpuE5ELNS1_3repE0EEENS1_30default_config_static_selectorELNS0_4arch9wavefront6targetE1EEEvT1_.kd
    .uniform_work_group_size: 1
    .uses_dynamic_stack: false
    .vgpr_count:     0
    .vgpr_spill_count: 0
    .wavefront_size: 64
  - .args:
      - .offset:         0
        .size:           32
        .value_kind:     by_value
    .group_segment_fixed_size: 0
    .kernarg_segment_align: 8
    .kernarg_segment_size: 32
    .language:       OpenCL C
    .language_version:
      - 2
      - 0
    .max_flat_workgroup_size: 256
    .name:           _ZN7rocprim17ROCPRIM_400000_NS6detail17trampoline_kernelINS0_14default_configENS1_20scan_config_selectorIN3c108BFloat16EEEZZNS1_9scan_implILNS1_25lookback_scan_determinismE0ELb0ELb0ES3_PKS6_PS6_S6_ZZZN2at6native31launch_logcumsumexp_cuda_kernelERKNSD_10TensorBaseESH_lENKUlvE_clEvENKUlvE4_clEvEUlS6_S6_E_S6_EEDaPvRmT3_T4_T5_mT6_P12ihipStream_tbENKUlT_T0_E_clISt17integral_constantIbLb1EESX_IbLb0EEEEDaST_SU_EUlST_E0_NS1_11comp_targetILNS1_3genE10ELNS1_11target_archE1200ELNS1_3gpuE4ELNS1_3repE0EEENS1_30default_config_static_selectorELNS0_4arch9wavefront6targetE1EEEvT1_
    .private_segment_fixed_size: 0
    .sgpr_count:     4
    .sgpr_spill_count: 0
    .symbol:         _ZN7rocprim17ROCPRIM_400000_NS6detail17trampoline_kernelINS0_14default_configENS1_20scan_config_selectorIN3c108BFloat16EEEZZNS1_9scan_implILNS1_25lookback_scan_determinismE0ELb0ELb0ES3_PKS6_PS6_S6_ZZZN2at6native31launch_logcumsumexp_cuda_kernelERKNSD_10TensorBaseESH_lENKUlvE_clEvENKUlvE4_clEvEUlS6_S6_E_S6_EEDaPvRmT3_T4_T5_mT6_P12ihipStream_tbENKUlT_T0_E_clISt17integral_constantIbLb1EESX_IbLb0EEEEDaST_SU_EUlST_E0_NS1_11comp_targetILNS1_3genE10ELNS1_11target_archE1200ELNS1_3gpuE4ELNS1_3repE0EEENS1_30default_config_static_selectorELNS0_4arch9wavefront6targetE1EEEvT1_.kd
    .uniform_work_group_size: 1
    .uses_dynamic_stack: false
    .vgpr_count:     0
    .vgpr_spill_count: 0
    .wavefront_size: 64
  - .args:
      - .offset:         0
        .size:           32
        .value_kind:     by_value
    .group_segment_fixed_size: 0
    .kernarg_segment_align: 8
    .kernarg_segment_size: 32
    .language:       OpenCL C
    .language_version:
      - 2
      - 0
    .max_flat_workgroup_size: 64
    .name:           _ZN7rocprim17ROCPRIM_400000_NS6detail17trampoline_kernelINS0_14default_configENS1_20scan_config_selectorIN3c108BFloat16EEEZZNS1_9scan_implILNS1_25lookback_scan_determinismE0ELb0ELb0ES3_PKS6_PS6_S6_ZZZN2at6native31launch_logcumsumexp_cuda_kernelERKNSD_10TensorBaseESH_lENKUlvE_clEvENKUlvE4_clEvEUlS6_S6_E_S6_EEDaPvRmT3_T4_T5_mT6_P12ihipStream_tbENKUlT_T0_E_clISt17integral_constantIbLb1EESX_IbLb0EEEEDaST_SU_EUlST_E0_NS1_11comp_targetILNS1_3genE9ELNS1_11target_archE1100ELNS1_3gpuE3ELNS1_3repE0EEENS1_30default_config_static_selectorELNS0_4arch9wavefront6targetE1EEEvT1_
    .private_segment_fixed_size: 0
    .sgpr_count:     4
    .sgpr_spill_count: 0
    .symbol:         _ZN7rocprim17ROCPRIM_400000_NS6detail17trampoline_kernelINS0_14default_configENS1_20scan_config_selectorIN3c108BFloat16EEEZZNS1_9scan_implILNS1_25lookback_scan_determinismE0ELb0ELb0ES3_PKS6_PS6_S6_ZZZN2at6native31launch_logcumsumexp_cuda_kernelERKNSD_10TensorBaseESH_lENKUlvE_clEvENKUlvE4_clEvEUlS6_S6_E_S6_EEDaPvRmT3_T4_T5_mT6_P12ihipStream_tbENKUlT_T0_E_clISt17integral_constantIbLb1EESX_IbLb0EEEEDaST_SU_EUlST_E0_NS1_11comp_targetILNS1_3genE9ELNS1_11target_archE1100ELNS1_3gpuE3ELNS1_3repE0EEENS1_30default_config_static_selectorELNS0_4arch9wavefront6targetE1EEEvT1_.kd
    .uniform_work_group_size: 1
    .uses_dynamic_stack: false
    .vgpr_count:     0
    .vgpr_spill_count: 0
    .wavefront_size: 64
  - .args:
      - .offset:         0
        .size:           32
        .value_kind:     by_value
    .group_segment_fixed_size: 0
    .kernarg_segment_align: 8
    .kernarg_segment_size: 32
    .language:       OpenCL C
    .language_version:
      - 2
      - 0
    .max_flat_workgroup_size: 64
    .name:           _ZN7rocprim17ROCPRIM_400000_NS6detail17trampoline_kernelINS0_14default_configENS1_20scan_config_selectorIN3c108BFloat16EEEZZNS1_9scan_implILNS1_25lookback_scan_determinismE0ELb0ELb0ES3_PKS6_PS6_S6_ZZZN2at6native31launch_logcumsumexp_cuda_kernelERKNSD_10TensorBaseESH_lENKUlvE_clEvENKUlvE4_clEvEUlS6_S6_E_S6_EEDaPvRmT3_T4_T5_mT6_P12ihipStream_tbENKUlT_T0_E_clISt17integral_constantIbLb1EESX_IbLb0EEEEDaST_SU_EUlST_E0_NS1_11comp_targetILNS1_3genE8ELNS1_11target_archE1030ELNS1_3gpuE2ELNS1_3repE0EEENS1_30default_config_static_selectorELNS0_4arch9wavefront6targetE1EEEvT1_
    .private_segment_fixed_size: 0
    .sgpr_count:     4
    .sgpr_spill_count: 0
    .symbol:         _ZN7rocprim17ROCPRIM_400000_NS6detail17trampoline_kernelINS0_14default_configENS1_20scan_config_selectorIN3c108BFloat16EEEZZNS1_9scan_implILNS1_25lookback_scan_determinismE0ELb0ELb0ES3_PKS6_PS6_S6_ZZZN2at6native31launch_logcumsumexp_cuda_kernelERKNSD_10TensorBaseESH_lENKUlvE_clEvENKUlvE4_clEvEUlS6_S6_E_S6_EEDaPvRmT3_T4_T5_mT6_P12ihipStream_tbENKUlT_T0_E_clISt17integral_constantIbLb1EESX_IbLb0EEEEDaST_SU_EUlST_E0_NS1_11comp_targetILNS1_3genE8ELNS1_11target_archE1030ELNS1_3gpuE2ELNS1_3repE0EEENS1_30default_config_static_selectorELNS0_4arch9wavefront6targetE1EEEvT1_.kd
    .uniform_work_group_size: 1
    .uses_dynamic_stack: false
    .vgpr_count:     0
    .vgpr_spill_count: 0
    .wavefront_size: 64
  - .args:
      - .address_space:  global
        .offset:         0
        .size:           8
        .value_kind:     global_buffer
      - .offset:         8
        .size:           4
        .value_kind:     by_value
      - .address_space:  global
        .offset:         16
        .size:           8
        .value_kind:     global_buffer
      - .offset:         24
        .size:           4
        .value_kind:     by_value
      - .address_space:  global
        .offset:         32
        .size:           8
        .value_kind:     global_buffer
      - .offset:         40
        .size:           4
        .value_kind:     hidden_block_count_x
      - .offset:         44
        .size:           4
        .value_kind:     hidden_block_count_y
      - .offset:         48
        .size:           4
        .value_kind:     hidden_block_count_z
      - .offset:         52
        .size:           2
        .value_kind:     hidden_group_size_x
      - .offset:         54
        .size:           2
        .value_kind:     hidden_group_size_y
      - .offset:         56
        .size:           2
        .value_kind:     hidden_group_size_z
      - .offset:         58
        .size:           2
        .value_kind:     hidden_remainder_x
      - .offset:         60
        .size:           2
        .value_kind:     hidden_remainder_y
      - .offset:         62
        .size:           2
        .value_kind:     hidden_remainder_z
      - .offset:         80
        .size:           8
        .value_kind:     hidden_global_offset_x
      - .offset:         88
        .size:           8
        .value_kind:     hidden_global_offset_y
      - .offset:         96
        .size:           8
        .value_kind:     hidden_global_offset_z
      - .offset:         104
        .size:           2
        .value_kind:     hidden_grid_dims
    .group_segment_fixed_size: 0
    .kernarg_segment_align: 8
    .kernarg_segment_size: 296
    .language:       OpenCL C
    .language_version:
      - 2
      - 0
    .max_flat_workgroup_size: 256
    .name:           _ZN7rocprim17ROCPRIM_400000_NS6detail31init_lookback_scan_state_kernelINS1_19lookback_scan_stateIN3c108BFloat16ELb0ELb1EEENS1_16block_id_wrapperIjLb1EEEEEvT_jT0_jPNS9_10value_typeE
    .private_segment_fixed_size: 0
    .sgpr_count:     15
    .sgpr_spill_count: 0
    .symbol:         _ZN7rocprim17ROCPRIM_400000_NS6detail31init_lookback_scan_state_kernelINS1_19lookback_scan_stateIN3c108BFloat16ELb0ELb1EEENS1_16block_id_wrapperIjLb1EEEEEvT_jT0_jPNS9_10value_typeE.kd
    .uniform_work_group_size: 1
    .uses_dynamic_stack: false
    .vgpr_count:     5
    .vgpr_spill_count: 0
    .wavefront_size: 64
  - .args:
      - .offset:         0
        .size:           96
        .value_kind:     by_value
    .group_segment_fixed_size: 0
    .kernarg_segment_align: 8
    .kernarg_segment_size: 96
    .language:       OpenCL C
    .language_version:
      - 2
      - 0
    .max_flat_workgroup_size: 128
    .name:           _ZN7rocprim17ROCPRIM_400000_NS6detail17trampoline_kernelINS0_14default_configENS1_20scan_config_selectorIN3c108BFloat16EEEZZNS1_9scan_implILNS1_25lookback_scan_determinismE0ELb0ELb0ES3_PKS6_PS6_S6_ZZZN2at6native31launch_logcumsumexp_cuda_kernelERKNSD_10TensorBaseESH_lENKUlvE_clEvENKUlvE4_clEvEUlS6_S6_E_S6_EEDaPvRmT3_T4_T5_mT6_P12ihipStream_tbENKUlT_T0_E_clISt17integral_constantIbLb0EESX_IbLb1EEEEDaST_SU_EUlST_E_NS1_11comp_targetILNS1_3genE0ELNS1_11target_archE4294967295ELNS1_3gpuE0ELNS1_3repE0EEENS1_30default_config_static_selectorELNS0_4arch9wavefront6targetE1EEEvT1_
    .private_segment_fixed_size: 0
    .sgpr_count:     4
    .sgpr_spill_count: 0
    .symbol:         _ZN7rocprim17ROCPRIM_400000_NS6detail17trampoline_kernelINS0_14default_configENS1_20scan_config_selectorIN3c108BFloat16EEEZZNS1_9scan_implILNS1_25lookback_scan_determinismE0ELb0ELb0ES3_PKS6_PS6_S6_ZZZN2at6native31launch_logcumsumexp_cuda_kernelERKNSD_10TensorBaseESH_lENKUlvE_clEvENKUlvE4_clEvEUlS6_S6_E_S6_EEDaPvRmT3_T4_T5_mT6_P12ihipStream_tbENKUlT_T0_E_clISt17integral_constantIbLb0EESX_IbLb1EEEEDaST_SU_EUlST_E_NS1_11comp_targetILNS1_3genE0ELNS1_11target_archE4294967295ELNS1_3gpuE0ELNS1_3repE0EEENS1_30default_config_static_selectorELNS0_4arch9wavefront6targetE1EEEvT1_.kd
    .uniform_work_group_size: 1
    .uses_dynamic_stack: false
    .vgpr_count:     0
    .vgpr_spill_count: 0
    .wavefront_size: 64
  - .args:
      - .offset:         0
        .size:           96
        .value_kind:     by_value
    .group_segment_fixed_size: 0
    .kernarg_segment_align: 8
    .kernarg_segment_size: 96
    .language:       OpenCL C
    .language_version:
      - 2
      - 0
    .max_flat_workgroup_size: 256
    .name:           _ZN7rocprim17ROCPRIM_400000_NS6detail17trampoline_kernelINS0_14default_configENS1_20scan_config_selectorIN3c108BFloat16EEEZZNS1_9scan_implILNS1_25lookback_scan_determinismE0ELb0ELb0ES3_PKS6_PS6_S6_ZZZN2at6native31launch_logcumsumexp_cuda_kernelERKNSD_10TensorBaseESH_lENKUlvE_clEvENKUlvE4_clEvEUlS6_S6_E_S6_EEDaPvRmT3_T4_T5_mT6_P12ihipStream_tbENKUlT_T0_E_clISt17integral_constantIbLb0EESX_IbLb1EEEEDaST_SU_EUlST_E_NS1_11comp_targetILNS1_3genE5ELNS1_11target_archE942ELNS1_3gpuE9ELNS1_3repE0EEENS1_30default_config_static_selectorELNS0_4arch9wavefront6targetE1EEEvT1_
    .private_segment_fixed_size: 0
    .sgpr_count:     4
    .sgpr_spill_count: 0
    .symbol:         _ZN7rocprim17ROCPRIM_400000_NS6detail17trampoline_kernelINS0_14default_configENS1_20scan_config_selectorIN3c108BFloat16EEEZZNS1_9scan_implILNS1_25lookback_scan_determinismE0ELb0ELb0ES3_PKS6_PS6_S6_ZZZN2at6native31launch_logcumsumexp_cuda_kernelERKNSD_10TensorBaseESH_lENKUlvE_clEvENKUlvE4_clEvEUlS6_S6_E_S6_EEDaPvRmT3_T4_T5_mT6_P12ihipStream_tbENKUlT_T0_E_clISt17integral_constantIbLb0EESX_IbLb1EEEEDaST_SU_EUlST_E_NS1_11comp_targetILNS1_3genE5ELNS1_11target_archE942ELNS1_3gpuE9ELNS1_3repE0EEENS1_30default_config_static_selectorELNS0_4arch9wavefront6targetE1EEEvT1_.kd
    .uniform_work_group_size: 1
    .uses_dynamic_stack: false
    .vgpr_count:     0
    .vgpr_spill_count: 0
    .wavefront_size: 64
  - .args:
      - .offset:         0
        .size:           96
        .value_kind:     by_value
    .group_segment_fixed_size: 0
    .kernarg_segment_align: 8
    .kernarg_segment_size: 96
    .language:       OpenCL C
    .language_version:
      - 2
      - 0
    .max_flat_workgroup_size: 64
    .name:           _ZN7rocprim17ROCPRIM_400000_NS6detail17trampoline_kernelINS0_14default_configENS1_20scan_config_selectorIN3c108BFloat16EEEZZNS1_9scan_implILNS1_25lookback_scan_determinismE0ELb0ELb0ES3_PKS6_PS6_S6_ZZZN2at6native31launch_logcumsumexp_cuda_kernelERKNSD_10TensorBaseESH_lENKUlvE_clEvENKUlvE4_clEvEUlS6_S6_E_S6_EEDaPvRmT3_T4_T5_mT6_P12ihipStream_tbENKUlT_T0_E_clISt17integral_constantIbLb0EESX_IbLb1EEEEDaST_SU_EUlST_E_NS1_11comp_targetILNS1_3genE4ELNS1_11target_archE910ELNS1_3gpuE8ELNS1_3repE0EEENS1_30default_config_static_selectorELNS0_4arch9wavefront6targetE1EEEvT1_
    .private_segment_fixed_size: 0
    .sgpr_count:     4
    .sgpr_spill_count: 0
    .symbol:         _ZN7rocprim17ROCPRIM_400000_NS6detail17trampoline_kernelINS0_14default_configENS1_20scan_config_selectorIN3c108BFloat16EEEZZNS1_9scan_implILNS1_25lookback_scan_determinismE0ELb0ELb0ES3_PKS6_PS6_S6_ZZZN2at6native31launch_logcumsumexp_cuda_kernelERKNSD_10TensorBaseESH_lENKUlvE_clEvENKUlvE4_clEvEUlS6_S6_E_S6_EEDaPvRmT3_T4_T5_mT6_P12ihipStream_tbENKUlT_T0_E_clISt17integral_constantIbLb0EESX_IbLb1EEEEDaST_SU_EUlST_E_NS1_11comp_targetILNS1_3genE4ELNS1_11target_archE910ELNS1_3gpuE8ELNS1_3repE0EEENS1_30default_config_static_selectorELNS0_4arch9wavefront6targetE1EEEvT1_.kd
    .uniform_work_group_size: 1
    .uses_dynamic_stack: false
    .vgpr_count:     0
    .vgpr_spill_count: 0
    .wavefront_size: 64
  - .args:
      - .offset:         0
        .size:           96
        .value_kind:     by_value
    .group_segment_fixed_size: 0
    .kernarg_segment_align: 8
    .kernarg_segment_size: 96
    .language:       OpenCL C
    .language_version:
      - 2
      - 0
    .max_flat_workgroup_size: 128
    .name:           _ZN7rocprim17ROCPRIM_400000_NS6detail17trampoline_kernelINS0_14default_configENS1_20scan_config_selectorIN3c108BFloat16EEEZZNS1_9scan_implILNS1_25lookback_scan_determinismE0ELb0ELb0ES3_PKS6_PS6_S6_ZZZN2at6native31launch_logcumsumexp_cuda_kernelERKNSD_10TensorBaseESH_lENKUlvE_clEvENKUlvE4_clEvEUlS6_S6_E_S6_EEDaPvRmT3_T4_T5_mT6_P12ihipStream_tbENKUlT_T0_E_clISt17integral_constantIbLb0EESX_IbLb1EEEEDaST_SU_EUlST_E_NS1_11comp_targetILNS1_3genE3ELNS1_11target_archE908ELNS1_3gpuE7ELNS1_3repE0EEENS1_30default_config_static_selectorELNS0_4arch9wavefront6targetE1EEEvT1_
    .private_segment_fixed_size: 0
    .sgpr_count:     4
    .sgpr_spill_count: 0
    .symbol:         _ZN7rocprim17ROCPRIM_400000_NS6detail17trampoline_kernelINS0_14default_configENS1_20scan_config_selectorIN3c108BFloat16EEEZZNS1_9scan_implILNS1_25lookback_scan_determinismE0ELb0ELb0ES3_PKS6_PS6_S6_ZZZN2at6native31launch_logcumsumexp_cuda_kernelERKNSD_10TensorBaseESH_lENKUlvE_clEvENKUlvE4_clEvEUlS6_S6_E_S6_EEDaPvRmT3_T4_T5_mT6_P12ihipStream_tbENKUlT_T0_E_clISt17integral_constantIbLb0EESX_IbLb1EEEEDaST_SU_EUlST_E_NS1_11comp_targetILNS1_3genE3ELNS1_11target_archE908ELNS1_3gpuE7ELNS1_3repE0EEENS1_30default_config_static_selectorELNS0_4arch9wavefront6targetE1EEEvT1_.kd
    .uniform_work_group_size: 1
    .uses_dynamic_stack: false
    .vgpr_count:     0
    .vgpr_spill_count: 0
    .wavefront_size: 64
  - .args:
      - .offset:         0
        .size:           96
        .value_kind:     by_value
    .group_segment_fixed_size: 12288
    .kernarg_segment_align: 8
    .kernarg_segment_size: 96
    .language:       OpenCL C
    .language_version:
      - 2
      - 0
    .max_flat_workgroup_size: 256
    .name:           _ZN7rocprim17ROCPRIM_400000_NS6detail17trampoline_kernelINS0_14default_configENS1_20scan_config_selectorIN3c108BFloat16EEEZZNS1_9scan_implILNS1_25lookback_scan_determinismE0ELb0ELb0ES3_PKS6_PS6_S6_ZZZN2at6native31launch_logcumsumexp_cuda_kernelERKNSD_10TensorBaseESH_lENKUlvE_clEvENKUlvE4_clEvEUlS6_S6_E_S6_EEDaPvRmT3_T4_T5_mT6_P12ihipStream_tbENKUlT_T0_E_clISt17integral_constantIbLb0EESX_IbLb1EEEEDaST_SU_EUlST_E_NS1_11comp_targetILNS1_3genE2ELNS1_11target_archE906ELNS1_3gpuE6ELNS1_3repE0EEENS1_30default_config_static_selectorELNS0_4arch9wavefront6targetE1EEEvT1_
    .private_segment_fixed_size: 0
    .sgpr_count:     98
    .sgpr_spill_count: 0
    .symbol:         _ZN7rocprim17ROCPRIM_400000_NS6detail17trampoline_kernelINS0_14default_configENS1_20scan_config_selectorIN3c108BFloat16EEEZZNS1_9scan_implILNS1_25lookback_scan_determinismE0ELb0ELb0ES3_PKS6_PS6_S6_ZZZN2at6native31launch_logcumsumexp_cuda_kernelERKNSD_10TensorBaseESH_lENKUlvE_clEvENKUlvE4_clEvEUlS6_S6_E_S6_EEDaPvRmT3_T4_T5_mT6_P12ihipStream_tbENKUlT_T0_E_clISt17integral_constantIbLb0EESX_IbLb1EEEEDaST_SU_EUlST_E_NS1_11comp_targetILNS1_3genE2ELNS1_11target_archE906ELNS1_3gpuE6ELNS1_3repE0EEENS1_30default_config_static_selectorELNS0_4arch9wavefront6targetE1EEEvT1_.kd
    .uniform_work_group_size: 1
    .uses_dynamic_stack: false
    .vgpr_count:     101
    .vgpr_spill_count: 0
    .wavefront_size: 64
  - .args:
      - .offset:         0
        .size:           96
        .value_kind:     by_value
    .group_segment_fixed_size: 0
    .kernarg_segment_align: 8
    .kernarg_segment_size: 96
    .language:       OpenCL C
    .language_version:
      - 2
      - 0
    .max_flat_workgroup_size: 256
    .name:           _ZN7rocprim17ROCPRIM_400000_NS6detail17trampoline_kernelINS0_14default_configENS1_20scan_config_selectorIN3c108BFloat16EEEZZNS1_9scan_implILNS1_25lookback_scan_determinismE0ELb0ELb0ES3_PKS6_PS6_S6_ZZZN2at6native31launch_logcumsumexp_cuda_kernelERKNSD_10TensorBaseESH_lENKUlvE_clEvENKUlvE4_clEvEUlS6_S6_E_S6_EEDaPvRmT3_T4_T5_mT6_P12ihipStream_tbENKUlT_T0_E_clISt17integral_constantIbLb0EESX_IbLb1EEEEDaST_SU_EUlST_E_NS1_11comp_targetILNS1_3genE10ELNS1_11target_archE1201ELNS1_3gpuE5ELNS1_3repE0EEENS1_30default_config_static_selectorELNS0_4arch9wavefront6targetE1EEEvT1_
    .private_segment_fixed_size: 0
    .sgpr_count:     4
    .sgpr_spill_count: 0
    .symbol:         _ZN7rocprim17ROCPRIM_400000_NS6detail17trampoline_kernelINS0_14default_configENS1_20scan_config_selectorIN3c108BFloat16EEEZZNS1_9scan_implILNS1_25lookback_scan_determinismE0ELb0ELb0ES3_PKS6_PS6_S6_ZZZN2at6native31launch_logcumsumexp_cuda_kernelERKNSD_10TensorBaseESH_lENKUlvE_clEvENKUlvE4_clEvEUlS6_S6_E_S6_EEDaPvRmT3_T4_T5_mT6_P12ihipStream_tbENKUlT_T0_E_clISt17integral_constantIbLb0EESX_IbLb1EEEEDaST_SU_EUlST_E_NS1_11comp_targetILNS1_3genE10ELNS1_11target_archE1201ELNS1_3gpuE5ELNS1_3repE0EEENS1_30default_config_static_selectorELNS0_4arch9wavefront6targetE1EEEvT1_.kd
    .uniform_work_group_size: 1
    .uses_dynamic_stack: false
    .vgpr_count:     0
    .vgpr_spill_count: 0
    .wavefront_size: 64
  - .args:
      - .offset:         0
        .size:           96
        .value_kind:     by_value
    .group_segment_fixed_size: 0
    .kernarg_segment_align: 8
    .kernarg_segment_size: 96
    .language:       OpenCL C
    .language_version:
      - 2
      - 0
    .max_flat_workgroup_size: 256
    .name:           _ZN7rocprim17ROCPRIM_400000_NS6detail17trampoline_kernelINS0_14default_configENS1_20scan_config_selectorIN3c108BFloat16EEEZZNS1_9scan_implILNS1_25lookback_scan_determinismE0ELb0ELb0ES3_PKS6_PS6_S6_ZZZN2at6native31launch_logcumsumexp_cuda_kernelERKNSD_10TensorBaseESH_lENKUlvE_clEvENKUlvE4_clEvEUlS6_S6_E_S6_EEDaPvRmT3_T4_T5_mT6_P12ihipStream_tbENKUlT_T0_E_clISt17integral_constantIbLb0EESX_IbLb1EEEEDaST_SU_EUlST_E_NS1_11comp_targetILNS1_3genE10ELNS1_11target_archE1200ELNS1_3gpuE4ELNS1_3repE0EEENS1_30default_config_static_selectorELNS0_4arch9wavefront6targetE1EEEvT1_
    .private_segment_fixed_size: 0
    .sgpr_count:     4
    .sgpr_spill_count: 0
    .symbol:         _ZN7rocprim17ROCPRIM_400000_NS6detail17trampoline_kernelINS0_14default_configENS1_20scan_config_selectorIN3c108BFloat16EEEZZNS1_9scan_implILNS1_25lookback_scan_determinismE0ELb0ELb0ES3_PKS6_PS6_S6_ZZZN2at6native31launch_logcumsumexp_cuda_kernelERKNSD_10TensorBaseESH_lENKUlvE_clEvENKUlvE4_clEvEUlS6_S6_E_S6_EEDaPvRmT3_T4_T5_mT6_P12ihipStream_tbENKUlT_T0_E_clISt17integral_constantIbLb0EESX_IbLb1EEEEDaST_SU_EUlST_E_NS1_11comp_targetILNS1_3genE10ELNS1_11target_archE1200ELNS1_3gpuE4ELNS1_3repE0EEENS1_30default_config_static_selectorELNS0_4arch9wavefront6targetE1EEEvT1_.kd
    .uniform_work_group_size: 1
    .uses_dynamic_stack: false
    .vgpr_count:     0
    .vgpr_spill_count: 0
    .wavefront_size: 64
  - .args:
      - .offset:         0
        .size:           96
        .value_kind:     by_value
    .group_segment_fixed_size: 0
    .kernarg_segment_align: 8
    .kernarg_segment_size: 96
    .language:       OpenCL C
    .language_version:
      - 2
      - 0
    .max_flat_workgroup_size: 64
    .name:           _ZN7rocprim17ROCPRIM_400000_NS6detail17trampoline_kernelINS0_14default_configENS1_20scan_config_selectorIN3c108BFloat16EEEZZNS1_9scan_implILNS1_25lookback_scan_determinismE0ELb0ELb0ES3_PKS6_PS6_S6_ZZZN2at6native31launch_logcumsumexp_cuda_kernelERKNSD_10TensorBaseESH_lENKUlvE_clEvENKUlvE4_clEvEUlS6_S6_E_S6_EEDaPvRmT3_T4_T5_mT6_P12ihipStream_tbENKUlT_T0_E_clISt17integral_constantIbLb0EESX_IbLb1EEEEDaST_SU_EUlST_E_NS1_11comp_targetILNS1_3genE9ELNS1_11target_archE1100ELNS1_3gpuE3ELNS1_3repE0EEENS1_30default_config_static_selectorELNS0_4arch9wavefront6targetE1EEEvT1_
    .private_segment_fixed_size: 0
    .sgpr_count:     4
    .sgpr_spill_count: 0
    .symbol:         _ZN7rocprim17ROCPRIM_400000_NS6detail17trampoline_kernelINS0_14default_configENS1_20scan_config_selectorIN3c108BFloat16EEEZZNS1_9scan_implILNS1_25lookback_scan_determinismE0ELb0ELb0ES3_PKS6_PS6_S6_ZZZN2at6native31launch_logcumsumexp_cuda_kernelERKNSD_10TensorBaseESH_lENKUlvE_clEvENKUlvE4_clEvEUlS6_S6_E_S6_EEDaPvRmT3_T4_T5_mT6_P12ihipStream_tbENKUlT_T0_E_clISt17integral_constantIbLb0EESX_IbLb1EEEEDaST_SU_EUlST_E_NS1_11comp_targetILNS1_3genE9ELNS1_11target_archE1100ELNS1_3gpuE3ELNS1_3repE0EEENS1_30default_config_static_selectorELNS0_4arch9wavefront6targetE1EEEvT1_.kd
    .uniform_work_group_size: 1
    .uses_dynamic_stack: false
    .vgpr_count:     0
    .vgpr_spill_count: 0
    .wavefront_size: 64
  - .args:
      - .offset:         0
        .size:           96
        .value_kind:     by_value
    .group_segment_fixed_size: 0
    .kernarg_segment_align: 8
    .kernarg_segment_size: 96
    .language:       OpenCL C
    .language_version:
      - 2
      - 0
    .max_flat_workgroup_size: 64
    .name:           _ZN7rocprim17ROCPRIM_400000_NS6detail17trampoline_kernelINS0_14default_configENS1_20scan_config_selectorIN3c108BFloat16EEEZZNS1_9scan_implILNS1_25lookback_scan_determinismE0ELb0ELb0ES3_PKS6_PS6_S6_ZZZN2at6native31launch_logcumsumexp_cuda_kernelERKNSD_10TensorBaseESH_lENKUlvE_clEvENKUlvE4_clEvEUlS6_S6_E_S6_EEDaPvRmT3_T4_T5_mT6_P12ihipStream_tbENKUlT_T0_E_clISt17integral_constantIbLb0EESX_IbLb1EEEEDaST_SU_EUlST_E_NS1_11comp_targetILNS1_3genE8ELNS1_11target_archE1030ELNS1_3gpuE2ELNS1_3repE0EEENS1_30default_config_static_selectorELNS0_4arch9wavefront6targetE1EEEvT1_
    .private_segment_fixed_size: 0
    .sgpr_count:     4
    .sgpr_spill_count: 0
    .symbol:         _ZN7rocprim17ROCPRIM_400000_NS6detail17trampoline_kernelINS0_14default_configENS1_20scan_config_selectorIN3c108BFloat16EEEZZNS1_9scan_implILNS1_25lookback_scan_determinismE0ELb0ELb0ES3_PKS6_PS6_S6_ZZZN2at6native31launch_logcumsumexp_cuda_kernelERKNSD_10TensorBaseESH_lENKUlvE_clEvENKUlvE4_clEvEUlS6_S6_E_S6_EEDaPvRmT3_T4_T5_mT6_P12ihipStream_tbENKUlT_T0_E_clISt17integral_constantIbLb0EESX_IbLb1EEEEDaST_SU_EUlST_E_NS1_11comp_targetILNS1_3genE8ELNS1_11target_archE1030ELNS1_3gpuE2ELNS1_3repE0EEENS1_30default_config_static_selectorELNS0_4arch9wavefront6targetE1EEEvT1_.kd
    .uniform_work_group_size: 1
    .uses_dynamic_stack: false
    .vgpr_count:     0
    .vgpr_spill_count: 0
    .wavefront_size: 64
  - .args:
      - .offset:         0
        .size:           32
        .value_kind:     by_value
    .group_segment_fixed_size: 0
    .kernarg_segment_align: 8
    .kernarg_segment_size: 32
    .language:       OpenCL C
    .language_version:
      - 2
      - 0
    .max_flat_workgroup_size: 128
    .name:           _ZN7rocprim17ROCPRIM_400000_NS6detail17trampoline_kernelINS0_14default_configENS1_20scan_config_selectorIN3c108BFloat16EEEZZNS1_9scan_implILNS1_25lookback_scan_determinismE0ELb0ELb0ES3_PKS6_PS6_S6_ZZZN2at6native31launch_logcumsumexp_cuda_kernelERKNSD_10TensorBaseESH_lENKUlvE_clEvENKUlvE4_clEvEUlS6_S6_E_S6_EEDaPvRmT3_T4_T5_mT6_P12ihipStream_tbENKUlT_T0_E_clISt17integral_constantIbLb0EESX_IbLb1EEEEDaST_SU_EUlST_E0_NS1_11comp_targetILNS1_3genE0ELNS1_11target_archE4294967295ELNS1_3gpuE0ELNS1_3repE0EEENS1_30default_config_static_selectorELNS0_4arch9wavefront6targetE1EEEvT1_
    .private_segment_fixed_size: 0
    .sgpr_count:     4
    .sgpr_spill_count: 0
    .symbol:         _ZN7rocprim17ROCPRIM_400000_NS6detail17trampoline_kernelINS0_14default_configENS1_20scan_config_selectorIN3c108BFloat16EEEZZNS1_9scan_implILNS1_25lookback_scan_determinismE0ELb0ELb0ES3_PKS6_PS6_S6_ZZZN2at6native31launch_logcumsumexp_cuda_kernelERKNSD_10TensorBaseESH_lENKUlvE_clEvENKUlvE4_clEvEUlS6_S6_E_S6_EEDaPvRmT3_T4_T5_mT6_P12ihipStream_tbENKUlT_T0_E_clISt17integral_constantIbLb0EESX_IbLb1EEEEDaST_SU_EUlST_E0_NS1_11comp_targetILNS1_3genE0ELNS1_11target_archE4294967295ELNS1_3gpuE0ELNS1_3repE0EEENS1_30default_config_static_selectorELNS0_4arch9wavefront6targetE1EEEvT1_.kd
    .uniform_work_group_size: 1
    .uses_dynamic_stack: false
    .vgpr_count:     0
    .vgpr_spill_count: 0
    .wavefront_size: 64
  - .args:
      - .offset:         0
        .size:           32
        .value_kind:     by_value
    .group_segment_fixed_size: 0
    .kernarg_segment_align: 8
    .kernarg_segment_size: 32
    .language:       OpenCL C
    .language_version:
      - 2
      - 0
    .max_flat_workgroup_size: 256
    .name:           _ZN7rocprim17ROCPRIM_400000_NS6detail17trampoline_kernelINS0_14default_configENS1_20scan_config_selectorIN3c108BFloat16EEEZZNS1_9scan_implILNS1_25lookback_scan_determinismE0ELb0ELb0ES3_PKS6_PS6_S6_ZZZN2at6native31launch_logcumsumexp_cuda_kernelERKNSD_10TensorBaseESH_lENKUlvE_clEvENKUlvE4_clEvEUlS6_S6_E_S6_EEDaPvRmT3_T4_T5_mT6_P12ihipStream_tbENKUlT_T0_E_clISt17integral_constantIbLb0EESX_IbLb1EEEEDaST_SU_EUlST_E0_NS1_11comp_targetILNS1_3genE5ELNS1_11target_archE942ELNS1_3gpuE9ELNS1_3repE0EEENS1_30default_config_static_selectorELNS0_4arch9wavefront6targetE1EEEvT1_
    .private_segment_fixed_size: 0
    .sgpr_count:     4
    .sgpr_spill_count: 0
    .symbol:         _ZN7rocprim17ROCPRIM_400000_NS6detail17trampoline_kernelINS0_14default_configENS1_20scan_config_selectorIN3c108BFloat16EEEZZNS1_9scan_implILNS1_25lookback_scan_determinismE0ELb0ELb0ES3_PKS6_PS6_S6_ZZZN2at6native31launch_logcumsumexp_cuda_kernelERKNSD_10TensorBaseESH_lENKUlvE_clEvENKUlvE4_clEvEUlS6_S6_E_S6_EEDaPvRmT3_T4_T5_mT6_P12ihipStream_tbENKUlT_T0_E_clISt17integral_constantIbLb0EESX_IbLb1EEEEDaST_SU_EUlST_E0_NS1_11comp_targetILNS1_3genE5ELNS1_11target_archE942ELNS1_3gpuE9ELNS1_3repE0EEENS1_30default_config_static_selectorELNS0_4arch9wavefront6targetE1EEEvT1_.kd
    .uniform_work_group_size: 1
    .uses_dynamic_stack: false
    .vgpr_count:     0
    .vgpr_spill_count: 0
    .wavefront_size: 64
  - .args:
      - .offset:         0
        .size:           32
        .value_kind:     by_value
    .group_segment_fixed_size: 0
    .kernarg_segment_align: 8
    .kernarg_segment_size: 32
    .language:       OpenCL C
    .language_version:
      - 2
      - 0
    .max_flat_workgroup_size: 64
    .name:           _ZN7rocprim17ROCPRIM_400000_NS6detail17trampoline_kernelINS0_14default_configENS1_20scan_config_selectorIN3c108BFloat16EEEZZNS1_9scan_implILNS1_25lookback_scan_determinismE0ELb0ELb0ES3_PKS6_PS6_S6_ZZZN2at6native31launch_logcumsumexp_cuda_kernelERKNSD_10TensorBaseESH_lENKUlvE_clEvENKUlvE4_clEvEUlS6_S6_E_S6_EEDaPvRmT3_T4_T5_mT6_P12ihipStream_tbENKUlT_T0_E_clISt17integral_constantIbLb0EESX_IbLb1EEEEDaST_SU_EUlST_E0_NS1_11comp_targetILNS1_3genE4ELNS1_11target_archE910ELNS1_3gpuE8ELNS1_3repE0EEENS1_30default_config_static_selectorELNS0_4arch9wavefront6targetE1EEEvT1_
    .private_segment_fixed_size: 0
    .sgpr_count:     4
    .sgpr_spill_count: 0
    .symbol:         _ZN7rocprim17ROCPRIM_400000_NS6detail17trampoline_kernelINS0_14default_configENS1_20scan_config_selectorIN3c108BFloat16EEEZZNS1_9scan_implILNS1_25lookback_scan_determinismE0ELb0ELb0ES3_PKS6_PS6_S6_ZZZN2at6native31launch_logcumsumexp_cuda_kernelERKNSD_10TensorBaseESH_lENKUlvE_clEvENKUlvE4_clEvEUlS6_S6_E_S6_EEDaPvRmT3_T4_T5_mT6_P12ihipStream_tbENKUlT_T0_E_clISt17integral_constantIbLb0EESX_IbLb1EEEEDaST_SU_EUlST_E0_NS1_11comp_targetILNS1_3genE4ELNS1_11target_archE910ELNS1_3gpuE8ELNS1_3repE0EEENS1_30default_config_static_selectorELNS0_4arch9wavefront6targetE1EEEvT1_.kd
    .uniform_work_group_size: 1
    .uses_dynamic_stack: false
    .vgpr_count:     0
    .vgpr_spill_count: 0
    .wavefront_size: 64
  - .args:
      - .offset:         0
        .size:           32
        .value_kind:     by_value
    .group_segment_fixed_size: 0
    .kernarg_segment_align: 8
    .kernarg_segment_size: 32
    .language:       OpenCL C
    .language_version:
      - 2
      - 0
    .max_flat_workgroup_size: 128
    .name:           _ZN7rocprim17ROCPRIM_400000_NS6detail17trampoline_kernelINS0_14default_configENS1_20scan_config_selectorIN3c108BFloat16EEEZZNS1_9scan_implILNS1_25lookback_scan_determinismE0ELb0ELb0ES3_PKS6_PS6_S6_ZZZN2at6native31launch_logcumsumexp_cuda_kernelERKNSD_10TensorBaseESH_lENKUlvE_clEvENKUlvE4_clEvEUlS6_S6_E_S6_EEDaPvRmT3_T4_T5_mT6_P12ihipStream_tbENKUlT_T0_E_clISt17integral_constantIbLb0EESX_IbLb1EEEEDaST_SU_EUlST_E0_NS1_11comp_targetILNS1_3genE3ELNS1_11target_archE908ELNS1_3gpuE7ELNS1_3repE0EEENS1_30default_config_static_selectorELNS0_4arch9wavefront6targetE1EEEvT1_
    .private_segment_fixed_size: 0
    .sgpr_count:     4
    .sgpr_spill_count: 0
    .symbol:         _ZN7rocprim17ROCPRIM_400000_NS6detail17trampoline_kernelINS0_14default_configENS1_20scan_config_selectorIN3c108BFloat16EEEZZNS1_9scan_implILNS1_25lookback_scan_determinismE0ELb0ELb0ES3_PKS6_PS6_S6_ZZZN2at6native31launch_logcumsumexp_cuda_kernelERKNSD_10TensorBaseESH_lENKUlvE_clEvENKUlvE4_clEvEUlS6_S6_E_S6_EEDaPvRmT3_T4_T5_mT6_P12ihipStream_tbENKUlT_T0_E_clISt17integral_constantIbLb0EESX_IbLb1EEEEDaST_SU_EUlST_E0_NS1_11comp_targetILNS1_3genE3ELNS1_11target_archE908ELNS1_3gpuE7ELNS1_3repE0EEENS1_30default_config_static_selectorELNS0_4arch9wavefront6targetE1EEEvT1_.kd
    .uniform_work_group_size: 1
    .uses_dynamic_stack: false
    .vgpr_count:     0
    .vgpr_spill_count: 0
    .wavefront_size: 64
  - .args:
      - .offset:         0
        .size:           32
        .value_kind:     by_value
    .group_segment_fixed_size: 12288
    .kernarg_segment_align: 8
    .kernarg_segment_size: 32
    .language:       OpenCL C
    .language_version:
      - 2
      - 0
    .max_flat_workgroup_size: 256
    .name:           _ZN7rocprim17ROCPRIM_400000_NS6detail17trampoline_kernelINS0_14default_configENS1_20scan_config_selectorIN3c108BFloat16EEEZZNS1_9scan_implILNS1_25lookback_scan_determinismE0ELb0ELb0ES3_PKS6_PS6_S6_ZZZN2at6native31launch_logcumsumexp_cuda_kernelERKNSD_10TensorBaseESH_lENKUlvE_clEvENKUlvE4_clEvEUlS6_S6_E_S6_EEDaPvRmT3_T4_T5_mT6_P12ihipStream_tbENKUlT_T0_E_clISt17integral_constantIbLb0EESX_IbLb1EEEEDaST_SU_EUlST_E0_NS1_11comp_targetILNS1_3genE2ELNS1_11target_archE906ELNS1_3gpuE6ELNS1_3repE0EEENS1_30default_config_static_selectorELNS0_4arch9wavefront6targetE1EEEvT1_
    .private_segment_fixed_size: 0
    .sgpr_count:     100
    .sgpr_spill_count: 14
    .symbol:         _ZN7rocprim17ROCPRIM_400000_NS6detail17trampoline_kernelINS0_14default_configENS1_20scan_config_selectorIN3c108BFloat16EEEZZNS1_9scan_implILNS1_25lookback_scan_determinismE0ELb0ELb0ES3_PKS6_PS6_S6_ZZZN2at6native31launch_logcumsumexp_cuda_kernelERKNSD_10TensorBaseESH_lENKUlvE_clEvENKUlvE4_clEvEUlS6_S6_E_S6_EEDaPvRmT3_T4_T5_mT6_P12ihipStream_tbENKUlT_T0_E_clISt17integral_constantIbLb0EESX_IbLb1EEEEDaST_SU_EUlST_E0_NS1_11comp_targetILNS1_3genE2ELNS1_11target_archE906ELNS1_3gpuE6ELNS1_3repE0EEENS1_30default_config_static_selectorELNS0_4arch9wavefront6targetE1EEEvT1_.kd
    .uniform_work_group_size: 1
    .uses_dynamic_stack: false
    .vgpr_count:     74
    .vgpr_spill_count: 0
    .wavefront_size: 64
  - .args:
      - .offset:         0
        .size:           32
        .value_kind:     by_value
    .group_segment_fixed_size: 0
    .kernarg_segment_align: 8
    .kernarg_segment_size: 32
    .language:       OpenCL C
    .language_version:
      - 2
      - 0
    .max_flat_workgroup_size: 256
    .name:           _ZN7rocprim17ROCPRIM_400000_NS6detail17trampoline_kernelINS0_14default_configENS1_20scan_config_selectorIN3c108BFloat16EEEZZNS1_9scan_implILNS1_25lookback_scan_determinismE0ELb0ELb0ES3_PKS6_PS6_S6_ZZZN2at6native31launch_logcumsumexp_cuda_kernelERKNSD_10TensorBaseESH_lENKUlvE_clEvENKUlvE4_clEvEUlS6_S6_E_S6_EEDaPvRmT3_T4_T5_mT6_P12ihipStream_tbENKUlT_T0_E_clISt17integral_constantIbLb0EESX_IbLb1EEEEDaST_SU_EUlST_E0_NS1_11comp_targetILNS1_3genE10ELNS1_11target_archE1201ELNS1_3gpuE5ELNS1_3repE0EEENS1_30default_config_static_selectorELNS0_4arch9wavefront6targetE1EEEvT1_
    .private_segment_fixed_size: 0
    .sgpr_count:     4
    .sgpr_spill_count: 0
    .symbol:         _ZN7rocprim17ROCPRIM_400000_NS6detail17trampoline_kernelINS0_14default_configENS1_20scan_config_selectorIN3c108BFloat16EEEZZNS1_9scan_implILNS1_25lookback_scan_determinismE0ELb0ELb0ES3_PKS6_PS6_S6_ZZZN2at6native31launch_logcumsumexp_cuda_kernelERKNSD_10TensorBaseESH_lENKUlvE_clEvENKUlvE4_clEvEUlS6_S6_E_S6_EEDaPvRmT3_T4_T5_mT6_P12ihipStream_tbENKUlT_T0_E_clISt17integral_constantIbLb0EESX_IbLb1EEEEDaST_SU_EUlST_E0_NS1_11comp_targetILNS1_3genE10ELNS1_11target_archE1201ELNS1_3gpuE5ELNS1_3repE0EEENS1_30default_config_static_selectorELNS0_4arch9wavefront6targetE1EEEvT1_.kd
    .uniform_work_group_size: 1
    .uses_dynamic_stack: false
    .vgpr_count:     0
    .vgpr_spill_count: 0
    .wavefront_size: 64
  - .args:
      - .offset:         0
        .size:           32
        .value_kind:     by_value
    .group_segment_fixed_size: 0
    .kernarg_segment_align: 8
    .kernarg_segment_size: 32
    .language:       OpenCL C
    .language_version:
      - 2
      - 0
    .max_flat_workgroup_size: 256
    .name:           _ZN7rocprim17ROCPRIM_400000_NS6detail17trampoline_kernelINS0_14default_configENS1_20scan_config_selectorIN3c108BFloat16EEEZZNS1_9scan_implILNS1_25lookback_scan_determinismE0ELb0ELb0ES3_PKS6_PS6_S6_ZZZN2at6native31launch_logcumsumexp_cuda_kernelERKNSD_10TensorBaseESH_lENKUlvE_clEvENKUlvE4_clEvEUlS6_S6_E_S6_EEDaPvRmT3_T4_T5_mT6_P12ihipStream_tbENKUlT_T0_E_clISt17integral_constantIbLb0EESX_IbLb1EEEEDaST_SU_EUlST_E0_NS1_11comp_targetILNS1_3genE10ELNS1_11target_archE1200ELNS1_3gpuE4ELNS1_3repE0EEENS1_30default_config_static_selectorELNS0_4arch9wavefront6targetE1EEEvT1_
    .private_segment_fixed_size: 0
    .sgpr_count:     4
    .sgpr_spill_count: 0
    .symbol:         _ZN7rocprim17ROCPRIM_400000_NS6detail17trampoline_kernelINS0_14default_configENS1_20scan_config_selectorIN3c108BFloat16EEEZZNS1_9scan_implILNS1_25lookback_scan_determinismE0ELb0ELb0ES3_PKS6_PS6_S6_ZZZN2at6native31launch_logcumsumexp_cuda_kernelERKNSD_10TensorBaseESH_lENKUlvE_clEvENKUlvE4_clEvEUlS6_S6_E_S6_EEDaPvRmT3_T4_T5_mT6_P12ihipStream_tbENKUlT_T0_E_clISt17integral_constantIbLb0EESX_IbLb1EEEEDaST_SU_EUlST_E0_NS1_11comp_targetILNS1_3genE10ELNS1_11target_archE1200ELNS1_3gpuE4ELNS1_3repE0EEENS1_30default_config_static_selectorELNS0_4arch9wavefront6targetE1EEEvT1_.kd
    .uniform_work_group_size: 1
    .uses_dynamic_stack: false
    .vgpr_count:     0
    .vgpr_spill_count: 0
    .wavefront_size: 64
  - .args:
      - .offset:         0
        .size:           32
        .value_kind:     by_value
    .group_segment_fixed_size: 0
    .kernarg_segment_align: 8
    .kernarg_segment_size: 32
    .language:       OpenCL C
    .language_version:
      - 2
      - 0
    .max_flat_workgroup_size: 64
    .name:           _ZN7rocprim17ROCPRIM_400000_NS6detail17trampoline_kernelINS0_14default_configENS1_20scan_config_selectorIN3c108BFloat16EEEZZNS1_9scan_implILNS1_25lookback_scan_determinismE0ELb0ELb0ES3_PKS6_PS6_S6_ZZZN2at6native31launch_logcumsumexp_cuda_kernelERKNSD_10TensorBaseESH_lENKUlvE_clEvENKUlvE4_clEvEUlS6_S6_E_S6_EEDaPvRmT3_T4_T5_mT6_P12ihipStream_tbENKUlT_T0_E_clISt17integral_constantIbLb0EESX_IbLb1EEEEDaST_SU_EUlST_E0_NS1_11comp_targetILNS1_3genE9ELNS1_11target_archE1100ELNS1_3gpuE3ELNS1_3repE0EEENS1_30default_config_static_selectorELNS0_4arch9wavefront6targetE1EEEvT1_
    .private_segment_fixed_size: 0
    .sgpr_count:     4
    .sgpr_spill_count: 0
    .symbol:         _ZN7rocprim17ROCPRIM_400000_NS6detail17trampoline_kernelINS0_14default_configENS1_20scan_config_selectorIN3c108BFloat16EEEZZNS1_9scan_implILNS1_25lookback_scan_determinismE0ELb0ELb0ES3_PKS6_PS6_S6_ZZZN2at6native31launch_logcumsumexp_cuda_kernelERKNSD_10TensorBaseESH_lENKUlvE_clEvENKUlvE4_clEvEUlS6_S6_E_S6_EEDaPvRmT3_T4_T5_mT6_P12ihipStream_tbENKUlT_T0_E_clISt17integral_constantIbLb0EESX_IbLb1EEEEDaST_SU_EUlST_E0_NS1_11comp_targetILNS1_3genE9ELNS1_11target_archE1100ELNS1_3gpuE3ELNS1_3repE0EEENS1_30default_config_static_selectorELNS0_4arch9wavefront6targetE1EEEvT1_.kd
    .uniform_work_group_size: 1
    .uses_dynamic_stack: false
    .vgpr_count:     0
    .vgpr_spill_count: 0
    .wavefront_size: 64
  - .args:
      - .offset:         0
        .size:           32
        .value_kind:     by_value
    .group_segment_fixed_size: 0
    .kernarg_segment_align: 8
    .kernarg_segment_size: 32
    .language:       OpenCL C
    .language_version:
      - 2
      - 0
    .max_flat_workgroup_size: 64
    .name:           _ZN7rocprim17ROCPRIM_400000_NS6detail17trampoline_kernelINS0_14default_configENS1_20scan_config_selectorIN3c108BFloat16EEEZZNS1_9scan_implILNS1_25lookback_scan_determinismE0ELb0ELb0ES3_PKS6_PS6_S6_ZZZN2at6native31launch_logcumsumexp_cuda_kernelERKNSD_10TensorBaseESH_lENKUlvE_clEvENKUlvE4_clEvEUlS6_S6_E_S6_EEDaPvRmT3_T4_T5_mT6_P12ihipStream_tbENKUlT_T0_E_clISt17integral_constantIbLb0EESX_IbLb1EEEEDaST_SU_EUlST_E0_NS1_11comp_targetILNS1_3genE8ELNS1_11target_archE1030ELNS1_3gpuE2ELNS1_3repE0EEENS1_30default_config_static_selectorELNS0_4arch9wavefront6targetE1EEEvT1_
    .private_segment_fixed_size: 0
    .sgpr_count:     4
    .sgpr_spill_count: 0
    .symbol:         _ZN7rocprim17ROCPRIM_400000_NS6detail17trampoline_kernelINS0_14default_configENS1_20scan_config_selectorIN3c108BFloat16EEEZZNS1_9scan_implILNS1_25lookback_scan_determinismE0ELb0ELb0ES3_PKS6_PS6_S6_ZZZN2at6native31launch_logcumsumexp_cuda_kernelERKNSD_10TensorBaseESH_lENKUlvE_clEvENKUlvE4_clEvEUlS6_S6_E_S6_EEDaPvRmT3_T4_T5_mT6_P12ihipStream_tbENKUlT_T0_E_clISt17integral_constantIbLb0EESX_IbLb1EEEEDaST_SU_EUlST_E0_NS1_11comp_targetILNS1_3genE8ELNS1_11target_archE1030ELNS1_3gpuE2ELNS1_3repE0EEENS1_30default_config_static_selectorELNS0_4arch9wavefront6targetE1EEEvT1_.kd
    .uniform_work_group_size: 1
    .uses_dynamic_stack: false
    .vgpr_count:     0
    .vgpr_spill_count: 0
    .wavefront_size: 64
  - .args:
      - .address_space:  global
        .offset:         0
        .size:           8
        .value_kind:     global_buffer
      - .address_space:  global
        .offset:         8
        .size:           8
        .value_kind:     global_buffer
      - .offset:         16
        .size:           4
        .value_kind:     by_value
      - .offset:         20
        .size:           4
        .value_kind:     by_value
      - .offset:         24
        .size:           4
        .value_kind:     by_value
      - .offset:         28
        .size:           2
        .value_kind:     by_value
      - .offset:         30
        .size:           1
        .value_kind:     by_value
      - .offset:         32
        .size:           4
        .value_kind:     hidden_block_count_x
      - .offset:         36
        .size:           4
        .value_kind:     hidden_block_count_y
      - .offset:         40
        .size:           4
        .value_kind:     hidden_block_count_z
      - .offset:         44
        .size:           2
        .value_kind:     hidden_group_size_x
      - .offset:         46
        .size:           2
        .value_kind:     hidden_group_size_y
      - .offset:         48
        .size:           2
        .value_kind:     hidden_group_size_z
      - .offset:         50
        .size:           2
        .value_kind:     hidden_remainder_x
      - .offset:         52
        .size:           2
        .value_kind:     hidden_remainder_y
      - .offset:         54
        .size:           2
        .value_kind:     hidden_remainder_z
      - .offset:         72
        .size:           8
        .value_kind:     hidden_global_offset_x
      - .offset:         80
        .size:           8
        .value_kind:     hidden_global_offset_y
      - .offset:         88
        .size:           8
        .value_kind:     hidden_global_offset_z
      - .offset:         96
        .size:           2
        .value_kind:     hidden_grid_dims
      - .offset:         152
        .size:           4
        .value_kind:     hidden_dynamic_lds_size
    .group_segment_fixed_size: 0
    .kernarg_segment_align: 8
    .kernarg_segment_size: 288
    .language:       OpenCL C
    .language_version:
      - 2
      - 0
    .max_flat_workgroup_size: 1024
    .name:           _ZN2at6native32tensor_kernel_scan_innermost_dimIN3c108BFloat16EZZZNS0_31launch_logcumsumexp_cuda_kernelERKNS_10TensorBaseES6_lENKUlvE_clEvENKUlvE4_clEvEUlS3_S3_E_EEvPT_PKSA_jjjSA_T0_
    .private_segment_fixed_size: 0
    .sgpr_count:     50
    .sgpr_spill_count: 0
    .symbol:         _ZN2at6native32tensor_kernel_scan_innermost_dimIN3c108BFloat16EZZZNS0_31launch_logcumsumexp_cuda_kernelERKNS_10TensorBaseES6_lENKUlvE_clEvENKUlvE4_clEvEUlS3_S3_E_EEvPT_PKSA_jjjSA_T0_.kd
    .uniform_work_group_size: 1
    .uses_dynamic_stack: false
    .vgpr_count:     33
    .vgpr_spill_count: 0
    .wavefront_size: 64
  - .args:
      - .address_space:  global
        .offset:         0
        .size:           8
        .value_kind:     global_buffer
      - .address_space:  global
        .offset:         8
        .size:           8
        .value_kind:     global_buffer
      - .offset:         16
        .size:           4
        .value_kind:     by_value
      - .offset:         20
        .size:           4
        .value_kind:     by_value
      - .offset:         24
        .size:           4
        .value_kind:     by_value
      - .offset:         28
        .size:           2
        .value_kind:     by_value
      - .offset:         30
        .size:           1
        .value_kind:     by_value
      - .offset:         32
        .size:           4
        .value_kind:     hidden_block_count_x
      - .offset:         36
        .size:           4
        .value_kind:     hidden_block_count_y
      - .offset:         40
        .size:           4
        .value_kind:     hidden_block_count_z
      - .offset:         44
        .size:           2
        .value_kind:     hidden_group_size_x
      - .offset:         46
        .size:           2
        .value_kind:     hidden_group_size_y
      - .offset:         48
        .size:           2
        .value_kind:     hidden_group_size_z
      - .offset:         50
        .size:           2
        .value_kind:     hidden_remainder_x
      - .offset:         52
        .size:           2
        .value_kind:     hidden_remainder_y
      - .offset:         54
        .size:           2
        .value_kind:     hidden_remainder_z
      - .offset:         72
        .size:           8
        .value_kind:     hidden_global_offset_x
      - .offset:         80
        .size:           8
        .value_kind:     hidden_global_offset_y
      - .offset:         88
        .size:           8
        .value_kind:     hidden_global_offset_z
      - .offset:         96
        .size:           2
        .value_kind:     hidden_grid_dims
    .group_segment_fixed_size: 0
    .kernarg_segment_align: 8
    .kernarg_segment_size: 288
    .language:       OpenCL C
    .language_version:
      - 2
      - 0
    .max_flat_workgroup_size: 1024
    .name:           _ZN2at6native28tensor_kernel_scan_outer_dimIN3c108BFloat16EjZZZNS0_31launch_logcumsumexp_cuda_kernelERKNS_10TensorBaseES6_lENKUlvE_clEvENKUlvE4_clEvEUlS3_S3_E_EEvPT_PKSA_jjjSA_T1_
    .private_segment_fixed_size: 0
    .sgpr_count:     48
    .sgpr_spill_count: 0
    .symbol:         _ZN2at6native28tensor_kernel_scan_outer_dimIN3c108BFloat16EjZZZNS0_31launch_logcumsumexp_cuda_kernelERKNS_10TensorBaseES6_lENKUlvE_clEvENKUlvE4_clEvEUlS3_S3_E_EEvPT_PKSA_jjjSA_T1_.kd
    .uniform_work_group_size: 1
    .uses_dynamic_stack: false
    .vgpr_count:     21
    .vgpr_spill_count: 0
    .wavefront_size: 64
  - .args:
      - .address_space:  global
        .offset:         0
        .size:           8
        .value_kind:     global_buffer
      - .address_space:  global
        .offset:         8
        .size:           8
        .value_kind:     global_buffer
      - .offset:         16
        .size:           4
        .value_kind:     by_value
      - .offset:         20
        .size:           4
        .value_kind:     by_value
      - .offset:         24
        .size:           4
        .value_kind:     by_value
      - .offset:         28
        .size:           2
        .value_kind:     by_value
      - .offset:         30
        .size:           1
        .value_kind:     by_value
      - .offset:         32
        .size:           4
        .value_kind:     hidden_block_count_x
      - .offset:         36
        .size:           4
        .value_kind:     hidden_block_count_y
      - .offset:         40
        .size:           4
        .value_kind:     hidden_block_count_z
      - .offset:         44
        .size:           2
        .value_kind:     hidden_group_size_x
      - .offset:         46
        .size:           2
        .value_kind:     hidden_group_size_y
      - .offset:         48
        .size:           2
        .value_kind:     hidden_group_size_z
      - .offset:         50
        .size:           2
        .value_kind:     hidden_remainder_x
      - .offset:         52
        .size:           2
        .value_kind:     hidden_remainder_y
      - .offset:         54
        .size:           2
        .value_kind:     hidden_remainder_z
      - .offset:         72
        .size:           8
        .value_kind:     hidden_global_offset_x
      - .offset:         80
        .size:           8
        .value_kind:     hidden_global_offset_y
      - .offset:         88
        .size:           8
        .value_kind:     hidden_global_offset_z
      - .offset:         96
        .size:           2
        .value_kind:     hidden_grid_dims
    .group_segment_fixed_size: 0
    .kernarg_segment_align: 8
    .kernarg_segment_size: 288
    .language:       OpenCL C
    .language_version:
      - 2
      - 0
    .max_flat_workgroup_size: 1024
    .name:           _ZN2at6native28tensor_kernel_scan_outer_dimIN3c108BFloat16EmZZZNS0_31launch_logcumsumexp_cuda_kernelERKNS_10TensorBaseES6_lENKUlvE_clEvENKUlvE4_clEvEUlS3_S3_E_EEvPT_PKSA_jjjSA_T1_
    .private_segment_fixed_size: 0
    .sgpr_count:     48
    .sgpr_spill_count: 0
    .symbol:         _ZN2at6native28tensor_kernel_scan_outer_dimIN3c108BFloat16EmZZZNS0_31launch_logcumsumexp_cuda_kernelERKNS_10TensorBaseES6_lENKUlvE_clEvENKUlvE4_clEvEUlS3_S3_E_EEvPT_PKSA_jjjSA_T1_.kd
    .uniform_work_group_size: 1
    .uses_dynamic_stack: false
    .vgpr_count:     21
    .vgpr_spill_count: 0
    .wavefront_size: 64
amdhsa.target:   amdgcn-amd-amdhsa--gfx906
amdhsa.version:
  - 1
  - 2
...

	.end_amdgpu_metadata
